;; amdgpu-corpus repo=pytorch/pytorch kind=compiled arch=gfx1250 opt=O3
	.amdgcn_target "amdgcn-amd-amdhsa--gfx1250"
	.amdhsa_code_object_version 6
	.section	.text._ZN2at6native29vectorized_elementwise_kernelILi16EZZZNS0_12_GLOBAL__N_115softplus_kernelERNS_18TensorIteratorBaseERKN3c106ScalarES8_ENKUlvE_clEvENKUlvE_clEvEUldE_St5arrayIPcLm2EEEEviT0_T1_,"axG",@progbits,_ZN2at6native29vectorized_elementwise_kernelILi16EZZZNS0_12_GLOBAL__N_115softplus_kernelERNS_18TensorIteratorBaseERKN3c106ScalarES8_ENKUlvE_clEvENKUlvE_clEvEUldE_St5arrayIPcLm2EEEEviT0_T1_,comdat
	.globl	_ZN2at6native29vectorized_elementwise_kernelILi16EZZZNS0_12_GLOBAL__N_115softplus_kernelERNS_18TensorIteratorBaseERKN3c106ScalarES8_ENKUlvE_clEvENKUlvE_clEvEUldE_St5arrayIPcLm2EEEEviT0_T1_ ; -- Begin function _ZN2at6native29vectorized_elementwise_kernelILi16EZZZNS0_12_GLOBAL__N_115softplus_kernelERNS_18TensorIteratorBaseERKN3c106ScalarES8_ENKUlvE_clEvENKUlvE_clEvEUldE_St5arrayIPcLm2EEEEviT0_T1_
	.p2align	8
	.type	_ZN2at6native29vectorized_elementwise_kernelILi16EZZZNS0_12_GLOBAL__N_115softplus_kernelERNS_18TensorIteratorBaseERKN3c106ScalarES8_ENKUlvE_clEvENKUlvE_clEvEUldE_St5arrayIPcLm2EEEEviT0_T1_,@function
_ZN2at6native29vectorized_elementwise_kernelILi16EZZZNS0_12_GLOBAL__N_115softplus_kernelERNS_18TensorIteratorBaseERKN3c106ScalarES8_ENKUlvE_clEvENKUlvE_clEvEUldE_St5arrayIPcLm2EEEEviT0_T1_: ; @_ZN2at6native29vectorized_elementwise_kernelILi16EZZZNS0_12_GLOBAL__N_115softplus_kernelERNS_18TensorIteratorBaseERKN3c106ScalarES8_ENKUlvE_clEvENKUlvE_clEvEUldE_St5arrayIPcLm2EEEEviT0_T1_
; %bb.0:
	s_clause 0x1
	s_load_b32 s2, s[0:1], 0x0
	s_load_b256 s[4:11], s[0:1], 0x8
	s_wait_xcnt 0x0
	s_bfe_u32 s0, ttmp6, 0x4000c
	s_and_b32 s1, ttmp6, 15
	s_add_co_i32 s0, s0, 1
	s_getreg_b32 s3, hwreg(HW_REG_IB_STS2, 6, 4)
	s_mul_i32 s0, ttmp9, s0
	s_delay_alu instid0(SALU_CYCLE_1) | instskip(SKIP_2) | instid1(SALU_CYCLE_1)
	s_add_co_i32 s1, s1, s0
	s_cmp_eq_u32 s3, 0
	s_cselect_b32 s0, ttmp9, s1
	s_lshl_b32 s12, s0, 10
	s_mov_b32 s0, -1
	s_wait_kmcnt 0x0
	s_sub_co_i32 s14, s2, s12
	s_delay_alu instid0(SALU_CYCLE_1)
	s_cmp_gt_i32 s14, 0x3ff
	s_cbranch_scc0 .LBB0_10
; %bb.1:
	s_ashr_i32 s13, s12, 31
	v_lshlrev_b32_e32 v1, 5, v0
	s_lshl_b64 s[2:3], s[12:13], 3
	s_mov_b32 s13, exec_lo
	s_add_nc_u64 s[0:1], s[10:11], s[2:3]
	s_clause 0x1
	global_load_b128 v[6:9], v1, s[0:1]
	global_load_b128 v[2:5], v1, s[0:1] offset:16
	s_wait_loadcnt 0x1
	v_mul_f64_e32 v[10:11], s[4:5], v[6:7]
	s_wait_xcnt 0x0
	s_delay_alu instid0(VALU_DEP_1)
	v_cmpx_nlt_f64_e32 s[6:7], v[10:11]
	s_cbranch_execz .LBB0_3
; %bb.2:
	v_mul_f64_e32 v[6:7], 0x3ff71547652b82fe, v[10:11]
	s_mov_b64 s[0:1], 0x3e5ade156a5dcb37
	v_cmp_nlt_f64_e32 vcc_lo, 0x40900000, v[10:11]
	s_delay_alu instid0(VALU_DEP_2) | instskip(NEXT) | instid1(VALU_DEP_1)
	v_rndne_f64_e32 v[6:7], v[6:7]
	v_fmamk_f64 v[12:13], v[6:7], 0xbfe62e42fefa39ef, v[10:11]
	v_cvt_i32_f64_e32 v16, v[6:7]
	s_delay_alu instid0(VALU_DEP_2) | instskip(NEXT) | instid1(VALU_DEP_1)
	v_fmamk_f64 v[12:13], v[6:7], 0xbc7abc9e3b39803f, v[12:13]
	v_fmaak_f64 v[14:15], s[0:1], v[12:13], 0x3e928af3fca7ab0c
	v_cmp_ngt_f64_e64 s0, 0xc090cc00, v[10:11]
	s_delay_alu instid0(VALU_DEP_2) | instskip(NEXT) | instid1(VALU_DEP_1)
	v_fmaak_f64 v[14:15], v[12:13], v[14:15], 0x3ec71dee623fde64
	v_fmaak_f64 v[14:15], v[12:13], v[14:15], 0x3efa01997c89e6b0
	s_delay_alu instid0(VALU_DEP_1) | instskip(NEXT) | instid1(VALU_DEP_1)
	v_fmaak_f64 v[14:15], v[12:13], v[14:15], 0x3f2a01a014761f6e
	v_fmaak_f64 v[14:15], v[12:13], v[14:15], 0x3f56c16c1852b7b0
	s_delay_alu instid0(VALU_DEP_1) | instskip(NEXT) | instid1(VALU_DEP_1)
	;; [unrolled: 3-line block ×4, first 2 shown]
	v_fma_f64 v[14:15], v[12:13], v[14:15], 1.0
	v_fma_f64 v[6:7], v[12:13], v[14:15], 1.0
	s_delay_alu instid0(VALU_DEP_1) | instskip(NEXT) | instid1(VALU_DEP_1)
	v_ldexp_f64 v[6:7], v[6:7], v16
	v_cndmask_b32_e32 v7, 0x7ff00000, v7, vcc_lo
	s_and_b32 vcc_lo, s0, vcc_lo
	s_delay_alu instid0(VALU_DEP_1) | instid1(SALU_CYCLE_1)
	v_dual_cndmask_b32 v6, 0, v6, vcc_lo :: v_dual_cndmask_b32 v7, 0, v7, s0
	s_mov_b64 s[0:1], 0x3fe5555555555555
	s_delay_alu instid0(VALU_DEP_1) | instskip(NEXT) | instid1(VALU_DEP_1)
	v_add_f64_e32 v[10:11], 1.0, v[6:7]
	v_frexp_mant_f64_e32 v[12:13], v[10:11]
	v_frexp_exp_i32_f64_e32 v16, v[10:11]
	v_add_f64_e32 v[14:15], -1.0, v[10:11]
	s_delay_alu instid0(VALU_DEP_3) | instskip(SKIP_1) | instid1(VALU_DEP_2)
	v_cmp_gt_f64_e32 vcc_lo, s[0:1], v[12:13]
	s_mov_b64 s[0:1], 0x3fc3ab76bf559e2b
	v_add_f64_e64 v[12:13], v[14:15], -v[10:11]
	v_add_f64_e64 v[14:15], v[6:7], -v[14:15]
	v_subrev_co_ci_u32_e64 v32, null, 0, v16, vcc_lo
	s_delay_alu instid0(VALU_DEP_3) | instskip(SKIP_1) | instid1(VALU_DEP_3)
	v_add_f64_e32 v[12:13], 1.0, v[12:13]
	v_cmp_nge_f64_e32 vcc_lo, -1.0, v[6:7]
	v_sub_nc_u32_e32 v18, 0, v32
	s_delay_alu instid0(VALU_DEP_1) | instskip(NEXT) | instid1(VALU_DEP_4)
	v_ldexp_f64 v[10:11], v[10:11], v18
	v_add_f64_e32 v[12:13], v[14:15], v[12:13]
	s_delay_alu instid0(VALU_DEP_2) | instskip(SKIP_1) | instid1(VALU_DEP_3)
	v_add_f64_e32 v[16:17], 1.0, v[10:11]
	v_add_f64_e32 v[22:23], -1.0, v[10:11]
	v_ldexp_f64 v[12:13], v[12:13], v18
	s_delay_alu instid0(VALU_DEP_3) | instskip(NEXT) | instid1(VALU_DEP_3)
	v_add_f64_e32 v[14:15], -1.0, v[16:17]
	v_add_f64_e32 v[24:25], 1.0, v[22:23]
	s_delay_alu instid0(VALU_DEP_2) | instskip(NEXT) | instid1(VALU_DEP_2)
	v_add_f64_e64 v[14:15], v[10:11], -v[14:15]
	v_add_f64_e64 v[10:11], v[10:11], -v[24:25]
	s_delay_alu instid0(VALU_DEP_2) | instskip(NEXT) | instid1(VALU_DEP_2)
	v_add_f64_e32 v[14:15], v[12:13], v[14:15]
	v_add_f64_e32 v[10:11], v[12:13], v[10:11]
	s_delay_alu instid0(VALU_DEP_2) | instskip(NEXT) | instid1(VALU_DEP_2)
	v_add_f64_e32 v[18:19], v[16:17], v[14:15]
	v_add_f64_e32 v[24:25], v[22:23], v[10:11]
	s_delay_alu instid0(VALU_DEP_2) | instskip(SKIP_1) | instid1(VALU_DEP_2)
	v_rcp_f64_e32 v[20:21], v[18:19]
	v_add_f64_e64 v[16:17], v[18:19], -v[16:17]
	v_add_f64_e64 v[22:23], v[24:25], -v[22:23]
	s_delay_alu instid0(VALU_DEP_2) | instskip(NEXT) | instid1(VALU_DEP_2)
	v_add_f64_e64 v[14:15], v[14:15], -v[16:17]
	v_add_f64_e64 v[10:11], v[10:11], -v[22:23]
	s_delay_alu instid0(TRANS32_DEP_1) | instskip(NEXT) | instid1(VALU_DEP_1)
	v_fma_f64 v[26:27], -v[18:19], v[20:21], 1.0
	v_fmac_f64_e32 v[20:21], v[26:27], v[20:21]
	s_delay_alu instid0(VALU_DEP_1) | instskip(NEXT) | instid1(VALU_DEP_1)
	v_fma_f64 v[12:13], -v[18:19], v[20:21], 1.0
	v_fmac_f64_e32 v[20:21], v[12:13], v[20:21]
	s_delay_alu instid0(VALU_DEP_1) | instskip(NEXT) | instid1(VALU_DEP_1)
	v_mul_f64_e32 v[12:13], v[24:25], v[20:21]
	v_mul_f64_e32 v[26:27], v[18:19], v[12:13]
	s_delay_alu instid0(VALU_DEP_1) | instskip(NEXT) | instid1(VALU_DEP_1)
	v_fma_f64 v[16:17], v[12:13], v[18:19], -v[26:27]
	v_fmac_f64_e32 v[16:17], v[12:13], v[14:15]
	s_delay_alu instid0(VALU_DEP_1) | instskip(NEXT) | instid1(VALU_DEP_1)
	v_add_f64_e32 v[28:29], v[26:27], v[16:17]
	v_add_f64_e64 v[30:31], v[24:25], -v[28:29]
	v_add_f64_e64 v[22:23], v[28:29], -v[26:27]
	s_delay_alu instid0(VALU_DEP_2) | instskip(NEXT) | instid1(VALU_DEP_2)
	v_add_f64_e64 v[24:25], v[24:25], -v[30:31]
	v_add_f64_e64 v[16:17], v[22:23], -v[16:17]
	s_delay_alu instid0(VALU_DEP_2) | instskip(NEXT) | instid1(VALU_DEP_1)
	v_add_f64_e64 v[24:25], v[24:25], -v[28:29]
	v_add_f64_e32 v[10:11], v[10:11], v[24:25]
	s_delay_alu instid0(VALU_DEP_1) | instskip(NEXT) | instid1(VALU_DEP_1)
	v_add_f64_e32 v[10:11], v[16:17], v[10:11]
	v_add_f64_e32 v[16:17], v[30:31], v[10:11]
	s_delay_alu instid0(VALU_DEP_1) | instskip(SKIP_1) | instid1(VALU_DEP_2)
	v_mul_f64_e32 v[22:23], v[20:21], v[16:17]
	v_add_f64_e64 v[28:29], v[30:31], -v[16:17]
	v_mul_f64_e32 v[24:25], v[18:19], v[22:23]
	s_delay_alu instid0(VALU_DEP_2) | instskip(NEXT) | instid1(VALU_DEP_2)
	v_add_f64_e32 v[10:11], v[10:11], v[28:29]
	v_fma_f64 v[18:19], v[22:23], v[18:19], -v[24:25]
	s_delay_alu instid0(VALU_DEP_1) | instskip(NEXT) | instid1(VALU_DEP_1)
	v_fmac_f64_e32 v[18:19], v[22:23], v[14:15]
	v_add_f64_e32 v[14:15], v[24:25], v[18:19]
	s_delay_alu instid0(VALU_DEP_1) | instskip(SKIP_1) | instid1(VALU_DEP_2)
	v_add_f64_e64 v[26:27], v[16:17], -v[14:15]
	v_add_f64_e64 v[24:25], v[14:15], -v[24:25]
	;; [unrolled: 1-line block ×3, first 2 shown]
	s_delay_alu instid0(VALU_DEP_1) | instskip(NEXT) | instid1(VALU_DEP_3)
	v_add_f64_e64 v[14:15], v[16:17], -v[14:15]
	v_add_f64_e64 v[16:17], v[24:25], -v[18:19]
	s_delay_alu instid0(VALU_DEP_2) | instskip(SKIP_1) | instid1(VALU_DEP_2)
	v_add_f64_e32 v[10:11], v[10:11], v[14:15]
	v_add_f64_e32 v[14:15], v[12:13], v[22:23]
	;; [unrolled: 1-line block ×3, first 2 shown]
	s_delay_alu instid0(VALU_DEP_2) | instskip(NEXT) | instid1(VALU_DEP_2)
	v_add_f64_e64 v[12:13], v[14:15], -v[12:13]
	v_add_f64_e32 v[10:11], v[26:27], v[10:11]
	s_delay_alu instid0(VALU_DEP_2) | instskip(NEXT) | instid1(VALU_DEP_2)
	v_add_f64_e64 v[12:13], v[22:23], -v[12:13]
	v_mul_f64_e32 v[10:11], v[20:21], v[10:11]
	s_delay_alu instid0(VALU_DEP_1) | instskip(NEXT) | instid1(VALU_DEP_1)
	v_add_f64_e32 v[10:11], v[12:13], v[10:11]
	v_add_f64_e32 v[12:13], v[14:15], v[10:11]
	s_delay_alu instid0(VALU_DEP_1) | instskip(NEXT) | instid1(VALU_DEP_1)
	v_mul_f64_e32 v[16:17], v[12:13], v[12:13]
	v_fmaak_f64 v[18:19], s[0:1], v[16:17], 0x3fc385386b47b09a
	v_mul_f64_e32 v[20:21], v[12:13], v[16:17]
	s_mov_b64 s[0:1], 0x3fe62e42fefa39ef
	s_delay_alu instid0(VALU_DEP_2) | instskip(NEXT) | instid1(VALU_DEP_1)
	v_fmaak_f64 v[18:19], v[16:17], v[18:19], 0x3fc7474dd7f4df2e
	v_fmaak_f64 v[18:19], v[16:17], v[18:19], 0x3fcc71c016291751
	s_delay_alu instid0(VALU_DEP_1) | instskip(NEXT) | instid1(VALU_DEP_1)
	v_fmaak_f64 v[18:19], v[16:17], v[18:19], 0x3fd249249b27acf1
	v_fmaak_f64 v[18:19], v[16:17], v[18:19], 0x3fd99999998ef7b6
	s_delay_alu instid0(VALU_DEP_1) | instskip(SKIP_2) | instid1(VALU_DEP_3)
	v_fmaak_f64 v[16:17], v[16:17], v[18:19], 0x3fe5555555555780
	v_ldexp_f64 v[18:19], v[12:13], 1
	v_add_f64_e64 v[12:13], v[12:13], -v[14:15]
	v_mul_f64_e32 v[16:17], v[20:21], v[16:17]
	v_cvt_f64_i32_e32 v[20:21], v32
	s_delay_alu instid0(VALU_DEP_3) | instskip(NEXT) | instid1(VALU_DEP_3)
	v_add_f64_e64 v[10:11], v[10:11], -v[12:13]
	v_add_f64_e32 v[14:15], v[18:19], v[16:17]
	s_delay_alu instid0(VALU_DEP_2) | instskip(NEXT) | instid1(VALU_DEP_2)
	v_ldexp_f64 v[10:11], v[10:11], 1
	v_add_f64_e64 v[12:13], v[14:15], -v[18:19]
	v_mul_f64_e32 v[18:19], 0x3fe62e42fefa39ef, v[20:21]
	s_delay_alu instid0(VALU_DEP_2) | instskip(NEXT) | instid1(VALU_DEP_2)
	v_add_f64_e64 v[12:13], v[16:17], -v[12:13]
	v_fma_f64 v[16:17], v[20:21], s[0:1], -v[18:19]
	v_cmp_neq_f64_e64 s0, 0x7ff00000, v[6:7]
	v_cmp_ngt_f64_e64 s1, -1.0, v[6:7]
	s_delay_alu instid0(VALU_DEP_4) | instskip(NEXT) | instid1(VALU_DEP_4)
	v_add_f64_e32 v[10:11], v[10:11], v[12:13]
	v_fmamk_f64 v[12:13], v[20:21], 0x3c7abc9e3b39803f, v[16:17]
	s_and_b32 vcc_lo, vcc_lo, s0
	s_delay_alu instid0(VALU_DEP_1) | instskip(NEXT) | instid1(VALU_DEP_3)
	v_add_f64_e32 v[16:17], v[18:19], v[12:13]
	v_add_f64_e32 v[20:21], v[14:15], v[10:11]
	s_delay_alu instid0(VALU_DEP_2) | instskip(NEXT) | instid1(VALU_DEP_2)
	v_add_f64_e64 v[18:19], v[16:17], -v[18:19]
	v_add_f64_e32 v[22:23], v[16:17], v[20:21]
	v_add_f64_e64 v[14:15], v[20:21], -v[14:15]
	s_delay_alu instid0(VALU_DEP_3) | instskip(NEXT) | instid1(VALU_DEP_3)
	v_add_f64_e64 v[12:13], v[12:13], -v[18:19]
	v_add_f64_e64 v[24:25], v[22:23], -v[16:17]
	s_delay_alu instid0(VALU_DEP_3) | instskip(NEXT) | instid1(VALU_DEP_2)
	v_add_f64_e64 v[10:11], v[10:11], -v[14:15]
	v_add_f64_e64 v[26:27], v[22:23], -v[24:25]
	;; [unrolled: 1-line block ×3, first 2 shown]
	s_delay_alu instid0(VALU_DEP_3) | instskip(NEXT) | instid1(VALU_DEP_3)
	v_add_f64_e32 v[18:19], v[12:13], v[10:11]
	v_add_f64_e64 v[16:17], v[16:17], -v[26:27]
	s_delay_alu instid0(VALU_DEP_1) | instskip(NEXT) | instid1(VALU_DEP_3)
	v_add_f64_e32 v[14:15], v[14:15], v[16:17]
	v_add_f64_e64 v[16:17], v[18:19], -v[12:13]
	s_delay_alu instid0(VALU_DEP_2) | instskip(NEXT) | instid1(VALU_DEP_2)
	v_add_f64_e32 v[14:15], v[18:19], v[14:15]
	v_add_f64_e64 v[18:19], v[18:19], -v[16:17]
	v_add_f64_e64 v[10:11], v[10:11], -v[16:17]
	s_delay_alu instid0(VALU_DEP_3) | instskip(NEXT) | instid1(VALU_DEP_3)
	v_add_f64_e32 v[20:21], v[22:23], v[14:15]
	v_add_f64_e64 v[12:13], v[12:13], -v[18:19]
	s_delay_alu instid0(VALU_DEP_2) | instskip(NEXT) | instid1(VALU_DEP_2)
	v_add_f64_e64 v[16:17], v[20:21], -v[22:23]
	v_add_f64_e32 v[10:11], v[10:11], v[12:13]
	s_delay_alu instid0(VALU_DEP_2) | instskip(NEXT) | instid1(VALU_DEP_1)
	v_add_f64_e64 v[12:13], v[14:15], -v[16:17]
	v_add_f64_e32 v[10:11], v[10:11], v[12:13]
	s_delay_alu instid0(VALU_DEP_1) | instskip(NEXT) | instid1(VALU_DEP_1)
	v_add_f64_e32 v[10:11], v[20:21], v[10:11]
	v_cndmask_b32_e32 v10, 0, v10, vcc_lo
	v_cmp_neq_f64_e32 vcc_lo, -1.0, v[6:7]
	s_delay_alu instid0(VALU_DEP_3) | instskip(NEXT) | instid1(VALU_DEP_1)
	v_cndmask_b32_e64 v11, 0x7ff00000, v11, s0
	v_cndmask_b32_e64 v11, 0x7ff80000, v11, s1
	s_delay_alu instid0(VALU_DEP_1) | instskip(NEXT) | instid1(VALU_DEP_1)
	v_cndmask_b32_e32 v11, 0xfff00000, v11, vcc_lo
	v_div_scale_f64 v[6:7], null, s[4:5], s[4:5], v[10:11]
	s_delay_alu instid0(VALU_DEP_1) | instskip(SKIP_1) | instid1(TRANS32_DEP_1)
	v_rcp_f64_e32 v[12:13], v[6:7]
	v_nop
	v_fma_f64 v[14:15], -v[6:7], v[12:13], 1.0
	s_delay_alu instid0(VALU_DEP_1) | instskip(NEXT) | instid1(VALU_DEP_1)
	v_fmac_f64_e32 v[12:13], v[12:13], v[14:15]
	v_fma_f64 v[14:15], -v[6:7], v[12:13], 1.0
	s_delay_alu instid0(VALU_DEP_1) | instskip(SKIP_1) | instid1(VALU_DEP_1)
	v_fmac_f64_e32 v[12:13], v[12:13], v[14:15]
	v_div_scale_f64 v[14:15], vcc_lo, v[10:11], s[4:5], v[10:11]
	v_mul_f64_e32 v[16:17], v[14:15], v[12:13]
	s_delay_alu instid0(VALU_DEP_1) | instskip(NEXT) | instid1(VALU_DEP_1)
	v_fma_f64 v[6:7], -v[6:7], v[16:17], v[14:15]
	v_div_fmas_f64 v[6:7], v[6:7], v[12:13], v[16:17]
	s_delay_alu instid0(VALU_DEP_1)
	v_div_fixup_f64 v[6:7], v[6:7], s[4:5], v[10:11]
.LBB0_3:
	s_or_b32 exec_lo, exec_lo, s13
	v_mul_f64_e32 v[10:11], s[4:5], v[8:9]
	s_mov_b32 s13, exec_lo
	s_delay_alu instid0(VALU_DEP_1)
	v_cmpx_nlt_f64_e32 s[6:7], v[10:11]
	s_cbranch_execz .LBB0_5
; %bb.4:
	v_mul_f64_e32 v[8:9], 0x3ff71547652b82fe, v[10:11]
	s_mov_b64 s[0:1], 0x3e5ade156a5dcb37
	v_cmp_nlt_f64_e32 vcc_lo, 0x40900000, v[10:11]
	s_delay_alu instid0(VALU_DEP_2) | instskip(NEXT) | instid1(VALU_DEP_1)
	v_rndne_f64_e32 v[8:9], v[8:9]
	v_fmamk_f64 v[12:13], v[8:9], 0xbfe62e42fefa39ef, v[10:11]
	v_cvt_i32_f64_e32 v16, v[8:9]
	s_delay_alu instid0(VALU_DEP_2) | instskip(NEXT) | instid1(VALU_DEP_1)
	v_fmamk_f64 v[12:13], v[8:9], 0xbc7abc9e3b39803f, v[12:13]
	v_fmaak_f64 v[14:15], s[0:1], v[12:13], 0x3e928af3fca7ab0c
	v_cmp_ngt_f64_e64 s0, 0xc090cc00, v[10:11]
	s_delay_alu instid0(VALU_DEP_2) | instskip(NEXT) | instid1(VALU_DEP_1)
	v_fmaak_f64 v[14:15], v[12:13], v[14:15], 0x3ec71dee623fde64
	v_fmaak_f64 v[14:15], v[12:13], v[14:15], 0x3efa01997c89e6b0
	s_delay_alu instid0(VALU_DEP_1) | instskip(NEXT) | instid1(VALU_DEP_1)
	v_fmaak_f64 v[14:15], v[12:13], v[14:15], 0x3f2a01a014761f6e
	v_fmaak_f64 v[14:15], v[12:13], v[14:15], 0x3f56c16c1852b7b0
	s_delay_alu instid0(VALU_DEP_1) | instskip(NEXT) | instid1(VALU_DEP_1)
	;; [unrolled: 3-line block ×4, first 2 shown]
	v_fma_f64 v[14:15], v[12:13], v[14:15], 1.0
	v_fma_f64 v[8:9], v[12:13], v[14:15], 1.0
	s_delay_alu instid0(VALU_DEP_1) | instskip(NEXT) | instid1(VALU_DEP_1)
	v_ldexp_f64 v[8:9], v[8:9], v16
	v_cndmask_b32_e32 v9, 0x7ff00000, v9, vcc_lo
	s_and_b32 vcc_lo, s0, vcc_lo
	s_delay_alu instid0(VALU_DEP_1) | instid1(SALU_CYCLE_1)
	v_dual_cndmask_b32 v8, 0, v8, vcc_lo :: v_dual_cndmask_b32 v9, 0, v9, s0
	s_mov_b64 s[0:1], 0x3fe5555555555555
	s_delay_alu instid0(VALU_DEP_1) | instskip(NEXT) | instid1(VALU_DEP_1)
	v_add_f64_e32 v[10:11], 1.0, v[8:9]
	v_frexp_mant_f64_e32 v[12:13], v[10:11]
	v_frexp_exp_i32_f64_e32 v16, v[10:11]
	v_add_f64_e32 v[14:15], -1.0, v[10:11]
	s_delay_alu instid0(VALU_DEP_3) | instskip(SKIP_1) | instid1(VALU_DEP_2)
	v_cmp_gt_f64_e32 vcc_lo, s[0:1], v[12:13]
	s_mov_b64 s[0:1], 0x3fc3ab76bf559e2b
	v_add_f64_e64 v[12:13], v[14:15], -v[10:11]
	v_add_f64_e64 v[14:15], v[8:9], -v[14:15]
	v_subrev_co_ci_u32_e64 v32, null, 0, v16, vcc_lo
	s_delay_alu instid0(VALU_DEP_3) | instskip(SKIP_1) | instid1(VALU_DEP_3)
	v_add_f64_e32 v[12:13], 1.0, v[12:13]
	v_cmp_nge_f64_e32 vcc_lo, -1.0, v[8:9]
	v_sub_nc_u32_e32 v18, 0, v32
	s_delay_alu instid0(VALU_DEP_1) | instskip(NEXT) | instid1(VALU_DEP_4)
	v_ldexp_f64 v[10:11], v[10:11], v18
	v_add_f64_e32 v[12:13], v[14:15], v[12:13]
	s_delay_alu instid0(VALU_DEP_2) | instskip(SKIP_1) | instid1(VALU_DEP_3)
	v_add_f64_e32 v[16:17], 1.0, v[10:11]
	v_add_f64_e32 v[22:23], -1.0, v[10:11]
	v_ldexp_f64 v[12:13], v[12:13], v18
	s_delay_alu instid0(VALU_DEP_3) | instskip(NEXT) | instid1(VALU_DEP_3)
	v_add_f64_e32 v[14:15], -1.0, v[16:17]
	v_add_f64_e32 v[24:25], 1.0, v[22:23]
	s_delay_alu instid0(VALU_DEP_2) | instskip(NEXT) | instid1(VALU_DEP_2)
	v_add_f64_e64 v[14:15], v[10:11], -v[14:15]
	v_add_f64_e64 v[10:11], v[10:11], -v[24:25]
	s_delay_alu instid0(VALU_DEP_2) | instskip(NEXT) | instid1(VALU_DEP_2)
	v_add_f64_e32 v[14:15], v[12:13], v[14:15]
	v_add_f64_e32 v[10:11], v[12:13], v[10:11]
	s_delay_alu instid0(VALU_DEP_2) | instskip(NEXT) | instid1(VALU_DEP_2)
	v_add_f64_e32 v[18:19], v[16:17], v[14:15]
	v_add_f64_e32 v[24:25], v[22:23], v[10:11]
	s_delay_alu instid0(VALU_DEP_2) | instskip(SKIP_1) | instid1(VALU_DEP_2)
	v_rcp_f64_e32 v[20:21], v[18:19]
	v_add_f64_e64 v[16:17], v[18:19], -v[16:17]
	v_add_f64_e64 v[22:23], v[24:25], -v[22:23]
	s_delay_alu instid0(VALU_DEP_2) | instskip(NEXT) | instid1(VALU_DEP_2)
	v_add_f64_e64 v[14:15], v[14:15], -v[16:17]
	v_add_f64_e64 v[10:11], v[10:11], -v[22:23]
	s_delay_alu instid0(TRANS32_DEP_1) | instskip(NEXT) | instid1(VALU_DEP_1)
	v_fma_f64 v[26:27], -v[18:19], v[20:21], 1.0
	v_fmac_f64_e32 v[20:21], v[26:27], v[20:21]
	s_delay_alu instid0(VALU_DEP_1) | instskip(NEXT) | instid1(VALU_DEP_1)
	v_fma_f64 v[12:13], -v[18:19], v[20:21], 1.0
	v_fmac_f64_e32 v[20:21], v[12:13], v[20:21]
	s_delay_alu instid0(VALU_DEP_1) | instskip(NEXT) | instid1(VALU_DEP_1)
	v_mul_f64_e32 v[12:13], v[24:25], v[20:21]
	v_mul_f64_e32 v[26:27], v[18:19], v[12:13]
	s_delay_alu instid0(VALU_DEP_1) | instskip(NEXT) | instid1(VALU_DEP_1)
	v_fma_f64 v[16:17], v[12:13], v[18:19], -v[26:27]
	v_fmac_f64_e32 v[16:17], v[12:13], v[14:15]
	s_delay_alu instid0(VALU_DEP_1) | instskip(NEXT) | instid1(VALU_DEP_1)
	v_add_f64_e32 v[28:29], v[26:27], v[16:17]
	v_add_f64_e64 v[30:31], v[24:25], -v[28:29]
	v_add_f64_e64 v[22:23], v[28:29], -v[26:27]
	s_delay_alu instid0(VALU_DEP_2) | instskip(NEXT) | instid1(VALU_DEP_2)
	v_add_f64_e64 v[24:25], v[24:25], -v[30:31]
	v_add_f64_e64 v[16:17], v[22:23], -v[16:17]
	s_delay_alu instid0(VALU_DEP_2) | instskip(NEXT) | instid1(VALU_DEP_1)
	v_add_f64_e64 v[24:25], v[24:25], -v[28:29]
	v_add_f64_e32 v[10:11], v[10:11], v[24:25]
	s_delay_alu instid0(VALU_DEP_1) | instskip(NEXT) | instid1(VALU_DEP_1)
	v_add_f64_e32 v[10:11], v[16:17], v[10:11]
	v_add_f64_e32 v[16:17], v[30:31], v[10:11]
	s_delay_alu instid0(VALU_DEP_1) | instskip(SKIP_1) | instid1(VALU_DEP_2)
	v_mul_f64_e32 v[22:23], v[20:21], v[16:17]
	v_add_f64_e64 v[28:29], v[30:31], -v[16:17]
	v_mul_f64_e32 v[24:25], v[18:19], v[22:23]
	s_delay_alu instid0(VALU_DEP_2) | instskip(NEXT) | instid1(VALU_DEP_2)
	v_add_f64_e32 v[10:11], v[10:11], v[28:29]
	v_fma_f64 v[18:19], v[22:23], v[18:19], -v[24:25]
	s_delay_alu instid0(VALU_DEP_1) | instskip(NEXT) | instid1(VALU_DEP_1)
	v_fmac_f64_e32 v[18:19], v[22:23], v[14:15]
	v_add_f64_e32 v[14:15], v[24:25], v[18:19]
	s_delay_alu instid0(VALU_DEP_1) | instskip(SKIP_1) | instid1(VALU_DEP_2)
	v_add_f64_e64 v[26:27], v[16:17], -v[14:15]
	v_add_f64_e64 v[24:25], v[14:15], -v[24:25]
	;; [unrolled: 1-line block ×3, first 2 shown]
	s_delay_alu instid0(VALU_DEP_1) | instskip(NEXT) | instid1(VALU_DEP_3)
	v_add_f64_e64 v[14:15], v[16:17], -v[14:15]
	v_add_f64_e64 v[16:17], v[24:25], -v[18:19]
	s_delay_alu instid0(VALU_DEP_2) | instskip(SKIP_1) | instid1(VALU_DEP_2)
	v_add_f64_e32 v[10:11], v[10:11], v[14:15]
	v_add_f64_e32 v[14:15], v[12:13], v[22:23]
	;; [unrolled: 1-line block ×3, first 2 shown]
	s_delay_alu instid0(VALU_DEP_2) | instskip(NEXT) | instid1(VALU_DEP_2)
	v_add_f64_e64 v[12:13], v[14:15], -v[12:13]
	v_add_f64_e32 v[10:11], v[26:27], v[10:11]
	s_delay_alu instid0(VALU_DEP_2) | instskip(NEXT) | instid1(VALU_DEP_2)
	v_add_f64_e64 v[12:13], v[22:23], -v[12:13]
	v_mul_f64_e32 v[10:11], v[20:21], v[10:11]
	s_delay_alu instid0(VALU_DEP_1) | instskip(NEXT) | instid1(VALU_DEP_1)
	v_add_f64_e32 v[10:11], v[12:13], v[10:11]
	v_add_f64_e32 v[12:13], v[14:15], v[10:11]
	s_delay_alu instid0(VALU_DEP_1) | instskip(NEXT) | instid1(VALU_DEP_1)
	v_mul_f64_e32 v[16:17], v[12:13], v[12:13]
	v_fmaak_f64 v[18:19], s[0:1], v[16:17], 0x3fc385386b47b09a
	v_mul_f64_e32 v[20:21], v[12:13], v[16:17]
	s_mov_b64 s[0:1], 0x3fe62e42fefa39ef
	s_delay_alu instid0(VALU_DEP_2) | instskip(NEXT) | instid1(VALU_DEP_1)
	v_fmaak_f64 v[18:19], v[16:17], v[18:19], 0x3fc7474dd7f4df2e
	v_fmaak_f64 v[18:19], v[16:17], v[18:19], 0x3fcc71c016291751
	s_delay_alu instid0(VALU_DEP_1) | instskip(NEXT) | instid1(VALU_DEP_1)
	v_fmaak_f64 v[18:19], v[16:17], v[18:19], 0x3fd249249b27acf1
	v_fmaak_f64 v[18:19], v[16:17], v[18:19], 0x3fd99999998ef7b6
	s_delay_alu instid0(VALU_DEP_1) | instskip(SKIP_2) | instid1(VALU_DEP_3)
	v_fmaak_f64 v[16:17], v[16:17], v[18:19], 0x3fe5555555555780
	v_ldexp_f64 v[18:19], v[12:13], 1
	v_add_f64_e64 v[12:13], v[12:13], -v[14:15]
	v_mul_f64_e32 v[16:17], v[20:21], v[16:17]
	v_cvt_f64_i32_e32 v[20:21], v32
	s_delay_alu instid0(VALU_DEP_3) | instskip(NEXT) | instid1(VALU_DEP_3)
	v_add_f64_e64 v[10:11], v[10:11], -v[12:13]
	v_add_f64_e32 v[14:15], v[18:19], v[16:17]
	s_delay_alu instid0(VALU_DEP_2) | instskip(NEXT) | instid1(VALU_DEP_2)
	v_ldexp_f64 v[10:11], v[10:11], 1
	v_add_f64_e64 v[12:13], v[14:15], -v[18:19]
	v_mul_f64_e32 v[18:19], 0x3fe62e42fefa39ef, v[20:21]
	s_delay_alu instid0(VALU_DEP_2) | instskip(NEXT) | instid1(VALU_DEP_2)
	v_add_f64_e64 v[12:13], v[16:17], -v[12:13]
	v_fma_f64 v[16:17], v[20:21], s[0:1], -v[18:19]
	v_cmp_neq_f64_e64 s0, 0x7ff00000, v[8:9]
	v_cmp_ngt_f64_e64 s1, -1.0, v[8:9]
	s_delay_alu instid0(VALU_DEP_4) | instskip(NEXT) | instid1(VALU_DEP_4)
	v_add_f64_e32 v[10:11], v[10:11], v[12:13]
	v_fmamk_f64 v[12:13], v[20:21], 0x3c7abc9e3b39803f, v[16:17]
	s_and_b32 vcc_lo, vcc_lo, s0
	s_delay_alu instid0(VALU_DEP_1) | instskip(NEXT) | instid1(VALU_DEP_3)
	v_add_f64_e32 v[16:17], v[18:19], v[12:13]
	v_add_f64_e32 v[20:21], v[14:15], v[10:11]
	s_delay_alu instid0(VALU_DEP_2) | instskip(NEXT) | instid1(VALU_DEP_2)
	v_add_f64_e64 v[18:19], v[16:17], -v[18:19]
	v_add_f64_e32 v[22:23], v[16:17], v[20:21]
	v_add_f64_e64 v[14:15], v[20:21], -v[14:15]
	s_delay_alu instid0(VALU_DEP_3) | instskip(NEXT) | instid1(VALU_DEP_3)
	v_add_f64_e64 v[12:13], v[12:13], -v[18:19]
	v_add_f64_e64 v[24:25], v[22:23], -v[16:17]
	s_delay_alu instid0(VALU_DEP_3) | instskip(NEXT) | instid1(VALU_DEP_2)
	v_add_f64_e64 v[10:11], v[10:11], -v[14:15]
	v_add_f64_e64 v[26:27], v[22:23], -v[24:25]
	;; [unrolled: 1-line block ×3, first 2 shown]
	s_delay_alu instid0(VALU_DEP_3) | instskip(NEXT) | instid1(VALU_DEP_3)
	v_add_f64_e32 v[18:19], v[12:13], v[10:11]
	v_add_f64_e64 v[16:17], v[16:17], -v[26:27]
	s_delay_alu instid0(VALU_DEP_1) | instskip(NEXT) | instid1(VALU_DEP_3)
	v_add_f64_e32 v[14:15], v[14:15], v[16:17]
	v_add_f64_e64 v[16:17], v[18:19], -v[12:13]
	s_delay_alu instid0(VALU_DEP_2) | instskip(NEXT) | instid1(VALU_DEP_2)
	v_add_f64_e32 v[14:15], v[18:19], v[14:15]
	v_add_f64_e64 v[18:19], v[18:19], -v[16:17]
	v_add_f64_e64 v[10:11], v[10:11], -v[16:17]
	s_delay_alu instid0(VALU_DEP_3) | instskip(NEXT) | instid1(VALU_DEP_3)
	v_add_f64_e32 v[20:21], v[22:23], v[14:15]
	v_add_f64_e64 v[12:13], v[12:13], -v[18:19]
	s_delay_alu instid0(VALU_DEP_2) | instskip(NEXT) | instid1(VALU_DEP_2)
	v_add_f64_e64 v[16:17], v[20:21], -v[22:23]
	v_add_f64_e32 v[10:11], v[10:11], v[12:13]
	s_delay_alu instid0(VALU_DEP_2) | instskip(NEXT) | instid1(VALU_DEP_1)
	v_add_f64_e64 v[12:13], v[14:15], -v[16:17]
	v_add_f64_e32 v[10:11], v[10:11], v[12:13]
	s_delay_alu instid0(VALU_DEP_1) | instskip(NEXT) | instid1(VALU_DEP_1)
	v_add_f64_e32 v[10:11], v[20:21], v[10:11]
	v_cndmask_b32_e32 v10, 0, v10, vcc_lo
	v_cmp_neq_f64_e32 vcc_lo, -1.0, v[8:9]
	s_delay_alu instid0(VALU_DEP_3) | instskip(NEXT) | instid1(VALU_DEP_1)
	v_cndmask_b32_e64 v11, 0x7ff00000, v11, s0
	v_cndmask_b32_e64 v11, 0x7ff80000, v11, s1
	s_delay_alu instid0(VALU_DEP_1) | instskip(NEXT) | instid1(VALU_DEP_1)
	v_cndmask_b32_e32 v11, 0xfff00000, v11, vcc_lo
	v_div_scale_f64 v[8:9], null, s[4:5], s[4:5], v[10:11]
	s_delay_alu instid0(VALU_DEP_1) | instskip(SKIP_1) | instid1(TRANS32_DEP_1)
	v_rcp_f64_e32 v[12:13], v[8:9]
	v_nop
	v_fma_f64 v[14:15], -v[8:9], v[12:13], 1.0
	s_delay_alu instid0(VALU_DEP_1) | instskip(NEXT) | instid1(VALU_DEP_1)
	v_fmac_f64_e32 v[12:13], v[12:13], v[14:15]
	v_fma_f64 v[14:15], -v[8:9], v[12:13], 1.0
	s_delay_alu instid0(VALU_DEP_1) | instskip(SKIP_1) | instid1(VALU_DEP_1)
	v_fmac_f64_e32 v[12:13], v[12:13], v[14:15]
	v_div_scale_f64 v[14:15], vcc_lo, v[10:11], s[4:5], v[10:11]
	v_mul_f64_e32 v[16:17], v[14:15], v[12:13]
	s_delay_alu instid0(VALU_DEP_1) | instskip(NEXT) | instid1(VALU_DEP_1)
	v_fma_f64 v[8:9], -v[8:9], v[16:17], v[14:15]
	v_div_fmas_f64 v[8:9], v[8:9], v[12:13], v[16:17]
	s_delay_alu instid0(VALU_DEP_1)
	v_div_fixup_f64 v[8:9], v[8:9], s[4:5], v[10:11]
.LBB0_5:
	s_or_b32 exec_lo, exec_lo, s13
	s_wait_loadcnt 0x0
	v_mul_f64_e32 v[10:11], s[4:5], v[2:3]
	s_mov_b32 s13, exec_lo
	s_delay_alu instid0(VALU_DEP_1)
	v_cmpx_nlt_f64_e32 s[6:7], v[10:11]
	s_cbranch_execz .LBB0_7
; %bb.6:
	v_mul_f64_e32 v[2:3], 0x3ff71547652b82fe, v[10:11]
	s_mov_b64 s[0:1], 0x3e5ade156a5dcb37
	v_cmp_nlt_f64_e32 vcc_lo, 0x40900000, v[10:11]
	s_delay_alu instid0(VALU_DEP_2) | instskip(NEXT) | instid1(VALU_DEP_1)
	v_rndne_f64_e32 v[2:3], v[2:3]
	v_fmamk_f64 v[12:13], v[2:3], 0xbfe62e42fefa39ef, v[10:11]
	v_cvt_i32_f64_e32 v16, v[2:3]
	s_delay_alu instid0(VALU_DEP_2) | instskip(NEXT) | instid1(VALU_DEP_1)
	v_fmamk_f64 v[12:13], v[2:3], 0xbc7abc9e3b39803f, v[12:13]
	v_fmaak_f64 v[14:15], s[0:1], v[12:13], 0x3e928af3fca7ab0c
	v_cmp_ngt_f64_e64 s0, 0xc090cc00, v[10:11]
	s_delay_alu instid0(VALU_DEP_2) | instskip(NEXT) | instid1(VALU_DEP_1)
	v_fmaak_f64 v[14:15], v[12:13], v[14:15], 0x3ec71dee623fde64
	v_fmaak_f64 v[14:15], v[12:13], v[14:15], 0x3efa01997c89e6b0
	s_delay_alu instid0(VALU_DEP_1) | instskip(NEXT) | instid1(VALU_DEP_1)
	v_fmaak_f64 v[14:15], v[12:13], v[14:15], 0x3f2a01a014761f6e
	v_fmaak_f64 v[14:15], v[12:13], v[14:15], 0x3f56c16c1852b7b0
	s_delay_alu instid0(VALU_DEP_1) | instskip(NEXT) | instid1(VALU_DEP_1)
	;; [unrolled: 3-line block ×4, first 2 shown]
	v_fma_f64 v[14:15], v[12:13], v[14:15], 1.0
	v_fma_f64 v[2:3], v[12:13], v[14:15], 1.0
	s_delay_alu instid0(VALU_DEP_1) | instskip(NEXT) | instid1(VALU_DEP_1)
	v_ldexp_f64 v[2:3], v[2:3], v16
	v_cndmask_b32_e32 v3, 0x7ff00000, v3, vcc_lo
	s_and_b32 vcc_lo, s0, vcc_lo
	s_delay_alu instid0(VALU_DEP_1) | instid1(SALU_CYCLE_1)
	v_dual_cndmask_b32 v2, 0, v2, vcc_lo :: v_dual_cndmask_b32 v3, 0, v3, s0
	s_mov_b64 s[0:1], 0x3fe5555555555555
	s_delay_alu instid0(VALU_DEP_1) | instskip(NEXT) | instid1(VALU_DEP_1)
	v_add_f64_e32 v[10:11], 1.0, v[2:3]
	v_frexp_mant_f64_e32 v[12:13], v[10:11]
	v_frexp_exp_i32_f64_e32 v16, v[10:11]
	v_add_f64_e32 v[14:15], -1.0, v[10:11]
	s_delay_alu instid0(VALU_DEP_3) | instskip(SKIP_1) | instid1(VALU_DEP_2)
	v_cmp_gt_f64_e32 vcc_lo, s[0:1], v[12:13]
	s_mov_b64 s[0:1], 0x3fc3ab76bf559e2b
	v_add_f64_e64 v[12:13], v[14:15], -v[10:11]
	v_add_f64_e64 v[14:15], v[2:3], -v[14:15]
	v_subrev_co_ci_u32_e64 v32, null, 0, v16, vcc_lo
	s_delay_alu instid0(VALU_DEP_3) | instskip(SKIP_1) | instid1(VALU_DEP_3)
	v_add_f64_e32 v[12:13], 1.0, v[12:13]
	v_cmp_nge_f64_e32 vcc_lo, -1.0, v[2:3]
	v_sub_nc_u32_e32 v18, 0, v32
	s_delay_alu instid0(VALU_DEP_1) | instskip(NEXT) | instid1(VALU_DEP_4)
	v_ldexp_f64 v[10:11], v[10:11], v18
	v_add_f64_e32 v[12:13], v[14:15], v[12:13]
	s_delay_alu instid0(VALU_DEP_2) | instskip(SKIP_1) | instid1(VALU_DEP_3)
	v_add_f64_e32 v[16:17], 1.0, v[10:11]
	v_add_f64_e32 v[22:23], -1.0, v[10:11]
	v_ldexp_f64 v[12:13], v[12:13], v18
	s_delay_alu instid0(VALU_DEP_3) | instskip(NEXT) | instid1(VALU_DEP_3)
	v_add_f64_e32 v[14:15], -1.0, v[16:17]
	v_add_f64_e32 v[24:25], 1.0, v[22:23]
	s_delay_alu instid0(VALU_DEP_2) | instskip(NEXT) | instid1(VALU_DEP_2)
	v_add_f64_e64 v[14:15], v[10:11], -v[14:15]
	v_add_f64_e64 v[10:11], v[10:11], -v[24:25]
	s_delay_alu instid0(VALU_DEP_2) | instskip(NEXT) | instid1(VALU_DEP_2)
	v_add_f64_e32 v[14:15], v[12:13], v[14:15]
	v_add_f64_e32 v[10:11], v[12:13], v[10:11]
	s_delay_alu instid0(VALU_DEP_2) | instskip(NEXT) | instid1(VALU_DEP_2)
	v_add_f64_e32 v[18:19], v[16:17], v[14:15]
	v_add_f64_e32 v[24:25], v[22:23], v[10:11]
	s_delay_alu instid0(VALU_DEP_2) | instskip(SKIP_1) | instid1(VALU_DEP_2)
	v_rcp_f64_e32 v[20:21], v[18:19]
	v_add_f64_e64 v[16:17], v[18:19], -v[16:17]
	v_add_f64_e64 v[22:23], v[24:25], -v[22:23]
	s_delay_alu instid0(VALU_DEP_2) | instskip(NEXT) | instid1(VALU_DEP_2)
	v_add_f64_e64 v[14:15], v[14:15], -v[16:17]
	v_add_f64_e64 v[10:11], v[10:11], -v[22:23]
	s_delay_alu instid0(TRANS32_DEP_1) | instskip(NEXT) | instid1(VALU_DEP_1)
	v_fma_f64 v[26:27], -v[18:19], v[20:21], 1.0
	v_fmac_f64_e32 v[20:21], v[26:27], v[20:21]
	s_delay_alu instid0(VALU_DEP_1) | instskip(NEXT) | instid1(VALU_DEP_1)
	v_fma_f64 v[12:13], -v[18:19], v[20:21], 1.0
	v_fmac_f64_e32 v[20:21], v[12:13], v[20:21]
	s_delay_alu instid0(VALU_DEP_1) | instskip(NEXT) | instid1(VALU_DEP_1)
	v_mul_f64_e32 v[12:13], v[24:25], v[20:21]
	v_mul_f64_e32 v[26:27], v[18:19], v[12:13]
	s_delay_alu instid0(VALU_DEP_1) | instskip(NEXT) | instid1(VALU_DEP_1)
	v_fma_f64 v[16:17], v[12:13], v[18:19], -v[26:27]
	v_fmac_f64_e32 v[16:17], v[12:13], v[14:15]
	s_delay_alu instid0(VALU_DEP_1) | instskip(NEXT) | instid1(VALU_DEP_1)
	v_add_f64_e32 v[28:29], v[26:27], v[16:17]
	v_add_f64_e64 v[30:31], v[24:25], -v[28:29]
	v_add_f64_e64 v[22:23], v[28:29], -v[26:27]
	s_delay_alu instid0(VALU_DEP_2) | instskip(NEXT) | instid1(VALU_DEP_2)
	v_add_f64_e64 v[24:25], v[24:25], -v[30:31]
	v_add_f64_e64 v[16:17], v[22:23], -v[16:17]
	s_delay_alu instid0(VALU_DEP_2) | instskip(NEXT) | instid1(VALU_DEP_1)
	v_add_f64_e64 v[24:25], v[24:25], -v[28:29]
	v_add_f64_e32 v[10:11], v[10:11], v[24:25]
	s_delay_alu instid0(VALU_DEP_1) | instskip(NEXT) | instid1(VALU_DEP_1)
	v_add_f64_e32 v[10:11], v[16:17], v[10:11]
	v_add_f64_e32 v[16:17], v[30:31], v[10:11]
	s_delay_alu instid0(VALU_DEP_1) | instskip(SKIP_1) | instid1(VALU_DEP_2)
	v_mul_f64_e32 v[22:23], v[20:21], v[16:17]
	v_add_f64_e64 v[28:29], v[30:31], -v[16:17]
	v_mul_f64_e32 v[24:25], v[18:19], v[22:23]
	s_delay_alu instid0(VALU_DEP_2) | instskip(NEXT) | instid1(VALU_DEP_2)
	v_add_f64_e32 v[10:11], v[10:11], v[28:29]
	v_fma_f64 v[18:19], v[22:23], v[18:19], -v[24:25]
	s_delay_alu instid0(VALU_DEP_1) | instskip(NEXT) | instid1(VALU_DEP_1)
	v_fmac_f64_e32 v[18:19], v[22:23], v[14:15]
	v_add_f64_e32 v[14:15], v[24:25], v[18:19]
	s_delay_alu instid0(VALU_DEP_1) | instskip(SKIP_1) | instid1(VALU_DEP_2)
	v_add_f64_e64 v[26:27], v[16:17], -v[14:15]
	v_add_f64_e64 v[24:25], v[14:15], -v[24:25]
	;; [unrolled: 1-line block ×3, first 2 shown]
	s_delay_alu instid0(VALU_DEP_1) | instskip(NEXT) | instid1(VALU_DEP_3)
	v_add_f64_e64 v[14:15], v[16:17], -v[14:15]
	v_add_f64_e64 v[16:17], v[24:25], -v[18:19]
	s_delay_alu instid0(VALU_DEP_2) | instskip(SKIP_1) | instid1(VALU_DEP_2)
	v_add_f64_e32 v[10:11], v[10:11], v[14:15]
	v_add_f64_e32 v[14:15], v[12:13], v[22:23]
	v_add_f64_e32 v[10:11], v[16:17], v[10:11]
	s_delay_alu instid0(VALU_DEP_2) | instskip(NEXT) | instid1(VALU_DEP_2)
	v_add_f64_e64 v[12:13], v[14:15], -v[12:13]
	v_add_f64_e32 v[10:11], v[26:27], v[10:11]
	s_delay_alu instid0(VALU_DEP_2) | instskip(NEXT) | instid1(VALU_DEP_2)
	v_add_f64_e64 v[12:13], v[22:23], -v[12:13]
	v_mul_f64_e32 v[10:11], v[20:21], v[10:11]
	s_delay_alu instid0(VALU_DEP_1) | instskip(NEXT) | instid1(VALU_DEP_1)
	v_add_f64_e32 v[10:11], v[12:13], v[10:11]
	v_add_f64_e32 v[12:13], v[14:15], v[10:11]
	s_delay_alu instid0(VALU_DEP_1) | instskip(NEXT) | instid1(VALU_DEP_1)
	v_mul_f64_e32 v[16:17], v[12:13], v[12:13]
	v_fmaak_f64 v[18:19], s[0:1], v[16:17], 0x3fc385386b47b09a
	v_mul_f64_e32 v[20:21], v[12:13], v[16:17]
	s_mov_b64 s[0:1], 0x3fe62e42fefa39ef
	s_delay_alu instid0(VALU_DEP_2) | instskip(NEXT) | instid1(VALU_DEP_1)
	v_fmaak_f64 v[18:19], v[16:17], v[18:19], 0x3fc7474dd7f4df2e
	v_fmaak_f64 v[18:19], v[16:17], v[18:19], 0x3fcc71c016291751
	s_delay_alu instid0(VALU_DEP_1) | instskip(NEXT) | instid1(VALU_DEP_1)
	v_fmaak_f64 v[18:19], v[16:17], v[18:19], 0x3fd249249b27acf1
	v_fmaak_f64 v[18:19], v[16:17], v[18:19], 0x3fd99999998ef7b6
	s_delay_alu instid0(VALU_DEP_1) | instskip(SKIP_2) | instid1(VALU_DEP_3)
	v_fmaak_f64 v[16:17], v[16:17], v[18:19], 0x3fe5555555555780
	v_ldexp_f64 v[18:19], v[12:13], 1
	v_add_f64_e64 v[12:13], v[12:13], -v[14:15]
	v_mul_f64_e32 v[16:17], v[20:21], v[16:17]
	v_cvt_f64_i32_e32 v[20:21], v32
	s_delay_alu instid0(VALU_DEP_3) | instskip(NEXT) | instid1(VALU_DEP_3)
	v_add_f64_e64 v[10:11], v[10:11], -v[12:13]
	v_add_f64_e32 v[14:15], v[18:19], v[16:17]
	s_delay_alu instid0(VALU_DEP_2) | instskip(NEXT) | instid1(VALU_DEP_2)
	v_ldexp_f64 v[10:11], v[10:11], 1
	v_add_f64_e64 v[12:13], v[14:15], -v[18:19]
	v_mul_f64_e32 v[18:19], 0x3fe62e42fefa39ef, v[20:21]
	s_delay_alu instid0(VALU_DEP_2) | instskip(NEXT) | instid1(VALU_DEP_2)
	v_add_f64_e64 v[12:13], v[16:17], -v[12:13]
	v_fma_f64 v[16:17], v[20:21], s[0:1], -v[18:19]
	v_cmp_neq_f64_e64 s0, 0x7ff00000, v[2:3]
	v_cmp_ngt_f64_e64 s1, -1.0, v[2:3]
	s_delay_alu instid0(VALU_DEP_4) | instskip(NEXT) | instid1(VALU_DEP_4)
	v_add_f64_e32 v[10:11], v[10:11], v[12:13]
	v_fmamk_f64 v[12:13], v[20:21], 0x3c7abc9e3b39803f, v[16:17]
	s_and_b32 vcc_lo, vcc_lo, s0
	s_delay_alu instid0(VALU_DEP_1) | instskip(NEXT) | instid1(VALU_DEP_3)
	v_add_f64_e32 v[16:17], v[18:19], v[12:13]
	v_add_f64_e32 v[20:21], v[14:15], v[10:11]
	s_delay_alu instid0(VALU_DEP_2) | instskip(NEXT) | instid1(VALU_DEP_2)
	v_add_f64_e64 v[18:19], v[16:17], -v[18:19]
	v_add_f64_e32 v[22:23], v[16:17], v[20:21]
	v_add_f64_e64 v[14:15], v[20:21], -v[14:15]
	s_delay_alu instid0(VALU_DEP_3) | instskip(NEXT) | instid1(VALU_DEP_3)
	v_add_f64_e64 v[12:13], v[12:13], -v[18:19]
	v_add_f64_e64 v[24:25], v[22:23], -v[16:17]
	s_delay_alu instid0(VALU_DEP_3) | instskip(NEXT) | instid1(VALU_DEP_2)
	v_add_f64_e64 v[10:11], v[10:11], -v[14:15]
	v_add_f64_e64 v[26:27], v[22:23], -v[24:25]
	;; [unrolled: 1-line block ×3, first 2 shown]
	s_delay_alu instid0(VALU_DEP_3) | instskip(NEXT) | instid1(VALU_DEP_3)
	v_add_f64_e32 v[18:19], v[12:13], v[10:11]
	v_add_f64_e64 v[16:17], v[16:17], -v[26:27]
	s_delay_alu instid0(VALU_DEP_1) | instskip(NEXT) | instid1(VALU_DEP_3)
	v_add_f64_e32 v[14:15], v[14:15], v[16:17]
	v_add_f64_e64 v[16:17], v[18:19], -v[12:13]
	s_delay_alu instid0(VALU_DEP_2) | instskip(NEXT) | instid1(VALU_DEP_2)
	v_add_f64_e32 v[14:15], v[18:19], v[14:15]
	v_add_f64_e64 v[18:19], v[18:19], -v[16:17]
	v_add_f64_e64 v[10:11], v[10:11], -v[16:17]
	s_delay_alu instid0(VALU_DEP_3) | instskip(NEXT) | instid1(VALU_DEP_3)
	v_add_f64_e32 v[20:21], v[22:23], v[14:15]
	v_add_f64_e64 v[12:13], v[12:13], -v[18:19]
	s_delay_alu instid0(VALU_DEP_2) | instskip(NEXT) | instid1(VALU_DEP_2)
	v_add_f64_e64 v[16:17], v[20:21], -v[22:23]
	v_add_f64_e32 v[10:11], v[10:11], v[12:13]
	s_delay_alu instid0(VALU_DEP_2) | instskip(NEXT) | instid1(VALU_DEP_1)
	v_add_f64_e64 v[12:13], v[14:15], -v[16:17]
	v_add_f64_e32 v[10:11], v[10:11], v[12:13]
	s_delay_alu instid0(VALU_DEP_1) | instskip(NEXT) | instid1(VALU_DEP_1)
	v_add_f64_e32 v[10:11], v[20:21], v[10:11]
	v_cndmask_b32_e32 v10, 0, v10, vcc_lo
	v_cmp_neq_f64_e32 vcc_lo, -1.0, v[2:3]
	s_delay_alu instid0(VALU_DEP_3) | instskip(NEXT) | instid1(VALU_DEP_1)
	v_cndmask_b32_e64 v11, 0x7ff00000, v11, s0
	v_cndmask_b32_e64 v11, 0x7ff80000, v11, s1
	s_delay_alu instid0(VALU_DEP_1) | instskip(NEXT) | instid1(VALU_DEP_1)
	v_cndmask_b32_e32 v11, 0xfff00000, v11, vcc_lo
	v_div_scale_f64 v[2:3], null, s[4:5], s[4:5], v[10:11]
	s_delay_alu instid0(VALU_DEP_1) | instskip(SKIP_1) | instid1(TRANS32_DEP_1)
	v_rcp_f64_e32 v[12:13], v[2:3]
	v_nop
	v_fma_f64 v[14:15], -v[2:3], v[12:13], 1.0
	s_delay_alu instid0(VALU_DEP_1) | instskip(NEXT) | instid1(VALU_DEP_1)
	v_fmac_f64_e32 v[12:13], v[12:13], v[14:15]
	v_fma_f64 v[14:15], -v[2:3], v[12:13], 1.0
	s_delay_alu instid0(VALU_DEP_1) | instskip(SKIP_1) | instid1(VALU_DEP_1)
	v_fmac_f64_e32 v[12:13], v[12:13], v[14:15]
	v_div_scale_f64 v[14:15], vcc_lo, v[10:11], s[4:5], v[10:11]
	v_mul_f64_e32 v[16:17], v[14:15], v[12:13]
	s_delay_alu instid0(VALU_DEP_1) | instskip(NEXT) | instid1(VALU_DEP_1)
	v_fma_f64 v[2:3], -v[2:3], v[16:17], v[14:15]
	v_div_fmas_f64 v[2:3], v[2:3], v[12:13], v[16:17]
	s_delay_alu instid0(VALU_DEP_1)
	v_div_fixup_f64 v[2:3], v[2:3], s[4:5], v[10:11]
.LBB0_7:
	s_or_b32 exec_lo, exec_lo, s13
	v_mul_f64_e32 v[10:11], s[4:5], v[4:5]
	s_mov_b32 s13, exec_lo
	s_delay_alu instid0(VALU_DEP_1)
	v_cmpx_nlt_f64_e32 s[6:7], v[10:11]
	s_cbranch_execz .LBB0_9
; %bb.8:
	v_mul_f64_e32 v[4:5], 0x3ff71547652b82fe, v[10:11]
	s_mov_b64 s[0:1], 0x3e5ade156a5dcb37
	v_cmp_nlt_f64_e32 vcc_lo, 0x40900000, v[10:11]
	s_delay_alu instid0(VALU_DEP_2) | instskip(NEXT) | instid1(VALU_DEP_1)
	v_rndne_f64_e32 v[4:5], v[4:5]
	v_fmamk_f64 v[12:13], v[4:5], 0xbfe62e42fefa39ef, v[10:11]
	v_cvt_i32_f64_e32 v16, v[4:5]
	s_delay_alu instid0(VALU_DEP_2) | instskip(NEXT) | instid1(VALU_DEP_1)
	v_fmamk_f64 v[12:13], v[4:5], 0xbc7abc9e3b39803f, v[12:13]
	v_fmaak_f64 v[14:15], s[0:1], v[12:13], 0x3e928af3fca7ab0c
	v_cmp_ngt_f64_e64 s0, 0xc090cc00, v[10:11]
	s_delay_alu instid0(VALU_DEP_2) | instskip(NEXT) | instid1(VALU_DEP_1)
	v_fmaak_f64 v[14:15], v[12:13], v[14:15], 0x3ec71dee623fde64
	v_fmaak_f64 v[14:15], v[12:13], v[14:15], 0x3efa01997c89e6b0
	s_delay_alu instid0(VALU_DEP_1) | instskip(NEXT) | instid1(VALU_DEP_1)
	v_fmaak_f64 v[14:15], v[12:13], v[14:15], 0x3f2a01a014761f6e
	v_fmaak_f64 v[14:15], v[12:13], v[14:15], 0x3f56c16c1852b7b0
	s_delay_alu instid0(VALU_DEP_1) | instskip(NEXT) | instid1(VALU_DEP_1)
	;; [unrolled: 3-line block ×4, first 2 shown]
	v_fma_f64 v[14:15], v[12:13], v[14:15], 1.0
	v_fma_f64 v[4:5], v[12:13], v[14:15], 1.0
	s_delay_alu instid0(VALU_DEP_1) | instskip(NEXT) | instid1(VALU_DEP_1)
	v_ldexp_f64 v[4:5], v[4:5], v16
	v_cndmask_b32_e32 v5, 0x7ff00000, v5, vcc_lo
	s_and_b32 vcc_lo, s0, vcc_lo
	s_delay_alu instid0(VALU_DEP_1) | instid1(SALU_CYCLE_1)
	v_dual_cndmask_b32 v4, 0, v4, vcc_lo :: v_dual_cndmask_b32 v5, 0, v5, s0
	s_mov_b64 s[0:1], 0x3fe5555555555555
	s_delay_alu instid0(VALU_DEP_1) | instskip(NEXT) | instid1(VALU_DEP_1)
	v_add_f64_e32 v[10:11], 1.0, v[4:5]
	v_frexp_mant_f64_e32 v[12:13], v[10:11]
	v_frexp_exp_i32_f64_e32 v16, v[10:11]
	v_add_f64_e32 v[14:15], -1.0, v[10:11]
	s_delay_alu instid0(VALU_DEP_3) | instskip(SKIP_1) | instid1(VALU_DEP_2)
	v_cmp_gt_f64_e32 vcc_lo, s[0:1], v[12:13]
	s_mov_b64 s[0:1], 0x3fc3ab76bf559e2b
	v_add_f64_e64 v[12:13], v[14:15], -v[10:11]
	v_add_f64_e64 v[14:15], v[4:5], -v[14:15]
	v_subrev_co_ci_u32_e64 v32, null, 0, v16, vcc_lo
	s_delay_alu instid0(VALU_DEP_3) | instskip(SKIP_1) | instid1(VALU_DEP_3)
	v_add_f64_e32 v[12:13], 1.0, v[12:13]
	v_cmp_nge_f64_e32 vcc_lo, -1.0, v[4:5]
	v_sub_nc_u32_e32 v18, 0, v32
	s_delay_alu instid0(VALU_DEP_1) | instskip(NEXT) | instid1(VALU_DEP_4)
	v_ldexp_f64 v[10:11], v[10:11], v18
	v_add_f64_e32 v[12:13], v[14:15], v[12:13]
	s_delay_alu instid0(VALU_DEP_2) | instskip(SKIP_1) | instid1(VALU_DEP_3)
	v_add_f64_e32 v[16:17], 1.0, v[10:11]
	v_add_f64_e32 v[22:23], -1.0, v[10:11]
	v_ldexp_f64 v[12:13], v[12:13], v18
	s_delay_alu instid0(VALU_DEP_3) | instskip(NEXT) | instid1(VALU_DEP_3)
	v_add_f64_e32 v[14:15], -1.0, v[16:17]
	v_add_f64_e32 v[24:25], 1.0, v[22:23]
	s_delay_alu instid0(VALU_DEP_2) | instskip(NEXT) | instid1(VALU_DEP_2)
	v_add_f64_e64 v[14:15], v[10:11], -v[14:15]
	v_add_f64_e64 v[10:11], v[10:11], -v[24:25]
	s_delay_alu instid0(VALU_DEP_2) | instskip(NEXT) | instid1(VALU_DEP_2)
	v_add_f64_e32 v[14:15], v[12:13], v[14:15]
	v_add_f64_e32 v[10:11], v[12:13], v[10:11]
	s_delay_alu instid0(VALU_DEP_2) | instskip(NEXT) | instid1(VALU_DEP_2)
	v_add_f64_e32 v[18:19], v[16:17], v[14:15]
	v_add_f64_e32 v[24:25], v[22:23], v[10:11]
	s_delay_alu instid0(VALU_DEP_2) | instskip(SKIP_1) | instid1(VALU_DEP_2)
	v_rcp_f64_e32 v[20:21], v[18:19]
	v_add_f64_e64 v[16:17], v[18:19], -v[16:17]
	v_add_f64_e64 v[22:23], v[24:25], -v[22:23]
	s_delay_alu instid0(VALU_DEP_2) | instskip(NEXT) | instid1(VALU_DEP_2)
	v_add_f64_e64 v[14:15], v[14:15], -v[16:17]
	v_add_f64_e64 v[10:11], v[10:11], -v[22:23]
	s_delay_alu instid0(TRANS32_DEP_1) | instskip(NEXT) | instid1(VALU_DEP_1)
	v_fma_f64 v[26:27], -v[18:19], v[20:21], 1.0
	v_fmac_f64_e32 v[20:21], v[26:27], v[20:21]
	s_delay_alu instid0(VALU_DEP_1) | instskip(NEXT) | instid1(VALU_DEP_1)
	v_fma_f64 v[12:13], -v[18:19], v[20:21], 1.0
	v_fmac_f64_e32 v[20:21], v[12:13], v[20:21]
	s_delay_alu instid0(VALU_DEP_1) | instskip(NEXT) | instid1(VALU_DEP_1)
	v_mul_f64_e32 v[12:13], v[24:25], v[20:21]
	v_mul_f64_e32 v[26:27], v[18:19], v[12:13]
	s_delay_alu instid0(VALU_DEP_1) | instskip(NEXT) | instid1(VALU_DEP_1)
	v_fma_f64 v[16:17], v[12:13], v[18:19], -v[26:27]
	v_fmac_f64_e32 v[16:17], v[12:13], v[14:15]
	s_delay_alu instid0(VALU_DEP_1) | instskip(NEXT) | instid1(VALU_DEP_1)
	v_add_f64_e32 v[28:29], v[26:27], v[16:17]
	v_add_f64_e64 v[30:31], v[24:25], -v[28:29]
	v_add_f64_e64 v[22:23], v[28:29], -v[26:27]
	s_delay_alu instid0(VALU_DEP_2) | instskip(NEXT) | instid1(VALU_DEP_2)
	v_add_f64_e64 v[24:25], v[24:25], -v[30:31]
	v_add_f64_e64 v[16:17], v[22:23], -v[16:17]
	s_delay_alu instid0(VALU_DEP_2) | instskip(NEXT) | instid1(VALU_DEP_1)
	v_add_f64_e64 v[24:25], v[24:25], -v[28:29]
	v_add_f64_e32 v[10:11], v[10:11], v[24:25]
	s_delay_alu instid0(VALU_DEP_1) | instskip(NEXT) | instid1(VALU_DEP_1)
	v_add_f64_e32 v[10:11], v[16:17], v[10:11]
	v_add_f64_e32 v[16:17], v[30:31], v[10:11]
	s_delay_alu instid0(VALU_DEP_1) | instskip(SKIP_1) | instid1(VALU_DEP_2)
	v_mul_f64_e32 v[22:23], v[20:21], v[16:17]
	v_add_f64_e64 v[28:29], v[30:31], -v[16:17]
	v_mul_f64_e32 v[24:25], v[18:19], v[22:23]
	s_delay_alu instid0(VALU_DEP_2) | instskip(NEXT) | instid1(VALU_DEP_2)
	v_add_f64_e32 v[10:11], v[10:11], v[28:29]
	v_fma_f64 v[18:19], v[22:23], v[18:19], -v[24:25]
	s_delay_alu instid0(VALU_DEP_1) | instskip(NEXT) | instid1(VALU_DEP_1)
	v_fmac_f64_e32 v[18:19], v[22:23], v[14:15]
	v_add_f64_e32 v[14:15], v[24:25], v[18:19]
	s_delay_alu instid0(VALU_DEP_1) | instskip(SKIP_1) | instid1(VALU_DEP_2)
	v_add_f64_e64 v[26:27], v[16:17], -v[14:15]
	v_add_f64_e64 v[24:25], v[14:15], -v[24:25]
	;; [unrolled: 1-line block ×3, first 2 shown]
	s_delay_alu instid0(VALU_DEP_1) | instskip(NEXT) | instid1(VALU_DEP_3)
	v_add_f64_e64 v[14:15], v[16:17], -v[14:15]
	v_add_f64_e64 v[16:17], v[24:25], -v[18:19]
	s_delay_alu instid0(VALU_DEP_2) | instskip(SKIP_1) | instid1(VALU_DEP_2)
	v_add_f64_e32 v[10:11], v[10:11], v[14:15]
	v_add_f64_e32 v[14:15], v[12:13], v[22:23]
	;; [unrolled: 1-line block ×3, first 2 shown]
	s_delay_alu instid0(VALU_DEP_2) | instskip(NEXT) | instid1(VALU_DEP_2)
	v_add_f64_e64 v[12:13], v[14:15], -v[12:13]
	v_add_f64_e32 v[10:11], v[26:27], v[10:11]
	s_delay_alu instid0(VALU_DEP_2) | instskip(NEXT) | instid1(VALU_DEP_2)
	v_add_f64_e64 v[12:13], v[22:23], -v[12:13]
	v_mul_f64_e32 v[10:11], v[20:21], v[10:11]
	s_delay_alu instid0(VALU_DEP_1) | instskip(NEXT) | instid1(VALU_DEP_1)
	v_add_f64_e32 v[10:11], v[12:13], v[10:11]
	v_add_f64_e32 v[12:13], v[14:15], v[10:11]
	s_delay_alu instid0(VALU_DEP_1) | instskip(NEXT) | instid1(VALU_DEP_1)
	v_mul_f64_e32 v[16:17], v[12:13], v[12:13]
	v_fmaak_f64 v[18:19], s[0:1], v[16:17], 0x3fc385386b47b09a
	v_mul_f64_e32 v[20:21], v[12:13], v[16:17]
	s_mov_b64 s[0:1], 0x3fe62e42fefa39ef
	s_delay_alu instid0(VALU_DEP_2) | instskip(NEXT) | instid1(VALU_DEP_1)
	v_fmaak_f64 v[18:19], v[16:17], v[18:19], 0x3fc7474dd7f4df2e
	v_fmaak_f64 v[18:19], v[16:17], v[18:19], 0x3fcc71c016291751
	s_delay_alu instid0(VALU_DEP_1) | instskip(NEXT) | instid1(VALU_DEP_1)
	v_fmaak_f64 v[18:19], v[16:17], v[18:19], 0x3fd249249b27acf1
	v_fmaak_f64 v[18:19], v[16:17], v[18:19], 0x3fd99999998ef7b6
	s_delay_alu instid0(VALU_DEP_1) | instskip(SKIP_2) | instid1(VALU_DEP_3)
	v_fmaak_f64 v[16:17], v[16:17], v[18:19], 0x3fe5555555555780
	v_ldexp_f64 v[18:19], v[12:13], 1
	v_add_f64_e64 v[12:13], v[12:13], -v[14:15]
	v_mul_f64_e32 v[16:17], v[20:21], v[16:17]
	v_cvt_f64_i32_e32 v[20:21], v32
	s_delay_alu instid0(VALU_DEP_3) | instskip(NEXT) | instid1(VALU_DEP_3)
	v_add_f64_e64 v[10:11], v[10:11], -v[12:13]
	v_add_f64_e32 v[14:15], v[18:19], v[16:17]
	s_delay_alu instid0(VALU_DEP_2) | instskip(NEXT) | instid1(VALU_DEP_2)
	v_ldexp_f64 v[10:11], v[10:11], 1
	v_add_f64_e64 v[12:13], v[14:15], -v[18:19]
	v_mul_f64_e32 v[18:19], 0x3fe62e42fefa39ef, v[20:21]
	s_delay_alu instid0(VALU_DEP_2) | instskip(NEXT) | instid1(VALU_DEP_2)
	v_add_f64_e64 v[12:13], v[16:17], -v[12:13]
	v_fma_f64 v[16:17], v[20:21], s[0:1], -v[18:19]
	v_cmp_neq_f64_e64 s0, 0x7ff00000, v[4:5]
	v_cmp_ngt_f64_e64 s1, -1.0, v[4:5]
	s_delay_alu instid0(VALU_DEP_4) | instskip(NEXT) | instid1(VALU_DEP_4)
	v_add_f64_e32 v[10:11], v[10:11], v[12:13]
	v_fmamk_f64 v[12:13], v[20:21], 0x3c7abc9e3b39803f, v[16:17]
	s_and_b32 vcc_lo, vcc_lo, s0
	s_delay_alu instid0(VALU_DEP_1) | instskip(NEXT) | instid1(VALU_DEP_3)
	v_add_f64_e32 v[16:17], v[18:19], v[12:13]
	v_add_f64_e32 v[20:21], v[14:15], v[10:11]
	s_delay_alu instid0(VALU_DEP_2) | instskip(NEXT) | instid1(VALU_DEP_2)
	v_add_f64_e64 v[18:19], v[16:17], -v[18:19]
	v_add_f64_e32 v[22:23], v[16:17], v[20:21]
	v_add_f64_e64 v[14:15], v[20:21], -v[14:15]
	s_delay_alu instid0(VALU_DEP_3) | instskip(NEXT) | instid1(VALU_DEP_3)
	v_add_f64_e64 v[12:13], v[12:13], -v[18:19]
	v_add_f64_e64 v[24:25], v[22:23], -v[16:17]
	s_delay_alu instid0(VALU_DEP_3) | instskip(NEXT) | instid1(VALU_DEP_2)
	v_add_f64_e64 v[10:11], v[10:11], -v[14:15]
	v_add_f64_e64 v[26:27], v[22:23], -v[24:25]
	;; [unrolled: 1-line block ×3, first 2 shown]
	s_delay_alu instid0(VALU_DEP_3) | instskip(NEXT) | instid1(VALU_DEP_3)
	v_add_f64_e32 v[18:19], v[12:13], v[10:11]
	v_add_f64_e64 v[16:17], v[16:17], -v[26:27]
	s_delay_alu instid0(VALU_DEP_1) | instskip(NEXT) | instid1(VALU_DEP_3)
	v_add_f64_e32 v[14:15], v[14:15], v[16:17]
	v_add_f64_e64 v[16:17], v[18:19], -v[12:13]
	s_delay_alu instid0(VALU_DEP_2) | instskip(NEXT) | instid1(VALU_DEP_2)
	v_add_f64_e32 v[14:15], v[18:19], v[14:15]
	v_add_f64_e64 v[18:19], v[18:19], -v[16:17]
	v_add_f64_e64 v[10:11], v[10:11], -v[16:17]
	s_delay_alu instid0(VALU_DEP_3) | instskip(NEXT) | instid1(VALU_DEP_3)
	v_add_f64_e32 v[20:21], v[22:23], v[14:15]
	v_add_f64_e64 v[12:13], v[12:13], -v[18:19]
	s_delay_alu instid0(VALU_DEP_2) | instskip(NEXT) | instid1(VALU_DEP_2)
	v_add_f64_e64 v[16:17], v[20:21], -v[22:23]
	v_add_f64_e32 v[10:11], v[10:11], v[12:13]
	s_delay_alu instid0(VALU_DEP_2) | instskip(NEXT) | instid1(VALU_DEP_1)
	v_add_f64_e64 v[12:13], v[14:15], -v[16:17]
	v_add_f64_e32 v[10:11], v[10:11], v[12:13]
	s_delay_alu instid0(VALU_DEP_1) | instskip(NEXT) | instid1(VALU_DEP_1)
	v_add_f64_e32 v[10:11], v[20:21], v[10:11]
	v_cndmask_b32_e32 v10, 0, v10, vcc_lo
	v_cmp_neq_f64_e32 vcc_lo, -1.0, v[4:5]
	s_delay_alu instid0(VALU_DEP_3) | instskip(NEXT) | instid1(VALU_DEP_1)
	v_cndmask_b32_e64 v11, 0x7ff00000, v11, s0
	v_cndmask_b32_e64 v11, 0x7ff80000, v11, s1
	s_delay_alu instid0(VALU_DEP_1) | instskip(NEXT) | instid1(VALU_DEP_1)
	v_cndmask_b32_e32 v11, 0xfff00000, v11, vcc_lo
	v_div_scale_f64 v[4:5], null, s[4:5], s[4:5], v[10:11]
	s_delay_alu instid0(VALU_DEP_1) | instskip(SKIP_1) | instid1(TRANS32_DEP_1)
	v_rcp_f64_e32 v[12:13], v[4:5]
	v_nop
	v_fma_f64 v[14:15], -v[4:5], v[12:13], 1.0
	s_delay_alu instid0(VALU_DEP_1) | instskip(NEXT) | instid1(VALU_DEP_1)
	v_fmac_f64_e32 v[12:13], v[12:13], v[14:15]
	v_fma_f64 v[14:15], -v[4:5], v[12:13], 1.0
	s_delay_alu instid0(VALU_DEP_1) | instskip(SKIP_1) | instid1(VALU_DEP_1)
	v_fmac_f64_e32 v[12:13], v[12:13], v[14:15]
	v_div_scale_f64 v[14:15], vcc_lo, v[10:11], s[4:5], v[10:11]
	v_mul_f64_e32 v[16:17], v[14:15], v[12:13]
	s_delay_alu instid0(VALU_DEP_1) | instskip(NEXT) | instid1(VALU_DEP_1)
	v_fma_f64 v[4:5], -v[4:5], v[16:17], v[14:15]
	v_div_fmas_f64 v[4:5], v[4:5], v[12:13], v[16:17]
	s_delay_alu instid0(VALU_DEP_1)
	v_div_fixup_f64 v[4:5], v[4:5], s[4:5], v[10:11]
.LBB0_9:
	s_or_b32 exec_lo, exec_lo, s13
	s_add_nc_u64 s[2:3], s[8:9], s[2:3]
	s_mov_b32 s0, 0
	s_clause 0x1
	global_store_b128 v1, v[6:9], s[2:3]
	global_store_b128 v1, v[2:5], s[2:3] offset:16
.LBB0_10:
	s_and_b32 vcc_lo, exec_lo, s0
	s_cbranch_vccz .LBB0_37
; %bb.11:
	v_mov_b64_e32 v[22:23], 0
	v_mov_b64_e32 v[10:11], 0
	v_cmp_gt_i32_e64 s0, s14, v0
	s_wait_xcnt 0x0
	v_dual_mov_b32 v2, v0 :: v_dual_bitop2_b32 v1, s12, v0 bitop3:0x54
	v_or_b32_e32 v24, 0x100, v0
	s_and_saveexec_b32 s1, s0
	s_cbranch_execz .LBB0_13
; %bb.12:
	global_load_b64 v[10:11], v1, s[10:11] scale_offset
	v_or_b32_e32 v2, 0x100, v0
.LBB0_13:
	s_wait_xcnt 0x0
	s_or_b32 exec_lo, exec_lo, s1
	s_delay_alu instid0(SALU_CYCLE_1) | instskip(NEXT) | instid1(VALU_DEP_1)
	s_mov_b32 s1, exec_lo
	v_cmpx_gt_i32_e64 s14, v2
	s_cbranch_execz .LBB0_15
; %bb.14:
	v_add_nc_u32_e32 v3, s12, v2
	v_add_nc_u32_e32 v2, 0x100, v2
	global_load_b64 v[22:23], v3, s[10:11] scale_offset
.LBB0_15:
	s_wait_xcnt 0x0
	s_or_b32 exec_lo, exec_lo, s1
	v_mov_b64_e32 v[18:19], 0
	v_mov_b64_e32 v[20:21], 0
	s_mov_b32 s1, exec_lo
	v_cmpx_gt_i32_e64 s14, v2
	s_cbranch_execz .LBB0_17
; %bb.16:
	v_add_nc_u32_e32 v3, s12, v2
	v_add_nc_u32_e32 v2, 0x100, v2
	global_load_b64 v[20:21], v3, s[10:11] scale_offset
.LBB0_17:
	s_wait_xcnt 0x0
	s_or_b32 exec_lo, exec_lo, s1
	s_delay_alu instid0(SALU_CYCLE_1)
	s_mov_b32 s1, exec_lo
	v_cmpx_gt_i32_e64 s14, v2
	s_cbranch_execz .LBB0_19
; %bb.18:
	v_add_nc_u32_e32 v2, s12, v2
	global_load_b64 v[18:19], v2, s[10:11] scale_offset
.LBB0_19:
	s_wait_xcnt 0x0
	s_or_b32 exec_lo, exec_lo, s1
	v_mov_b32_e32 v2, 0
	s_delay_alu instid0(VALU_DEP_1)
	v_dual_mov_b32 v3, v2 :: v_dual_mov_b32 v4, v2
	v_dual_mov_b32 v5, v2 :: v_dual_mov_b32 v6, v2
	;; [unrolled: 1-line block ×3, first 2 shown]
	v_mov_b32_e32 v9, v2
	s_and_saveexec_b32 s3, s0
	s_cbranch_execz .LBB0_23
; %bb.20:
	s_wait_loadcnt 0x0
	v_mul_f64_e32 v[2:3], s[4:5], v[10:11]
	s_mov_b32 s10, exec_lo
	s_delay_alu instid0(VALU_DEP_1)
	v_cmpx_nlt_f64_e32 s[6:7], v[2:3]
	s_cbranch_execz .LBB0_22
; %bb.21:
	v_mul_f64_e32 v[4:5], 0x3ff71547652b82fe, v[2:3]
	s_mov_b64 s[16:17], 0x3e5ade156a5dcb37
	v_cmp_nlt_f64_e32 vcc_lo, 0x40900000, v[2:3]
	v_cmp_ngt_f64_e64 s1, 0xc090cc00, v[2:3]
	s_delay_alu instid0(VALU_DEP_3) | instskip(NEXT) | instid1(VALU_DEP_1)
	v_rndne_f64_e32 v[4:5], v[4:5]
	v_fmamk_f64 v[6:7], v[4:5], 0xbfe62e42fefa39ef, v[2:3]
	v_cvt_i32_f64_e32 v10, v[4:5]
	s_delay_alu instid0(VALU_DEP_2) | instskip(NEXT) | instid1(VALU_DEP_1)
	v_fmamk_f64 v[6:7], v[4:5], 0xbc7abc9e3b39803f, v[6:7]
	v_fmaak_f64 v[8:9], s[16:17], v[6:7], 0x3e928af3fca7ab0c
	s_mov_b64 s[16:17], 0x3fe5555555555555
	s_delay_alu instid0(VALU_DEP_1) | instskip(NEXT) | instid1(VALU_DEP_1)
	v_fmaak_f64 v[8:9], v[6:7], v[8:9], 0x3ec71dee623fde64
	v_fmaak_f64 v[8:9], v[6:7], v[8:9], 0x3efa01997c89e6b0
	s_delay_alu instid0(VALU_DEP_1) | instskip(NEXT) | instid1(VALU_DEP_1)
	v_fmaak_f64 v[8:9], v[6:7], v[8:9], 0x3f2a01a014761f6e
	v_fmaak_f64 v[8:9], v[6:7], v[8:9], 0x3f56c16c1852b7b0
	;; [unrolled: 3-line block ×4, first 2 shown]
	s_delay_alu instid0(VALU_DEP_1) | instskip(NEXT) | instid1(VALU_DEP_1)
	v_fma_f64 v[8:9], v[6:7], v[8:9], 1.0
	v_fma_f64 v[4:5], v[6:7], v[8:9], 1.0
	s_delay_alu instid0(VALU_DEP_1) | instskip(NEXT) | instid1(VALU_DEP_1)
	v_ldexp_f64 v[4:5], v[4:5], v10
	v_cndmask_b32_e32 v5, 0x7ff00000, v5, vcc_lo
	s_and_b32 vcc_lo, s1, vcc_lo
	s_delay_alu instid0(VALU_DEP_1) | instid1(SALU_CYCLE_1)
	v_dual_cndmask_b32 v2, 0, v4, vcc_lo :: v_dual_cndmask_b32 v3, 0, v5, s1
	s_delay_alu instid0(VALU_DEP_1) | instskip(SKIP_2) | instid1(VALU_DEP_3)
	v_add_f64_e32 v[4:5], 1.0, v[2:3]
	v_cmp_neq_f64_e64 s1, 0x7ff00000, v[2:3]
	v_cmp_ngt_f64_e64 s2, -1.0, v[2:3]
	v_frexp_mant_f64_e32 v[6:7], v[4:5]
	v_frexp_exp_i32_f64_e32 v10, v[4:5]
	s_delay_alu instid0(VALU_DEP_2) | instskip(SKIP_1) | instid1(VALU_DEP_2)
	v_cmp_gt_f64_e32 vcc_lo, s[16:17], v[6:7]
	s_mov_b64 s[16:17], 0x3fc3ab76bf559e2b
	v_subrev_co_ci_u32_e64 v25, null, 0, v10, vcc_lo
	v_cmp_nge_f64_e32 vcc_lo, -1.0, v[2:3]
	s_delay_alu instid0(VALU_DEP_2) | instskip(SKIP_2) | instid1(VALU_DEP_1)
	v_sub_nc_u32_e32 v12, 0, v25
	v_add_f64_e32 v[8:9], -1.0, v[4:5]
	s_and_b32 vcc_lo, vcc_lo, s1
	v_add_f64_e64 v[6:7], v[8:9], -v[4:5]
	s_delay_alu instid0(VALU_DEP_3) | instskip(SKIP_1) | instid1(VALU_DEP_3)
	v_ldexp_f64 v[4:5], v[4:5], v12
	v_add_f64_e64 v[8:9], v[2:3], -v[8:9]
	v_add_f64_e32 v[6:7], 1.0, v[6:7]
	s_delay_alu instid0(VALU_DEP_3) | instskip(SKIP_1) | instid1(VALU_DEP_3)
	v_add_f64_e32 v[10:11], 1.0, v[4:5]
	v_add_f64_e32 v[16:17], -1.0, v[4:5]
	v_add_f64_e32 v[6:7], v[8:9], v[6:7]
	s_delay_alu instid0(VALU_DEP_3) | instskip(NEXT) | instid1(VALU_DEP_3)
	v_add_f64_e32 v[8:9], -1.0, v[10:11]
	v_add_f64_e32 v[26:27], 1.0, v[16:17]
	s_delay_alu instid0(VALU_DEP_3) | instskip(NEXT) | instid1(VALU_DEP_3)
	v_ldexp_f64 v[6:7], v[6:7], v12
	v_add_f64_e64 v[8:9], v[4:5], -v[8:9]
	s_delay_alu instid0(VALU_DEP_3) | instskip(NEXT) | instid1(VALU_DEP_2)
	v_add_f64_e64 v[4:5], v[4:5], -v[26:27]
	v_add_f64_e32 v[8:9], v[6:7], v[8:9]
	s_delay_alu instid0(VALU_DEP_2) | instskip(NEXT) | instid1(VALU_DEP_2)
	v_add_f64_e32 v[4:5], v[6:7], v[4:5]
	v_add_f64_e32 v[12:13], v[10:11], v[8:9]
	s_delay_alu instid0(VALU_DEP_2) | instskip(NEXT) | instid1(VALU_DEP_2)
	v_add_f64_e32 v[26:27], v[16:17], v[4:5]
	v_rcp_f64_e32 v[14:15], v[12:13]
	v_add_f64_e64 v[10:11], v[12:13], -v[10:11]
	s_delay_alu instid0(VALU_DEP_2) | instskip(NEXT) | instid1(VALU_DEP_2)
	v_add_f64_e64 v[16:17], v[26:27], -v[16:17]
	v_add_f64_e64 v[8:9], v[8:9], -v[10:11]
	s_delay_alu instid0(VALU_DEP_2) | instskip(NEXT) | instid1(TRANS32_DEP_1)
	v_add_f64_e64 v[4:5], v[4:5], -v[16:17]
	v_fma_f64 v[28:29], -v[12:13], v[14:15], 1.0
	s_delay_alu instid0(VALU_DEP_1) | instskip(NEXT) | instid1(VALU_DEP_1)
	v_fmac_f64_e32 v[14:15], v[28:29], v[14:15]
	v_fma_f64 v[6:7], -v[12:13], v[14:15], 1.0
	s_delay_alu instid0(VALU_DEP_1) | instskip(NEXT) | instid1(VALU_DEP_1)
	v_fmac_f64_e32 v[14:15], v[6:7], v[14:15]
	v_mul_f64_e32 v[6:7], v[26:27], v[14:15]
	s_delay_alu instid0(VALU_DEP_1) | instskip(NEXT) | instid1(VALU_DEP_1)
	v_mul_f64_e32 v[28:29], v[12:13], v[6:7]
	v_fma_f64 v[10:11], v[6:7], v[12:13], -v[28:29]
	s_delay_alu instid0(VALU_DEP_1) | instskip(NEXT) | instid1(VALU_DEP_1)
	v_fmac_f64_e32 v[10:11], v[6:7], v[8:9]
	v_add_f64_e32 v[30:31], v[28:29], v[10:11]
	s_delay_alu instid0(VALU_DEP_1) | instskip(SKIP_1) | instid1(VALU_DEP_2)
	v_add_f64_e64 v[32:33], v[26:27], -v[30:31]
	v_add_f64_e64 v[16:17], v[30:31], -v[28:29]
	;; [unrolled: 1-line block ×3, first 2 shown]
	s_delay_alu instid0(VALU_DEP_2) | instskip(NEXT) | instid1(VALU_DEP_2)
	v_add_f64_e64 v[10:11], v[16:17], -v[10:11]
	v_add_f64_e64 v[26:27], v[26:27], -v[30:31]
	s_delay_alu instid0(VALU_DEP_1) | instskip(NEXT) | instid1(VALU_DEP_1)
	v_add_f64_e32 v[4:5], v[4:5], v[26:27]
	v_add_f64_e32 v[4:5], v[10:11], v[4:5]
	s_delay_alu instid0(VALU_DEP_1) | instskip(NEXT) | instid1(VALU_DEP_1)
	v_add_f64_e32 v[10:11], v[32:33], v[4:5]
	v_mul_f64_e32 v[16:17], v[14:15], v[10:11]
	v_add_f64_e64 v[30:31], v[32:33], -v[10:11]
	s_delay_alu instid0(VALU_DEP_2) | instskip(NEXT) | instid1(VALU_DEP_2)
	v_mul_f64_e32 v[26:27], v[12:13], v[16:17]
	v_add_f64_e32 v[4:5], v[4:5], v[30:31]
	s_delay_alu instid0(VALU_DEP_2) | instskip(NEXT) | instid1(VALU_DEP_1)
	v_fma_f64 v[12:13], v[16:17], v[12:13], -v[26:27]
	v_fmac_f64_e32 v[12:13], v[16:17], v[8:9]
	s_delay_alu instid0(VALU_DEP_1) | instskip(NEXT) | instid1(VALU_DEP_1)
	v_add_f64_e32 v[8:9], v[26:27], v[12:13]
	v_add_f64_e64 v[28:29], v[10:11], -v[8:9]
	v_add_f64_e64 v[26:27], v[8:9], -v[26:27]
	s_delay_alu instid0(VALU_DEP_2) | instskip(NEXT) | instid1(VALU_DEP_1)
	v_add_f64_e64 v[10:11], v[10:11], -v[28:29]
	v_add_f64_e64 v[8:9], v[10:11], -v[8:9]
	s_delay_alu instid0(VALU_DEP_3) | instskip(NEXT) | instid1(VALU_DEP_2)
	v_add_f64_e64 v[10:11], v[26:27], -v[12:13]
	v_add_f64_e32 v[4:5], v[4:5], v[8:9]
	v_add_f64_e32 v[8:9], v[6:7], v[16:17]
	s_delay_alu instid0(VALU_DEP_2) | instskip(NEXT) | instid1(VALU_DEP_2)
	v_add_f64_e32 v[4:5], v[10:11], v[4:5]
	v_add_f64_e64 v[6:7], v[8:9], -v[6:7]
	s_delay_alu instid0(VALU_DEP_2) | instskip(NEXT) | instid1(VALU_DEP_2)
	v_add_f64_e32 v[4:5], v[28:29], v[4:5]
	v_add_f64_e64 v[6:7], v[16:17], -v[6:7]
	s_delay_alu instid0(VALU_DEP_2) | instskip(NEXT) | instid1(VALU_DEP_1)
	v_mul_f64_e32 v[4:5], v[14:15], v[4:5]
	v_add_f64_e32 v[4:5], v[6:7], v[4:5]
	s_delay_alu instid0(VALU_DEP_1) | instskip(NEXT) | instid1(VALU_DEP_1)
	v_add_f64_e32 v[6:7], v[8:9], v[4:5]
	v_mul_f64_e32 v[10:11], v[6:7], v[6:7]
	s_delay_alu instid0(VALU_DEP_1) | instskip(SKIP_2) | instid1(VALU_DEP_2)
	v_fmaak_f64 v[12:13], s[16:17], v[10:11], 0x3fc385386b47b09a
	v_mul_f64_e32 v[14:15], v[6:7], v[10:11]
	s_mov_b64 s[16:17], 0x3fe62e42fefa39ef
	v_fmaak_f64 v[12:13], v[10:11], v[12:13], 0x3fc7474dd7f4df2e
	s_delay_alu instid0(VALU_DEP_1) | instskip(NEXT) | instid1(VALU_DEP_1)
	v_fmaak_f64 v[12:13], v[10:11], v[12:13], 0x3fcc71c016291751
	v_fmaak_f64 v[12:13], v[10:11], v[12:13], 0x3fd249249b27acf1
	s_delay_alu instid0(VALU_DEP_1) | instskip(NEXT) | instid1(VALU_DEP_1)
	v_fmaak_f64 v[12:13], v[10:11], v[12:13], 0x3fd99999998ef7b6
	v_fmaak_f64 v[10:11], v[10:11], v[12:13], 0x3fe5555555555780
	v_ldexp_f64 v[12:13], v[6:7], 1
	v_add_f64_e64 v[6:7], v[6:7], -v[8:9]
	s_delay_alu instid0(VALU_DEP_3) | instskip(SKIP_1) | instid1(VALU_DEP_3)
	v_mul_f64_e32 v[10:11], v[14:15], v[10:11]
	v_cvt_f64_i32_e32 v[14:15], v25
	v_add_f64_e64 v[4:5], v[4:5], -v[6:7]
	s_delay_alu instid0(VALU_DEP_3) | instskip(NEXT) | instid1(VALU_DEP_2)
	v_add_f64_e32 v[8:9], v[12:13], v[10:11]
	v_ldexp_f64 v[4:5], v[4:5], 1
	s_delay_alu instid0(VALU_DEP_2) | instskip(SKIP_1) | instid1(VALU_DEP_2)
	v_add_f64_e64 v[6:7], v[8:9], -v[12:13]
	v_mul_f64_e32 v[12:13], 0x3fe62e42fefa39ef, v[14:15]
	v_add_f64_e64 v[6:7], v[10:11], -v[6:7]
	s_delay_alu instid0(VALU_DEP_2) | instskip(NEXT) | instid1(VALU_DEP_2)
	v_fma_f64 v[10:11], v[14:15], s[16:17], -v[12:13]
	v_add_f64_e32 v[4:5], v[4:5], v[6:7]
	s_delay_alu instid0(VALU_DEP_2) | instskip(NEXT) | instid1(VALU_DEP_1)
	v_fmamk_f64 v[6:7], v[14:15], 0x3c7abc9e3b39803f, v[10:11]
	v_add_f64_e32 v[10:11], v[12:13], v[6:7]
	s_delay_alu instid0(VALU_DEP_3) | instskip(NEXT) | instid1(VALU_DEP_2)
	v_add_f64_e32 v[14:15], v[8:9], v[4:5]
	v_add_f64_e64 v[12:13], v[10:11], -v[12:13]
	s_delay_alu instid0(VALU_DEP_2) | instskip(SKIP_1) | instid1(VALU_DEP_3)
	v_add_f64_e32 v[16:17], v[10:11], v[14:15]
	v_add_f64_e64 v[8:9], v[14:15], -v[8:9]
	v_add_f64_e64 v[6:7], v[6:7], -v[12:13]
	s_delay_alu instid0(VALU_DEP_3) | instskip(NEXT) | instid1(VALU_DEP_3)
	v_add_f64_e64 v[26:27], v[16:17], -v[10:11]
	v_add_f64_e64 v[4:5], v[4:5], -v[8:9]
	s_delay_alu instid0(VALU_DEP_2) | instskip(SKIP_1) | instid1(VALU_DEP_3)
	v_add_f64_e64 v[28:29], v[16:17], -v[26:27]
	v_add_f64_e64 v[8:9], v[14:15], -v[26:27]
	v_add_f64_e32 v[12:13], v[6:7], v[4:5]
	s_delay_alu instid0(VALU_DEP_3) | instskip(NEXT) | instid1(VALU_DEP_1)
	v_add_f64_e64 v[10:11], v[10:11], -v[28:29]
	v_add_f64_e32 v[8:9], v[8:9], v[10:11]
	s_delay_alu instid0(VALU_DEP_3) | instskip(NEXT) | instid1(VALU_DEP_2)
	v_add_f64_e64 v[10:11], v[12:13], -v[6:7]
	v_add_f64_e32 v[8:9], v[12:13], v[8:9]
	s_delay_alu instid0(VALU_DEP_2) | instskip(SKIP_1) | instid1(VALU_DEP_3)
	v_add_f64_e64 v[12:13], v[12:13], -v[10:11]
	v_add_f64_e64 v[4:5], v[4:5], -v[10:11]
	v_add_f64_e32 v[14:15], v[16:17], v[8:9]
	s_delay_alu instid0(VALU_DEP_3) | instskip(NEXT) | instid1(VALU_DEP_2)
	v_add_f64_e64 v[6:7], v[6:7], -v[12:13]
	v_add_f64_e64 v[10:11], v[14:15], -v[16:17]
	s_delay_alu instid0(VALU_DEP_2) | instskip(NEXT) | instid1(VALU_DEP_2)
	v_add_f64_e32 v[4:5], v[4:5], v[6:7]
	v_add_f64_e64 v[6:7], v[8:9], -v[10:11]
	s_delay_alu instid0(VALU_DEP_1) | instskip(NEXT) | instid1(VALU_DEP_1)
	v_add_f64_e32 v[4:5], v[4:5], v[6:7]
	v_add_f64_e32 v[4:5], v[14:15], v[4:5]
	s_delay_alu instid0(VALU_DEP_1) | instskip(SKIP_1) | instid1(VALU_DEP_3)
	v_cndmask_b32_e32 v4, 0, v4, vcc_lo
	v_cmp_neq_f64_e32 vcc_lo, -1.0, v[2:3]
	v_cndmask_b32_e64 v5, 0x7ff00000, v5, s1
	s_delay_alu instid0(VALU_DEP_1) | instskip(NEXT) | instid1(VALU_DEP_1)
	v_cndmask_b32_e64 v5, 0x7ff80000, v5, s2
	v_cndmask_b32_e32 v5, 0xfff00000, v5, vcc_lo
	s_delay_alu instid0(VALU_DEP_1) | instskip(NEXT) | instid1(VALU_DEP_1)
	v_div_scale_f64 v[2:3], null, s[4:5], s[4:5], v[4:5]
	v_rcp_f64_e32 v[6:7], v[2:3]
	v_nop
	s_delay_alu instid0(TRANS32_DEP_1) | instskip(NEXT) | instid1(VALU_DEP_1)
	v_fma_f64 v[8:9], -v[2:3], v[6:7], 1.0
	v_fmac_f64_e32 v[6:7], v[6:7], v[8:9]
	s_delay_alu instid0(VALU_DEP_1) | instskip(NEXT) | instid1(VALU_DEP_1)
	v_fma_f64 v[8:9], -v[2:3], v[6:7], 1.0
	v_fmac_f64_e32 v[6:7], v[6:7], v[8:9]
	v_div_scale_f64 v[8:9], vcc_lo, v[4:5], s[4:5], v[4:5]
	s_delay_alu instid0(VALU_DEP_1) | instskip(NEXT) | instid1(VALU_DEP_1)
	v_mul_f64_e32 v[10:11], v[8:9], v[6:7]
	v_fma_f64 v[2:3], -v[2:3], v[10:11], v[8:9]
	s_delay_alu instid0(VALU_DEP_1) | instskip(NEXT) | instid1(VALU_DEP_1)
	v_div_fmas_f64 v[2:3], v[2:3], v[6:7], v[10:11]
	v_div_fixup_f64 v[10:11], v[2:3], s[4:5], v[4:5]
.LBB0_22:
	s_or_b32 exec_lo, exec_lo, s10
	v_mov_b32_e32 v12, 0
	s_delay_alu instid0(VALU_DEP_1) | instskip(SKIP_3) | instid1(VALU_DEP_4)
	v_dual_mov_b32 v13, v12 :: v_dual_mov_b32 v14, v12
	v_dual_mov_b32 v15, v12 :: v_dual_mov_b32 v16, v12
	v_mov_b32_e32 v17, v12
	v_mov_b64_e32 v[2:3], v[10:11]
	v_mov_b64_e32 v[4:5], v[12:13]
	s_delay_alu instid0(VALU_DEP_4) | instskip(NEXT) | instid1(VALU_DEP_4)
	v_mov_b64_e32 v[6:7], v[14:15]
	v_mov_b64_e32 v[8:9], v[16:17]
.LBB0_23:
	s_or_b32 exec_lo, exec_lo, s3
	s_delay_alu instid0(SALU_CYCLE_1)
	s_mov_b32 s3, exec_lo
	v_cmpx_gt_i32_e64 s14, v24
	s_cbranch_execz .LBB0_27
; %bb.24:
	s_wait_loadcnt 0x0
	v_mul_f64_e32 v[4:5], s[4:5], v[22:23]
	s_mov_b32 s10, exec_lo
	s_delay_alu instid0(VALU_DEP_1)
	v_cmpx_nlt_f64_e32 s[6:7], v[4:5]
	s_cbranch_execz .LBB0_26
; %bb.25:
	v_mul_f64_e32 v[10:11], 0x3ff71547652b82fe, v[4:5]
	s_mov_b64 s[16:17], 0x3e5ade156a5dcb37
	v_cmp_nlt_f64_e32 vcc_lo, 0x40900000, v[4:5]
	v_cmp_ngt_f64_e64 s1, 0xc090cc00, v[4:5]
	s_delay_alu instid0(VALU_DEP_3) | instskip(NEXT) | instid1(VALU_DEP_1)
	v_rndne_f64_e32 v[10:11], v[10:11]
	v_fmamk_f64 v[12:13], v[10:11], 0xbfe62e42fefa39ef, v[4:5]
	v_cvt_i32_f64_e32 v16, v[10:11]
	s_delay_alu instid0(VALU_DEP_2) | instskip(NEXT) | instid1(VALU_DEP_1)
	v_fmamk_f64 v[12:13], v[10:11], 0xbc7abc9e3b39803f, v[12:13]
	v_fmaak_f64 v[14:15], s[16:17], v[12:13], 0x3e928af3fca7ab0c
	s_mov_b64 s[16:17], 0x3fe5555555555555
	s_delay_alu instid0(VALU_DEP_1) | instskip(NEXT) | instid1(VALU_DEP_1)
	v_fmaak_f64 v[14:15], v[12:13], v[14:15], 0x3ec71dee623fde64
	v_fmaak_f64 v[14:15], v[12:13], v[14:15], 0x3efa01997c89e6b0
	s_delay_alu instid0(VALU_DEP_1) | instskip(NEXT) | instid1(VALU_DEP_1)
	v_fmaak_f64 v[14:15], v[12:13], v[14:15], 0x3f2a01a014761f6e
	v_fmaak_f64 v[14:15], v[12:13], v[14:15], 0x3f56c16c1852b7b0
	;; [unrolled: 3-line block ×4, first 2 shown]
	s_delay_alu instid0(VALU_DEP_1) | instskip(NEXT) | instid1(VALU_DEP_1)
	v_fma_f64 v[14:15], v[12:13], v[14:15], 1.0
	v_fma_f64 v[10:11], v[12:13], v[14:15], 1.0
	s_delay_alu instid0(VALU_DEP_1) | instskip(NEXT) | instid1(VALU_DEP_1)
	v_ldexp_f64 v[10:11], v[10:11], v16
	v_cndmask_b32_e32 v11, 0x7ff00000, v11, vcc_lo
	s_and_b32 vcc_lo, s1, vcc_lo
	s_delay_alu instid0(VALU_DEP_1) | instid1(SALU_CYCLE_1)
	v_dual_cndmask_b32 v4, 0, v10, vcc_lo :: v_dual_cndmask_b32 v5, 0, v11, s1
	s_delay_alu instid0(VALU_DEP_1) | instskip(SKIP_2) | instid1(VALU_DEP_3)
	v_add_f64_e32 v[10:11], 1.0, v[4:5]
	v_cmp_neq_f64_e64 s1, 0x7ff00000, v[4:5]
	v_cmp_ngt_f64_e64 s2, -1.0, v[4:5]
	v_frexp_mant_f64_e32 v[12:13], v[10:11]
	v_frexp_exp_i32_f64_e32 v16, v[10:11]
	v_add_f64_e32 v[14:15], -1.0, v[10:11]
	s_delay_alu instid0(VALU_DEP_3) | instskip(SKIP_1) | instid1(VALU_DEP_2)
	v_cmp_gt_f64_e32 vcc_lo, s[16:17], v[12:13]
	s_mov_b64 s[16:17], 0x3fc3ab76bf559e2b
	v_add_f64_e64 v[12:13], v[14:15], -v[10:11]
	v_add_f64_e64 v[14:15], v[4:5], -v[14:15]
	v_subrev_co_ci_u32_e64 v25, null, 0, v16, vcc_lo
	v_cmp_nge_f64_e32 vcc_lo, -1.0, v[4:5]
	s_delay_alu instid0(VALU_DEP_2) | instskip(NEXT) | instid1(VALU_DEP_1)
	v_sub_nc_u32_e32 v22, 0, v25
	v_ldexp_f64 v[10:11], v[10:11], v22
	s_and_b32 vcc_lo, vcc_lo, s1
	v_add_f64_e32 v[12:13], 1.0, v[12:13]
	s_delay_alu instid0(VALU_DEP_2) | instskip(SKIP_1) | instid1(VALU_DEP_3)
	v_add_f64_e32 v[16:17], 1.0, v[10:11]
	v_add_f64_e32 v[28:29], -1.0, v[10:11]
	v_add_f64_e32 v[12:13], v[14:15], v[12:13]
	s_delay_alu instid0(VALU_DEP_3) | instskip(NEXT) | instid1(VALU_DEP_3)
	v_add_f64_e32 v[14:15], -1.0, v[16:17]
	v_add_f64_e32 v[30:31], 1.0, v[28:29]
	s_delay_alu instid0(VALU_DEP_3) | instskip(NEXT) | instid1(VALU_DEP_3)
	v_ldexp_f64 v[12:13], v[12:13], v22
	v_add_f64_e64 v[14:15], v[10:11], -v[14:15]
	s_delay_alu instid0(VALU_DEP_3) | instskip(NEXT) | instid1(VALU_DEP_2)
	v_add_f64_e64 v[10:11], v[10:11], -v[30:31]
	v_add_f64_e32 v[14:15], v[12:13], v[14:15]
	s_delay_alu instid0(VALU_DEP_2) | instskip(NEXT) | instid1(VALU_DEP_2)
	v_add_f64_e32 v[10:11], v[12:13], v[10:11]
	v_add_f64_e32 v[22:23], v[16:17], v[14:15]
	s_delay_alu instid0(VALU_DEP_2) | instskip(NEXT) | instid1(VALU_DEP_2)
	v_add_f64_e32 v[30:31], v[28:29], v[10:11]
	v_rcp_f64_e32 v[26:27], v[22:23]
	v_add_f64_e64 v[16:17], v[22:23], -v[16:17]
	s_delay_alu instid0(VALU_DEP_2) | instskip(NEXT) | instid1(VALU_DEP_2)
	v_add_f64_e64 v[28:29], v[30:31], -v[28:29]
	v_add_f64_e64 v[14:15], v[14:15], -v[16:17]
	s_delay_alu instid0(VALU_DEP_2) | instskip(NEXT) | instid1(TRANS32_DEP_1)
	v_add_f64_e64 v[10:11], v[10:11], -v[28:29]
	v_fma_f64 v[32:33], -v[22:23], v[26:27], 1.0
	s_delay_alu instid0(VALU_DEP_1) | instskip(NEXT) | instid1(VALU_DEP_1)
	v_fmac_f64_e32 v[26:27], v[32:33], v[26:27]
	v_fma_f64 v[12:13], -v[22:23], v[26:27], 1.0
	s_delay_alu instid0(VALU_DEP_1) | instskip(NEXT) | instid1(VALU_DEP_1)
	v_fmac_f64_e32 v[26:27], v[12:13], v[26:27]
	v_mul_f64_e32 v[12:13], v[30:31], v[26:27]
	s_delay_alu instid0(VALU_DEP_1) | instskip(NEXT) | instid1(VALU_DEP_1)
	v_mul_f64_e32 v[32:33], v[22:23], v[12:13]
	v_fma_f64 v[16:17], v[12:13], v[22:23], -v[32:33]
	s_delay_alu instid0(VALU_DEP_1) | instskip(NEXT) | instid1(VALU_DEP_1)
	v_fmac_f64_e32 v[16:17], v[12:13], v[14:15]
	v_add_f64_e32 v[34:35], v[32:33], v[16:17]
	s_delay_alu instid0(VALU_DEP_1) | instskip(SKIP_1) | instid1(VALU_DEP_2)
	v_add_f64_e64 v[36:37], v[30:31], -v[34:35]
	v_add_f64_e64 v[28:29], v[34:35], -v[32:33]
	;; [unrolled: 1-line block ×3, first 2 shown]
	s_delay_alu instid0(VALU_DEP_2) | instskip(NEXT) | instid1(VALU_DEP_2)
	v_add_f64_e64 v[16:17], v[28:29], -v[16:17]
	v_add_f64_e64 v[30:31], v[30:31], -v[34:35]
	s_delay_alu instid0(VALU_DEP_1) | instskip(NEXT) | instid1(VALU_DEP_1)
	v_add_f64_e32 v[10:11], v[10:11], v[30:31]
	v_add_f64_e32 v[10:11], v[16:17], v[10:11]
	s_delay_alu instid0(VALU_DEP_1) | instskip(NEXT) | instid1(VALU_DEP_1)
	v_add_f64_e32 v[16:17], v[36:37], v[10:11]
	v_mul_f64_e32 v[28:29], v[26:27], v[16:17]
	v_add_f64_e64 v[34:35], v[36:37], -v[16:17]
	s_delay_alu instid0(VALU_DEP_2) | instskip(NEXT) | instid1(VALU_DEP_2)
	v_mul_f64_e32 v[30:31], v[22:23], v[28:29]
	v_add_f64_e32 v[10:11], v[10:11], v[34:35]
	s_delay_alu instid0(VALU_DEP_2) | instskip(NEXT) | instid1(VALU_DEP_1)
	v_fma_f64 v[22:23], v[28:29], v[22:23], -v[30:31]
	v_fmac_f64_e32 v[22:23], v[28:29], v[14:15]
	s_delay_alu instid0(VALU_DEP_1) | instskip(NEXT) | instid1(VALU_DEP_1)
	v_add_f64_e32 v[14:15], v[30:31], v[22:23]
	v_add_f64_e64 v[32:33], v[16:17], -v[14:15]
	v_add_f64_e64 v[30:31], v[14:15], -v[30:31]
	s_delay_alu instid0(VALU_DEP_2) | instskip(NEXT) | instid1(VALU_DEP_1)
	v_add_f64_e64 v[16:17], v[16:17], -v[32:33]
	v_add_f64_e64 v[14:15], v[16:17], -v[14:15]
	s_delay_alu instid0(VALU_DEP_3) | instskip(NEXT) | instid1(VALU_DEP_2)
	v_add_f64_e64 v[16:17], v[30:31], -v[22:23]
	v_add_f64_e32 v[10:11], v[10:11], v[14:15]
	v_add_f64_e32 v[14:15], v[12:13], v[28:29]
	s_delay_alu instid0(VALU_DEP_2) | instskip(NEXT) | instid1(VALU_DEP_2)
	v_add_f64_e32 v[10:11], v[16:17], v[10:11]
	v_add_f64_e64 v[12:13], v[14:15], -v[12:13]
	s_delay_alu instid0(VALU_DEP_2) | instskip(NEXT) | instid1(VALU_DEP_2)
	v_add_f64_e32 v[10:11], v[32:33], v[10:11]
	v_add_f64_e64 v[12:13], v[28:29], -v[12:13]
	s_delay_alu instid0(VALU_DEP_2) | instskip(NEXT) | instid1(VALU_DEP_1)
	v_mul_f64_e32 v[10:11], v[26:27], v[10:11]
	v_add_f64_e32 v[10:11], v[12:13], v[10:11]
	s_delay_alu instid0(VALU_DEP_1) | instskip(NEXT) | instid1(VALU_DEP_1)
	v_add_f64_e32 v[12:13], v[14:15], v[10:11]
	v_mul_f64_e32 v[16:17], v[12:13], v[12:13]
	s_delay_alu instid0(VALU_DEP_1) | instskip(SKIP_2) | instid1(VALU_DEP_2)
	v_fmaak_f64 v[22:23], s[16:17], v[16:17], 0x3fc385386b47b09a
	v_mul_f64_e32 v[26:27], v[12:13], v[16:17]
	s_mov_b64 s[16:17], 0x3fe62e42fefa39ef
	v_fmaak_f64 v[22:23], v[16:17], v[22:23], 0x3fc7474dd7f4df2e
	s_delay_alu instid0(VALU_DEP_1) | instskip(NEXT) | instid1(VALU_DEP_1)
	v_fmaak_f64 v[22:23], v[16:17], v[22:23], 0x3fcc71c016291751
	v_fmaak_f64 v[22:23], v[16:17], v[22:23], 0x3fd249249b27acf1
	s_delay_alu instid0(VALU_DEP_1) | instskip(NEXT) | instid1(VALU_DEP_1)
	v_fmaak_f64 v[22:23], v[16:17], v[22:23], 0x3fd99999998ef7b6
	v_fmaak_f64 v[16:17], v[16:17], v[22:23], 0x3fe5555555555780
	v_ldexp_f64 v[22:23], v[12:13], 1
	v_add_f64_e64 v[12:13], v[12:13], -v[14:15]
	s_delay_alu instid0(VALU_DEP_3) | instskip(SKIP_1) | instid1(VALU_DEP_3)
	v_mul_f64_e32 v[16:17], v[26:27], v[16:17]
	v_cvt_f64_i32_e32 v[26:27], v25
	v_add_f64_e64 v[10:11], v[10:11], -v[12:13]
	s_delay_alu instid0(VALU_DEP_3) | instskip(NEXT) | instid1(VALU_DEP_2)
	v_add_f64_e32 v[14:15], v[22:23], v[16:17]
	v_ldexp_f64 v[10:11], v[10:11], 1
	s_delay_alu instid0(VALU_DEP_2) | instskip(SKIP_1) | instid1(VALU_DEP_2)
	v_add_f64_e64 v[12:13], v[14:15], -v[22:23]
	v_mul_f64_e32 v[22:23], 0x3fe62e42fefa39ef, v[26:27]
	v_add_f64_e64 v[12:13], v[16:17], -v[12:13]
	s_delay_alu instid0(VALU_DEP_2) | instskip(NEXT) | instid1(VALU_DEP_2)
	v_fma_f64 v[16:17], v[26:27], s[16:17], -v[22:23]
	v_add_f64_e32 v[10:11], v[10:11], v[12:13]
	s_delay_alu instid0(VALU_DEP_2) | instskip(NEXT) | instid1(VALU_DEP_1)
	v_fmamk_f64 v[12:13], v[26:27], 0x3c7abc9e3b39803f, v[16:17]
	v_add_f64_e32 v[16:17], v[22:23], v[12:13]
	s_delay_alu instid0(VALU_DEP_3) | instskip(NEXT) | instid1(VALU_DEP_2)
	v_add_f64_e32 v[26:27], v[14:15], v[10:11]
	v_add_f64_e64 v[22:23], v[16:17], -v[22:23]
	s_delay_alu instid0(VALU_DEP_2) | instskip(SKIP_1) | instid1(VALU_DEP_3)
	v_add_f64_e32 v[28:29], v[16:17], v[26:27]
	v_add_f64_e64 v[14:15], v[26:27], -v[14:15]
	v_add_f64_e64 v[12:13], v[12:13], -v[22:23]
	s_delay_alu instid0(VALU_DEP_3) | instskip(NEXT) | instid1(VALU_DEP_3)
	v_add_f64_e64 v[30:31], v[28:29], -v[16:17]
	v_add_f64_e64 v[10:11], v[10:11], -v[14:15]
	s_delay_alu instid0(VALU_DEP_2) | instskip(SKIP_1) | instid1(VALU_DEP_3)
	v_add_f64_e64 v[32:33], v[28:29], -v[30:31]
	v_add_f64_e64 v[14:15], v[26:27], -v[30:31]
	v_add_f64_e32 v[22:23], v[12:13], v[10:11]
	s_delay_alu instid0(VALU_DEP_3) | instskip(NEXT) | instid1(VALU_DEP_1)
	v_add_f64_e64 v[16:17], v[16:17], -v[32:33]
	v_add_f64_e32 v[14:15], v[14:15], v[16:17]
	s_delay_alu instid0(VALU_DEP_3) | instskip(NEXT) | instid1(VALU_DEP_2)
	v_add_f64_e64 v[16:17], v[22:23], -v[12:13]
	v_add_f64_e32 v[14:15], v[22:23], v[14:15]
	s_delay_alu instid0(VALU_DEP_2) | instskip(SKIP_1) | instid1(VALU_DEP_3)
	v_add_f64_e64 v[22:23], v[22:23], -v[16:17]
	v_add_f64_e64 v[10:11], v[10:11], -v[16:17]
	v_add_f64_e32 v[26:27], v[28:29], v[14:15]
	s_delay_alu instid0(VALU_DEP_3) | instskip(NEXT) | instid1(VALU_DEP_2)
	v_add_f64_e64 v[12:13], v[12:13], -v[22:23]
	v_add_f64_e64 v[16:17], v[26:27], -v[28:29]
	s_delay_alu instid0(VALU_DEP_2) | instskip(NEXT) | instid1(VALU_DEP_2)
	v_add_f64_e32 v[10:11], v[10:11], v[12:13]
	v_add_f64_e64 v[12:13], v[14:15], -v[16:17]
	s_delay_alu instid0(VALU_DEP_1) | instskip(NEXT) | instid1(VALU_DEP_1)
	v_add_f64_e32 v[10:11], v[10:11], v[12:13]
	v_add_f64_e32 v[10:11], v[26:27], v[10:11]
	s_delay_alu instid0(VALU_DEP_1) | instskip(SKIP_1) | instid1(VALU_DEP_3)
	v_cndmask_b32_e32 v10, 0, v10, vcc_lo
	v_cmp_neq_f64_e32 vcc_lo, -1.0, v[4:5]
	v_cndmask_b32_e64 v11, 0x7ff00000, v11, s1
	s_delay_alu instid0(VALU_DEP_1) | instskip(NEXT) | instid1(VALU_DEP_1)
	v_cndmask_b32_e64 v11, 0x7ff80000, v11, s2
	v_cndmask_b32_e32 v11, 0xfff00000, v11, vcc_lo
	s_delay_alu instid0(VALU_DEP_1) | instskip(NEXT) | instid1(VALU_DEP_1)
	v_div_scale_f64 v[4:5], null, s[4:5], s[4:5], v[10:11]
	v_rcp_f64_e32 v[12:13], v[4:5]
	v_nop
	s_delay_alu instid0(TRANS32_DEP_1) | instskip(NEXT) | instid1(VALU_DEP_1)
	v_fma_f64 v[14:15], -v[4:5], v[12:13], 1.0
	v_fmac_f64_e32 v[12:13], v[12:13], v[14:15]
	s_delay_alu instid0(VALU_DEP_1) | instskip(NEXT) | instid1(VALU_DEP_1)
	v_fma_f64 v[14:15], -v[4:5], v[12:13], 1.0
	v_fmac_f64_e32 v[12:13], v[12:13], v[14:15]
	v_div_scale_f64 v[14:15], vcc_lo, v[10:11], s[4:5], v[10:11]
	s_delay_alu instid0(VALU_DEP_1) | instskip(NEXT) | instid1(VALU_DEP_1)
	v_mul_f64_e32 v[16:17], v[14:15], v[12:13]
	v_fma_f64 v[4:5], -v[4:5], v[16:17], v[14:15]
	s_delay_alu instid0(VALU_DEP_1) | instskip(NEXT) | instid1(VALU_DEP_1)
	v_div_fmas_f64 v[4:5], v[4:5], v[12:13], v[16:17]
	v_div_fixup_f64 v[22:23], v[4:5], s[4:5], v[10:11]
.LBB0_26:
	s_or_b32 exec_lo, exec_lo, s10
	s_delay_alu instid0(VALU_DEP_1)
	v_dual_mov_b32 v4, v22 :: v_dual_mov_b32 v5, v23
.LBB0_27:
	s_or_b32 exec_lo, exec_lo, s3
	s_wait_loadcnt 0x0
	v_or_b32_e32 v10, 0x200, v0
	s_mov_b32 s3, exec_lo
	s_delay_alu instid0(VALU_DEP_1)
	v_cmpx_gt_i32_e64 s14, v10
	s_cbranch_execz .LBB0_31
; %bb.28:
	v_mul_f64_e32 v[6:7], s[4:5], v[20:21]
	s_mov_b32 s10, exec_lo
	s_delay_alu instid0(VALU_DEP_1)
	v_cmpx_nlt_f64_e32 s[6:7], v[6:7]
	s_cbranch_execz .LBB0_30
; %bb.29:
	v_mul_f64_e32 v[10:11], 0x3ff71547652b82fe, v[6:7]
	s_mov_b64 s[16:17], 0x3e5ade156a5dcb37
	v_cmp_nlt_f64_e32 vcc_lo, 0x40900000, v[6:7]
	v_cmp_ngt_f64_e64 s1, 0xc090cc00, v[6:7]
	s_delay_alu instid0(VALU_DEP_3) | instskip(NEXT) | instid1(VALU_DEP_1)
	v_rndne_f64_e32 v[10:11], v[10:11]
	v_fmamk_f64 v[12:13], v[10:11], 0xbfe62e42fefa39ef, v[6:7]
	v_cvt_i32_f64_e32 v16, v[10:11]
	s_delay_alu instid0(VALU_DEP_2) | instskip(NEXT) | instid1(VALU_DEP_1)
	v_fmamk_f64 v[12:13], v[10:11], 0xbc7abc9e3b39803f, v[12:13]
	v_fmaak_f64 v[14:15], s[16:17], v[12:13], 0x3e928af3fca7ab0c
	s_mov_b64 s[16:17], 0x3fe5555555555555
	s_delay_alu instid0(VALU_DEP_1) | instskip(NEXT) | instid1(VALU_DEP_1)
	v_fmaak_f64 v[14:15], v[12:13], v[14:15], 0x3ec71dee623fde64
	v_fmaak_f64 v[14:15], v[12:13], v[14:15], 0x3efa01997c89e6b0
	s_delay_alu instid0(VALU_DEP_1) | instskip(NEXT) | instid1(VALU_DEP_1)
	v_fmaak_f64 v[14:15], v[12:13], v[14:15], 0x3f2a01a014761f6e
	v_fmaak_f64 v[14:15], v[12:13], v[14:15], 0x3f56c16c1852b7b0
	;; [unrolled: 3-line block ×4, first 2 shown]
	s_delay_alu instid0(VALU_DEP_1) | instskip(NEXT) | instid1(VALU_DEP_1)
	v_fma_f64 v[14:15], v[12:13], v[14:15], 1.0
	v_fma_f64 v[10:11], v[12:13], v[14:15], 1.0
	s_delay_alu instid0(VALU_DEP_1) | instskip(NEXT) | instid1(VALU_DEP_1)
	v_ldexp_f64 v[10:11], v[10:11], v16
	v_cndmask_b32_e32 v11, 0x7ff00000, v11, vcc_lo
	s_and_b32 vcc_lo, s1, vcc_lo
	s_delay_alu instid0(VALU_DEP_1) | instid1(SALU_CYCLE_1)
	v_dual_cndmask_b32 v6, 0, v10, vcc_lo :: v_dual_cndmask_b32 v7, 0, v11, s1
	s_delay_alu instid0(VALU_DEP_1) | instskip(SKIP_2) | instid1(VALU_DEP_3)
	v_add_f64_e32 v[10:11], 1.0, v[6:7]
	v_cmp_neq_f64_e64 s1, 0x7ff00000, v[6:7]
	v_cmp_ngt_f64_e64 s2, -1.0, v[6:7]
	v_frexp_mant_f64_e32 v[12:13], v[10:11]
	v_frexp_exp_i32_f64_e32 v16, v[10:11]
	v_add_f64_e32 v[14:15], -1.0, v[10:11]
	s_delay_alu instid0(VALU_DEP_3) | instskip(SKIP_1) | instid1(VALU_DEP_2)
	v_cmp_gt_f64_e32 vcc_lo, s[16:17], v[12:13]
	s_mov_b64 s[16:17], 0x3fc3ab76bf559e2b
	v_add_f64_e64 v[12:13], v[14:15], -v[10:11]
	v_add_f64_e64 v[14:15], v[6:7], -v[14:15]
	v_subrev_co_ci_u32_e64 v25, null, 0, v16, vcc_lo
	v_cmp_nge_f64_e32 vcc_lo, -1.0, v[6:7]
	s_delay_alu instid0(VALU_DEP_2) | instskip(NEXT) | instid1(VALU_DEP_1)
	v_sub_nc_u32_e32 v20, 0, v25
	v_ldexp_f64 v[10:11], v[10:11], v20
	s_and_b32 vcc_lo, vcc_lo, s1
	v_add_f64_e32 v[12:13], 1.0, v[12:13]
	s_delay_alu instid0(VALU_DEP_2) | instskip(SKIP_1) | instid1(VALU_DEP_3)
	v_add_f64_e32 v[16:17], 1.0, v[10:11]
	v_add_f64_e32 v[26:27], -1.0, v[10:11]
	v_add_f64_e32 v[12:13], v[14:15], v[12:13]
	s_delay_alu instid0(VALU_DEP_3) | instskip(NEXT) | instid1(VALU_DEP_3)
	v_add_f64_e32 v[14:15], -1.0, v[16:17]
	v_add_f64_e32 v[28:29], 1.0, v[26:27]
	s_delay_alu instid0(VALU_DEP_3) | instskip(NEXT) | instid1(VALU_DEP_3)
	v_ldexp_f64 v[12:13], v[12:13], v20
	v_add_f64_e64 v[14:15], v[10:11], -v[14:15]
	s_delay_alu instid0(VALU_DEP_3) | instskip(NEXT) | instid1(VALU_DEP_2)
	v_add_f64_e64 v[10:11], v[10:11], -v[28:29]
	v_add_f64_e32 v[14:15], v[12:13], v[14:15]
	s_delay_alu instid0(VALU_DEP_2) | instskip(NEXT) | instid1(VALU_DEP_2)
	v_add_f64_e32 v[10:11], v[12:13], v[10:11]
	v_add_f64_e32 v[20:21], v[16:17], v[14:15]
	s_delay_alu instid0(VALU_DEP_2) | instskip(NEXT) | instid1(VALU_DEP_2)
	v_add_f64_e32 v[28:29], v[26:27], v[10:11]
	v_rcp_f64_e32 v[22:23], v[20:21]
	v_add_f64_e64 v[16:17], v[20:21], -v[16:17]
	s_delay_alu instid0(VALU_DEP_2) | instskip(NEXT) | instid1(VALU_DEP_2)
	v_add_f64_e64 v[26:27], v[28:29], -v[26:27]
	v_add_f64_e64 v[14:15], v[14:15], -v[16:17]
	s_delay_alu instid0(VALU_DEP_2) | instskip(NEXT) | instid1(TRANS32_DEP_1)
	v_add_f64_e64 v[10:11], v[10:11], -v[26:27]
	v_fma_f64 v[30:31], -v[20:21], v[22:23], 1.0
	s_delay_alu instid0(VALU_DEP_1) | instskip(NEXT) | instid1(VALU_DEP_1)
	v_fmac_f64_e32 v[22:23], v[30:31], v[22:23]
	v_fma_f64 v[12:13], -v[20:21], v[22:23], 1.0
	s_delay_alu instid0(VALU_DEP_1) | instskip(NEXT) | instid1(VALU_DEP_1)
	v_fmac_f64_e32 v[22:23], v[12:13], v[22:23]
	v_mul_f64_e32 v[12:13], v[28:29], v[22:23]
	s_delay_alu instid0(VALU_DEP_1) | instskip(NEXT) | instid1(VALU_DEP_1)
	v_mul_f64_e32 v[30:31], v[20:21], v[12:13]
	v_fma_f64 v[16:17], v[12:13], v[20:21], -v[30:31]
	s_delay_alu instid0(VALU_DEP_1) | instskip(NEXT) | instid1(VALU_DEP_1)
	v_fmac_f64_e32 v[16:17], v[12:13], v[14:15]
	v_add_f64_e32 v[32:33], v[30:31], v[16:17]
	s_delay_alu instid0(VALU_DEP_1) | instskip(SKIP_1) | instid1(VALU_DEP_2)
	v_add_f64_e64 v[34:35], v[28:29], -v[32:33]
	v_add_f64_e64 v[26:27], v[32:33], -v[30:31]
	;; [unrolled: 1-line block ×3, first 2 shown]
	s_delay_alu instid0(VALU_DEP_2) | instskip(NEXT) | instid1(VALU_DEP_2)
	v_add_f64_e64 v[16:17], v[26:27], -v[16:17]
	v_add_f64_e64 v[28:29], v[28:29], -v[32:33]
	s_delay_alu instid0(VALU_DEP_1) | instskip(NEXT) | instid1(VALU_DEP_1)
	v_add_f64_e32 v[10:11], v[10:11], v[28:29]
	v_add_f64_e32 v[10:11], v[16:17], v[10:11]
	s_delay_alu instid0(VALU_DEP_1) | instskip(NEXT) | instid1(VALU_DEP_1)
	v_add_f64_e32 v[16:17], v[34:35], v[10:11]
	v_mul_f64_e32 v[26:27], v[22:23], v[16:17]
	v_add_f64_e64 v[32:33], v[34:35], -v[16:17]
	s_delay_alu instid0(VALU_DEP_2) | instskip(NEXT) | instid1(VALU_DEP_2)
	v_mul_f64_e32 v[28:29], v[20:21], v[26:27]
	v_add_f64_e32 v[10:11], v[10:11], v[32:33]
	s_delay_alu instid0(VALU_DEP_2) | instskip(NEXT) | instid1(VALU_DEP_1)
	v_fma_f64 v[20:21], v[26:27], v[20:21], -v[28:29]
	v_fmac_f64_e32 v[20:21], v[26:27], v[14:15]
	s_delay_alu instid0(VALU_DEP_1) | instskip(NEXT) | instid1(VALU_DEP_1)
	v_add_f64_e32 v[14:15], v[28:29], v[20:21]
	v_add_f64_e64 v[30:31], v[16:17], -v[14:15]
	v_add_f64_e64 v[28:29], v[14:15], -v[28:29]
	s_delay_alu instid0(VALU_DEP_2) | instskip(NEXT) | instid1(VALU_DEP_1)
	v_add_f64_e64 v[16:17], v[16:17], -v[30:31]
	v_add_f64_e64 v[14:15], v[16:17], -v[14:15]
	s_delay_alu instid0(VALU_DEP_3) | instskip(NEXT) | instid1(VALU_DEP_2)
	v_add_f64_e64 v[16:17], v[28:29], -v[20:21]
	v_add_f64_e32 v[10:11], v[10:11], v[14:15]
	v_add_f64_e32 v[14:15], v[12:13], v[26:27]
	s_delay_alu instid0(VALU_DEP_2) | instskip(NEXT) | instid1(VALU_DEP_2)
	v_add_f64_e32 v[10:11], v[16:17], v[10:11]
	v_add_f64_e64 v[12:13], v[14:15], -v[12:13]
	s_delay_alu instid0(VALU_DEP_2) | instskip(NEXT) | instid1(VALU_DEP_2)
	v_add_f64_e32 v[10:11], v[30:31], v[10:11]
	v_add_f64_e64 v[12:13], v[26:27], -v[12:13]
	s_delay_alu instid0(VALU_DEP_2) | instskip(NEXT) | instid1(VALU_DEP_1)
	v_mul_f64_e32 v[10:11], v[22:23], v[10:11]
	v_add_f64_e32 v[10:11], v[12:13], v[10:11]
	s_delay_alu instid0(VALU_DEP_1) | instskip(NEXT) | instid1(VALU_DEP_1)
	v_add_f64_e32 v[12:13], v[14:15], v[10:11]
	v_mul_f64_e32 v[16:17], v[12:13], v[12:13]
	s_delay_alu instid0(VALU_DEP_1) | instskip(SKIP_2) | instid1(VALU_DEP_2)
	v_fmaak_f64 v[20:21], s[16:17], v[16:17], 0x3fc385386b47b09a
	v_mul_f64_e32 v[22:23], v[12:13], v[16:17]
	s_mov_b64 s[16:17], 0x3fe62e42fefa39ef
	v_fmaak_f64 v[20:21], v[16:17], v[20:21], 0x3fc7474dd7f4df2e
	s_delay_alu instid0(VALU_DEP_1) | instskip(NEXT) | instid1(VALU_DEP_1)
	v_fmaak_f64 v[20:21], v[16:17], v[20:21], 0x3fcc71c016291751
	v_fmaak_f64 v[20:21], v[16:17], v[20:21], 0x3fd249249b27acf1
	s_delay_alu instid0(VALU_DEP_1) | instskip(NEXT) | instid1(VALU_DEP_1)
	v_fmaak_f64 v[20:21], v[16:17], v[20:21], 0x3fd99999998ef7b6
	v_fmaak_f64 v[16:17], v[16:17], v[20:21], 0x3fe5555555555780
	v_ldexp_f64 v[20:21], v[12:13], 1
	v_add_f64_e64 v[12:13], v[12:13], -v[14:15]
	s_delay_alu instid0(VALU_DEP_3) | instskip(SKIP_1) | instid1(VALU_DEP_3)
	v_mul_f64_e32 v[16:17], v[22:23], v[16:17]
	v_cvt_f64_i32_e32 v[22:23], v25
	v_add_f64_e64 v[10:11], v[10:11], -v[12:13]
	s_delay_alu instid0(VALU_DEP_3) | instskip(NEXT) | instid1(VALU_DEP_2)
	v_add_f64_e32 v[14:15], v[20:21], v[16:17]
	v_ldexp_f64 v[10:11], v[10:11], 1
	s_delay_alu instid0(VALU_DEP_2) | instskip(SKIP_1) | instid1(VALU_DEP_2)
	v_add_f64_e64 v[12:13], v[14:15], -v[20:21]
	v_mul_f64_e32 v[20:21], 0x3fe62e42fefa39ef, v[22:23]
	v_add_f64_e64 v[12:13], v[16:17], -v[12:13]
	s_delay_alu instid0(VALU_DEP_2) | instskip(NEXT) | instid1(VALU_DEP_2)
	v_fma_f64 v[16:17], v[22:23], s[16:17], -v[20:21]
	v_add_f64_e32 v[10:11], v[10:11], v[12:13]
	s_delay_alu instid0(VALU_DEP_2) | instskip(NEXT) | instid1(VALU_DEP_1)
	v_fmamk_f64 v[12:13], v[22:23], 0x3c7abc9e3b39803f, v[16:17]
	v_add_f64_e32 v[16:17], v[20:21], v[12:13]
	s_delay_alu instid0(VALU_DEP_3) | instskip(NEXT) | instid1(VALU_DEP_2)
	v_add_f64_e32 v[22:23], v[14:15], v[10:11]
	v_add_f64_e64 v[20:21], v[16:17], -v[20:21]
	s_delay_alu instid0(VALU_DEP_2) | instskip(SKIP_1) | instid1(VALU_DEP_3)
	v_add_f64_e32 v[26:27], v[16:17], v[22:23]
	v_add_f64_e64 v[14:15], v[22:23], -v[14:15]
	v_add_f64_e64 v[12:13], v[12:13], -v[20:21]
	s_delay_alu instid0(VALU_DEP_3) | instskip(NEXT) | instid1(VALU_DEP_3)
	v_add_f64_e64 v[28:29], v[26:27], -v[16:17]
	v_add_f64_e64 v[10:11], v[10:11], -v[14:15]
	s_delay_alu instid0(VALU_DEP_2) | instskip(SKIP_1) | instid1(VALU_DEP_3)
	v_add_f64_e64 v[30:31], v[26:27], -v[28:29]
	v_add_f64_e64 v[14:15], v[22:23], -v[28:29]
	v_add_f64_e32 v[20:21], v[12:13], v[10:11]
	s_delay_alu instid0(VALU_DEP_3) | instskip(NEXT) | instid1(VALU_DEP_1)
	v_add_f64_e64 v[16:17], v[16:17], -v[30:31]
	v_add_f64_e32 v[14:15], v[14:15], v[16:17]
	s_delay_alu instid0(VALU_DEP_3) | instskip(NEXT) | instid1(VALU_DEP_2)
	v_add_f64_e64 v[16:17], v[20:21], -v[12:13]
	v_add_f64_e32 v[14:15], v[20:21], v[14:15]
	s_delay_alu instid0(VALU_DEP_2) | instskip(SKIP_1) | instid1(VALU_DEP_3)
	v_add_f64_e64 v[20:21], v[20:21], -v[16:17]
	v_add_f64_e64 v[10:11], v[10:11], -v[16:17]
	v_add_f64_e32 v[22:23], v[26:27], v[14:15]
	s_delay_alu instid0(VALU_DEP_3) | instskip(NEXT) | instid1(VALU_DEP_2)
	v_add_f64_e64 v[12:13], v[12:13], -v[20:21]
	v_add_f64_e64 v[16:17], v[22:23], -v[26:27]
	s_delay_alu instid0(VALU_DEP_2) | instskip(NEXT) | instid1(VALU_DEP_2)
	v_add_f64_e32 v[10:11], v[10:11], v[12:13]
	v_add_f64_e64 v[12:13], v[14:15], -v[16:17]
	s_delay_alu instid0(VALU_DEP_1) | instskip(NEXT) | instid1(VALU_DEP_1)
	v_add_f64_e32 v[10:11], v[10:11], v[12:13]
	v_add_f64_e32 v[10:11], v[22:23], v[10:11]
	s_delay_alu instid0(VALU_DEP_1) | instskip(SKIP_1) | instid1(VALU_DEP_3)
	v_cndmask_b32_e32 v10, 0, v10, vcc_lo
	v_cmp_neq_f64_e32 vcc_lo, -1.0, v[6:7]
	v_cndmask_b32_e64 v11, 0x7ff00000, v11, s1
	s_delay_alu instid0(VALU_DEP_1) | instskip(NEXT) | instid1(VALU_DEP_1)
	v_cndmask_b32_e64 v11, 0x7ff80000, v11, s2
	v_cndmask_b32_e32 v11, 0xfff00000, v11, vcc_lo
	s_delay_alu instid0(VALU_DEP_1) | instskip(NEXT) | instid1(VALU_DEP_1)
	v_div_scale_f64 v[6:7], null, s[4:5], s[4:5], v[10:11]
	v_rcp_f64_e32 v[12:13], v[6:7]
	v_nop
	s_delay_alu instid0(TRANS32_DEP_1) | instskip(NEXT) | instid1(VALU_DEP_1)
	v_fma_f64 v[14:15], -v[6:7], v[12:13], 1.0
	v_fmac_f64_e32 v[12:13], v[12:13], v[14:15]
	s_delay_alu instid0(VALU_DEP_1) | instskip(NEXT) | instid1(VALU_DEP_1)
	v_fma_f64 v[14:15], -v[6:7], v[12:13], 1.0
	v_fmac_f64_e32 v[12:13], v[12:13], v[14:15]
	v_div_scale_f64 v[14:15], vcc_lo, v[10:11], s[4:5], v[10:11]
	s_delay_alu instid0(VALU_DEP_1) | instskip(NEXT) | instid1(VALU_DEP_1)
	v_mul_f64_e32 v[16:17], v[14:15], v[12:13]
	v_fma_f64 v[6:7], -v[6:7], v[16:17], v[14:15]
	s_delay_alu instid0(VALU_DEP_1) | instskip(NEXT) | instid1(VALU_DEP_1)
	v_div_fmas_f64 v[6:7], v[6:7], v[12:13], v[16:17]
	v_div_fixup_f64 v[20:21], v[6:7], s[4:5], v[10:11]
.LBB0_30:
	s_or_b32 exec_lo, exec_lo, s10
	s_delay_alu instid0(VALU_DEP_1)
	v_dual_mov_b32 v6, v20 :: v_dual_mov_b32 v7, v21
.LBB0_31:
	s_or_b32 exec_lo, exec_lo, s3
	v_or_b32_e32 v10, 0x300, v0
	s_mov_b32 s3, exec_lo
	s_delay_alu instid0(VALU_DEP_1)
	v_cmpx_gt_i32_e64 s14, v10
	s_cbranch_execnz .LBB0_38
; %bb.32:
	s_or_b32 exec_lo, exec_lo, s3
	s_and_saveexec_b32 s1, s0
	s_delay_alu instid0(SALU_CYCLE_1)
	s_xor_b32 s0, exec_lo, s1
	s_cbranch_execnz .LBB0_41
.LBB0_33:
	s_or_b32 exec_lo, exec_lo, s0
	s_delay_alu instid0(SALU_CYCLE_1)
	s_mov_b32 s0, exec_lo
	v_cmpx_gt_i32_e64 s14, v0
	s_cbranch_execnz .LBB0_42
.LBB0_34:
	s_or_b32 exec_lo, exec_lo, s0
	s_delay_alu instid0(SALU_CYCLE_1)
	s_mov_b32 s0, exec_lo
	v_cmpx_gt_i32_e64 s14, v0
	s_cbranch_execnz .LBB0_43
.LBB0_35:
	s_or_b32 exec_lo, exec_lo, s0
	s_delay_alu instid0(SALU_CYCLE_1)
	s_mov_b32 s0, exec_lo
	v_cmpx_gt_i32_e64 s14, v0
	s_cbranch_execz .LBB0_37
.LBB0_36:
	v_add_nc_u32_e32 v0, s12, v0
	global_store_b64 v0, v[8:9], s[8:9] scale_offset
.LBB0_37:
	s_endpgm
.LBB0_38:
	v_mul_f64_e32 v[8:9], s[4:5], v[18:19]
	s_delay_alu instid0(VALU_DEP_1)
	v_cmp_nlt_f64_e32 vcc_lo, s[6:7], v[8:9]
	s_and_saveexec_b32 s6, vcc_lo
	s_cbranch_execz .LBB0_40
; %bb.39:
	v_mul_f64_e32 v[10:11], 0x3ff71547652b82fe, v[8:9]
	s_mov_b64 s[10:11], 0x3e5ade156a5dcb37
	v_cmp_nlt_f64_e32 vcc_lo, 0x40900000, v[8:9]
	v_cmp_ngt_f64_e64 s1, 0xc090cc00, v[8:9]
	s_delay_alu instid0(VALU_DEP_3) | instskip(NEXT) | instid1(VALU_DEP_1)
	v_rndne_f64_e32 v[10:11], v[10:11]
	v_fmamk_f64 v[12:13], v[10:11], 0xbfe62e42fefa39ef, v[8:9]
	v_cvt_i32_f64_e32 v16, v[10:11]
	s_delay_alu instid0(VALU_DEP_2) | instskip(NEXT) | instid1(VALU_DEP_1)
	v_fmamk_f64 v[12:13], v[10:11], 0xbc7abc9e3b39803f, v[12:13]
	v_fmaak_f64 v[14:15], s[10:11], v[12:13], 0x3e928af3fca7ab0c
	s_mov_b64 s[10:11], 0x3fe5555555555555
	s_delay_alu instid0(VALU_DEP_1) | instskip(NEXT) | instid1(VALU_DEP_1)
	v_fmaak_f64 v[14:15], v[12:13], v[14:15], 0x3ec71dee623fde64
	v_fmaak_f64 v[14:15], v[12:13], v[14:15], 0x3efa01997c89e6b0
	s_delay_alu instid0(VALU_DEP_1) | instskip(NEXT) | instid1(VALU_DEP_1)
	v_fmaak_f64 v[14:15], v[12:13], v[14:15], 0x3f2a01a014761f6e
	v_fmaak_f64 v[14:15], v[12:13], v[14:15], 0x3f56c16c1852b7b0
	;; [unrolled: 3-line block ×4, first 2 shown]
	s_delay_alu instid0(VALU_DEP_1) | instskip(NEXT) | instid1(VALU_DEP_1)
	v_fma_f64 v[14:15], v[12:13], v[14:15], 1.0
	v_fma_f64 v[10:11], v[12:13], v[14:15], 1.0
	s_delay_alu instid0(VALU_DEP_1) | instskip(NEXT) | instid1(VALU_DEP_1)
	v_ldexp_f64 v[10:11], v[10:11], v16
	v_cndmask_b32_e32 v11, 0x7ff00000, v11, vcc_lo
	s_and_b32 vcc_lo, s1, vcc_lo
	s_delay_alu instid0(VALU_DEP_1) | instid1(SALU_CYCLE_1)
	v_dual_cndmask_b32 v8, 0, v10, vcc_lo :: v_dual_cndmask_b32 v9, 0, v11, s1
	s_delay_alu instid0(VALU_DEP_1) | instskip(SKIP_2) | instid1(VALU_DEP_3)
	v_add_f64_e32 v[10:11], 1.0, v[8:9]
	v_cmp_neq_f64_e64 s1, 0x7ff00000, v[8:9]
	v_cmp_ngt_f64_e64 s2, -1.0, v[8:9]
	v_frexp_mant_f64_e32 v[12:13], v[10:11]
	v_frexp_exp_i32_f64_e32 v16, v[10:11]
	v_add_f64_e32 v[14:15], -1.0, v[10:11]
	s_delay_alu instid0(VALU_DEP_3) | instskip(SKIP_1) | instid1(VALU_DEP_2)
	v_cmp_gt_f64_e32 vcc_lo, s[10:11], v[12:13]
	s_mov_b64 s[10:11], 0x3fc3ab76bf559e2b
	v_add_f64_e64 v[12:13], v[14:15], -v[10:11]
	v_add_f64_e64 v[14:15], v[8:9], -v[14:15]
	v_subrev_co_ci_u32_e64 v25, null, 0, v16, vcc_lo
	v_cmp_nge_f64_e32 vcc_lo, -1.0, v[8:9]
	s_delay_alu instid0(VALU_DEP_2) | instskip(NEXT) | instid1(VALU_DEP_1)
	v_sub_nc_u32_e32 v18, 0, v25
	v_ldexp_f64 v[10:11], v[10:11], v18
	s_and_b32 vcc_lo, vcc_lo, s1
	v_add_f64_e32 v[12:13], 1.0, v[12:13]
	s_delay_alu instid0(VALU_DEP_2) | instskip(SKIP_1) | instid1(VALU_DEP_3)
	v_add_f64_e32 v[16:17], 1.0, v[10:11]
	v_add_f64_e32 v[22:23], -1.0, v[10:11]
	v_add_f64_e32 v[12:13], v[14:15], v[12:13]
	s_delay_alu instid0(VALU_DEP_3) | instskip(NEXT) | instid1(VALU_DEP_3)
	v_add_f64_e32 v[14:15], -1.0, v[16:17]
	v_add_f64_e32 v[26:27], 1.0, v[22:23]
	s_delay_alu instid0(VALU_DEP_3) | instskip(NEXT) | instid1(VALU_DEP_3)
	v_ldexp_f64 v[12:13], v[12:13], v18
	v_add_f64_e64 v[14:15], v[10:11], -v[14:15]
	s_delay_alu instid0(VALU_DEP_3) | instskip(NEXT) | instid1(VALU_DEP_2)
	v_add_f64_e64 v[10:11], v[10:11], -v[26:27]
	v_add_f64_e32 v[14:15], v[12:13], v[14:15]
	s_delay_alu instid0(VALU_DEP_2) | instskip(NEXT) | instid1(VALU_DEP_2)
	v_add_f64_e32 v[10:11], v[12:13], v[10:11]
	v_add_f64_e32 v[18:19], v[16:17], v[14:15]
	s_delay_alu instid0(VALU_DEP_2) | instskip(NEXT) | instid1(VALU_DEP_2)
	v_add_f64_e32 v[26:27], v[22:23], v[10:11]
	v_rcp_f64_e32 v[20:21], v[18:19]
	v_add_f64_e64 v[16:17], v[18:19], -v[16:17]
	s_delay_alu instid0(VALU_DEP_2) | instskip(NEXT) | instid1(VALU_DEP_2)
	v_add_f64_e64 v[22:23], v[26:27], -v[22:23]
	v_add_f64_e64 v[14:15], v[14:15], -v[16:17]
	s_delay_alu instid0(VALU_DEP_2) | instskip(NEXT) | instid1(TRANS32_DEP_1)
	v_add_f64_e64 v[10:11], v[10:11], -v[22:23]
	v_fma_f64 v[28:29], -v[18:19], v[20:21], 1.0
	s_delay_alu instid0(VALU_DEP_1) | instskip(NEXT) | instid1(VALU_DEP_1)
	v_fmac_f64_e32 v[20:21], v[28:29], v[20:21]
	v_fma_f64 v[12:13], -v[18:19], v[20:21], 1.0
	s_delay_alu instid0(VALU_DEP_1) | instskip(NEXT) | instid1(VALU_DEP_1)
	v_fmac_f64_e32 v[20:21], v[12:13], v[20:21]
	v_mul_f64_e32 v[12:13], v[26:27], v[20:21]
	s_delay_alu instid0(VALU_DEP_1) | instskip(NEXT) | instid1(VALU_DEP_1)
	v_mul_f64_e32 v[28:29], v[18:19], v[12:13]
	v_fma_f64 v[16:17], v[12:13], v[18:19], -v[28:29]
	s_delay_alu instid0(VALU_DEP_1) | instskip(NEXT) | instid1(VALU_DEP_1)
	v_fmac_f64_e32 v[16:17], v[12:13], v[14:15]
	v_add_f64_e32 v[30:31], v[28:29], v[16:17]
	s_delay_alu instid0(VALU_DEP_1) | instskip(SKIP_1) | instid1(VALU_DEP_2)
	v_add_f64_e64 v[32:33], v[26:27], -v[30:31]
	v_add_f64_e64 v[22:23], v[30:31], -v[28:29]
	;; [unrolled: 1-line block ×3, first 2 shown]
	s_delay_alu instid0(VALU_DEP_2) | instskip(NEXT) | instid1(VALU_DEP_2)
	v_add_f64_e64 v[16:17], v[22:23], -v[16:17]
	v_add_f64_e64 v[26:27], v[26:27], -v[30:31]
	s_delay_alu instid0(VALU_DEP_1) | instskip(NEXT) | instid1(VALU_DEP_1)
	v_add_f64_e32 v[10:11], v[10:11], v[26:27]
	v_add_f64_e32 v[10:11], v[16:17], v[10:11]
	s_delay_alu instid0(VALU_DEP_1) | instskip(NEXT) | instid1(VALU_DEP_1)
	v_add_f64_e32 v[16:17], v[32:33], v[10:11]
	v_mul_f64_e32 v[22:23], v[20:21], v[16:17]
	v_add_f64_e64 v[30:31], v[32:33], -v[16:17]
	s_delay_alu instid0(VALU_DEP_2) | instskip(NEXT) | instid1(VALU_DEP_2)
	v_mul_f64_e32 v[26:27], v[18:19], v[22:23]
	v_add_f64_e32 v[10:11], v[10:11], v[30:31]
	s_delay_alu instid0(VALU_DEP_2) | instskip(NEXT) | instid1(VALU_DEP_1)
	v_fma_f64 v[18:19], v[22:23], v[18:19], -v[26:27]
	v_fmac_f64_e32 v[18:19], v[22:23], v[14:15]
	s_delay_alu instid0(VALU_DEP_1) | instskip(NEXT) | instid1(VALU_DEP_1)
	v_add_f64_e32 v[14:15], v[26:27], v[18:19]
	v_add_f64_e64 v[28:29], v[16:17], -v[14:15]
	v_add_f64_e64 v[26:27], v[14:15], -v[26:27]
	s_delay_alu instid0(VALU_DEP_2) | instskip(NEXT) | instid1(VALU_DEP_1)
	v_add_f64_e64 v[16:17], v[16:17], -v[28:29]
	v_add_f64_e64 v[14:15], v[16:17], -v[14:15]
	s_delay_alu instid0(VALU_DEP_3) | instskip(NEXT) | instid1(VALU_DEP_2)
	v_add_f64_e64 v[16:17], v[26:27], -v[18:19]
	v_add_f64_e32 v[10:11], v[10:11], v[14:15]
	v_add_f64_e32 v[14:15], v[12:13], v[22:23]
	s_delay_alu instid0(VALU_DEP_2) | instskip(NEXT) | instid1(VALU_DEP_2)
	v_add_f64_e32 v[10:11], v[16:17], v[10:11]
	v_add_f64_e64 v[12:13], v[14:15], -v[12:13]
	s_delay_alu instid0(VALU_DEP_2) | instskip(NEXT) | instid1(VALU_DEP_2)
	v_add_f64_e32 v[10:11], v[28:29], v[10:11]
	v_add_f64_e64 v[12:13], v[22:23], -v[12:13]
	s_delay_alu instid0(VALU_DEP_2) | instskip(NEXT) | instid1(VALU_DEP_1)
	v_mul_f64_e32 v[10:11], v[20:21], v[10:11]
	v_add_f64_e32 v[10:11], v[12:13], v[10:11]
	s_delay_alu instid0(VALU_DEP_1) | instskip(NEXT) | instid1(VALU_DEP_1)
	v_add_f64_e32 v[12:13], v[14:15], v[10:11]
	v_mul_f64_e32 v[16:17], v[12:13], v[12:13]
	s_delay_alu instid0(VALU_DEP_1) | instskip(SKIP_2) | instid1(VALU_DEP_2)
	v_fmaak_f64 v[18:19], s[10:11], v[16:17], 0x3fc385386b47b09a
	v_mul_f64_e32 v[20:21], v[12:13], v[16:17]
	s_mov_b64 s[10:11], 0x3fe62e42fefa39ef
	v_fmaak_f64 v[18:19], v[16:17], v[18:19], 0x3fc7474dd7f4df2e
	s_delay_alu instid0(VALU_DEP_1) | instskip(NEXT) | instid1(VALU_DEP_1)
	v_fmaak_f64 v[18:19], v[16:17], v[18:19], 0x3fcc71c016291751
	v_fmaak_f64 v[18:19], v[16:17], v[18:19], 0x3fd249249b27acf1
	s_delay_alu instid0(VALU_DEP_1) | instskip(NEXT) | instid1(VALU_DEP_1)
	v_fmaak_f64 v[18:19], v[16:17], v[18:19], 0x3fd99999998ef7b6
	v_fmaak_f64 v[16:17], v[16:17], v[18:19], 0x3fe5555555555780
	v_ldexp_f64 v[18:19], v[12:13], 1
	v_add_f64_e64 v[12:13], v[12:13], -v[14:15]
	s_delay_alu instid0(VALU_DEP_3) | instskip(SKIP_1) | instid1(VALU_DEP_3)
	v_mul_f64_e32 v[16:17], v[20:21], v[16:17]
	v_cvt_f64_i32_e32 v[20:21], v25
	v_add_f64_e64 v[10:11], v[10:11], -v[12:13]
	s_delay_alu instid0(VALU_DEP_3) | instskip(NEXT) | instid1(VALU_DEP_2)
	v_add_f64_e32 v[14:15], v[18:19], v[16:17]
	v_ldexp_f64 v[10:11], v[10:11], 1
	s_delay_alu instid0(VALU_DEP_2) | instskip(SKIP_1) | instid1(VALU_DEP_2)
	v_add_f64_e64 v[12:13], v[14:15], -v[18:19]
	v_mul_f64_e32 v[18:19], 0x3fe62e42fefa39ef, v[20:21]
	v_add_f64_e64 v[12:13], v[16:17], -v[12:13]
	s_delay_alu instid0(VALU_DEP_2) | instskip(NEXT) | instid1(VALU_DEP_2)
	v_fma_f64 v[16:17], v[20:21], s[10:11], -v[18:19]
	v_add_f64_e32 v[10:11], v[10:11], v[12:13]
	s_delay_alu instid0(VALU_DEP_2) | instskip(NEXT) | instid1(VALU_DEP_1)
	v_fmamk_f64 v[12:13], v[20:21], 0x3c7abc9e3b39803f, v[16:17]
	v_add_f64_e32 v[16:17], v[18:19], v[12:13]
	s_delay_alu instid0(VALU_DEP_3) | instskip(NEXT) | instid1(VALU_DEP_2)
	v_add_f64_e32 v[20:21], v[14:15], v[10:11]
	v_add_f64_e64 v[18:19], v[16:17], -v[18:19]
	s_delay_alu instid0(VALU_DEP_2) | instskip(SKIP_1) | instid1(VALU_DEP_3)
	v_add_f64_e32 v[22:23], v[16:17], v[20:21]
	v_add_f64_e64 v[14:15], v[20:21], -v[14:15]
	v_add_f64_e64 v[12:13], v[12:13], -v[18:19]
	s_delay_alu instid0(VALU_DEP_3) | instskip(NEXT) | instid1(VALU_DEP_3)
	v_add_f64_e64 v[26:27], v[22:23], -v[16:17]
	v_add_f64_e64 v[10:11], v[10:11], -v[14:15]
	s_delay_alu instid0(VALU_DEP_2) | instskip(SKIP_1) | instid1(VALU_DEP_3)
	v_add_f64_e64 v[28:29], v[22:23], -v[26:27]
	v_add_f64_e64 v[14:15], v[20:21], -v[26:27]
	v_add_f64_e32 v[18:19], v[12:13], v[10:11]
	s_delay_alu instid0(VALU_DEP_3) | instskip(NEXT) | instid1(VALU_DEP_1)
	v_add_f64_e64 v[16:17], v[16:17], -v[28:29]
	v_add_f64_e32 v[14:15], v[14:15], v[16:17]
	s_delay_alu instid0(VALU_DEP_3) | instskip(NEXT) | instid1(VALU_DEP_2)
	v_add_f64_e64 v[16:17], v[18:19], -v[12:13]
	v_add_f64_e32 v[14:15], v[18:19], v[14:15]
	s_delay_alu instid0(VALU_DEP_2) | instskip(SKIP_1) | instid1(VALU_DEP_3)
	v_add_f64_e64 v[18:19], v[18:19], -v[16:17]
	v_add_f64_e64 v[10:11], v[10:11], -v[16:17]
	v_add_f64_e32 v[20:21], v[22:23], v[14:15]
	s_delay_alu instid0(VALU_DEP_3) | instskip(NEXT) | instid1(VALU_DEP_2)
	v_add_f64_e64 v[12:13], v[12:13], -v[18:19]
	v_add_f64_e64 v[16:17], v[20:21], -v[22:23]
	s_delay_alu instid0(VALU_DEP_2) | instskip(NEXT) | instid1(VALU_DEP_2)
	v_add_f64_e32 v[10:11], v[10:11], v[12:13]
	v_add_f64_e64 v[12:13], v[14:15], -v[16:17]
	s_delay_alu instid0(VALU_DEP_1) | instskip(NEXT) | instid1(VALU_DEP_1)
	v_add_f64_e32 v[10:11], v[10:11], v[12:13]
	v_add_f64_e32 v[10:11], v[20:21], v[10:11]
	s_delay_alu instid0(VALU_DEP_1) | instskip(SKIP_1) | instid1(VALU_DEP_3)
	v_cndmask_b32_e32 v10, 0, v10, vcc_lo
	v_cmp_neq_f64_e32 vcc_lo, -1.0, v[8:9]
	v_cndmask_b32_e64 v11, 0x7ff00000, v11, s1
	s_delay_alu instid0(VALU_DEP_1) | instskip(NEXT) | instid1(VALU_DEP_1)
	v_cndmask_b32_e64 v11, 0x7ff80000, v11, s2
	v_cndmask_b32_e32 v11, 0xfff00000, v11, vcc_lo
	s_delay_alu instid0(VALU_DEP_1) | instskip(NEXT) | instid1(VALU_DEP_1)
	v_div_scale_f64 v[8:9], null, s[4:5], s[4:5], v[10:11]
	v_rcp_f64_e32 v[12:13], v[8:9]
	v_nop
	s_delay_alu instid0(TRANS32_DEP_1) | instskip(NEXT) | instid1(VALU_DEP_1)
	v_fma_f64 v[14:15], -v[8:9], v[12:13], 1.0
	v_fmac_f64_e32 v[12:13], v[12:13], v[14:15]
	s_delay_alu instid0(VALU_DEP_1) | instskip(NEXT) | instid1(VALU_DEP_1)
	v_fma_f64 v[14:15], -v[8:9], v[12:13], 1.0
	v_fmac_f64_e32 v[12:13], v[12:13], v[14:15]
	v_div_scale_f64 v[14:15], vcc_lo, v[10:11], s[4:5], v[10:11]
	s_delay_alu instid0(VALU_DEP_1) | instskip(NEXT) | instid1(VALU_DEP_1)
	v_mul_f64_e32 v[16:17], v[14:15], v[12:13]
	v_fma_f64 v[8:9], -v[8:9], v[16:17], v[14:15]
	s_delay_alu instid0(VALU_DEP_1) | instskip(NEXT) | instid1(VALU_DEP_1)
	v_div_fmas_f64 v[8:9], v[8:9], v[12:13], v[16:17]
	v_div_fixup_f64 v[18:19], v[8:9], s[4:5], v[10:11]
.LBB0_40:
	s_or_b32 exec_lo, exec_lo, s6
	s_delay_alu instid0(VALU_DEP_1) | instskip(SKIP_2) | instid1(SALU_CYCLE_1)
	v_dual_mov_b32 v8, v18 :: v_dual_mov_b32 v9, v19
	s_or_b32 exec_lo, exec_lo, s3
	s_and_saveexec_b32 s1, s0
	s_xor_b32 s0, exec_lo, s1
	s_cbranch_execz .LBB0_33
.LBB0_41:
	v_mov_b32_e32 v0, v24
	global_store_b64 v1, v[2:3], s[8:9] scale_offset
	s_wait_xcnt 0x0
	s_or_b32 exec_lo, exec_lo, s0
	s_delay_alu instid0(SALU_CYCLE_1)
	s_mov_b32 s0, exec_lo
	v_cmpx_gt_i32_e64 s14, v0
	s_cbranch_execz .LBB0_34
.LBB0_42:
	v_add_nc_u32_e32 v1, s12, v0
	v_add_nc_u32_e32 v0, 0x100, v0
	global_store_b64 v1, v[4:5], s[8:9] scale_offset
	s_wait_xcnt 0x0
	s_or_b32 exec_lo, exec_lo, s0
	s_delay_alu instid0(SALU_CYCLE_1)
	s_mov_b32 s0, exec_lo
	v_cmpx_gt_i32_e64 s14, v0
	s_cbranch_execz .LBB0_35
.LBB0_43:
	v_add_nc_u32_e32 v1, s12, v0
	v_add_nc_u32_e32 v0, 0x100, v0
	global_store_b64 v1, v[6:7], s[8:9] scale_offset
	s_wait_xcnt 0x0
	s_or_b32 exec_lo, exec_lo, s0
	s_delay_alu instid0(SALU_CYCLE_1)
	s_mov_b32 s0, exec_lo
	v_cmpx_gt_i32_e64 s14, v0
	s_cbranch_execnz .LBB0_36
	s_branch .LBB0_37
	.section	.rodata,"a",@progbits
	.p2align	6, 0x0
	.amdhsa_kernel _ZN2at6native29vectorized_elementwise_kernelILi16EZZZNS0_12_GLOBAL__N_115softplus_kernelERNS_18TensorIteratorBaseERKN3c106ScalarES8_ENKUlvE_clEvENKUlvE_clEvEUldE_St5arrayIPcLm2EEEEviT0_T1_
		.amdhsa_group_segment_fixed_size 0
		.amdhsa_private_segment_fixed_size 0
		.amdhsa_kernarg_size 40
		.amdhsa_user_sgpr_count 2
		.amdhsa_user_sgpr_dispatch_ptr 0
		.amdhsa_user_sgpr_queue_ptr 0
		.amdhsa_user_sgpr_kernarg_segment_ptr 1
		.amdhsa_user_sgpr_dispatch_id 0
		.amdhsa_user_sgpr_kernarg_preload_length 0
		.amdhsa_user_sgpr_kernarg_preload_offset 0
		.amdhsa_user_sgpr_private_segment_size 0
		.amdhsa_wavefront_size32 1
		.amdhsa_uses_dynamic_stack 0
		.amdhsa_enable_private_segment 0
		.amdhsa_system_sgpr_workgroup_id_x 1
		.amdhsa_system_sgpr_workgroup_id_y 0
		.amdhsa_system_sgpr_workgroup_id_z 0
		.amdhsa_system_sgpr_workgroup_info 0
		.amdhsa_system_vgpr_workitem_id 0
		.amdhsa_next_free_vgpr 38
		.amdhsa_next_free_sgpr 18
		.amdhsa_named_barrier_count 0
		.amdhsa_reserve_vcc 1
		.amdhsa_float_round_mode_32 0
		.amdhsa_float_round_mode_16_64 0
		.amdhsa_float_denorm_mode_32 3
		.amdhsa_float_denorm_mode_16_64 3
		.amdhsa_fp16_overflow 0
		.amdhsa_memory_ordered 1
		.amdhsa_forward_progress 1
		.amdhsa_inst_pref_size 95
		.amdhsa_round_robin_scheduling 0
		.amdhsa_exception_fp_ieee_invalid_op 0
		.amdhsa_exception_fp_denorm_src 0
		.amdhsa_exception_fp_ieee_div_zero 0
		.amdhsa_exception_fp_ieee_overflow 0
		.amdhsa_exception_fp_ieee_underflow 0
		.amdhsa_exception_fp_ieee_inexact 0
		.amdhsa_exception_int_div_zero 0
	.end_amdhsa_kernel
	.section	.text._ZN2at6native29vectorized_elementwise_kernelILi16EZZZNS0_12_GLOBAL__N_115softplus_kernelERNS_18TensorIteratorBaseERKN3c106ScalarES8_ENKUlvE_clEvENKUlvE_clEvEUldE_St5arrayIPcLm2EEEEviT0_T1_,"axG",@progbits,_ZN2at6native29vectorized_elementwise_kernelILi16EZZZNS0_12_GLOBAL__N_115softplus_kernelERNS_18TensorIteratorBaseERKN3c106ScalarES8_ENKUlvE_clEvENKUlvE_clEvEUldE_St5arrayIPcLm2EEEEviT0_T1_,comdat
.Lfunc_end0:
	.size	_ZN2at6native29vectorized_elementwise_kernelILi16EZZZNS0_12_GLOBAL__N_115softplus_kernelERNS_18TensorIteratorBaseERKN3c106ScalarES8_ENKUlvE_clEvENKUlvE_clEvEUldE_St5arrayIPcLm2EEEEviT0_T1_, .Lfunc_end0-_ZN2at6native29vectorized_elementwise_kernelILi16EZZZNS0_12_GLOBAL__N_115softplus_kernelERNS_18TensorIteratorBaseERKN3c106ScalarES8_ENKUlvE_clEvENKUlvE_clEvEUldE_St5arrayIPcLm2EEEEviT0_T1_
                                        ; -- End function
	.set _ZN2at6native29vectorized_elementwise_kernelILi16EZZZNS0_12_GLOBAL__N_115softplus_kernelERNS_18TensorIteratorBaseERKN3c106ScalarES8_ENKUlvE_clEvENKUlvE_clEvEUldE_St5arrayIPcLm2EEEEviT0_T1_.num_vgpr, 38
	.set _ZN2at6native29vectorized_elementwise_kernelILi16EZZZNS0_12_GLOBAL__N_115softplus_kernelERNS_18TensorIteratorBaseERKN3c106ScalarES8_ENKUlvE_clEvENKUlvE_clEvEUldE_St5arrayIPcLm2EEEEviT0_T1_.num_agpr, 0
	.set _ZN2at6native29vectorized_elementwise_kernelILi16EZZZNS0_12_GLOBAL__N_115softplus_kernelERNS_18TensorIteratorBaseERKN3c106ScalarES8_ENKUlvE_clEvENKUlvE_clEvEUldE_St5arrayIPcLm2EEEEviT0_T1_.numbered_sgpr, 18
	.set _ZN2at6native29vectorized_elementwise_kernelILi16EZZZNS0_12_GLOBAL__N_115softplus_kernelERNS_18TensorIteratorBaseERKN3c106ScalarES8_ENKUlvE_clEvENKUlvE_clEvEUldE_St5arrayIPcLm2EEEEviT0_T1_.num_named_barrier, 0
	.set _ZN2at6native29vectorized_elementwise_kernelILi16EZZZNS0_12_GLOBAL__N_115softplus_kernelERNS_18TensorIteratorBaseERKN3c106ScalarES8_ENKUlvE_clEvENKUlvE_clEvEUldE_St5arrayIPcLm2EEEEviT0_T1_.private_seg_size, 0
	.set _ZN2at6native29vectorized_elementwise_kernelILi16EZZZNS0_12_GLOBAL__N_115softplus_kernelERNS_18TensorIteratorBaseERKN3c106ScalarES8_ENKUlvE_clEvENKUlvE_clEvEUldE_St5arrayIPcLm2EEEEviT0_T1_.uses_vcc, 1
	.set _ZN2at6native29vectorized_elementwise_kernelILi16EZZZNS0_12_GLOBAL__N_115softplus_kernelERNS_18TensorIteratorBaseERKN3c106ScalarES8_ENKUlvE_clEvENKUlvE_clEvEUldE_St5arrayIPcLm2EEEEviT0_T1_.uses_flat_scratch, 0
	.set _ZN2at6native29vectorized_elementwise_kernelILi16EZZZNS0_12_GLOBAL__N_115softplus_kernelERNS_18TensorIteratorBaseERKN3c106ScalarES8_ENKUlvE_clEvENKUlvE_clEvEUldE_St5arrayIPcLm2EEEEviT0_T1_.has_dyn_sized_stack, 0
	.set _ZN2at6native29vectorized_elementwise_kernelILi16EZZZNS0_12_GLOBAL__N_115softplus_kernelERNS_18TensorIteratorBaseERKN3c106ScalarES8_ENKUlvE_clEvENKUlvE_clEvEUldE_St5arrayIPcLm2EEEEviT0_T1_.has_recursion, 0
	.set _ZN2at6native29vectorized_elementwise_kernelILi16EZZZNS0_12_GLOBAL__N_115softplus_kernelERNS_18TensorIteratorBaseERKN3c106ScalarES8_ENKUlvE_clEvENKUlvE_clEvEUldE_St5arrayIPcLm2EEEEviT0_T1_.has_indirect_call, 0
	.section	.AMDGPU.csdata,"",@progbits
; Kernel info:
; codeLenInByte = 12056
; TotalNumSgprs: 20
; NumVgprs: 38
; ScratchSize: 0
; MemoryBound: 1
; FloatMode: 240
; IeeeMode: 1
; LDSByteSize: 0 bytes/workgroup (compile time only)
; SGPRBlocks: 0
; VGPRBlocks: 2
; NumSGPRsForWavesPerEU: 20
; NumVGPRsForWavesPerEU: 38
; NamedBarCnt: 0
; Occupancy: 16
; WaveLimiterHint : 0
; COMPUTE_PGM_RSRC2:SCRATCH_EN: 0
; COMPUTE_PGM_RSRC2:USER_SGPR: 2
; COMPUTE_PGM_RSRC2:TRAP_HANDLER: 0
; COMPUTE_PGM_RSRC2:TGID_X_EN: 1
; COMPUTE_PGM_RSRC2:TGID_Y_EN: 0
; COMPUTE_PGM_RSRC2:TGID_Z_EN: 0
; COMPUTE_PGM_RSRC2:TIDIG_COMP_CNT: 0
	.section	.text._ZN2at6native29vectorized_elementwise_kernelILi8EZZZNS0_12_GLOBAL__N_115softplus_kernelERNS_18TensorIteratorBaseERKN3c106ScalarES8_ENKUlvE_clEvENKUlvE_clEvEUldE_St5arrayIPcLm2EEEEviT0_T1_,"axG",@progbits,_ZN2at6native29vectorized_elementwise_kernelILi8EZZZNS0_12_GLOBAL__N_115softplus_kernelERNS_18TensorIteratorBaseERKN3c106ScalarES8_ENKUlvE_clEvENKUlvE_clEvEUldE_St5arrayIPcLm2EEEEviT0_T1_,comdat
	.globl	_ZN2at6native29vectorized_elementwise_kernelILi8EZZZNS0_12_GLOBAL__N_115softplus_kernelERNS_18TensorIteratorBaseERKN3c106ScalarES8_ENKUlvE_clEvENKUlvE_clEvEUldE_St5arrayIPcLm2EEEEviT0_T1_ ; -- Begin function _ZN2at6native29vectorized_elementwise_kernelILi8EZZZNS0_12_GLOBAL__N_115softplus_kernelERNS_18TensorIteratorBaseERKN3c106ScalarES8_ENKUlvE_clEvENKUlvE_clEvEUldE_St5arrayIPcLm2EEEEviT0_T1_
	.p2align	8
	.type	_ZN2at6native29vectorized_elementwise_kernelILi8EZZZNS0_12_GLOBAL__N_115softplus_kernelERNS_18TensorIteratorBaseERKN3c106ScalarES8_ENKUlvE_clEvENKUlvE_clEvEUldE_St5arrayIPcLm2EEEEviT0_T1_,@function
_ZN2at6native29vectorized_elementwise_kernelILi8EZZZNS0_12_GLOBAL__N_115softplus_kernelERNS_18TensorIteratorBaseERKN3c106ScalarES8_ENKUlvE_clEvENKUlvE_clEvEUldE_St5arrayIPcLm2EEEEviT0_T1_: ; @_ZN2at6native29vectorized_elementwise_kernelILi8EZZZNS0_12_GLOBAL__N_115softplus_kernelERNS_18TensorIteratorBaseERKN3c106ScalarES8_ENKUlvE_clEvENKUlvE_clEvEUldE_St5arrayIPcLm2EEEEviT0_T1_
; %bb.0:
	s_clause 0x1
	s_load_b32 s2, s[0:1], 0x0
	s_load_b256 s[4:11], s[0:1], 0x8
	s_wait_xcnt 0x0
	s_bfe_u32 s0, ttmp6, 0x4000c
	s_and_b32 s1, ttmp6, 15
	s_add_co_i32 s0, s0, 1
	s_getreg_b32 s3, hwreg(HW_REG_IB_STS2, 6, 4)
	s_mul_i32 s0, ttmp9, s0
	s_delay_alu instid0(SALU_CYCLE_1) | instskip(SKIP_2) | instid1(SALU_CYCLE_1)
	s_add_co_i32 s1, s1, s0
	s_cmp_eq_u32 s3, 0
	s_cselect_b32 s0, ttmp9, s1
	s_lshl_b32 s12, s0, 10
	s_mov_b32 s0, -1
	s_wait_kmcnt 0x0
	s_sub_co_i32 s14, s2, s12
	s_delay_alu instid0(SALU_CYCLE_1)
	s_cmp_gt_i32 s14, 0x3ff
	s_cbranch_scc0 .LBB1_10
; %bb.1:
	s_ashr_i32 s13, s12, 31
	v_lshlrev_b32_e32 v1, 5, v0
	s_lshl_b64 s[2:3], s[12:13], 3
	s_mov_b32 s13, exec_lo
	s_add_nc_u64 s[0:1], s[10:11], s[2:3]
	s_clause 0x1
	global_load_b128 v[6:9], v1, s[0:1]
	global_load_b128 v[2:5], v1, s[0:1] offset:16
	s_wait_loadcnt 0x1
	v_mul_f64_e32 v[10:11], s[4:5], v[6:7]
	s_wait_xcnt 0x0
	s_delay_alu instid0(VALU_DEP_1)
	v_cmpx_nlt_f64_e32 s[6:7], v[10:11]
	s_cbranch_execz .LBB1_3
; %bb.2:
	v_mul_f64_e32 v[6:7], 0x3ff71547652b82fe, v[10:11]
	s_mov_b64 s[0:1], 0x3e5ade156a5dcb37
	v_cmp_nlt_f64_e32 vcc_lo, 0x40900000, v[10:11]
	s_delay_alu instid0(VALU_DEP_2) | instskip(NEXT) | instid1(VALU_DEP_1)
	v_rndne_f64_e32 v[6:7], v[6:7]
	v_fmamk_f64 v[12:13], v[6:7], 0xbfe62e42fefa39ef, v[10:11]
	v_cvt_i32_f64_e32 v16, v[6:7]
	s_delay_alu instid0(VALU_DEP_2) | instskip(NEXT) | instid1(VALU_DEP_1)
	v_fmamk_f64 v[12:13], v[6:7], 0xbc7abc9e3b39803f, v[12:13]
	v_fmaak_f64 v[14:15], s[0:1], v[12:13], 0x3e928af3fca7ab0c
	v_cmp_ngt_f64_e64 s0, 0xc090cc00, v[10:11]
	s_delay_alu instid0(VALU_DEP_2) | instskip(NEXT) | instid1(VALU_DEP_1)
	v_fmaak_f64 v[14:15], v[12:13], v[14:15], 0x3ec71dee623fde64
	v_fmaak_f64 v[14:15], v[12:13], v[14:15], 0x3efa01997c89e6b0
	s_delay_alu instid0(VALU_DEP_1) | instskip(NEXT) | instid1(VALU_DEP_1)
	v_fmaak_f64 v[14:15], v[12:13], v[14:15], 0x3f2a01a014761f6e
	v_fmaak_f64 v[14:15], v[12:13], v[14:15], 0x3f56c16c1852b7b0
	s_delay_alu instid0(VALU_DEP_1) | instskip(NEXT) | instid1(VALU_DEP_1)
	;; [unrolled: 3-line block ×4, first 2 shown]
	v_fma_f64 v[14:15], v[12:13], v[14:15], 1.0
	v_fma_f64 v[6:7], v[12:13], v[14:15], 1.0
	s_delay_alu instid0(VALU_DEP_1) | instskip(NEXT) | instid1(VALU_DEP_1)
	v_ldexp_f64 v[6:7], v[6:7], v16
	v_cndmask_b32_e32 v7, 0x7ff00000, v7, vcc_lo
	s_and_b32 vcc_lo, s0, vcc_lo
	s_delay_alu instid0(VALU_DEP_1) | instid1(SALU_CYCLE_1)
	v_dual_cndmask_b32 v6, 0, v6, vcc_lo :: v_dual_cndmask_b32 v7, 0, v7, s0
	s_mov_b64 s[0:1], 0x3fe5555555555555
	s_delay_alu instid0(VALU_DEP_1) | instskip(NEXT) | instid1(VALU_DEP_1)
	v_add_f64_e32 v[10:11], 1.0, v[6:7]
	v_frexp_mant_f64_e32 v[12:13], v[10:11]
	v_frexp_exp_i32_f64_e32 v16, v[10:11]
	v_add_f64_e32 v[14:15], -1.0, v[10:11]
	s_delay_alu instid0(VALU_DEP_3) | instskip(SKIP_1) | instid1(VALU_DEP_2)
	v_cmp_gt_f64_e32 vcc_lo, s[0:1], v[12:13]
	s_mov_b64 s[0:1], 0x3fc3ab76bf559e2b
	v_add_f64_e64 v[12:13], v[14:15], -v[10:11]
	v_add_f64_e64 v[14:15], v[6:7], -v[14:15]
	v_subrev_co_ci_u32_e64 v32, null, 0, v16, vcc_lo
	s_delay_alu instid0(VALU_DEP_3) | instskip(SKIP_1) | instid1(VALU_DEP_3)
	v_add_f64_e32 v[12:13], 1.0, v[12:13]
	v_cmp_nge_f64_e32 vcc_lo, -1.0, v[6:7]
	v_sub_nc_u32_e32 v18, 0, v32
	s_delay_alu instid0(VALU_DEP_1) | instskip(NEXT) | instid1(VALU_DEP_4)
	v_ldexp_f64 v[10:11], v[10:11], v18
	v_add_f64_e32 v[12:13], v[14:15], v[12:13]
	s_delay_alu instid0(VALU_DEP_2) | instskip(SKIP_1) | instid1(VALU_DEP_3)
	v_add_f64_e32 v[16:17], 1.0, v[10:11]
	v_add_f64_e32 v[22:23], -1.0, v[10:11]
	v_ldexp_f64 v[12:13], v[12:13], v18
	s_delay_alu instid0(VALU_DEP_3) | instskip(NEXT) | instid1(VALU_DEP_3)
	v_add_f64_e32 v[14:15], -1.0, v[16:17]
	v_add_f64_e32 v[24:25], 1.0, v[22:23]
	s_delay_alu instid0(VALU_DEP_2) | instskip(NEXT) | instid1(VALU_DEP_2)
	v_add_f64_e64 v[14:15], v[10:11], -v[14:15]
	v_add_f64_e64 v[10:11], v[10:11], -v[24:25]
	s_delay_alu instid0(VALU_DEP_2) | instskip(NEXT) | instid1(VALU_DEP_2)
	v_add_f64_e32 v[14:15], v[12:13], v[14:15]
	v_add_f64_e32 v[10:11], v[12:13], v[10:11]
	s_delay_alu instid0(VALU_DEP_2) | instskip(NEXT) | instid1(VALU_DEP_2)
	v_add_f64_e32 v[18:19], v[16:17], v[14:15]
	v_add_f64_e32 v[24:25], v[22:23], v[10:11]
	s_delay_alu instid0(VALU_DEP_2) | instskip(SKIP_1) | instid1(VALU_DEP_2)
	v_rcp_f64_e32 v[20:21], v[18:19]
	v_add_f64_e64 v[16:17], v[18:19], -v[16:17]
	v_add_f64_e64 v[22:23], v[24:25], -v[22:23]
	s_delay_alu instid0(VALU_DEP_2) | instskip(NEXT) | instid1(VALU_DEP_2)
	v_add_f64_e64 v[14:15], v[14:15], -v[16:17]
	v_add_f64_e64 v[10:11], v[10:11], -v[22:23]
	s_delay_alu instid0(TRANS32_DEP_1) | instskip(NEXT) | instid1(VALU_DEP_1)
	v_fma_f64 v[26:27], -v[18:19], v[20:21], 1.0
	v_fmac_f64_e32 v[20:21], v[26:27], v[20:21]
	s_delay_alu instid0(VALU_DEP_1) | instskip(NEXT) | instid1(VALU_DEP_1)
	v_fma_f64 v[12:13], -v[18:19], v[20:21], 1.0
	v_fmac_f64_e32 v[20:21], v[12:13], v[20:21]
	s_delay_alu instid0(VALU_DEP_1) | instskip(NEXT) | instid1(VALU_DEP_1)
	v_mul_f64_e32 v[12:13], v[24:25], v[20:21]
	v_mul_f64_e32 v[26:27], v[18:19], v[12:13]
	s_delay_alu instid0(VALU_DEP_1) | instskip(NEXT) | instid1(VALU_DEP_1)
	v_fma_f64 v[16:17], v[12:13], v[18:19], -v[26:27]
	v_fmac_f64_e32 v[16:17], v[12:13], v[14:15]
	s_delay_alu instid0(VALU_DEP_1) | instskip(NEXT) | instid1(VALU_DEP_1)
	v_add_f64_e32 v[28:29], v[26:27], v[16:17]
	v_add_f64_e64 v[30:31], v[24:25], -v[28:29]
	v_add_f64_e64 v[22:23], v[28:29], -v[26:27]
	s_delay_alu instid0(VALU_DEP_2) | instskip(NEXT) | instid1(VALU_DEP_2)
	v_add_f64_e64 v[24:25], v[24:25], -v[30:31]
	v_add_f64_e64 v[16:17], v[22:23], -v[16:17]
	s_delay_alu instid0(VALU_DEP_2) | instskip(NEXT) | instid1(VALU_DEP_1)
	v_add_f64_e64 v[24:25], v[24:25], -v[28:29]
	v_add_f64_e32 v[10:11], v[10:11], v[24:25]
	s_delay_alu instid0(VALU_DEP_1) | instskip(NEXT) | instid1(VALU_DEP_1)
	v_add_f64_e32 v[10:11], v[16:17], v[10:11]
	v_add_f64_e32 v[16:17], v[30:31], v[10:11]
	s_delay_alu instid0(VALU_DEP_1) | instskip(SKIP_1) | instid1(VALU_DEP_2)
	v_mul_f64_e32 v[22:23], v[20:21], v[16:17]
	v_add_f64_e64 v[28:29], v[30:31], -v[16:17]
	v_mul_f64_e32 v[24:25], v[18:19], v[22:23]
	s_delay_alu instid0(VALU_DEP_2) | instskip(NEXT) | instid1(VALU_DEP_2)
	v_add_f64_e32 v[10:11], v[10:11], v[28:29]
	v_fma_f64 v[18:19], v[22:23], v[18:19], -v[24:25]
	s_delay_alu instid0(VALU_DEP_1) | instskip(NEXT) | instid1(VALU_DEP_1)
	v_fmac_f64_e32 v[18:19], v[22:23], v[14:15]
	v_add_f64_e32 v[14:15], v[24:25], v[18:19]
	s_delay_alu instid0(VALU_DEP_1) | instskip(SKIP_1) | instid1(VALU_DEP_2)
	v_add_f64_e64 v[26:27], v[16:17], -v[14:15]
	v_add_f64_e64 v[24:25], v[14:15], -v[24:25]
	;; [unrolled: 1-line block ×3, first 2 shown]
	s_delay_alu instid0(VALU_DEP_1) | instskip(NEXT) | instid1(VALU_DEP_3)
	v_add_f64_e64 v[14:15], v[16:17], -v[14:15]
	v_add_f64_e64 v[16:17], v[24:25], -v[18:19]
	s_delay_alu instid0(VALU_DEP_2) | instskip(SKIP_1) | instid1(VALU_DEP_2)
	v_add_f64_e32 v[10:11], v[10:11], v[14:15]
	v_add_f64_e32 v[14:15], v[12:13], v[22:23]
	;; [unrolled: 1-line block ×3, first 2 shown]
	s_delay_alu instid0(VALU_DEP_2) | instskip(NEXT) | instid1(VALU_DEP_2)
	v_add_f64_e64 v[12:13], v[14:15], -v[12:13]
	v_add_f64_e32 v[10:11], v[26:27], v[10:11]
	s_delay_alu instid0(VALU_DEP_2) | instskip(NEXT) | instid1(VALU_DEP_2)
	v_add_f64_e64 v[12:13], v[22:23], -v[12:13]
	v_mul_f64_e32 v[10:11], v[20:21], v[10:11]
	s_delay_alu instid0(VALU_DEP_1) | instskip(NEXT) | instid1(VALU_DEP_1)
	v_add_f64_e32 v[10:11], v[12:13], v[10:11]
	v_add_f64_e32 v[12:13], v[14:15], v[10:11]
	s_delay_alu instid0(VALU_DEP_1) | instskip(NEXT) | instid1(VALU_DEP_1)
	v_mul_f64_e32 v[16:17], v[12:13], v[12:13]
	v_fmaak_f64 v[18:19], s[0:1], v[16:17], 0x3fc385386b47b09a
	v_mul_f64_e32 v[20:21], v[12:13], v[16:17]
	s_mov_b64 s[0:1], 0x3fe62e42fefa39ef
	s_delay_alu instid0(VALU_DEP_2) | instskip(NEXT) | instid1(VALU_DEP_1)
	v_fmaak_f64 v[18:19], v[16:17], v[18:19], 0x3fc7474dd7f4df2e
	v_fmaak_f64 v[18:19], v[16:17], v[18:19], 0x3fcc71c016291751
	s_delay_alu instid0(VALU_DEP_1) | instskip(NEXT) | instid1(VALU_DEP_1)
	v_fmaak_f64 v[18:19], v[16:17], v[18:19], 0x3fd249249b27acf1
	v_fmaak_f64 v[18:19], v[16:17], v[18:19], 0x3fd99999998ef7b6
	s_delay_alu instid0(VALU_DEP_1) | instskip(SKIP_2) | instid1(VALU_DEP_3)
	v_fmaak_f64 v[16:17], v[16:17], v[18:19], 0x3fe5555555555780
	v_ldexp_f64 v[18:19], v[12:13], 1
	v_add_f64_e64 v[12:13], v[12:13], -v[14:15]
	v_mul_f64_e32 v[16:17], v[20:21], v[16:17]
	v_cvt_f64_i32_e32 v[20:21], v32
	s_delay_alu instid0(VALU_DEP_3) | instskip(NEXT) | instid1(VALU_DEP_3)
	v_add_f64_e64 v[10:11], v[10:11], -v[12:13]
	v_add_f64_e32 v[14:15], v[18:19], v[16:17]
	s_delay_alu instid0(VALU_DEP_2) | instskip(NEXT) | instid1(VALU_DEP_2)
	v_ldexp_f64 v[10:11], v[10:11], 1
	v_add_f64_e64 v[12:13], v[14:15], -v[18:19]
	v_mul_f64_e32 v[18:19], 0x3fe62e42fefa39ef, v[20:21]
	s_delay_alu instid0(VALU_DEP_2) | instskip(NEXT) | instid1(VALU_DEP_2)
	v_add_f64_e64 v[12:13], v[16:17], -v[12:13]
	v_fma_f64 v[16:17], v[20:21], s[0:1], -v[18:19]
	v_cmp_neq_f64_e64 s0, 0x7ff00000, v[6:7]
	v_cmp_ngt_f64_e64 s1, -1.0, v[6:7]
	s_delay_alu instid0(VALU_DEP_4) | instskip(NEXT) | instid1(VALU_DEP_4)
	v_add_f64_e32 v[10:11], v[10:11], v[12:13]
	v_fmamk_f64 v[12:13], v[20:21], 0x3c7abc9e3b39803f, v[16:17]
	s_and_b32 vcc_lo, vcc_lo, s0
	s_delay_alu instid0(VALU_DEP_1) | instskip(NEXT) | instid1(VALU_DEP_3)
	v_add_f64_e32 v[16:17], v[18:19], v[12:13]
	v_add_f64_e32 v[20:21], v[14:15], v[10:11]
	s_delay_alu instid0(VALU_DEP_2) | instskip(NEXT) | instid1(VALU_DEP_2)
	v_add_f64_e64 v[18:19], v[16:17], -v[18:19]
	v_add_f64_e32 v[22:23], v[16:17], v[20:21]
	v_add_f64_e64 v[14:15], v[20:21], -v[14:15]
	s_delay_alu instid0(VALU_DEP_3) | instskip(NEXT) | instid1(VALU_DEP_3)
	v_add_f64_e64 v[12:13], v[12:13], -v[18:19]
	v_add_f64_e64 v[24:25], v[22:23], -v[16:17]
	s_delay_alu instid0(VALU_DEP_3) | instskip(NEXT) | instid1(VALU_DEP_2)
	v_add_f64_e64 v[10:11], v[10:11], -v[14:15]
	v_add_f64_e64 v[26:27], v[22:23], -v[24:25]
	;; [unrolled: 1-line block ×3, first 2 shown]
	s_delay_alu instid0(VALU_DEP_3) | instskip(NEXT) | instid1(VALU_DEP_3)
	v_add_f64_e32 v[18:19], v[12:13], v[10:11]
	v_add_f64_e64 v[16:17], v[16:17], -v[26:27]
	s_delay_alu instid0(VALU_DEP_1) | instskip(NEXT) | instid1(VALU_DEP_3)
	v_add_f64_e32 v[14:15], v[14:15], v[16:17]
	v_add_f64_e64 v[16:17], v[18:19], -v[12:13]
	s_delay_alu instid0(VALU_DEP_2) | instskip(NEXT) | instid1(VALU_DEP_2)
	v_add_f64_e32 v[14:15], v[18:19], v[14:15]
	v_add_f64_e64 v[18:19], v[18:19], -v[16:17]
	v_add_f64_e64 v[10:11], v[10:11], -v[16:17]
	s_delay_alu instid0(VALU_DEP_3) | instskip(NEXT) | instid1(VALU_DEP_3)
	v_add_f64_e32 v[20:21], v[22:23], v[14:15]
	v_add_f64_e64 v[12:13], v[12:13], -v[18:19]
	s_delay_alu instid0(VALU_DEP_2) | instskip(NEXT) | instid1(VALU_DEP_2)
	v_add_f64_e64 v[16:17], v[20:21], -v[22:23]
	v_add_f64_e32 v[10:11], v[10:11], v[12:13]
	s_delay_alu instid0(VALU_DEP_2) | instskip(NEXT) | instid1(VALU_DEP_1)
	v_add_f64_e64 v[12:13], v[14:15], -v[16:17]
	v_add_f64_e32 v[10:11], v[10:11], v[12:13]
	s_delay_alu instid0(VALU_DEP_1) | instskip(NEXT) | instid1(VALU_DEP_1)
	v_add_f64_e32 v[10:11], v[20:21], v[10:11]
	v_cndmask_b32_e32 v10, 0, v10, vcc_lo
	v_cmp_neq_f64_e32 vcc_lo, -1.0, v[6:7]
	s_delay_alu instid0(VALU_DEP_3) | instskip(NEXT) | instid1(VALU_DEP_1)
	v_cndmask_b32_e64 v11, 0x7ff00000, v11, s0
	v_cndmask_b32_e64 v11, 0x7ff80000, v11, s1
	s_delay_alu instid0(VALU_DEP_1) | instskip(NEXT) | instid1(VALU_DEP_1)
	v_cndmask_b32_e32 v11, 0xfff00000, v11, vcc_lo
	v_div_scale_f64 v[6:7], null, s[4:5], s[4:5], v[10:11]
	s_delay_alu instid0(VALU_DEP_1) | instskip(SKIP_1) | instid1(TRANS32_DEP_1)
	v_rcp_f64_e32 v[12:13], v[6:7]
	v_nop
	v_fma_f64 v[14:15], -v[6:7], v[12:13], 1.0
	s_delay_alu instid0(VALU_DEP_1) | instskip(NEXT) | instid1(VALU_DEP_1)
	v_fmac_f64_e32 v[12:13], v[12:13], v[14:15]
	v_fma_f64 v[14:15], -v[6:7], v[12:13], 1.0
	s_delay_alu instid0(VALU_DEP_1) | instskip(SKIP_1) | instid1(VALU_DEP_1)
	v_fmac_f64_e32 v[12:13], v[12:13], v[14:15]
	v_div_scale_f64 v[14:15], vcc_lo, v[10:11], s[4:5], v[10:11]
	v_mul_f64_e32 v[16:17], v[14:15], v[12:13]
	s_delay_alu instid0(VALU_DEP_1) | instskip(NEXT) | instid1(VALU_DEP_1)
	v_fma_f64 v[6:7], -v[6:7], v[16:17], v[14:15]
	v_div_fmas_f64 v[6:7], v[6:7], v[12:13], v[16:17]
	s_delay_alu instid0(VALU_DEP_1)
	v_div_fixup_f64 v[6:7], v[6:7], s[4:5], v[10:11]
.LBB1_3:
	s_or_b32 exec_lo, exec_lo, s13
	v_mul_f64_e32 v[10:11], s[4:5], v[8:9]
	s_mov_b32 s13, exec_lo
	s_delay_alu instid0(VALU_DEP_1)
	v_cmpx_nlt_f64_e32 s[6:7], v[10:11]
	s_cbranch_execz .LBB1_5
; %bb.4:
	v_mul_f64_e32 v[8:9], 0x3ff71547652b82fe, v[10:11]
	s_mov_b64 s[0:1], 0x3e5ade156a5dcb37
	v_cmp_nlt_f64_e32 vcc_lo, 0x40900000, v[10:11]
	s_delay_alu instid0(VALU_DEP_2) | instskip(NEXT) | instid1(VALU_DEP_1)
	v_rndne_f64_e32 v[8:9], v[8:9]
	v_fmamk_f64 v[12:13], v[8:9], 0xbfe62e42fefa39ef, v[10:11]
	v_cvt_i32_f64_e32 v16, v[8:9]
	s_delay_alu instid0(VALU_DEP_2) | instskip(NEXT) | instid1(VALU_DEP_1)
	v_fmamk_f64 v[12:13], v[8:9], 0xbc7abc9e3b39803f, v[12:13]
	v_fmaak_f64 v[14:15], s[0:1], v[12:13], 0x3e928af3fca7ab0c
	v_cmp_ngt_f64_e64 s0, 0xc090cc00, v[10:11]
	s_delay_alu instid0(VALU_DEP_2) | instskip(NEXT) | instid1(VALU_DEP_1)
	v_fmaak_f64 v[14:15], v[12:13], v[14:15], 0x3ec71dee623fde64
	v_fmaak_f64 v[14:15], v[12:13], v[14:15], 0x3efa01997c89e6b0
	s_delay_alu instid0(VALU_DEP_1) | instskip(NEXT) | instid1(VALU_DEP_1)
	v_fmaak_f64 v[14:15], v[12:13], v[14:15], 0x3f2a01a014761f6e
	v_fmaak_f64 v[14:15], v[12:13], v[14:15], 0x3f56c16c1852b7b0
	s_delay_alu instid0(VALU_DEP_1) | instskip(NEXT) | instid1(VALU_DEP_1)
	;; [unrolled: 3-line block ×4, first 2 shown]
	v_fma_f64 v[14:15], v[12:13], v[14:15], 1.0
	v_fma_f64 v[8:9], v[12:13], v[14:15], 1.0
	s_delay_alu instid0(VALU_DEP_1) | instskip(NEXT) | instid1(VALU_DEP_1)
	v_ldexp_f64 v[8:9], v[8:9], v16
	v_cndmask_b32_e32 v9, 0x7ff00000, v9, vcc_lo
	s_and_b32 vcc_lo, s0, vcc_lo
	s_delay_alu instid0(VALU_DEP_1) | instid1(SALU_CYCLE_1)
	v_dual_cndmask_b32 v8, 0, v8, vcc_lo :: v_dual_cndmask_b32 v9, 0, v9, s0
	s_mov_b64 s[0:1], 0x3fe5555555555555
	s_delay_alu instid0(VALU_DEP_1) | instskip(NEXT) | instid1(VALU_DEP_1)
	v_add_f64_e32 v[10:11], 1.0, v[8:9]
	v_frexp_mant_f64_e32 v[12:13], v[10:11]
	v_frexp_exp_i32_f64_e32 v16, v[10:11]
	v_add_f64_e32 v[14:15], -1.0, v[10:11]
	s_delay_alu instid0(VALU_DEP_3) | instskip(SKIP_1) | instid1(VALU_DEP_2)
	v_cmp_gt_f64_e32 vcc_lo, s[0:1], v[12:13]
	s_mov_b64 s[0:1], 0x3fc3ab76bf559e2b
	v_add_f64_e64 v[12:13], v[14:15], -v[10:11]
	v_add_f64_e64 v[14:15], v[8:9], -v[14:15]
	v_subrev_co_ci_u32_e64 v32, null, 0, v16, vcc_lo
	s_delay_alu instid0(VALU_DEP_3) | instskip(SKIP_1) | instid1(VALU_DEP_3)
	v_add_f64_e32 v[12:13], 1.0, v[12:13]
	v_cmp_nge_f64_e32 vcc_lo, -1.0, v[8:9]
	v_sub_nc_u32_e32 v18, 0, v32
	s_delay_alu instid0(VALU_DEP_1) | instskip(NEXT) | instid1(VALU_DEP_4)
	v_ldexp_f64 v[10:11], v[10:11], v18
	v_add_f64_e32 v[12:13], v[14:15], v[12:13]
	s_delay_alu instid0(VALU_DEP_2) | instskip(SKIP_1) | instid1(VALU_DEP_3)
	v_add_f64_e32 v[16:17], 1.0, v[10:11]
	v_add_f64_e32 v[22:23], -1.0, v[10:11]
	v_ldexp_f64 v[12:13], v[12:13], v18
	s_delay_alu instid0(VALU_DEP_3) | instskip(NEXT) | instid1(VALU_DEP_3)
	v_add_f64_e32 v[14:15], -1.0, v[16:17]
	v_add_f64_e32 v[24:25], 1.0, v[22:23]
	s_delay_alu instid0(VALU_DEP_2) | instskip(NEXT) | instid1(VALU_DEP_2)
	v_add_f64_e64 v[14:15], v[10:11], -v[14:15]
	v_add_f64_e64 v[10:11], v[10:11], -v[24:25]
	s_delay_alu instid0(VALU_DEP_2) | instskip(NEXT) | instid1(VALU_DEP_2)
	v_add_f64_e32 v[14:15], v[12:13], v[14:15]
	v_add_f64_e32 v[10:11], v[12:13], v[10:11]
	s_delay_alu instid0(VALU_DEP_2) | instskip(NEXT) | instid1(VALU_DEP_2)
	v_add_f64_e32 v[18:19], v[16:17], v[14:15]
	v_add_f64_e32 v[24:25], v[22:23], v[10:11]
	s_delay_alu instid0(VALU_DEP_2) | instskip(SKIP_1) | instid1(VALU_DEP_2)
	v_rcp_f64_e32 v[20:21], v[18:19]
	v_add_f64_e64 v[16:17], v[18:19], -v[16:17]
	v_add_f64_e64 v[22:23], v[24:25], -v[22:23]
	s_delay_alu instid0(VALU_DEP_2) | instskip(NEXT) | instid1(VALU_DEP_2)
	v_add_f64_e64 v[14:15], v[14:15], -v[16:17]
	v_add_f64_e64 v[10:11], v[10:11], -v[22:23]
	s_delay_alu instid0(TRANS32_DEP_1) | instskip(NEXT) | instid1(VALU_DEP_1)
	v_fma_f64 v[26:27], -v[18:19], v[20:21], 1.0
	v_fmac_f64_e32 v[20:21], v[26:27], v[20:21]
	s_delay_alu instid0(VALU_DEP_1) | instskip(NEXT) | instid1(VALU_DEP_1)
	v_fma_f64 v[12:13], -v[18:19], v[20:21], 1.0
	v_fmac_f64_e32 v[20:21], v[12:13], v[20:21]
	s_delay_alu instid0(VALU_DEP_1) | instskip(NEXT) | instid1(VALU_DEP_1)
	v_mul_f64_e32 v[12:13], v[24:25], v[20:21]
	v_mul_f64_e32 v[26:27], v[18:19], v[12:13]
	s_delay_alu instid0(VALU_DEP_1) | instskip(NEXT) | instid1(VALU_DEP_1)
	v_fma_f64 v[16:17], v[12:13], v[18:19], -v[26:27]
	v_fmac_f64_e32 v[16:17], v[12:13], v[14:15]
	s_delay_alu instid0(VALU_DEP_1) | instskip(NEXT) | instid1(VALU_DEP_1)
	v_add_f64_e32 v[28:29], v[26:27], v[16:17]
	v_add_f64_e64 v[30:31], v[24:25], -v[28:29]
	v_add_f64_e64 v[22:23], v[28:29], -v[26:27]
	s_delay_alu instid0(VALU_DEP_2) | instskip(NEXT) | instid1(VALU_DEP_2)
	v_add_f64_e64 v[24:25], v[24:25], -v[30:31]
	v_add_f64_e64 v[16:17], v[22:23], -v[16:17]
	s_delay_alu instid0(VALU_DEP_2) | instskip(NEXT) | instid1(VALU_DEP_1)
	v_add_f64_e64 v[24:25], v[24:25], -v[28:29]
	v_add_f64_e32 v[10:11], v[10:11], v[24:25]
	s_delay_alu instid0(VALU_DEP_1) | instskip(NEXT) | instid1(VALU_DEP_1)
	v_add_f64_e32 v[10:11], v[16:17], v[10:11]
	v_add_f64_e32 v[16:17], v[30:31], v[10:11]
	s_delay_alu instid0(VALU_DEP_1) | instskip(SKIP_1) | instid1(VALU_DEP_2)
	v_mul_f64_e32 v[22:23], v[20:21], v[16:17]
	v_add_f64_e64 v[28:29], v[30:31], -v[16:17]
	v_mul_f64_e32 v[24:25], v[18:19], v[22:23]
	s_delay_alu instid0(VALU_DEP_2) | instskip(NEXT) | instid1(VALU_DEP_2)
	v_add_f64_e32 v[10:11], v[10:11], v[28:29]
	v_fma_f64 v[18:19], v[22:23], v[18:19], -v[24:25]
	s_delay_alu instid0(VALU_DEP_1) | instskip(NEXT) | instid1(VALU_DEP_1)
	v_fmac_f64_e32 v[18:19], v[22:23], v[14:15]
	v_add_f64_e32 v[14:15], v[24:25], v[18:19]
	s_delay_alu instid0(VALU_DEP_1) | instskip(SKIP_1) | instid1(VALU_DEP_2)
	v_add_f64_e64 v[26:27], v[16:17], -v[14:15]
	v_add_f64_e64 v[24:25], v[14:15], -v[24:25]
	;; [unrolled: 1-line block ×3, first 2 shown]
	s_delay_alu instid0(VALU_DEP_1) | instskip(NEXT) | instid1(VALU_DEP_3)
	v_add_f64_e64 v[14:15], v[16:17], -v[14:15]
	v_add_f64_e64 v[16:17], v[24:25], -v[18:19]
	s_delay_alu instid0(VALU_DEP_2) | instskip(SKIP_1) | instid1(VALU_DEP_2)
	v_add_f64_e32 v[10:11], v[10:11], v[14:15]
	v_add_f64_e32 v[14:15], v[12:13], v[22:23]
	;; [unrolled: 1-line block ×3, first 2 shown]
	s_delay_alu instid0(VALU_DEP_2) | instskip(NEXT) | instid1(VALU_DEP_2)
	v_add_f64_e64 v[12:13], v[14:15], -v[12:13]
	v_add_f64_e32 v[10:11], v[26:27], v[10:11]
	s_delay_alu instid0(VALU_DEP_2) | instskip(NEXT) | instid1(VALU_DEP_2)
	v_add_f64_e64 v[12:13], v[22:23], -v[12:13]
	v_mul_f64_e32 v[10:11], v[20:21], v[10:11]
	s_delay_alu instid0(VALU_DEP_1) | instskip(NEXT) | instid1(VALU_DEP_1)
	v_add_f64_e32 v[10:11], v[12:13], v[10:11]
	v_add_f64_e32 v[12:13], v[14:15], v[10:11]
	s_delay_alu instid0(VALU_DEP_1) | instskip(NEXT) | instid1(VALU_DEP_1)
	v_mul_f64_e32 v[16:17], v[12:13], v[12:13]
	v_fmaak_f64 v[18:19], s[0:1], v[16:17], 0x3fc385386b47b09a
	v_mul_f64_e32 v[20:21], v[12:13], v[16:17]
	s_mov_b64 s[0:1], 0x3fe62e42fefa39ef
	s_delay_alu instid0(VALU_DEP_2) | instskip(NEXT) | instid1(VALU_DEP_1)
	v_fmaak_f64 v[18:19], v[16:17], v[18:19], 0x3fc7474dd7f4df2e
	v_fmaak_f64 v[18:19], v[16:17], v[18:19], 0x3fcc71c016291751
	s_delay_alu instid0(VALU_DEP_1) | instskip(NEXT) | instid1(VALU_DEP_1)
	v_fmaak_f64 v[18:19], v[16:17], v[18:19], 0x3fd249249b27acf1
	v_fmaak_f64 v[18:19], v[16:17], v[18:19], 0x3fd99999998ef7b6
	s_delay_alu instid0(VALU_DEP_1) | instskip(SKIP_2) | instid1(VALU_DEP_3)
	v_fmaak_f64 v[16:17], v[16:17], v[18:19], 0x3fe5555555555780
	v_ldexp_f64 v[18:19], v[12:13], 1
	v_add_f64_e64 v[12:13], v[12:13], -v[14:15]
	v_mul_f64_e32 v[16:17], v[20:21], v[16:17]
	v_cvt_f64_i32_e32 v[20:21], v32
	s_delay_alu instid0(VALU_DEP_3) | instskip(NEXT) | instid1(VALU_DEP_3)
	v_add_f64_e64 v[10:11], v[10:11], -v[12:13]
	v_add_f64_e32 v[14:15], v[18:19], v[16:17]
	s_delay_alu instid0(VALU_DEP_2) | instskip(NEXT) | instid1(VALU_DEP_2)
	v_ldexp_f64 v[10:11], v[10:11], 1
	v_add_f64_e64 v[12:13], v[14:15], -v[18:19]
	v_mul_f64_e32 v[18:19], 0x3fe62e42fefa39ef, v[20:21]
	s_delay_alu instid0(VALU_DEP_2) | instskip(NEXT) | instid1(VALU_DEP_2)
	v_add_f64_e64 v[12:13], v[16:17], -v[12:13]
	v_fma_f64 v[16:17], v[20:21], s[0:1], -v[18:19]
	v_cmp_neq_f64_e64 s0, 0x7ff00000, v[8:9]
	v_cmp_ngt_f64_e64 s1, -1.0, v[8:9]
	s_delay_alu instid0(VALU_DEP_4) | instskip(NEXT) | instid1(VALU_DEP_4)
	v_add_f64_e32 v[10:11], v[10:11], v[12:13]
	v_fmamk_f64 v[12:13], v[20:21], 0x3c7abc9e3b39803f, v[16:17]
	s_and_b32 vcc_lo, vcc_lo, s0
	s_delay_alu instid0(VALU_DEP_1) | instskip(NEXT) | instid1(VALU_DEP_3)
	v_add_f64_e32 v[16:17], v[18:19], v[12:13]
	v_add_f64_e32 v[20:21], v[14:15], v[10:11]
	s_delay_alu instid0(VALU_DEP_2) | instskip(NEXT) | instid1(VALU_DEP_2)
	v_add_f64_e64 v[18:19], v[16:17], -v[18:19]
	v_add_f64_e32 v[22:23], v[16:17], v[20:21]
	v_add_f64_e64 v[14:15], v[20:21], -v[14:15]
	s_delay_alu instid0(VALU_DEP_3) | instskip(NEXT) | instid1(VALU_DEP_3)
	v_add_f64_e64 v[12:13], v[12:13], -v[18:19]
	v_add_f64_e64 v[24:25], v[22:23], -v[16:17]
	s_delay_alu instid0(VALU_DEP_3) | instskip(NEXT) | instid1(VALU_DEP_2)
	v_add_f64_e64 v[10:11], v[10:11], -v[14:15]
	v_add_f64_e64 v[26:27], v[22:23], -v[24:25]
	;; [unrolled: 1-line block ×3, first 2 shown]
	s_delay_alu instid0(VALU_DEP_3) | instskip(NEXT) | instid1(VALU_DEP_3)
	v_add_f64_e32 v[18:19], v[12:13], v[10:11]
	v_add_f64_e64 v[16:17], v[16:17], -v[26:27]
	s_delay_alu instid0(VALU_DEP_1) | instskip(NEXT) | instid1(VALU_DEP_3)
	v_add_f64_e32 v[14:15], v[14:15], v[16:17]
	v_add_f64_e64 v[16:17], v[18:19], -v[12:13]
	s_delay_alu instid0(VALU_DEP_2) | instskip(NEXT) | instid1(VALU_DEP_2)
	v_add_f64_e32 v[14:15], v[18:19], v[14:15]
	v_add_f64_e64 v[18:19], v[18:19], -v[16:17]
	v_add_f64_e64 v[10:11], v[10:11], -v[16:17]
	s_delay_alu instid0(VALU_DEP_3) | instskip(NEXT) | instid1(VALU_DEP_3)
	v_add_f64_e32 v[20:21], v[22:23], v[14:15]
	v_add_f64_e64 v[12:13], v[12:13], -v[18:19]
	s_delay_alu instid0(VALU_DEP_2) | instskip(NEXT) | instid1(VALU_DEP_2)
	v_add_f64_e64 v[16:17], v[20:21], -v[22:23]
	v_add_f64_e32 v[10:11], v[10:11], v[12:13]
	s_delay_alu instid0(VALU_DEP_2) | instskip(NEXT) | instid1(VALU_DEP_1)
	v_add_f64_e64 v[12:13], v[14:15], -v[16:17]
	v_add_f64_e32 v[10:11], v[10:11], v[12:13]
	s_delay_alu instid0(VALU_DEP_1) | instskip(NEXT) | instid1(VALU_DEP_1)
	v_add_f64_e32 v[10:11], v[20:21], v[10:11]
	v_cndmask_b32_e32 v10, 0, v10, vcc_lo
	v_cmp_neq_f64_e32 vcc_lo, -1.0, v[8:9]
	s_delay_alu instid0(VALU_DEP_3) | instskip(NEXT) | instid1(VALU_DEP_1)
	v_cndmask_b32_e64 v11, 0x7ff00000, v11, s0
	v_cndmask_b32_e64 v11, 0x7ff80000, v11, s1
	s_delay_alu instid0(VALU_DEP_1) | instskip(NEXT) | instid1(VALU_DEP_1)
	v_cndmask_b32_e32 v11, 0xfff00000, v11, vcc_lo
	v_div_scale_f64 v[8:9], null, s[4:5], s[4:5], v[10:11]
	s_delay_alu instid0(VALU_DEP_1) | instskip(SKIP_1) | instid1(TRANS32_DEP_1)
	v_rcp_f64_e32 v[12:13], v[8:9]
	v_nop
	v_fma_f64 v[14:15], -v[8:9], v[12:13], 1.0
	s_delay_alu instid0(VALU_DEP_1) | instskip(NEXT) | instid1(VALU_DEP_1)
	v_fmac_f64_e32 v[12:13], v[12:13], v[14:15]
	v_fma_f64 v[14:15], -v[8:9], v[12:13], 1.0
	s_delay_alu instid0(VALU_DEP_1) | instskip(SKIP_1) | instid1(VALU_DEP_1)
	v_fmac_f64_e32 v[12:13], v[12:13], v[14:15]
	v_div_scale_f64 v[14:15], vcc_lo, v[10:11], s[4:5], v[10:11]
	v_mul_f64_e32 v[16:17], v[14:15], v[12:13]
	s_delay_alu instid0(VALU_DEP_1) | instskip(NEXT) | instid1(VALU_DEP_1)
	v_fma_f64 v[8:9], -v[8:9], v[16:17], v[14:15]
	v_div_fmas_f64 v[8:9], v[8:9], v[12:13], v[16:17]
	s_delay_alu instid0(VALU_DEP_1)
	v_div_fixup_f64 v[8:9], v[8:9], s[4:5], v[10:11]
.LBB1_5:
	s_or_b32 exec_lo, exec_lo, s13
	s_wait_loadcnt 0x0
	v_mul_f64_e32 v[10:11], s[4:5], v[2:3]
	s_mov_b32 s13, exec_lo
	s_delay_alu instid0(VALU_DEP_1)
	v_cmpx_nlt_f64_e32 s[6:7], v[10:11]
	s_cbranch_execz .LBB1_7
; %bb.6:
	v_mul_f64_e32 v[2:3], 0x3ff71547652b82fe, v[10:11]
	s_mov_b64 s[0:1], 0x3e5ade156a5dcb37
	v_cmp_nlt_f64_e32 vcc_lo, 0x40900000, v[10:11]
	s_delay_alu instid0(VALU_DEP_2) | instskip(NEXT) | instid1(VALU_DEP_1)
	v_rndne_f64_e32 v[2:3], v[2:3]
	v_fmamk_f64 v[12:13], v[2:3], 0xbfe62e42fefa39ef, v[10:11]
	v_cvt_i32_f64_e32 v16, v[2:3]
	s_delay_alu instid0(VALU_DEP_2) | instskip(NEXT) | instid1(VALU_DEP_1)
	v_fmamk_f64 v[12:13], v[2:3], 0xbc7abc9e3b39803f, v[12:13]
	v_fmaak_f64 v[14:15], s[0:1], v[12:13], 0x3e928af3fca7ab0c
	v_cmp_ngt_f64_e64 s0, 0xc090cc00, v[10:11]
	s_delay_alu instid0(VALU_DEP_2) | instskip(NEXT) | instid1(VALU_DEP_1)
	v_fmaak_f64 v[14:15], v[12:13], v[14:15], 0x3ec71dee623fde64
	v_fmaak_f64 v[14:15], v[12:13], v[14:15], 0x3efa01997c89e6b0
	s_delay_alu instid0(VALU_DEP_1) | instskip(NEXT) | instid1(VALU_DEP_1)
	v_fmaak_f64 v[14:15], v[12:13], v[14:15], 0x3f2a01a014761f6e
	v_fmaak_f64 v[14:15], v[12:13], v[14:15], 0x3f56c16c1852b7b0
	s_delay_alu instid0(VALU_DEP_1) | instskip(NEXT) | instid1(VALU_DEP_1)
	;; [unrolled: 3-line block ×4, first 2 shown]
	v_fma_f64 v[14:15], v[12:13], v[14:15], 1.0
	v_fma_f64 v[2:3], v[12:13], v[14:15], 1.0
	s_delay_alu instid0(VALU_DEP_1) | instskip(NEXT) | instid1(VALU_DEP_1)
	v_ldexp_f64 v[2:3], v[2:3], v16
	v_cndmask_b32_e32 v3, 0x7ff00000, v3, vcc_lo
	s_and_b32 vcc_lo, s0, vcc_lo
	s_delay_alu instid0(VALU_DEP_1) | instid1(SALU_CYCLE_1)
	v_dual_cndmask_b32 v2, 0, v2, vcc_lo :: v_dual_cndmask_b32 v3, 0, v3, s0
	s_mov_b64 s[0:1], 0x3fe5555555555555
	s_delay_alu instid0(VALU_DEP_1) | instskip(NEXT) | instid1(VALU_DEP_1)
	v_add_f64_e32 v[10:11], 1.0, v[2:3]
	v_frexp_mant_f64_e32 v[12:13], v[10:11]
	v_frexp_exp_i32_f64_e32 v16, v[10:11]
	v_add_f64_e32 v[14:15], -1.0, v[10:11]
	s_delay_alu instid0(VALU_DEP_3) | instskip(SKIP_1) | instid1(VALU_DEP_2)
	v_cmp_gt_f64_e32 vcc_lo, s[0:1], v[12:13]
	s_mov_b64 s[0:1], 0x3fc3ab76bf559e2b
	v_add_f64_e64 v[12:13], v[14:15], -v[10:11]
	v_add_f64_e64 v[14:15], v[2:3], -v[14:15]
	v_subrev_co_ci_u32_e64 v32, null, 0, v16, vcc_lo
	s_delay_alu instid0(VALU_DEP_3) | instskip(SKIP_1) | instid1(VALU_DEP_3)
	v_add_f64_e32 v[12:13], 1.0, v[12:13]
	v_cmp_nge_f64_e32 vcc_lo, -1.0, v[2:3]
	v_sub_nc_u32_e32 v18, 0, v32
	s_delay_alu instid0(VALU_DEP_1) | instskip(NEXT) | instid1(VALU_DEP_4)
	v_ldexp_f64 v[10:11], v[10:11], v18
	v_add_f64_e32 v[12:13], v[14:15], v[12:13]
	s_delay_alu instid0(VALU_DEP_2) | instskip(SKIP_1) | instid1(VALU_DEP_3)
	v_add_f64_e32 v[16:17], 1.0, v[10:11]
	v_add_f64_e32 v[22:23], -1.0, v[10:11]
	v_ldexp_f64 v[12:13], v[12:13], v18
	s_delay_alu instid0(VALU_DEP_3) | instskip(NEXT) | instid1(VALU_DEP_3)
	v_add_f64_e32 v[14:15], -1.0, v[16:17]
	v_add_f64_e32 v[24:25], 1.0, v[22:23]
	s_delay_alu instid0(VALU_DEP_2) | instskip(NEXT) | instid1(VALU_DEP_2)
	v_add_f64_e64 v[14:15], v[10:11], -v[14:15]
	v_add_f64_e64 v[10:11], v[10:11], -v[24:25]
	s_delay_alu instid0(VALU_DEP_2) | instskip(NEXT) | instid1(VALU_DEP_2)
	v_add_f64_e32 v[14:15], v[12:13], v[14:15]
	v_add_f64_e32 v[10:11], v[12:13], v[10:11]
	s_delay_alu instid0(VALU_DEP_2) | instskip(NEXT) | instid1(VALU_DEP_2)
	v_add_f64_e32 v[18:19], v[16:17], v[14:15]
	v_add_f64_e32 v[24:25], v[22:23], v[10:11]
	s_delay_alu instid0(VALU_DEP_2) | instskip(SKIP_1) | instid1(VALU_DEP_2)
	v_rcp_f64_e32 v[20:21], v[18:19]
	v_add_f64_e64 v[16:17], v[18:19], -v[16:17]
	v_add_f64_e64 v[22:23], v[24:25], -v[22:23]
	s_delay_alu instid0(VALU_DEP_2) | instskip(NEXT) | instid1(VALU_DEP_2)
	v_add_f64_e64 v[14:15], v[14:15], -v[16:17]
	v_add_f64_e64 v[10:11], v[10:11], -v[22:23]
	s_delay_alu instid0(TRANS32_DEP_1) | instskip(NEXT) | instid1(VALU_DEP_1)
	v_fma_f64 v[26:27], -v[18:19], v[20:21], 1.0
	v_fmac_f64_e32 v[20:21], v[26:27], v[20:21]
	s_delay_alu instid0(VALU_DEP_1) | instskip(NEXT) | instid1(VALU_DEP_1)
	v_fma_f64 v[12:13], -v[18:19], v[20:21], 1.0
	v_fmac_f64_e32 v[20:21], v[12:13], v[20:21]
	s_delay_alu instid0(VALU_DEP_1) | instskip(NEXT) | instid1(VALU_DEP_1)
	v_mul_f64_e32 v[12:13], v[24:25], v[20:21]
	v_mul_f64_e32 v[26:27], v[18:19], v[12:13]
	s_delay_alu instid0(VALU_DEP_1) | instskip(NEXT) | instid1(VALU_DEP_1)
	v_fma_f64 v[16:17], v[12:13], v[18:19], -v[26:27]
	v_fmac_f64_e32 v[16:17], v[12:13], v[14:15]
	s_delay_alu instid0(VALU_DEP_1) | instskip(NEXT) | instid1(VALU_DEP_1)
	v_add_f64_e32 v[28:29], v[26:27], v[16:17]
	v_add_f64_e64 v[30:31], v[24:25], -v[28:29]
	v_add_f64_e64 v[22:23], v[28:29], -v[26:27]
	s_delay_alu instid0(VALU_DEP_2) | instskip(NEXT) | instid1(VALU_DEP_2)
	v_add_f64_e64 v[24:25], v[24:25], -v[30:31]
	v_add_f64_e64 v[16:17], v[22:23], -v[16:17]
	s_delay_alu instid0(VALU_DEP_2) | instskip(NEXT) | instid1(VALU_DEP_1)
	v_add_f64_e64 v[24:25], v[24:25], -v[28:29]
	v_add_f64_e32 v[10:11], v[10:11], v[24:25]
	s_delay_alu instid0(VALU_DEP_1) | instskip(NEXT) | instid1(VALU_DEP_1)
	v_add_f64_e32 v[10:11], v[16:17], v[10:11]
	v_add_f64_e32 v[16:17], v[30:31], v[10:11]
	s_delay_alu instid0(VALU_DEP_1) | instskip(SKIP_1) | instid1(VALU_DEP_2)
	v_mul_f64_e32 v[22:23], v[20:21], v[16:17]
	v_add_f64_e64 v[28:29], v[30:31], -v[16:17]
	v_mul_f64_e32 v[24:25], v[18:19], v[22:23]
	s_delay_alu instid0(VALU_DEP_2) | instskip(NEXT) | instid1(VALU_DEP_2)
	v_add_f64_e32 v[10:11], v[10:11], v[28:29]
	v_fma_f64 v[18:19], v[22:23], v[18:19], -v[24:25]
	s_delay_alu instid0(VALU_DEP_1) | instskip(NEXT) | instid1(VALU_DEP_1)
	v_fmac_f64_e32 v[18:19], v[22:23], v[14:15]
	v_add_f64_e32 v[14:15], v[24:25], v[18:19]
	s_delay_alu instid0(VALU_DEP_1) | instskip(SKIP_1) | instid1(VALU_DEP_2)
	v_add_f64_e64 v[26:27], v[16:17], -v[14:15]
	v_add_f64_e64 v[24:25], v[14:15], -v[24:25]
	;; [unrolled: 1-line block ×3, first 2 shown]
	s_delay_alu instid0(VALU_DEP_1) | instskip(NEXT) | instid1(VALU_DEP_3)
	v_add_f64_e64 v[14:15], v[16:17], -v[14:15]
	v_add_f64_e64 v[16:17], v[24:25], -v[18:19]
	s_delay_alu instid0(VALU_DEP_2) | instskip(SKIP_1) | instid1(VALU_DEP_2)
	v_add_f64_e32 v[10:11], v[10:11], v[14:15]
	v_add_f64_e32 v[14:15], v[12:13], v[22:23]
	;; [unrolled: 1-line block ×3, first 2 shown]
	s_delay_alu instid0(VALU_DEP_2) | instskip(NEXT) | instid1(VALU_DEP_2)
	v_add_f64_e64 v[12:13], v[14:15], -v[12:13]
	v_add_f64_e32 v[10:11], v[26:27], v[10:11]
	s_delay_alu instid0(VALU_DEP_2) | instskip(NEXT) | instid1(VALU_DEP_2)
	v_add_f64_e64 v[12:13], v[22:23], -v[12:13]
	v_mul_f64_e32 v[10:11], v[20:21], v[10:11]
	s_delay_alu instid0(VALU_DEP_1) | instskip(NEXT) | instid1(VALU_DEP_1)
	v_add_f64_e32 v[10:11], v[12:13], v[10:11]
	v_add_f64_e32 v[12:13], v[14:15], v[10:11]
	s_delay_alu instid0(VALU_DEP_1) | instskip(NEXT) | instid1(VALU_DEP_1)
	v_mul_f64_e32 v[16:17], v[12:13], v[12:13]
	v_fmaak_f64 v[18:19], s[0:1], v[16:17], 0x3fc385386b47b09a
	v_mul_f64_e32 v[20:21], v[12:13], v[16:17]
	s_mov_b64 s[0:1], 0x3fe62e42fefa39ef
	s_delay_alu instid0(VALU_DEP_2) | instskip(NEXT) | instid1(VALU_DEP_1)
	v_fmaak_f64 v[18:19], v[16:17], v[18:19], 0x3fc7474dd7f4df2e
	v_fmaak_f64 v[18:19], v[16:17], v[18:19], 0x3fcc71c016291751
	s_delay_alu instid0(VALU_DEP_1) | instskip(NEXT) | instid1(VALU_DEP_1)
	v_fmaak_f64 v[18:19], v[16:17], v[18:19], 0x3fd249249b27acf1
	v_fmaak_f64 v[18:19], v[16:17], v[18:19], 0x3fd99999998ef7b6
	s_delay_alu instid0(VALU_DEP_1) | instskip(SKIP_2) | instid1(VALU_DEP_3)
	v_fmaak_f64 v[16:17], v[16:17], v[18:19], 0x3fe5555555555780
	v_ldexp_f64 v[18:19], v[12:13], 1
	v_add_f64_e64 v[12:13], v[12:13], -v[14:15]
	v_mul_f64_e32 v[16:17], v[20:21], v[16:17]
	v_cvt_f64_i32_e32 v[20:21], v32
	s_delay_alu instid0(VALU_DEP_3) | instskip(NEXT) | instid1(VALU_DEP_3)
	v_add_f64_e64 v[10:11], v[10:11], -v[12:13]
	v_add_f64_e32 v[14:15], v[18:19], v[16:17]
	s_delay_alu instid0(VALU_DEP_2) | instskip(NEXT) | instid1(VALU_DEP_2)
	v_ldexp_f64 v[10:11], v[10:11], 1
	v_add_f64_e64 v[12:13], v[14:15], -v[18:19]
	v_mul_f64_e32 v[18:19], 0x3fe62e42fefa39ef, v[20:21]
	s_delay_alu instid0(VALU_DEP_2) | instskip(NEXT) | instid1(VALU_DEP_2)
	v_add_f64_e64 v[12:13], v[16:17], -v[12:13]
	v_fma_f64 v[16:17], v[20:21], s[0:1], -v[18:19]
	v_cmp_neq_f64_e64 s0, 0x7ff00000, v[2:3]
	v_cmp_ngt_f64_e64 s1, -1.0, v[2:3]
	s_delay_alu instid0(VALU_DEP_4) | instskip(NEXT) | instid1(VALU_DEP_4)
	v_add_f64_e32 v[10:11], v[10:11], v[12:13]
	v_fmamk_f64 v[12:13], v[20:21], 0x3c7abc9e3b39803f, v[16:17]
	s_and_b32 vcc_lo, vcc_lo, s0
	s_delay_alu instid0(VALU_DEP_1) | instskip(NEXT) | instid1(VALU_DEP_3)
	v_add_f64_e32 v[16:17], v[18:19], v[12:13]
	v_add_f64_e32 v[20:21], v[14:15], v[10:11]
	s_delay_alu instid0(VALU_DEP_2) | instskip(NEXT) | instid1(VALU_DEP_2)
	v_add_f64_e64 v[18:19], v[16:17], -v[18:19]
	v_add_f64_e32 v[22:23], v[16:17], v[20:21]
	v_add_f64_e64 v[14:15], v[20:21], -v[14:15]
	s_delay_alu instid0(VALU_DEP_3) | instskip(NEXT) | instid1(VALU_DEP_3)
	v_add_f64_e64 v[12:13], v[12:13], -v[18:19]
	v_add_f64_e64 v[24:25], v[22:23], -v[16:17]
	s_delay_alu instid0(VALU_DEP_3) | instskip(NEXT) | instid1(VALU_DEP_2)
	v_add_f64_e64 v[10:11], v[10:11], -v[14:15]
	v_add_f64_e64 v[26:27], v[22:23], -v[24:25]
	v_add_f64_e64 v[14:15], v[20:21], -v[24:25]
	s_delay_alu instid0(VALU_DEP_3) | instskip(NEXT) | instid1(VALU_DEP_3)
	v_add_f64_e32 v[18:19], v[12:13], v[10:11]
	v_add_f64_e64 v[16:17], v[16:17], -v[26:27]
	s_delay_alu instid0(VALU_DEP_1) | instskip(NEXT) | instid1(VALU_DEP_3)
	v_add_f64_e32 v[14:15], v[14:15], v[16:17]
	v_add_f64_e64 v[16:17], v[18:19], -v[12:13]
	s_delay_alu instid0(VALU_DEP_2) | instskip(NEXT) | instid1(VALU_DEP_2)
	v_add_f64_e32 v[14:15], v[18:19], v[14:15]
	v_add_f64_e64 v[18:19], v[18:19], -v[16:17]
	v_add_f64_e64 v[10:11], v[10:11], -v[16:17]
	s_delay_alu instid0(VALU_DEP_3) | instskip(NEXT) | instid1(VALU_DEP_3)
	v_add_f64_e32 v[20:21], v[22:23], v[14:15]
	v_add_f64_e64 v[12:13], v[12:13], -v[18:19]
	s_delay_alu instid0(VALU_DEP_2) | instskip(NEXT) | instid1(VALU_DEP_2)
	v_add_f64_e64 v[16:17], v[20:21], -v[22:23]
	v_add_f64_e32 v[10:11], v[10:11], v[12:13]
	s_delay_alu instid0(VALU_DEP_2) | instskip(NEXT) | instid1(VALU_DEP_1)
	v_add_f64_e64 v[12:13], v[14:15], -v[16:17]
	v_add_f64_e32 v[10:11], v[10:11], v[12:13]
	s_delay_alu instid0(VALU_DEP_1) | instskip(NEXT) | instid1(VALU_DEP_1)
	v_add_f64_e32 v[10:11], v[20:21], v[10:11]
	v_cndmask_b32_e32 v10, 0, v10, vcc_lo
	v_cmp_neq_f64_e32 vcc_lo, -1.0, v[2:3]
	s_delay_alu instid0(VALU_DEP_3) | instskip(NEXT) | instid1(VALU_DEP_1)
	v_cndmask_b32_e64 v11, 0x7ff00000, v11, s0
	v_cndmask_b32_e64 v11, 0x7ff80000, v11, s1
	s_delay_alu instid0(VALU_DEP_1) | instskip(NEXT) | instid1(VALU_DEP_1)
	v_cndmask_b32_e32 v11, 0xfff00000, v11, vcc_lo
	v_div_scale_f64 v[2:3], null, s[4:5], s[4:5], v[10:11]
	s_delay_alu instid0(VALU_DEP_1) | instskip(SKIP_1) | instid1(TRANS32_DEP_1)
	v_rcp_f64_e32 v[12:13], v[2:3]
	v_nop
	v_fma_f64 v[14:15], -v[2:3], v[12:13], 1.0
	s_delay_alu instid0(VALU_DEP_1) | instskip(NEXT) | instid1(VALU_DEP_1)
	v_fmac_f64_e32 v[12:13], v[12:13], v[14:15]
	v_fma_f64 v[14:15], -v[2:3], v[12:13], 1.0
	s_delay_alu instid0(VALU_DEP_1) | instskip(SKIP_1) | instid1(VALU_DEP_1)
	v_fmac_f64_e32 v[12:13], v[12:13], v[14:15]
	v_div_scale_f64 v[14:15], vcc_lo, v[10:11], s[4:5], v[10:11]
	v_mul_f64_e32 v[16:17], v[14:15], v[12:13]
	s_delay_alu instid0(VALU_DEP_1) | instskip(NEXT) | instid1(VALU_DEP_1)
	v_fma_f64 v[2:3], -v[2:3], v[16:17], v[14:15]
	v_div_fmas_f64 v[2:3], v[2:3], v[12:13], v[16:17]
	s_delay_alu instid0(VALU_DEP_1)
	v_div_fixup_f64 v[2:3], v[2:3], s[4:5], v[10:11]
.LBB1_7:
	s_or_b32 exec_lo, exec_lo, s13
	v_mul_f64_e32 v[10:11], s[4:5], v[4:5]
	s_mov_b32 s13, exec_lo
	s_delay_alu instid0(VALU_DEP_1)
	v_cmpx_nlt_f64_e32 s[6:7], v[10:11]
	s_cbranch_execz .LBB1_9
; %bb.8:
	v_mul_f64_e32 v[4:5], 0x3ff71547652b82fe, v[10:11]
	s_mov_b64 s[0:1], 0x3e5ade156a5dcb37
	v_cmp_nlt_f64_e32 vcc_lo, 0x40900000, v[10:11]
	s_delay_alu instid0(VALU_DEP_2) | instskip(NEXT) | instid1(VALU_DEP_1)
	v_rndne_f64_e32 v[4:5], v[4:5]
	v_fmamk_f64 v[12:13], v[4:5], 0xbfe62e42fefa39ef, v[10:11]
	v_cvt_i32_f64_e32 v16, v[4:5]
	s_delay_alu instid0(VALU_DEP_2) | instskip(NEXT) | instid1(VALU_DEP_1)
	v_fmamk_f64 v[12:13], v[4:5], 0xbc7abc9e3b39803f, v[12:13]
	v_fmaak_f64 v[14:15], s[0:1], v[12:13], 0x3e928af3fca7ab0c
	v_cmp_ngt_f64_e64 s0, 0xc090cc00, v[10:11]
	s_delay_alu instid0(VALU_DEP_2) | instskip(NEXT) | instid1(VALU_DEP_1)
	v_fmaak_f64 v[14:15], v[12:13], v[14:15], 0x3ec71dee623fde64
	v_fmaak_f64 v[14:15], v[12:13], v[14:15], 0x3efa01997c89e6b0
	s_delay_alu instid0(VALU_DEP_1) | instskip(NEXT) | instid1(VALU_DEP_1)
	v_fmaak_f64 v[14:15], v[12:13], v[14:15], 0x3f2a01a014761f6e
	v_fmaak_f64 v[14:15], v[12:13], v[14:15], 0x3f56c16c1852b7b0
	s_delay_alu instid0(VALU_DEP_1) | instskip(NEXT) | instid1(VALU_DEP_1)
	;; [unrolled: 3-line block ×4, first 2 shown]
	v_fma_f64 v[14:15], v[12:13], v[14:15], 1.0
	v_fma_f64 v[4:5], v[12:13], v[14:15], 1.0
	s_delay_alu instid0(VALU_DEP_1) | instskip(NEXT) | instid1(VALU_DEP_1)
	v_ldexp_f64 v[4:5], v[4:5], v16
	v_cndmask_b32_e32 v5, 0x7ff00000, v5, vcc_lo
	s_and_b32 vcc_lo, s0, vcc_lo
	s_delay_alu instid0(VALU_DEP_1) | instid1(SALU_CYCLE_1)
	v_dual_cndmask_b32 v4, 0, v4, vcc_lo :: v_dual_cndmask_b32 v5, 0, v5, s0
	s_mov_b64 s[0:1], 0x3fe5555555555555
	s_delay_alu instid0(VALU_DEP_1) | instskip(NEXT) | instid1(VALU_DEP_1)
	v_add_f64_e32 v[10:11], 1.0, v[4:5]
	v_frexp_mant_f64_e32 v[12:13], v[10:11]
	v_frexp_exp_i32_f64_e32 v16, v[10:11]
	v_add_f64_e32 v[14:15], -1.0, v[10:11]
	s_delay_alu instid0(VALU_DEP_3) | instskip(SKIP_1) | instid1(VALU_DEP_2)
	v_cmp_gt_f64_e32 vcc_lo, s[0:1], v[12:13]
	s_mov_b64 s[0:1], 0x3fc3ab76bf559e2b
	v_add_f64_e64 v[12:13], v[14:15], -v[10:11]
	v_add_f64_e64 v[14:15], v[4:5], -v[14:15]
	v_subrev_co_ci_u32_e64 v32, null, 0, v16, vcc_lo
	s_delay_alu instid0(VALU_DEP_3) | instskip(SKIP_1) | instid1(VALU_DEP_3)
	v_add_f64_e32 v[12:13], 1.0, v[12:13]
	v_cmp_nge_f64_e32 vcc_lo, -1.0, v[4:5]
	v_sub_nc_u32_e32 v18, 0, v32
	s_delay_alu instid0(VALU_DEP_1) | instskip(NEXT) | instid1(VALU_DEP_4)
	v_ldexp_f64 v[10:11], v[10:11], v18
	v_add_f64_e32 v[12:13], v[14:15], v[12:13]
	s_delay_alu instid0(VALU_DEP_2) | instskip(SKIP_1) | instid1(VALU_DEP_3)
	v_add_f64_e32 v[16:17], 1.0, v[10:11]
	v_add_f64_e32 v[22:23], -1.0, v[10:11]
	v_ldexp_f64 v[12:13], v[12:13], v18
	s_delay_alu instid0(VALU_DEP_3) | instskip(NEXT) | instid1(VALU_DEP_3)
	v_add_f64_e32 v[14:15], -1.0, v[16:17]
	v_add_f64_e32 v[24:25], 1.0, v[22:23]
	s_delay_alu instid0(VALU_DEP_2) | instskip(NEXT) | instid1(VALU_DEP_2)
	v_add_f64_e64 v[14:15], v[10:11], -v[14:15]
	v_add_f64_e64 v[10:11], v[10:11], -v[24:25]
	s_delay_alu instid0(VALU_DEP_2) | instskip(NEXT) | instid1(VALU_DEP_2)
	v_add_f64_e32 v[14:15], v[12:13], v[14:15]
	v_add_f64_e32 v[10:11], v[12:13], v[10:11]
	s_delay_alu instid0(VALU_DEP_2) | instskip(NEXT) | instid1(VALU_DEP_2)
	v_add_f64_e32 v[18:19], v[16:17], v[14:15]
	v_add_f64_e32 v[24:25], v[22:23], v[10:11]
	s_delay_alu instid0(VALU_DEP_2) | instskip(SKIP_1) | instid1(VALU_DEP_2)
	v_rcp_f64_e32 v[20:21], v[18:19]
	v_add_f64_e64 v[16:17], v[18:19], -v[16:17]
	v_add_f64_e64 v[22:23], v[24:25], -v[22:23]
	s_delay_alu instid0(VALU_DEP_2) | instskip(NEXT) | instid1(VALU_DEP_2)
	v_add_f64_e64 v[14:15], v[14:15], -v[16:17]
	v_add_f64_e64 v[10:11], v[10:11], -v[22:23]
	s_delay_alu instid0(TRANS32_DEP_1) | instskip(NEXT) | instid1(VALU_DEP_1)
	v_fma_f64 v[26:27], -v[18:19], v[20:21], 1.0
	v_fmac_f64_e32 v[20:21], v[26:27], v[20:21]
	s_delay_alu instid0(VALU_DEP_1) | instskip(NEXT) | instid1(VALU_DEP_1)
	v_fma_f64 v[12:13], -v[18:19], v[20:21], 1.0
	v_fmac_f64_e32 v[20:21], v[12:13], v[20:21]
	s_delay_alu instid0(VALU_DEP_1) | instskip(NEXT) | instid1(VALU_DEP_1)
	v_mul_f64_e32 v[12:13], v[24:25], v[20:21]
	v_mul_f64_e32 v[26:27], v[18:19], v[12:13]
	s_delay_alu instid0(VALU_DEP_1) | instskip(NEXT) | instid1(VALU_DEP_1)
	v_fma_f64 v[16:17], v[12:13], v[18:19], -v[26:27]
	v_fmac_f64_e32 v[16:17], v[12:13], v[14:15]
	s_delay_alu instid0(VALU_DEP_1) | instskip(NEXT) | instid1(VALU_DEP_1)
	v_add_f64_e32 v[28:29], v[26:27], v[16:17]
	v_add_f64_e64 v[30:31], v[24:25], -v[28:29]
	v_add_f64_e64 v[22:23], v[28:29], -v[26:27]
	s_delay_alu instid0(VALU_DEP_2) | instskip(NEXT) | instid1(VALU_DEP_2)
	v_add_f64_e64 v[24:25], v[24:25], -v[30:31]
	v_add_f64_e64 v[16:17], v[22:23], -v[16:17]
	s_delay_alu instid0(VALU_DEP_2) | instskip(NEXT) | instid1(VALU_DEP_1)
	v_add_f64_e64 v[24:25], v[24:25], -v[28:29]
	v_add_f64_e32 v[10:11], v[10:11], v[24:25]
	s_delay_alu instid0(VALU_DEP_1) | instskip(NEXT) | instid1(VALU_DEP_1)
	v_add_f64_e32 v[10:11], v[16:17], v[10:11]
	v_add_f64_e32 v[16:17], v[30:31], v[10:11]
	s_delay_alu instid0(VALU_DEP_1) | instskip(SKIP_1) | instid1(VALU_DEP_2)
	v_mul_f64_e32 v[22:23], v[20:21], v[16:17]
	v_add_f64_e64 v[28:29], v[30:31], -v[16:17]
	v_mul_f64_e32 v[24:25], v[18:19], v[22:23]
	s_delay_alu instid0(VALU_DEP_2) | instskip(NEXT) | instid1(VALU_DEP_2)
	v_add_f64_e32 v[10:11], v[10:11], v[28:29]
	v_fma_f64 v[18:19], v[22:23], v[18:19], -v[24:25]
	s_delay_alu instid0(VALU_DEP_1) | instskip(NEXT) | instid1(VALU_DEP_1)
	v_fmac_f64_e32 v[18:19], v[22:23], v[14:15]
	v_add_f64_e32 v[14:15], v[24:25], v[18:19]
	s_delay_alu instid0(VALU_DEP_1) | instskip(SKIP_1) | instid1(VALU_DEP_2)
	v_add_f64_e64 v[26:27], v[16:17], -v[14:15]
	v_add_f64_e64 v[24:25], v[14:15], -v[24:25]
	v_add_f64_e64 v[16:17], v[16:17], -v[26:27]
	s_delay_alu instid0(VALU_DEP_1) | instskip(NEXT) | instid1(VALU_DEP_3)
	v_add_f64_e64 v[14:15], v[16:17], -v[14:15]
	v_add_f64_e64 v[16:17], v[24:25], -v[18:19]
	s_delay_alu instid0(VALU_DEP_2) | instskip(SKIP_1) | instid1(VALU_DEP_2)
	v_add_f64_e32 v[10:11], v[10:11], v[14:15]
	v_add_f64_e32 v[14:15], v[12:13], v[22:23]
	;; [unrolled: 1-line block ×3, first 2 shown]
	s_delay_alu instid0(VALU_DEP_2) | instskip(NEXT) | instid1(VALU_DEP_2)
	v_add_f64_e64 v[12:13], v[14:15], -v[12:13]
	v_add_f64_e32 v[10:11], v[26:27], v[10:11]
	s_delay_alu instid0(VALU_DEP_2) | instskip(NEXT) | instid1(VALU_DEP_2)
	v_add_f64_e64 v[12:13], v[22:23], -v[12:13]
	v_mul_f64_e32 v[10:11], v[20:21], v[10:11]
	s_delay_alu instid0(VALU_DEP_1) | instskip(NEXT) | instid1(VALU_DEP_1)
	v_add_f64_e32 v[10:11], v[12:13], v[10:11]
	v_add_f64_e32 v[12:13], v[14:15], v[10:11]
	s_delay_alu instid0(VALU_DEP_1) | instskip(NEXT) | instid1(VALU_DEP_1)
	v_mul_f64_e32 v[16:17], v[12:13], v[12:13]
	v_fmaak_f64 v[18:19], s[0:1], v[16:17], 0x3fc385386b47b09a
	v_mul_f64_e32 v[20:21], v[12:13], v[16:17]
	s_mov_b64 s[0:1], 0x3fe62e42fefa39ef
	s_delay_alu instid0(VALU_DEP_2) | instskip(NEXT) | instid1(VALU_DEP_1)
	v_fmaak_f64 v[18:19], v[16:17], v[18:19], 0x3fc7474dd7f4df2e
	v_fmaak_f64 v[18:19], v[16:17], v[18:19], 0x3fcc71c016291751
	s_delay_alu instid0(VALU_DEP_1) | instskip(NEXT) | instid1(VALU_DEP_1)
	v_fmaak_f64 v[18:19], v[16:17], v[18:19], 0x3fd249249b27acf1
	v_fmaak_f64 v[18:19], v[16:17], v[18:19], 0x3fd99999998ef7b6
	s_delay_alu instid0(VALU_DEP_1) | instskip(SKIP_2) | instid1(VALU_DEP_3)
	v_fmaak_f64 v[16:17], v[16:17], v[18:19], 0x3fe5555555555780
	v_ldexp_f64 v[18:19], v[12:13], 1
	v_add_f64_e64 v[12:13], v[12:13], -v[14:15]
	v_mul_f64_e32 v[16:17], v[20:21], v[16:17]
	v_cvt_f64_i32_e32 v[20:21], v32
	s_delay_alu instid0(VALU_DEP_3) | instskip(NEXT) | instid1(VALU_DEP_3)
	v_add_f64_e64 v[10:11], v[10:11], -v[12:13]
	v_add_f64_e32 v[14:15], v[18:19], v[16:17]
	s_delay_alu instid0(VALU_DEP_2) | instskip(NEXT) | instid1(VALU_DEP_2)
	v_ldexp_f64 v[10:11], v[10:11], 1
	v_add_f64_e64 v[12:13], v[14:15], -v[18:19]
	v_mul_f64_e32 v[18:19], 0x3fe62e42fefa39ef, v[20:21]
	s_delay_alu instid0(VALU_DEP_2) | instskip(NEXT) | instid1(VALU_DEP_2)
	v_add_f64_e64 v[12:13], v[16:17], -v[12:13]
	v_fma_f64 v[16:17], v[20:21], s[0:1], -v[18:19]
	v_cmp_neq_f64_e64 s0, 0x7ff00000, v[4:5]
	v_cmp_ngt_f64_e64 s1, -1.0, v[4:5]
	s_delay_alu instid0(VALU_DEP_4) | instskip(NEXT) | instid1(VALU_DEP_4)
	v_add_f64_e32 v[10:11], v[10:11], v[12:13]
	v_fmamk_f64 v[12:13], v[20:21], 0x3c7abc9e3b39803f, v[16:17]
	s_and_b32 vcc_lo, vcc_lo, s0
	s_delay_alu instid0(VALU_DEP_1) | instskip(NEXT) | instid1(VALU_DEP_3)
	v_add_f64_e32 v[16:17], v[18:19], v[12:13]
	v_add_f64_e32 v[20:21], v[14:15], v[10:11]
	s_delay_alu instid0(VALU_DEP_2) | instskip(NEXT) | instid1(VALU_DEP_2)
	v_add_f64_e64 v[18:19], v[16:17], -v[18:19]
	v_add_f64_e32 v[22:23], v[16:17], v[20:21]
	v_add_f64_e64 v[14:15], v[20:21], -v[14:15]
	s_delay_alu instid0(VALU_DEP_3) | instskip(NEXT) | instid1(VALU_DEP_3)
	v_add_f64_e64 v[12:13], v[12:13], -v[18:19]
	v_add_f64_e64 v[24:25], v[22:23], -v[16:17]
	s_delay_alu instid0(VALU_DEP_3) | instskip(NEXT) | instid1(VALU_DEP_2)
	v_add_f64_e64 v[10:11], v[10:11], -v[14:15]
	v_add_f64_e64 v[26:27], v[22:23], -v[24:25]
	;; [unrolled: 1-line block ×3, first 2 shown]
	s_delay_alu instid0(VALU_DEP_3) | instskip(NEXT) | instid1(VALU_DEP_3)
	v_add_f64_e32 v[18:19], v[12:13], v[10:11]
	v_add_f64_e64 v[16:17], v[16:17], -v[26:27]
	s_delay_alu instid0(VALU_DEP_1) | instskip(NEXT) | instid1(VALU_DEP_3)
	v_add_f64_e32 v[14:15], v[14:15], v[16:17]
	v_add_f64_e64 v[16:17], v[18:19], -v[12:13]
	s_delay_alu instid0(VALU_DEP_2) | instskip(NEXT) | instid1(VALU_DEP_2)
	v_add_f64_e32 v[14:15], v[18:19], v[14:15]
	v_add_f64_e64 v[18:19], v[18:19], -v[16:17]
	v_add_f64_e64 v[10:11], v[10:11], -v[16:17]
	s_delay_alu instid0(VALU_DEP_3) | instskip(NEXT) | instid1(VALU_DEP_3)
	v_add_f64_e32 v[20:21], v[22:23], v[14:15]
	v_add_f64_e64 v[12:13], v[12:13], -v[18:19]
	s_delay_alu instid0(VALU_DEP_2) | instskip(NEXT) | instid1(VALU_DEP_2)
	v_add_f64_e64 v[16:17], v[20:21], -v[22:23]
	v_add_f64_e32 v[10:11], v[10:11], v[12:13]
	s_delay_alu instid0(VALU_DEP_2) | instskip(NEXT) | instid1(VALU_DEP_1)
	v_add_f64_e64 v[12:13], v[14:15], -v[16:17]
	v_add_f64_e32 v[10:11], v[10:11], v[12:13]
	s_delay_alu instid0(VALU_DEP_1) | instskip(NEXT) | instid1(VALU_DEP_1)
	v_add_f64_e32 v[10:11], v[20:21], v[10:11]
	v_cndmask_b32_e32 v10, 0, v10, vcc_lo
	v_cmp_neq_f64_e32 vcc_lo, -1.0, v[4:5]
	s_delay_alu instid0(VALU_DEP_3) | instskip(NEXT) | instid1(VALU_DEP_1)
	v_cndmask_b32_e64 v11, 0x7ff00000, v11, s0
	v_cndmask_b32_e64 v11, 0x7ff80000, v11, s1
	s_delay_alu instid0(VALU_DEP_1) | instskip(NEXT) | instid1(VALU_DEP_1)
	v_cndmask_b32_e32 v11, 0xfff00000, v11, vcc_lo
	v_div_scale_f64 v[4:5], null, s[4:5], s[4:5], v[10:11]
	s_delay_alu instid0(VALU_DEP_1) | instskip(SKIP_1) | instid1(TRANS32_DEP_1)
	v_rcp_f64_e32 v[12:13], v[4:5]
	v_nop
	v_fma_f64 v[14:15], -v[4:5], v[12:13], 1.0
	s_delay_alu instid0(VALU_DEP_1) | instskip(NEXT) | instid1(VALU_DEP_1)
	v_fmac_f64_e32 v[12:13], v[12:13], v[14:15]
	v_fma_f64 v[14:15], -v[4:5], v[12:13], 1.0
	s_delay_alu instid0(VALU_DEP_1) | instskip(SKIP_1) | instid1(VALU_DEP_1)
	v_fmac_f64_e32 v[12:13], v[12:13], v[14:15]
	v_div_scale_f64 v[14:15], vcc_lo, v[10:11], s[4:5], v[10:11]
	v_mul_f64_e32 v[16:17], v[14:15], v[12:13]
	s_delay_alu instid0(VALU_DEP_1) | instskip(NEXT) | instid1(VALU_DEP_1)
	v_fma_f64 v[4:5], -v[4:5], v[16:17], v[14:15]
	v_div_fmas_f64 v[4:5], v[4:5], v[12:13], v[16:17]
	s_delay_alu instid0(VALU_DEP_1)
	v_div_fixup_f64 v[4:5], v[4:5], s[4:5], v[10:11]
.LBB1_9:
	s_or_b32 exec_lo, exec_lo, s13
	s_add_nc_u64 s[2:3], s[8:9], s[2:3]
	s_mov_b32 s0, 0
	s_clause 0x1
	global_store_b128 v1, v[6:9], s[2:3]
	global_store_b128 v1, v[2:5], s[2:3] offset:16
.LBB1_10:
	s_and_b32 vcc_lo, exec_lo, s0
	s_cbranch_vccz .LBB1_37
; %bb.11:
	v_mov_b64_e32 v[22:23], 0
	v_mov_b64_e32 v[10:11], 0
	v_cmp_gt_i32_e64 s0, s14, v0
	s_wait_xcnt 0x0
	v_dual_mov_b32 v2, v0 :: v_dual_bitop2_b32 v1, s12, v0 bitop3:0x54
	v_or_b32_e32 v24, 0x100, v0
	s_and_saveexec_b32 s1, s0
	s_cbranch_execz .LBB1_13
; %bb.12:
	global_load_b64 v[10:11], v1, s[10:11] scale_offset
	v_or_b32_e32 v2, 0x100, v0
.LBB1_13:
	s_wait_xcnt 0x0
	s_or_b32 exec_lo, exec_lo, s1
	s_delay_alu instid0(SALU_CYCLE_1) | instskip(NEXT) | instid1(VALU_DEP_1)
	s_mov_b32 s1, exec_lo
	v_cmpx_gt_i32_e64 s14, v2
	s_cbranch_execz .LBB1_15
; %bb.14:
	v_add_nc_u32_e32 v3, s12, v2
	v_add_nc_u32_e32 v2, 0x100, v2
	global_load_b64 v[22:23], v3, s[10:11] scale_offset
.LBB1_15:
	s_wait_xcnt 0x0
	s_or_b32 exec_lo, exec_lo, s1
	v_mov_b64_e32 v[18:19], 0
	v_mov_b64_e32 v[20:21], 0
	s_mov_b32 s1, exec_lo
	v_cmpx_gt_i32_e64 s14, v2
	s_cbranch_execz .LBB1_17
; %bb.16:
	v_add_nc_u32_e32 v3, s12, v2
	v_add_nc_u32_e32 v2, 0x100, v2
	global_load_b64 v[20:21], v3, s[10:11] scale_offset
.LBB1_17:
	s_wait_xcnt 0x0
	s_or_b32 exec_lo, exec_lo, s1
	s_delay_alu instid0(SALU_CYCLE_1)
	s_mov_b32 s1, exec_lo
	v_cmpx_gt_i32_e64 s14, v2
	s_cbranch_execz .LBB1_19
; %bb.18:
	v_add_nc_u32_e32 v2, s12, v2
	global_load_b64 v[18:19], v2, s[10:11] scale_offset
.LBB1_19:
	s_wait_xcnt 0x0
	s_or_b32 exec_lo, exec_lo, s1
	v_mov_b32_e32 v2, 0
	s_delay_alu instid0(VALU_DEP_1)
	v_dual_mov_b32 v3, v2 :: v_dual_mov_b32 v4, v2
	v_dual_mov_b32 v5, v2 :: v_dual_mov_b32 v6, v2
	;; [unrolled: 1-line block ×3, first 2 shown]
	v_mov_b32_e32 v9, v2
	s_and_saveexec_b32 s3, s0
	s_cbranch_execz .LBB1_23
; %bb.20:
	s_wait_loadcnt 0x0
	v_mul_f64_e32 v[2:3], s[4:5], v[10:11]
	s_mov_b32 s10, exec_lo
	s_delay_alu instid0(VALU_DEP_1)
	v_cmpx_nlt_f64_e32 s[6:7], v[2:3]
	s_cbranch_execz .LBB1_22
; %bb.21:
	v_mul_f64_e32 v[4:5], 0x3ff71547652b82fe, v[2:3]
	s_mov_b64 s[16:17], 0x3e5ade156a5dcb37
	v_cmp_nlt_f64_e32 vcc_lo, 0x40900000, v[2:3]
	v_cmp_ngt_f64_e64 s1, 0xc090cc00, v[2:3]
	s_delay_alu instid0(VALU_DEP_3) | instskip(NEXT) | instid1(VALU_DEP_1)
	v_rndne_f64_e32 v[4:5], v[4:5]
	v_fmamk_f64 v[6:7], v[4:5], 0xbfe62e42fefa39ef, v[2:3]
	v_cvt_i32_f64_e32 v10, v[4:5]
	s_delay_alu instid0(VALU_DEP_2) | instskip(NEXT) | instid1(VALU_DEP_1)
	v_fmamk_f64 v[6:7], v[4:5], 0xbc7abc9e3b39803f, v[6:7]
	v_fmaak_f64 v[8:9], s[16:17], v[6:7], 0x3e928af3fca7ab0c
	s_mov_b64 s[16:17], 0x3fe5555555555555
	s_delay_alu instid0(VALU_DEP_1) | instskip(NEXT) | instid1(VALU_DEP_1)
	v_fmaak_f64 v[8:9], v[6:7], v[8:9], 0x3ec71dee623fde64
	v_fmaak_f64 v[8:9], v[6:7], v[8:9], 0x3efa01997c89e6b0
	s_delay_alu instid0(VALU_DEP_1) | instskip(NEXT) | instid1(VALU_DEP_1)
	v_fmaak_f64 v[8:9], v[6:7], v[8:9], 0x3f2a01a014761f6e
	v_fmaak_f64 v[8:9], v[6:7], v[8:9], 0x3f56c16c1852b7b0
	;; [unrolled: 3-line block ×4, first 2 shown]
	s_delay_alu instid0(VALU_DEP_1) | instskip(NEXT) | instid1(VALU_DEP_1)
	v_fma_f64 v[8:9], v[6:7], v[8:9], 1.0
	v_fma_f64 v[4:5], v[6:7], v[8:9], 1.0
	s_delay_alu instid0(VALU_DEP_1) | instskip(NEXT) | instid1(VALU_DEP_1)
	v_ldexp_f64 v[4:5], v[4:5], v10
	v_cndmask_b32_e32 v5, 0x7ff00000, v5, vcc_lo
	s_and_b32 vcc_lo, s1, vcc_lo
	s_delay_alu instid0(VALU_DEP_1) | instid1(SALU_CYCLE_1)
	v_dual_cndmask_b32 v2, 0, v4, vcc_lo :: v_dual_cndmask_b32 v3, 0, v5, s1
	s_delay_alu instid0(VALU_DEP_1) | instskip(SKIP_2) | instid1(VALU_DEP_3)
	v_add_f64_e32 v[4:5], 1.0, v[2:3]
	v_cmp_neq_f64_e64 s1, 0x7ff00000, v[2:3]
	v_cmp_ngt_f64_e64 s2, -1.0, v[2:3]
	v_frexp_mant_f64_e32 v[6:7], v[4:5]
	v_frexp_exp_i32_f64_e32 v10, v[4:5]
	s_delay_alu instid0(VALU_DEP_2) | instskip(SKIP_1) | instid1(VALU_DEP_2)
	v_cmp_gt_f64_e32 vcc_lo, s[16:17], v[6:7]
	s_mov_b64 s[16:17], 0x3fc3ab76bf559e2b
	v_subrev_co_ci_u32_e64 v25, null, 0, v10, vcc_lo
	v_cmp_nge_f64_e32 vcc_lo, -1.0, v[2:3]
	s_delay_alu instid0(VALU_DEP_2) | instskip(SKIP_2) | instid1(VALU_DEP_1)
	v_sub_nc_u32_e32 v12, 0, v25
	v_add_f64_e32 v[8:9], -1.0, v[4:5]
	s_and_b32 vcc_lo, vcc_lo, s1
	v_add_f64_e64 v[6:7], v[8:9], -v[4:5]
	s_delay_alu instid0(VALU_DEP_3) | instskip(SKIP_1) | instid1(VALU_DEP_3)
	v_ldexp_f64 v[4:5], v[4:5], v12
	v_add_f64_e64 v[8:9], v[2:3], -v[8:9]
	v_add_f64_e32 v[6:7], 1.0, v[6:7]
	s_delay_alu instid0(VALU_DEP_3) | instskip(SKIP_1) | instid1(VALU_DEP_3)
	v_add_f64_e32 v[10:11], 1.0, v[4:5]
	v_add_f64_e32 v[16:17], -1.0, v[4:5]
	v_add_f64_e32 v[6:7], v[8:9], v[6:7]
	s_delay_alu instid0(VALU_DEP_3) | instskip(NEXT) | instid1(VALU_DEP_3)
	v_add_f64_e32 v[8:9], -1.0, v[10:11]
	v_add_f64_e32 v[26:27], 1.0, v[16:17]
	s_delay_alu instid0(VALU_DEP_3) | instskip(NEXT) | instid1(VALU_DEP_3)
	v_ldexp_f64 v[6:7], v[6:7], v12
	v_add_f64_e64 v[8:9], v[4:5], -v[8:9]
	s_delay_alu instid0(VALU_DEP_3) | instskip(NEXT) | instid1(VALU_DEP_2)
	v_add_f64_e64 v[4:5], v[4:5], -v[26:27]
	v_add_f64_e32 v[8:9], v[6:7], v[8:9]
	s_delay_alu instid0(VALU_DEP_2) | instskip(NEXT) | instid1(VALU_DEP_2)
	v_add_f64_e32 v[4:5], v[6:7], v[4:5]
	v_add_f64_e32 v[12:13], v[10:11], v[8:9]
	s_delay_alu instid0(VALU_DEP_2) | instskip(NEXT) | instid1(VALU_DEP_2)
	v_add_f64_e32 v[26:27], v[16:17], v[4:5]
	v_rcp_f64_e32 v[14:15], v[12:13]
	v_add_f64_e64 v[10:11], v[12:13], -v[10:11]
	s_delay_alu instid0(VALU_DEP_2) | instskip(NEXT) | instid1(VALU_DEP_2)
	v_add_f64_e64 v[16:17], v[26:27], -v[16:17]
	v_add_f64_e64 v[8:9], v[8:9], -v[10:11]
	s_delay_alu instid0(VALU_DEP_2) | instskip(NEXT) | instid1(TRANS32_DEP_1)
	v_add_f64_e64 v[4:5], v[4:5], -v[16:17]
	v_fma_f64 v[28:29], -v[12:13], v[14:15], 1.0
	s_delay_alu instid0(VALU_DEP_1) | instskip(NEXT) | instid1(VALU_DEP_1)
	v_fmac_f64_e32 v[14:15], v[28:29], v[14:15]
	v_fma_f64 v[6:7], -v[12:13], v[14:15], 1.0
	s_delay_alu instid0(VALU_DEP_1) | instskip(NEXT) | instid1(VALU_DEP_1)
	v_fmac_f64_e32 v[14:15], v[6:7], v[14:15]
	v_mul_f64_e32 v[6:7], v[26:27], v[14:15]
	s_delay_alu instid0(VALU_DEP_1) | instskip(NEXT) | instid1(VALU_DEP_1)
	v_mul_f64_e32 v[28:29], v[12:13], v[6:7]
	v_fma_f64 v[10:11], v[6:7], v[12:13], -v[28:29]
	s_delay_alu instid0(VALU_DEP_1) | instskip(NEXT) | instid1(VALU_DEP_1)
	v_fmac_f64_e32 v[10:11], v[6:7], v[8:9]
	v_add_f64_e32 v[30:31], v[28:29], v[10:11]
	s_delay_alu instid0(VALU_DEP_1) | instskip(SKIP_1) | instid1(VALU_DEP_2)
	v_add_f64_e64 v[32:33], v[26:27], -v[30:31]
	v_add_f64_e64 v[16:17], v[30:31], -v[28:29]
	;; [unrolled: 1-line block ×3, first 2 shown]
	s_delay_alu instid0(VALU_DEP_2) | instskip(NEXT) | instid1(VALU_DEP_2)
	v_add_f64_e64 v[10:11], v[16:17], -v[10:11]
	v_add_f64_e64 v[26:27], v[26:27], -v[30:31]
	s_delay_alu instid0(VALU_DEP_1) | instskip(NEXT) | instid1(VALU_DEP_1)
	v_add_f64_e32 v[4:5], v[4:5], v[26:27]
	v_add_f64_e32 v[4:5], v[10:11], v[4:5]
	s_delay_alu instid0(VALU_DEP_1) | instskip(NEXT) | instid1(VALU_DEP_1)
	v_add_f64_e32 v[10:11], v[32:33], v[4:5]
	v_mul_f64_e32 v[16:17], v[14:15], v[10:11]
	v_add_f64_e64 v[30:31], v[32:33], -v[10:11]
	s_delay_alu instid0(VALU_DEP_2) | instskip(NEXT) | instid1(VALU_DEP_2)
	v_mul_f64_e32 v[26:27], v[12:13], v[16:17]
	v_add_f64_e32 v[4:5], v[4:5], v[30:31]
	s_delay_alu instid0(VALU_DEP_2) | instskip(NEXT) | instid1(VALU_DEP_1)
	v_fma_f64 v[12:13], v[16:17], v[12:13], -v[26:27]
	v_fmac_f64_e32 v[12:13], v[16:17], v[8:9]
	s_delay_alu instid0(VALU_DEP_1) | instskip(NEXT) | instid1(VALU_DEP_1)
	v_add_f64_e32 v[8:9], v[26:27], v[12:13]
	v_add_f64_e64 v[28:29], v[10:11], -v[8:9]
	v_add_f64_e64 v[26:27], v[8:9], -v[26:27]
	s_delay_alu instid0(VALU_DEP_2) | instskip(NEXT) | instid1(VALU_DEP_1)
	v_add_f64_e64 v[10:11], v[10:11], -v[28:29]
	v_add_f64_e64 v[8:9], v[10:11], -v[8:9]
	s_delay_alu instid0(VALU_DEP_3) | instskip(NEXT) | instid1(VALU_DEP_2)
	v_add_f64_e64 v[10:11], v[26:27], -v[12:13]
	v_add_f64_e32 v[4:5], v[4:5], v[8:9]
	v_add_f64_e32 v[8:9], v[6:7], v[16:17]
	s_delay_alu instid0(VALU_DEP_2) | instskip(NEXT) | instid1(VALU_DEP_2)
	v_add_f64_e32 v[4:5], v[10:11], v[4:5]
	v_add_f64_e64 v[6:7], v[8:9], -v[6:7]
	s_delay_alu instid0(VALU_DEP_2) | instskip(NEXT) | instid1(VALU_DEP_2)
	v_add_f64_e32 v[4:5], v[28:29], v[4:5]
	v_add_f64_e64 v[6:7], v[16:17], -v[6:7]
	s_delay_alu instid0(VALU_DEP_2) | instskip(NEXT) | instid1(VALU_DEP_1)
	v_mul_f64_e32 v[4:5], v[14:15], v[4:5]
	v_add_f64_e32 v[4:5], v[6:7], v[4:5]
	s_delay_alu instid0(VALU_DEP_1) | instskip(NEXT) | instid1(VALU_DEP_1)
	v_add_f64_e32 v[6:7], v[8:9], v[4:5]
	v_mul_f64_e32 v[10:11], v[6:7], v[6:7]
	s_delay_alu instid0(VALU_DEP_1) | instskip(SKIP_2) | instid1(VALU_DEP_2)
	v_fmaak_f64 v[12:13], s[16:17], v[10:11], 0x3fc385386b47b09a
	v_mul_f64_e32 v[14:15], v[6:7], v[10:11]
	s_mov_b64 s[16:17], 0x3fe62e42fefa39ef
	v_fmaak_f64 v[12:13], v[10:11], v[12:13], 0x3fc7474dd7f4df2e
	s_delay_alu instid0(VALU_DEP_1) | instskip(NEXT) | instid1(VALU_DEP_1)
	v_fmaak_f64 v[12:13], v[10:11], v[12:13], 0x3fcc71c016291751
	v_fmaak_f64 v[12:13], v[10:11], v[12:13], 0x3fd249249b27acf1
	s_delay_alu instid0(VALU_DEP_1) | instskip(NEXT) | instid1(VALU_DEP_1)
	v_fmaak_f64 v[12:13], v[10:11], v[12:13], 0x3fd99999998ef7b6
	v_fmaak_f64 v[10:11], v[10:11], v[12:13], 0x3fe5555555555780
	v_ldexp_f64 v[12:13], v[6:7], 1
	v_add_f64_e64 v[6:7], v[6:7], -v[8:9]
	s_delay_alu instid0(VALU_DEP_3) | instskip(SKIP_1) | instid1(VALU_DEP_3)
	v_mul_f64_e32 v[10:11], v[14:15], v[10:11]
	v_cvt_f64_i32_e32 v[14:15], v25
	v_add_f64_e64 v[4:5], v[4:5], -v[6:7]
	s_delay_alu instid0(VALU_DEP_3) | instskip(NEXT) | instid1(VALU_DEP_2)
	v_add_f64_e32 v[8:9], v[12:13], v[10:11]
	v_ldexp_f64 v[4:5], v[4:5], 1
	s_delay_alu instid0(VALU_DEP_2) | instskip(SKIP_1) | instid1(VALU_DEP_2)
	v_add_f64_e64 v[6:7], v[8:9], -v[12:13]
	v_mul_f64_e32 v[12:13], 0x3fe62e42fefa39ef, v[14:15]
	v_add_f64_e64 v[6:7], v[10:11], -v[6:7]
	s_delay_alu instid0(VALU_DEP_2) | instskip(NEXT) | instid1(VALU_DEP_2)
	v_fma_f64 v[10:11], v[14:15], s[16:17], -v[12:13]
	v_add_f64_e32 v[4:5], v[4:5], v[6:7]
	s_delay_alu instid0(VALU_DEP_2) | instskip(NEXT) | instid1(VALU_DEP_1)
	v_fmamk_f64 v[6:7], v[14:15], 0x3c7abc9e3b39803f, v[10:11]
	v_add_f64_e32 v[10:11], v[12:13], v[6:7]
	s_delay_alu instid0(VALU_DEP_3) | instskip(NEXT) | instid1(VALU_DEP_2)
	v_add_f64_e32 v[14:15], v[8:9], v[4:5]
	v_add_f64_e64 v[12:13], v[10:11], -v[12:13]
	s_delay_alu instid0(VALU_DEP_2) | instskip(SKIP_1) | instid1(VALU_DEP_3)
	v_add_f64_e32 v[16:17], v[10:11], v[14:15]
	v_add_f64_e64 v[8:9], v[14:15], -v[8:9]
	v_add_f64_e64 v[6:7], v[6:7], -v[12:13]
	s_delay_alu instid0(VALU_DEP_3) | instskip(NEXT) | instid1(VALU_DEP_3)
	v_add_f64_e64 v[26:27], v[16:17], -v[10:11]
	v_add_f64_e64 v[4:5], v[4:5], -v[8:9]
	s_delay_alu instid0(VALU_DEP_2) | instskip(SKIP_1) | instid1(VALU_DEP_3)
	v_add_f64_e64 v[28:29], v[16:17], -v[26:27]
	v_add_f64_e64 v[8:9], v[14:15], -v[26:27]
	v_add_f64_e32 v[12:13], v[6:7], v[4:5]
	s_delay_alu instid0(VALU_DEP_3) | instskip(NEXT) | instid1(VALU_DEP_1)
	v_add_f64_e64 v[10:11], v[10:11], -v[28:29]
	v_add_f64_e32 v[8:9], v[8:9], v[10:11]
	s_delay_alu instid0(VALU_DEP_3) | instskip(NEXT) | instid1(VALU_DEP_2)
	v_add_f64_e64 v[10:11], v[12:13], -v[6:7]
	v_add_f64_e32 v[8:9], v[12:13], v[8:9]
	s_delay_alu instid0(VALU_DEP_2) | instskip(SKIP_1) | instid1(VALU_DEP_3)
	v_add_f64_e64 v[12:13], v[12:13], -v[10:11]
	v_add_f64_e64 v[4:5], v[4:5], -v[10:11]
	v_add_f64_e32 v[14:15], v[16:17], v[8:9]
	s_delay_alu instid0(VALU_DEP_3) | instskip(NEXT) | instid1(VALU_DEP_2)
	v_add_f64_e64 v[6:7], v[6:7], -v[12:13]
	v_add_f64_e64 v[10:11], v[14:15], -v[16:17]
	s_delay_alu instid0(VALU_DEP_2) | instskip(NEXT) | instid1(VALU_DEP_2)
	v_add_f64_e32 v[4:5], v[4:5], v[6:7]
	v_add_f64_e64 v[6:7], v[8:9], -v[10:11]
	s_delay_alu instid0(VALU_DEP_1) | instskip(NEXT) | instid1(VALU_DEP_1)
	v_add_f64_e32 v[4:5], v[4:5], v[6:7]
	v_add_f64_e32 v[4:5], v[14:15], v[4:5]
	s_delay_alu instid0(VALU_DEP_1) | instskip(SKIP_1) | instid1(VALU_DEP_3)
	v_cndmask_b32_e32 v4, 0, v4, vcc_lo
	v_cmp_neq_f64_e32 vcc_lo, -1.0, v[2:3]
	v_cndmask_b32_e64 v5, 0x7ff00000, v5, s1
	s_delay_alu instid0(VALU_DEP_1) | instskip(NEXT) | instid1(VALU_DEP_1)
	v_cndmask_b32_e64 v5, 0x7ff80000, v5, s2
	v_cndmask_b32_e32 v5, 0xfff00000, v5, vcc_lo
	s_delay_alu instid0(VALU_DEP_1) | instskip(NEXT) | instid1(VALU_DEP_1)
	v_div_scale_f64 v[2:3], null, s[4:5], s[4:5], v[4:5]
	v_rcp_f64_e32 v[6:7], v[2:3]
	v_nop
	s_delay_alu instid0(TRANS32_DEP_1) | instskip(NEXT) | instid1(VALU_DEP_1)
	v_fma_f64 v[8:9], -v[2:3], v[6:7], 1.0
	v_fmac_f64_e32 v[6:7], v[6:7], v[8:9]
	s_delay_alu instid0(VALU_DEP_1) | instskip(NEXT) | instid1(VALU_DEP_1)
	v_fma_f64 v[8:9], -v[2:3], v[6:7], 1.0
	v_fmac_f64_e32 v[6:7], v[6:7], v[8:9]
	v_div_scale_f64 v[8:9], vcc_lo, v[4:5], s[4:5], v[4:5]
	s_delay_alu instid0(VALU_DEP_1) | instskip(NEXT) | instid1(VALU_DEP_1)
	v_mul_f64_e32 v[10:11], v[8:9], v[6:7]
	v_fma_f64 v[2:3], -v[2:3], v[10:11], v[8:9]
	s_delay_alu instid0(VALU_DEP_1) | instskip(NEXT) | instid1(VALU_DEP_1)
	v_div_fmas_f64 v[2:3], v[2:3], v[6:7], v[10:11]
	v_div_fixup_f64 v[10:11], v[2:3], s[4:5], v[4:5]
.LBB1_22:
	s_or_b32 exec_lo, exec_lo, s10
	v_mov_b32_e32 v12, 0
	s_delay_alu instid0(VALU_DEP_1) | instskip(SKIP_3) | instid1(VALU_DEP_4)
	v_dual_mov_b32 v13, v12 :: v_dual_mov_b32 v14, v12
	v_dual_mov_b32 v15, v12 :: v_dual_mov_b32 v16, v12
	v_mov_b32_e32 v17, v12
	v_mov_b64_e32 v[2:3], v[10:11]
	v_mov_b64_e32 v[4:5], v[12:13]
	s_delay_alu instid0(VALU_DEP_4) | instskip(NEXT) | instid1(VALU_DEP_4)
	v_mov_b64_e32 v[6:7], v[14:15]
	v_mov_b64_e32 v[8:9], v[16:17]
.LBB1_23:
	s_or_b32 exec_lo, exec_lo, s3
	s_delay_alu instid0(SALU_CYCLE_1)
	s_mov_b32 s3, exec_lo
	v_cmpx_gt_i32_e64 s14, v24
	s_cbranch_execz .LBB1_27
; %bb.24:
	s_wait_loadcnt 0x0
	v_mul_f64_e32 v[4:5], s[4:5], v[22:23]
	s_mov_b32 s10, exec_lo
	s_delay_alu instid0(VALU_DEP_1)
	v_cmpx_nlt_f64_e32 s[6:7], v[4:5]
	s_cbranch_execz .LBB1_26
; %bb.25:
	v_mul_f64_e32 v[10:11], 0x3ff71547652b82fe, v[4:5]
	s_mov_b64 s[16:17], 0x3e5ade156a5dcb37
	v_cmp_nlt_f64_e32 vcc_lo, 0x40900000, v[4:5]
	v_cmp_ngt_f64_e64 s1, 0xc090cc00, v[4:5]
	s_delay_alu instid0(VALU_DEP_3) | instskip(NEXT) | instid1(VALU_DEP_1)
	v_rndne_f64_e32 v[10:11], v[10:11]
	v_fmamk_f64 v[12:13], v[10:11], 0xbfe62e42fefa39ef, v[4:5]
	v_cvt_i32_f64_e32 v16, v[10:11]
	s_delay_alu instid0(VALU_DEP_2) | instskip(NEXT) | instid1(VALU_DEP_1)
	v_fmamk_f64 v[12:13], v[10:11], 0xbc7abc9e3b39803f, v[12:13]
	v_fmaak_f64 v[14:15], s[16:17], v[12:13], 0x3e928af3fca7ab0c
	s_mov_b64 s[16:17], 0x3fe5555555555555
	s_delay_alu instid0(VALU_DEP_1) | instskip(NEXT) | instid1(VALU_DEP_1)
	v_fmaak_f64 v[14:15], v[12:13], v[14:15], 0x3ec71dee623fde64
	v_fmaak_f64 v[14:15], v[12:13], v[14:15], 0x3efa01997c89e6b0
	s_delay_alu instid0(VALU_DEP_1) | instskip(NEXT) | instid1(VALU_DEP_1)
	v_fmaak_f64 v[14:15], v[12:13], v[14:15], 0x3f2a01a014761f6e
	v_fmaak_f64 v[14:15], v[12:13], v[14:15], 0x3f56c16c1852b7b0
	;; [unrolled: 3-line block ×4, first 2 shown]
	s_delay_alu instid0(VALU_DEP_1) | instskip(NEXT) | instid1(VALU_DEP_1)
	v_fma_f64 v[14:15], v[12:13], v[14:15], 1.0
	v_fma_f64 v[10:11], v[12:13], v[14:15], 1.0
	s_delay_alu instid0(VALU_DEP_1) | instskip(NEXT) | instid1(VALU_DEP_1)
	v_ldexp_f64 v[10:11], v[10:11], v16
	v_cndmask_b32_e32 v11, 0x7ff00000, v11, vcc_lo
	s_and_b32 vcc_lo, s1, vcc_lo
	s_delay_alu instid0(VALU_DEP_1) | instid1(SALU_CYCLE_1)
	v_dual_cndmask_b32 v4, 0, v10, vcc_lo :: v_dual_cndmask_b32 v5, 0, v11, s1
	s_delay_alu instid0(VALU_DEP_1) | instskip(SKIP_2) | instid1(VALU_DEP_3)
	v_add_f64_e32 v[10:11], 1.0, v[4:5]
	v_cmp_neq_f64_e64 s1, 0x7ff00000, v[4:5]
	v_cmp_ngt_f64_e64 s2, -1.0, v[4:5]
	v_frexp_mant_f64_e32 v[12:13], v[10:11]
	v_frexp_exp_i32_f64_e32 v16, v[10:11]
	v_add_f64_e32 v[14:15], -1.0, v[10:11]
	s_delay_alu instid0(VALU_DEP_3) | instskip(SKIP_1) | instid1(VALU_DEP_2)
	v_cmp_gt_f64_e32 vcc_lo, s[16:17], v[12:13]
	s_mov_b64 s[16:17], 0x3fc3ab76bf559e2b
	v_add_f64_e64 v[12:13], v[14:15], -v[10:11]
	v_add_f64_e64 v[14:15], v[4:5], -v[14:15]
	v_subrev_co_ci_u32_e64 v25, null, 0, v16, vcc_lo
	v_cmp_nge_f64_e32 vcc_lo, -1.0, v[4:5]
	s_delay_alu instid0(VALU_DEP_2) | instskip(NEXT) | instid1(VALU_DEP_1)
	v_sub_nc_u32_e32 v22, 0, v25
	v_ldexp_f64 v[10:11], v[10:11], v22
	s_and_b32 vcc_lo, vcc_lo, s1
	v_add_f64_e32 v[12:13], 1.0, v[12:13]
	s_delay_alu instid0(VALU_DEP_2) | instskip(SKIP_1) | instid1(VALU_DEP_3)
	v_add_f64_e32 v[16:17], 1.0, v[10:11]
	v_add_f64_e32 v[28:29], -1.0, v[10:11]
	v_add_f64_e32 v[12:13], v[14:15], v[12:13]
	s_delay_alu instid0(VALU_DEP_3) | instskip(NEXT) | instid1(VALU_DEP_3)
	v_add_f64_e32 v[14:15], -1.0, v[16:17]
	v_add_f64_e32 v[30:31], 1.0, v[28:29]
	s_delay_alu instid0(VALU_DEP_3) | instskip(NEXT) | instid1(VALU_DEP_3)
	v_ldexp_f64 v[12:13], v[12:13], v22
	v_add_f64_e64 v[14:15], v[10:11], -v[14:15]
	s_delay_alu instid0(VALU_DEP_3) | instskip(NEXT) | instid1(VALU_DEP_2)
	v_add_f64_e64 v[10:11], v[10:11], -v[30:31]
	v_add_f64_e32 v[14:15], v[12:13], v[14:15]
	s_delay_alu instid0(VALU_DEP_2) | instskip(NEXT) | instid1(VALU_DEP_2)
	v_add_f64_e32 v[10:11], v[12:13], v[10:11]
	v_add_f64_e32 v[22:23], v[16:17], v[14:15]
	s_delay_alu instid0(VALU_DEP_2) | instskip(NEXT) | instid1(VALU_DEP_2)
	v_add_f64_e32 v[30:31], v[28:29], v[10:11]
	v_rcp_f64_e32 v[26:27], v[22:23]
	v_add_f64_e64 v[16:17], v[22:23], -v[16:17]
	s_delay_alu instid0(VALU_DEP_2) | instskip(NEXT) | instid1(VALU_DEP_2)
	v_add_f64_e64 v[28:29], v[30:31], -v[28:29]
	v_add_f64_e64 v[14:15], v[14:15], -v[16:17]
	s_delay_alu instid0(VALU_DEP_2) | instskip(NEXT) | instid1(TRANS32_DEP_1)
	v_add_f64_e64 v[10:11], v[10:11], -v[28:29]
	v_fma_f64 v[32:33], -v[22:23], v[26:27], 1.0
	s_delay_alu instid0(VALU_DEP_1) | instskip(NEXT) | instid1(VALU_DEP_1)
	v_fmac_f64_e32 v[26:27], v[32:33], v[26:27]
	v_fma_f64 v[12:13], -v[22:23], v[26:27], 1.0
	s_delay_alu instid0(VALU_DEP_1) | instskip(NEXT) | instid1(VALU_DEP_1)
	v_fmac_f64_e32 v[26:27], v[12:13], v[26:27]
	v_mul_f64_e32 v[12:13], v[30:31], v[26:27]
	s_delay_alu instid0(VALU_DEP_1) | instskip(NEXT) | instid1(VALU_DEP_1)
	v_mul_f64_e32 v[32:33], v[22:23], v[12:13]
	v_fma_f64 v[16:17], v[12:13], v[22:23], -v[32:33]
	s_delay_alu instid0(VALU_DEP_1) | instskip(NEXT) | instid1(VALU_DEP_1)
	v_fmac_f64_e32 v[16:17], v[12:13], v[14:15]
	v_add_f64_e32 v[34:35], v[32:33], v[16:17]
	s_delay_alu instid0(VALU_DEP_1) | instskip(SKIP_1) | instid1(VALU_DEP_2)
	v_add_f64_e64 v[36:37], v[30:31], -v[34:35]
	v_add_f64_e64 v[28:29], v[34:35], -v[32:33]
	;; [unrolled: 1-line block ×3, first 2 shown]
	s_delay_alu instid0(VALU_DEP_2) | instskip(NEXT) | instid1(VALU_DEP_2)
	v_add_f64_e64 v[16:17], v[28:29], -v[16:17]
	v_add_f64_e64 v[30:31], v[30:31], -v[34:35]
	s_delay_alu instid0(VALU_DEP_1) | instskip(NEXT) | instid1(VALU_DEP_1)
	v_add_f64_e32 v[10:11], v[10:11], v[30:31]
	v_add_f64_e32 v[10:11], v[16:17], v[10:11]
	s_delay_alu instid0(VALU_DEP_1) | instskip(NEXT) | instid1(VALU_DEP_1)
	v_add_f64_e32 v[16:17], v[36:37], v[10:11]
	v_mul_f64_e32 v[28:29], v[26:27], v[16:17]
	v_add_f64_e64 v[34:35], v[36:37], -v[16:17]
	s_delay_alu instid0(VALU_DEP_2) | instskip(NEXT) | instid1(VALU_DEP_2)
	v_mul_f64_e32 v[30:31], v[22:23], v[28:29]
	v_add_f64_e32 v[10:11], v[10:11], v[34:35]
	s_delay_alu instid0(VALU_DEP_2) | instskip(NEXT) | instid1(VALU_DEP_1)
	v_fma_f64 v[22:23], v[28:29], v[22:23], -v[30:31]
	v_fmac_f64_e32 v[22:23], v[28:29], v[14:15]
	s_delay_alu instid0(VALU_DEP_1) | instskip(NEXT) | instid1(VALU_DEP_1)
	v_add_f64_e32 v[14:15], v[30:31], v[22:23]
	v_add_f64_e64 v[32:33], v[16:17], -v[14:15]
	v_add_f64_e64 v[30:31], v[14:15], -v[30:31]
	s_delay_alu instid0(VALU_DEP_2) | instskip(NEXT) | instid1(VALU_DEP_1)
	v_add_f64_e64 v[16:17], v[16:17], -v[32:33]
	v_add_f64_e64 v[14:15], v[16:17], -v[14:15]
	s_delay_alu instid0(VALU_DEP_3) | instskip(NEXT) | instid1(VALU_DEP_2)
	v_add_f64_e64 v[16:17], v[30:31], -v[22:23]
	v_add_f64_e32 v[10:11], v[10:11], v[14:15]
	v_add_f64_e32 v[14:15], v[12:13], v[28:29]
	s_delay_alu instid0(VALU_DEP_2) | instskip(NEXT) | instid1(VALU_DEP_2)
	v_add_f64_e32 v[10:11], v[16:17], v[10:11]
	v_add_f64_e64 v[12:13], v[14:15], -v[12:13]
	s_delay_alu instid0(VALU_DEP_2) | instskip(NEXT) | instid1(VALU_DEP_2)
	v_add_f64_e32 v[10:11], v[32:33], v[10:11]
	v_add_f64_e64 v[12:13], v[28:29], -v[12:13]
	s_delay_alu instid0(VALU_DEP_2) | instskip(NEXT) | instid1(VALU_DEP_1)
	v_mul_f64_e32 v[10:11], v[26:27], v[10:11]
	v_add_f64_e32 v[10:11], v[12:13], v[10:11]
	s_delay_alu instid0(VALU_DEP_1) | instskip(NEXT) | instid1(VALU_DEP_1)
	v_add_f64_e32 v[12:13], v[14:15], v[10:11]
	v_mul_f64_e32 v[16:17], v[12:13], v[12:13]
	s_delay_alu instid0(VALU_DEP_1) | instskip(SKIP_2) | instid1(VALU_DEP_2)
	v_fmaak_f64 v[22:23], s[16:17], v[16:17], 0x3fc385386b47b09a
	v_mul_f64_e32 v[26:27], v[12:13], v[16:17]
	s_mov_b64 s[16:17], 0x3fe62e42fefa39ef
	v_fmaak_f64 v[22:23], v[16:17], v[22:23], 0x3fc7474dd7f4df2e
	s_delay_alu instid0(VALU_DEP_1) | instskip(NEXT) | instid1(VALU_DEP_1)
	v_fmaak_f64 v[22:23], v[16:17], v[22:23], 0x3fcc71c016291751
	v_fmaak_f64 v[22:23], v[16:17], v[22:23], 0x3fd249249b27acf1
	s_delay_alu instid0(VALU_DEP_1) | instskip(NEXT) | instid1(VALU_DEP_1)
	v_fmaak_f64 v[22:23], v[16:17], v[22:23], 0x3fd99999998ef7b6
	v_fmaak_f64 v[16:17], v[16:17], v[22:23], 0x3fe5555555555780
	v_ldexp_f64 v[22:23], v[12:13], 1
	v_add_f64_e64 v[12:13], v[12:13], -v[14:15]
	s_delay_alu instid0(VALU_DEP_3) | instskip(SKIP_1) | instid1(VALU_DEP_3)
	v_mul_f64_e32 v[16:17], v[26:27], v[16:17]
	v_cvt_f64_i32_e32 v[26:27], v25
	v_add_f64_e64 v[10:11], v[10:11], -v[12:13]
	s_delay_alu instid0(VALU_DEP_3) | instskip(NEXT) | instid1(VALU_DEP_2)
	v_add_f64_e32 v[14:15], v[22:23], v[16:17]
	v_ldexp_f64 v[10:11], v[10:11], 1
	s_delay_alu instid0(VALU_DEP_2) | instskip(SKIP_1) | instid1(VALU_DEP_2)
	v_add_f64_e64 v[12:13], v[14:15], -v[22:23]
	v_mul_f64_e32 v[22:23], 0x3fe62e42fefa39ef, v[26:27]
	v_add_f64_e64 v[12:13], v[16:17], -v[12:13]
	s_delay_alu instid0(VALU_DEP_2) | instskip(NEXT) | instid1(VALU_DEP_2)
	v_fma_f64 v[16:17], v[26:27], s[16:17], -v[22:23]
	v_add_f64_e32 v[10:11], v[10:11], v[12:13]
	s_delay_alu instid0(VALU_DEP_2) | instskip(NEXT) | instid1(VALU_DEP_1)
	v_fmamk_f64 v[12:13], v[26:27], 0x3c7abc9e3b39803f, v[16:17]
	v_add_f64_e32 v[16:17], v[22:23], v[12:13]
	s_delay_alu instid0(VALU_DEP_3) | instskip(NEXT) | instid1(VALU_DEP_2)
	v_add_f64_e32 v[26:27], v[14:15], v[10:11]
	v_add_f64_e64 v[22:23], v[16:17], -v[22:23]
	s_delay_alu instid0(VALU_DEP_2) | instskip(SKIP_1) | instid1(VALU_DEP_3)
	v_add_f64_e32 v[28:29], v[16:17], v[26:27]
	v_add_f64_e64 v[14:15], v[26:27], -v[14:15]
	v_add_f64_e64 v[12:13], v[12:13], -v[22:23]
	s_delay_alu instid0(VALU_DEP_3) | instskip(NEXT) | instid1(VALU_DEP_3)
	v_add_f64_e64 v[30:31], v[28:29], -v[16:17]
	v_add_f64_e64 v[10:11], v[10:11], -v[14:15]
	s_delay_alu instid0(VALU_DEP_2) | instskip(SKIP_1) | instid1(VALU_DEP_3)
	v_add_f64_e64 v[32:33], v[28:29], -v[30:31]
	v_add_f64_e64 v[14:15], v[26:27], -v[30:31]
	v_add_f64_e32 v[22:23], v[12:13], v[10:11]
	s_delay_alu instid0(VALU_DEP_3) | instskip(NEXT) | instid1(VALU_DEP_1)
	v_add_f64_e64 v[16:17], v[16:17], -v[32:33]
	v_add_f64_e32 v[14:15], v[14:15], v[16:17]
	s_delay_alu instid0(VALU_DEP_3) | instskip(NEXT) | instid1(VALU_DEP_2)
	v_add_f64_e64 v[16:17], v[22:23], -v[12:13]
	v_add_f64_e32 v[14:15], v[22:23], v[14:15]
	s_delay_alu instid0(VALU_DEP_2) | instskip(SKIP_1) | instid1(VALU_DEP_3)
	v_add_f64_e64 v[22:23], v[22:23], -v[16:17]
	v_add_f64_e64 v[10:11], v[10:11], -v[16:17]
	v_add_f64_e32 v[26:27], v[28:29], v[14:15]
	s_delay_alu instid0(VALU_DEP_3) | instskip(NEXT) | instid1(VALU_DEP_2)
	v_add_f64_e64 v[12:13], v[12:13], -v[22:23]
	v_add_f64_e64 v[16:17], v[26:27], -v[28:29]
	s_delay_alu instid0(VALU_DEP_2) | instskip(NEXT) | instid1(VALU_DEP_2)
	v_add_f64_e32 v[10:11], v[10:11], v[12:13]
	v_add_f64_e64 v[12:13], v[14:15], -v[16:17]
	s_delay_alu instid0(VALU_DEP_1) | instskip(NEXT) | instid1(VALU_DEP_1)
	v_add_f64_e32 v[10:11], v[10:11], v[12:13]
	v_add_f64_e32 v[10:11], v[26:27], v[10:11]
	s_delay_alu instid0(VALU_DEP_1) | instskip(SKIP_1) | instid1(VALU_DEP_3)
	v_cndmask_b32_e32 v10, 0, v10, vcc_lo
	v_cmp_neq_f64_e32 vcc_lo, -1.0, v[4:5]
	v_cndmask_b32_e64 v11, 0x7ff00000, v11, s1
	s_delay_alu instid0(VALU_DEP_1) | instskip(NEXT) | instid1(VALU_DEP_1)
	v_cndmask_b32_e64 v11, 0x7ff80000, v11, s2
	v_cndmask_b32_e32 v11, 0xfff00000, v11, vcc_lo
	s_delay_alu instid0(VALU_DEP_1) | instskip(NEXT) | instid1(VALU_DEP_1)
	v_div_scale_f64 v[4:5], null, s[4:5], s[4:5], v[10:11]
	v_rcp_f64_e32 v[12:13], v[4:5]
	v_nop
	s_delay_alu instid0(TRANS32_DEP_1) | instskip(NEXT) | instid1(VALU_DEP_1)
	v_fma_f64 v[14:15], -v[4:5], v[12:13], 1.0
	v_fmac_f64_e32 v[12:13], v[12:13], v[14:15]
	s_delay_alu instid0(VALU_DEP_1) | instskip(NEXT) | instid1(VALU_DEP_1)
	v_fma_f64 v[14:15], -v[4:5], v[12:13], 1.0
	v_fmac_f64_e32 v[12:13], v[12:13], v[14:15]
	v_div_scale_f64 v[14:15], vcc_lo, v[10:11], s[4:5], v[10:11]
	s_delay_alu instid0(VALU_DEP_1) | instskip(NEXT) | instid1(VALU_DEP_1)
	v_mul_f64_e32 v[16:17], v[14:15], v[12:13]
	v_fma_f64 v[4:5], -v[4:5], v[16:17], v[14:15]
	s_delay_alu instid0(VALU_DEP_1) | instskip(NEXT) | instid1(VALU_DEP_1)
	v_div_fmas_f64 v[4:5], v[4:5], v[12:13], v[16:17]
	v_div_fixup_f64 v[22:23], v[4:5], s[4:5], v[10:11]
.LBB1_26:
	s_or_b32 exec_lo, exec_lo, s10
	s_delay_alu instid0(VALU_DEP_1)
	v_dual_mov_b32 v4, v22 :: v_dual_mov_b32 v5, v23
.LBB1_27:
	s_or_b32 exec_lo, exec_lo, s3
	s_wait_loadcnt 0x0
	v_or_b32_e32 v10, 0x200, v0
	s_mov_b32 s3, exec_lo
	s_delay_alu instid0(VALU_DEP_1)
	v_cmpx_gt_i32_e64 s14, v10
	s_cbranch_execz .LBB1_31
; %bb.28:
	v_mul_f64_e32 v[6:7], s[4:5], v[20:21]
	s_mov_b32 s10, exec_lo
	s_delay_alu instid0(VALU_DEP_1)
	v_cmpx_nlt_f64_e32 s[6:7], v[6:7]
	s_cbranch_execz .LBB1_30
; %bb.29:
	v_mul_f64_e32 v[10:11], 0x3ff71547652b82fe, v[6:7]
	s_mov_b64 s[16:17], 0x3e5ade156a5dcb37
	v_cmp_nlt_f64_e32 vcc_lo, 0x40900000, v[6:7]
	v_cmp_ngt_f64_e64 s1, 0xc090cc00, v[6:7]
	s_delay_alu instid0(VALU_DEP_3) | instskip(NEXT) | instid1(VALU_DEP_1)
	v_rndne_f64_e32 v[10:11], v[10:11]
	v_fmamk_f64 v[12:13], v[10:11], 0xbfe62e42fefa39ef, v[6:7]
	v_cvt_i32_f64_e32 v16, v[10:11]
	s_delay_alu instid0(VALU_DEP_2) | instskip(NEXT) | instid1(VALU_DEP_1)
	v_fmamk_f64 v[12:13], v[10:11], 0xbc7abc9e3b39803f, v[12:13]
	v_fmaak_f64 v[14:15], s[16:17], v[12:13], 0x3e928af3fca7ab0c
	s_mov_b64 s[16:17], 0x3fe5555555555555
	s_delay_alu instid0(VALU_DEP_1) | instskip(NEXT) | instid1(VALU_DEP_1)
	v_fmaak_f64 v[14:15], v[12:13], v[14:15], 0x3ec71dee623fde64
	v_fmaak_f64 v[14:15], v[12:13], v[14:15], 0x3efa01997c89e6b0
	s_delay_alu instid0(VALU_DEP_1) | instskip(NEXT) | instid1(VALU_DEP_1)
	v_fmaak_f64 v[14:15], v[12:13], v[14:15], 0x3f2a01a014761f6e
	v_fmaak_f64 v[14:15], v[12:13], v[14:15], 0x3f56c16c1852b7b0
	;; [unrolled: 3-line block ×4, first 2 shown]
	s_delay_alu instid0(VALU_DEP_1) | instskip(NEXT) | instid1(VALU_DEP_1)
	v_fma_f64 v[14:15], v[12:13], v[14:15], 1.0
	v_fma_f64 v[10:11], v[12:13], v[14:15], 1.0
	s_delay_alu instid0(VALU_DEP_1) | instskip(NEXT) | instid1(VALU_DEP_1)
	v_ldexp_f64 v[10:11], v[10:11], v16
	v_cndmask_b32_e32 v11, 0x7ff00000, v11, vcc_lo
	s_and_b32 vcc_lo, s1, vcc_lo
	s_delay_alu instid0(VALU_DEP_1) | instid1(SALU_CYCLE_1)
	v_dual_cndmask_b32 v6, 0, v10, vcc_lo :: v_dual_cndmask_b32 v7, 0, v11, s1
	s_delay_alu instid0(VALU_DEP_1) | instskip(SKIP_2) | instid1(VALU_DEP_3)
	v_add_f64_e32 v[10:11], 1.0, v[6:7]
	v_cmp_neq_f64_e64 s1, 0x7ff00000, v[6:7]
	v_cmp_ngt_f64_e64 s2, -1.0, v[6:7]
	v_frexp_mant_f64_e32 v[12:13], v[10:11]
	v_frexp_exp_i32_f64_e32 v16, v[10:11]
	v_add_f64_e32 v[14:15], -1.0, v[10:11]
	s_delay_alu instid0(VALU_DEP_3) | instskip(SKIP_1) | instid1(VALU_DEP_2)
	v_cmp_gt_f64_e32 vcc_lo, s[16:17], v[12:13]
	s_mov_b64 s[16:17], 0x3fc3ab76bf559e2b
	v_add_f64_e64 v[12:13], v[14:15], -v[10:11]
	v_add_f64_e64 v[14:15], v[6:7], -v[14:15]
	v_subrev_co_ci_u32_e64 v25, null, 0, v16, vcc_lo
	v_cmp_nge_f64_e32 vcc_lo, -1.0, v[6:7]
	s_delay_alu instid0(VALU_DEP_2) | instskip(NEXT) | instid1(VALU_DEP_1)
	v_sub_nc_u32_e32 v20, 0, v25
	v_ldexp_f64 v[10:11], v[10:11], v20
	s_and_b32 vcc_lo, vcc_lo, s1
	v_add_f64_e32 v[12:13], 1.0, v[12:13]
	s_delay_alu instid0(VALU_DEP_2) | instskip(SKIP_1) | instid1(VALU_DEP_3)
	v_add_f64_e32 v[16:17], 1.0, v[10:11]
	v_add_f64_e32 v[26:27], -1.0, v[10:11]
	v_add_f64_e32 v[12:13], v[14:15], v[12:13]
	s_delay_alu instid0(VALU_DEP_3) | instskip(NEXT) | instid1(VALU_DEP_3)
	v_add_f64_e32 v[14:15], -1.0, v[16:17]
	v_add_f64_e32 v[28:29], 1.0, v[26:27]
	s_delay_alu instid0(VALU_DEP_3) | instskip(NEXT) | instid1(VALU_DEP_3)
	v_ldexp_f64 v[12:13], v[12:13], v20
	v_add_f64_e64 v[14:15], v[10:11], -v[14:15]
	s_delay_alu instid0(VALU_DEP_3) | instskip(NEXT) | instid1(VALU_DEP_2)
	v_add_f64_e64 v[10:11], v[10:11], -v[28:29]
	v_add_f64_e32 v[14:15], v[12:13], v[14:15]
	s_delay_alu instid0(VALU_DEP_2) | instskip(NEXT) | instid1(VALU_DEP_2)
	v_add_f64_e32 v[10:11], v[12:13], v[10:11]
	v_add_f64_e32 v[20:21], v[16:17], v[14:15]
	s_delay_alu instid0(VALU_DEP_2) | instskip(NEXT) | instid1(VALU_DEP_2)
	v_add_f64_e32 v[28:29], v[26:27], v[10:11]
	v_rcp_f64_e32 v[22:23], v[20:21]
	v_add_f64_e64 v[16:17], v[20:21], -v[16:17]
	s_delay_alu instid0(VALU_DEP_2) | instskip(NEXT) | instid1(VALU_DEP_2)
	v_add_f64_e64 v[26:27], v[28:29], -v[26:27]
	v_add_f64_e64 v[14:15], v[14:15], -v[16:17]
	s_delay_alu instid0(VALU_DEP_2) | instskip(NEXT) | instid1(TRANS32_DEP_1)
	v_add_f64_e64 v[10:11], v[10:11], -v[26:27]
	v_fma_f64 v[30:31], -v[20:21], v[22:23], 1.0
	s_delay_alu instid0(VALU_DEP_1) | instskip(NEXT) | instid1(VALU_DEP_1)
	v_fmac_f64_e32 v[22:23], v[30:31], v[22:23]
	v_fma_f64 v[12:13], -v[20:21], v[22:23], 1.0
	s_delay_alu instid0(VALU_DEP_1) | instskip(NEXT) | instid1(VALU_DEP_1)
	v_fmac_f64_e32 v[22:23], v[12:13], v[22:23]
	v_mul_f64_e32 v[12:13], v[28:29], v[22:23]
	s_delay_alu instid0(VALU_DEP_1) | instskip(NEXT) | instid1(VALU_DEP_1)
	v_mul_f64_e32 v[30:31], v[20:21], v[12:13]
	v_fma_f64 v[16:17], v[12:13], v[20:21], -v[30:31]
	s_delay_alu instid0(VALU_DEP_1) | instskip(NEXT) | instid1(VALU_DEP_1)
	v_fmac_f64_e32 v[16:17], v[12:13], v[14:15]
	v_add_f64_e32 v[32:33], v[30:31], v[16:17]
	s_delay_alu instid0(VALU_DEP_1) | instskip(SKIP_1) | instid1(VALU_DEP_2)
	v_add_f64_e64 v[34:35], v[28:29], -v[32:33]
	v_add_f64_e64 v[26:27], v[32:33], -v[30:31]
	;; [unrolled: 1-line block ×3, first 2 shown]
	s_delay_alu instid0(VALU_DEP_2) | instskip(NEXT) | instid1(VALU_DEP_2)
	v_add_f64_e64 v[16:17], v[26:27], -v[16:17]
	v_add_f64_e64 v[28:29], v[28:29], -v[32:33]
	s_delay_alu instid0(VALU_DEP_1) | instskip(NEXT) | instid1(VALU_DEP_1)
	v_add_f64_e32 v[10:11], v[10:11], v[28:29]
	v_add_f64_e32 v[10:11], v[16:17], v[10:11]
	s_delay_alu instid0(VALU_DEP_1) | instskip(NEXT) | instid1(VALU_DEP_1)
	v_add_f64_e32 v[16:17], v[34:35], v[10:11]
	v_mul_f64_e32 v[26:27], v[22:23], v[16:17]
	v_add_f64_e64 v[32:33], v[34:35], -v[16:17]
	s_delay_alu instid0(VALU_DEP_2) | instskip(NEXT) | instid1(VALU_DEP_2)
	v_mul_f64_e32 v[28:29], v[20:21], v[26:27]
	v_add_f64_e32 v[10:11], v[10:11], v[32:33]
	s_delay_alu instid0(VALU_DEP_2) | instskip(NEXT) | instid1(VALU_DEP_1)
	v_fma_f64 v[20:21], v[26:27], v[20:21], -v[28:29]
	v_fmac_f64_e32 v[20:21], v[26:27], v[14:15]
	s_delay_alu instid0(VALU_DEP_1) | instskip(NEXT) | instid1(VALU_DEP_1)
	v_add_f64_e32 v[14:15], v[28:29], v[20:21]
	v_add_f64_e64 v[30:31], v[16:17], -v[14:15]
	v_add_f64_e64 v[28:29], v[14:15], -v[28:29]
	s_delay_alu instid0(VALU_DEP_2) | instskip(NEXT) | instid1(VALU_DEP_1)
	v_add_f64_e64 v[16:17], v[16:17], -v[30:31]
	v_add_f64_e64 v[14:15], v[16:17], -v[14:15]
	s_delay_alu instid0(VALU_DEP_3) | instskip(NEXT) | instid1(VALU_DEP_2)
	v_add_f64_e64 v[16:17], v[28:29], -v[20:21]
	v_add_f64_e32 v[10:11], v[10:11], v[14:15]
	v_add_f64_e32 v[14:15], v[12:13], v[26:27]
	s_delay_alu instid0(VALU_DEP_2) | instskip(NEXT) | instid1(VALU_DEP_2)
	v_add_f64_e32 v[10:11], v[16:17], v[10:11]
	v_add_f64_e64 v[12:13], v[14:15], -v[12:13]
	s_delay_alu instid0(VALU_DEP_2) | instskip(NEXT) | instid1(VALU_DEP_2)
	v_add_f64_e32 v[10:11], v[30:31], v[10:11]
	v_add_f64_e64 v[12:13], v[26:27], -v[12:13]
	s_delay_alu instid0(VALU_DEP_2) | instskip(NEXT) | instid1(VALU_DEP_1)
	v_mul_f64_e32 v[10:11], v[22:23], v[10:11]
	v_add_f64_e32 v[10:11], v[12:13], v[10:11]
	s_delay_alu instid0(VALU_DEP_1) | instskip(NEXT) | instid1(VALU_DEP_1)
	v_add_f64_e32 v[12:13], v[14:15], v[10:11]
	v_mul_f64_e32 v[16:17], v[12:13], v[12:13]
	s_delay_alu instid0(VALU_DEP_1) | instskip(SKIP_2) | instid1(VALU_DEP_2)
	v_fmaak_f64 v[20:21], s[16:17], v[16:17], 0x3fc385386b47b09a
	v_mul_f64_e32 v[22:23], v[12:13], v[16:17]
	s_mov_b64 s[16:17], 0x3fe62e42fefa39ef
	v_fmaak_f64 v[20:21], v[16:17], v[20:21], 0x3fc7474dd7f4df2e
	s_delay_alu instid0(VALU_DEP_1) | instskip(NEXT) | instid1(VALU_DEP_1)
	v_fmaak_f64 v[20:21], v[16:17], v[20:21], 0x3fcc71c016291751
	v_fmaak_f64 v[20:21], v[16:17], v[20:21], 0x3fd249249b27acf1
	s_delay_alu instid0(VALU_DEP_1) | instskip(NEXT) | instid1(VALU_DEP_1)
	v_fmaak_f64 v[20:21], v[16:17], v[20:21], 0x3fd99999998ef7b6
	v_fmaak_f64 v[16:17], v[16:17], v[20:21], 0x3fe5555555555780
	v_ldexp_f64 v[20:21], v[12:13], 1
	v_add_f64_e64 v[12:13], v[12:13], -v[14:15]
	s_delay_alu instid0(VALU_DEP_3) | instskip(SKIP_1) | instid1(VALU_DEP_3)
	v_mul_f64_e32 v[16:17], v[22:23], v[16:17]
	v_cvt_f64_i32_e32 v[22:23], v25
	v_add_f64_e64 v[10:11], v[10:11], -v[12:13]
	s_delay_alu instid0(VALU_DEP_3) | instskip(NEXT) | instid1(VALU_DEP_2)
	v_add_f64_e32 v[14:15], v[20:21], v[16:17]
	v_ldexp_f64 v[10:11], v[10:11], 1
	s_delay_alu instid0(VALU_DEP_2) | instskip(SKIP_1) | instid1(VALU_DEP_2)
	v_add_f64_e64 v[12:13], v[14:15], -v[20:21]
	v_mul_f64_e32 v[20:21], 0x3fe62e42fefa39ef, v[22:23]
	v_add_f64_e64 v[12:13], v[16:17], -v[12:13]
	s_delay_alu instid0(VALU_DEP_2) | instskip(NEXT) | instid1(VALU_DEP_2)
	v_fma_f64 v[16:17], v[22:23], s[16:17], -v[20:21]
	v_add_f64_e32 v[10:11], v[10:11], v[12:13]
	s_delay_alu instid0(VALU_DEP_2) | instskip(NEXT) | instid1(VALU_DEP_1)
	v_fmamk_f64 v[12:13], v[22:23], 0x3c7abc9e3b39803f, v[16:17]
	v_add_f64_e32 v[16:17], v[20:21], v[12:13]
	s_delay_alu instid0(VALU_DEP_3) | instskip(NEXT) | instid1(VALU_DEP_2)
	v_add_f64_e32 v[22:23], v[14:15], v[10:11]
	v_add_f64_e64 v[20:21], v[16:17], -v[20:21]
	s_delay_alu instid0(VALU_DEP_2) | instskip(SKIP_1) | instid1(VALU_DEP_3)
	v_add_f64_e32 v[26:27], v[16:17], v[22:23]
	v_add_f64_e64 v[14:15], v[22:23], -v[14:15]
	v_add_f64_e64 v[12:13], v[12:13], -v[20:21]
	s_delay_alu instid0(VALU_DEP_3) | instskip(NEXT) | instid1(VALU_DEP_3)
	v_add_f64_e64 v[28:29], v[26:27], -v[16:17]
	v_add_f64_e64 v[10:11], v[10:11], -v[14:15]
	s_delay_alu instid0(VALU_DEP_2) | instskip(SKIP_1) | instid1(VALU_DEP_3)
	v_add_f64_e64 v[30:31], v[26:27], -v[28:29]
	v_add_f64_e64 v[14:15], v[22:23], -v[28:29]
	v_add_f64_e32 v[20:21], v[12:13], v[10:11]
	s_delay_alu instid0(VALU_DEP_3) | instskip(NEXT) | instid1(VALU_DEP_1)
	v_add_f64_e64 v[16:17], v[16:17], -v[30:31]
	v_add_f64_e32 v[14:15], v[14:15], v[16:17]
	s_delay_alu instid0(VALU_DEP_3) | instskip(NEXT) | instid1(VALU_DEP_2)
	v_add_f64_e64 v[16:17], v[20:21], -v[12:13]
	v_add_f64_e32 v[14:15], v[20:21], v[14:15]
	s_delay_alu instid0(VALU_DEP_2) | instskip(SKIP_1) | instid1(VALU_DEP_3)
	v_add_f64_e64 v[20:21], v[20:21], -v[16:17]
	v_add_f64_e64 v[10:11], v[10:11], -v[16:17]
	v_add_f64_e32 v[22:23], v[26:27], v[14:15]
	s_delay_alu instid0(VALU_DEP_3) | instskip(NEXT) | instid1(VALU_DEP_2)
	v_add_f64_e64 v[12:13], v[12:13], -v[20:21]
	v_add_f64_e64 v[16:17], v[22:23], -v[26:27]
	s_delay_alu instid0(VALU_DEP_2) | instskip(NEXT) | instid1(VALU_DEP_2)
	v_add_f64_e32 v[10:11], v[10:11], v[12:13]
	v_add_f64_e64 v[12:13], v[14:15], -v[16:17]
	s_delay_alu instid0(VALU_DEP_1) | instskip(NEXT) | instid1(VALU_DEP_1)
	v_add_f64_e32 v[10:11], v[10:11], v[12:13]
	v_add_f64_e32 v[10:11], v[22:23], v[10:11]
	s_delay_alu instid0(VALU_DEP_1) | instskip(SKIP_1) | instid1(VALU_DEP_3)
	v_cndmask_b32_e32 v10, 0, v10, vcc_lo
	v_cmp_neq_f64_e32 vcc_lo, -1.0, v[6:7]
	v_cndmask_b32_e64 v11, 0x7ff00000, v11, s1
	s_delay_alu instid0(VALU_DEP_1) | instskip(NEXT) | instid1(VALU_DEP_1)
	v_cndmask_b32_e64 v11, 0x7ff80000, v11, s2
	v_cndmask_b32_e32 v11, 0xfff00000, v11, vcc_lo
	s_delay_alu instid0(VALU_DEP_1) | instskip(NEXT) | instid1(VALU_DEP_1)
	v_div_scale_f64 v[6:7], null, s[4:5], s[4:5], v[10:11]
	v_rcp_f64_e32 v[12:13], v[6:7]
	v_nop
	s_delay_alu instid0(TRANS32_DEP_1) | instskip(NEXT) | instid1(VALU_DEP_1)
	v_fma_f64 v[14:15], -v[6:7], v[12:13], 1.0
	v_fmac_f64_e32 v[12:13], v[12:13], v[14:15]
	s_delay_alu instid0(VALU_DEP_1) | instskip(NEXT) | instid1(VALU_DEP_1)
	v_fma_f64 v[14:15], -v[6:7], v[12:13], 1.0
	v_fmac_f64_e32 v[12:13], v[12:13], v[14:15]
	v_div_scale_f64 v[14:15], vcc_lo, v[10:11], s[4:5], v[10:11]
	s_delay_alu instid0(VALU_DEP_1) | instskip(NEXT) | instid1(VALU_DEP_1)
	v_mul_f64_e32 v[16:17], v[14:15], v[12:13]
	v_fma_f64 v[6:7], -v[6:7], v[16:17], v[14:15]
	s_delay_alu instid0(VALU_DEP_1) | instskip(NEXT) | instid1(VALU_DEP_1)
	v_div_fmas_f64 v[6:7], v[6:7], v[12:13], v[16:17]
	v_div_fixup_f64 v[20:21], v[6:7], s[4:5], v[10:11]
.LBB1_30:
	s_or_b32 exec_lo, exec_lo, s10
	s_delay_alu instid0(VALU_DEP_1)
	v_dual_mov_b32 v6, v20 :: v_dual_mov_b32 v7, v21
.LBB1_31:
	s_or_b32 exec_lo, exec_lo, s3
	v_or_b32_e32 v10, 0x300, v0
	s_mov_b32 s3, exec_lo
	s_delay_alu instid0(VALU_DEP_1)
	v_cmpx_gt_i32_e64 s14, v10
	s_cbranch_execnz .LBB1_38
; %bb.32:
	s_or_b32 exec_lo, exec_lo, s3
	s_and_saveexec_b32 s1, s0
	s_delay_alu instid0(SALU_CYCLE_1)
	s_xor_b32 s0, exec_lo, s1
	s_cbranch_execnz .LBB1_41
.LBB1_33:
	s_or_b32 exec_lo, exec_lo, s0
	s_delay_alu instid0(SALU_CYCLE_1)
	s_mov_b32 s0, exec_lo
	v_cmpx_gt_i32_e64 s14, v0
	s_cbranch_execnz .LBB1_42
.LBB1_34:
	s_or_b32 exec_lo, exec_lo, s0
	s_delay_alu instid0(SALU_CYCLE_1)
	s_mov_b32 s0, exec_lo
	v_cmpx_gt_i32_e64 s14, v0
	s_cbranch_execnz .LBB1_43
.LBB1_35:
	s_or_b32 exec_lo, exec_lo, s0
	s_delay_alu instid0(SALU_CYCLE_1)
	s_mov_b32 s0, exec_lo
	v_cmpx_gt_i32_e64 s14, v0
	s_cbranch_execz .LBB1_37
.LBB1_36:
	v_add_nc_u32_e32 v0, s12, v0
	global_store_b64 v0, v[8:9], s[8:9] scale_offset
.LBB1_37:
	s_endpgm
.LBB1_38:
	v_mul_f64_e32 v[8:9], s[4:5], v[18:19]
	s_delay_alu instid0(VALU_DEP_1)
	v_cmp_nlt_f64_e32 vcc_lo, s[6:7], v[8:9]
	s_and_saveexec_b32 s6, vcc_lo
	s_cbranch_execz .LBB1_40
; %bb.39:
	v_mul_f64_e32 v[10:11], 0x3ff71547652b82fe, v[8:9]
	s_mov_b64 s[10:11], 0x3e5ade156a5dcb37
	v_cmp_nlt_f64_e32 vcc_lo, 0x40900000, v[8:9]
	v_cmp_ngt_f64_e64 s1, 0xc090cc00, v[8:9]
	s_delay_alu instid0(VALU_DEP_3) | instskip(NEXT) | instid1(VALU_DEP_1)
	v_rndne_f64_e32 v[10:11], v[10:11]
	v_fmamk_f64 v[12:13], v[10:11], 0xbfe62e42fefa39ef, v[8:9]
	v_cvt_i32_f64_e32 v16, v[10:11]
	s_delay_alu instid0(VALU_DEP_2) | instskip(NEXT) | instid1(VALU_DEP_1)
	v_fmamk_f64 v[12:13], v[10:11], 0xbc7abc9e3b39803f, v[12:13]
	v_fmaak_f64 v[14:15], s[10:11], v[12:13], 0x3e928af3fca7ab0c
	s_mov_b64 s[10:11], 0x3fe5555555555555
	s_delay_alu instid0(VALU_DEP_1) | instskip(NEXT) | instid1(VALU_DEP_1)
	v_fmaak_f64 v[14:15], v[12:13], v[14:15], 0x3ec71dee623fde64
	v_fmaak_f64 v[14:15], v[12:13], v[14:15], 0x3efa01997c89e6b0
	s_delay_alu instid0(VALU_DEP_1) | instskip(NEXT) | instid1(VALU_DEP_1)
	v_fmaak_f64 v[14:15], v[12:13], v[14:15], 0x3f2a01a014761f6e
	v_fmaak_f64 v[14:15], v[12:13], v[14:15], 0x3f56c16c1852b7b0
	;; [unrolled: 3-line block ×4, first 2 shown]
	s_delay_alu instid0(VALU_DEP_1) | instskip(NEXT) | instid1(VALU_DEP_1)
	v_fma_f64 v[14:15], v[12:13], v[14:15], 1.0
	v_fma_f64 v[10:11], v[12:13], v[14:15], 1.0
	s_delay_alu instid0(VALU_DEP_1) | instskip(NEXT) | instid1(VALU_DEP_1)
	v_ldexp_f64 v[10:11], v[10:11], v16
	v_cndmask_b32_e32 v11, 0x7ff00000, v11, vcc_lo
	s_and_b32 vcc_lo, s1, vcc_lo
	s_delay_alu instid0(VALU_DEP_1) | instid1(SALU_CYCLE_1)
	v_dual_cndmask_b32 v8, 0, v10, vcc_lo :: v_dual_cndmask_b32 v9, 0, v11, s1
	s_delay_alu instid0(VALU_DEP_1) | instskip(SKIP_2) | instid1(VALU_DEP_3)
	v_add_f64_e32 v[10:11], 1.0, v[8:9]
	v_cmp_neq_f64_e64 s1, 0x7ff00000, v[8:9]
	v_cmp_ngt_f64_e64 s2, -1.0, v[8:9]
	v_frexp_mant_f64_e32 v[12:13], v[10:11]
	v_frexp_exp_i32_f64_e32 v16, v[10:11]
	v_add_f64_e32 v[14:15], -1.0, v[10:11]
	s_delay_alu instid0(VALU_DEP_3) | instskip(SKIP_1) | instid1(VALU_DEP_2)
	v_cmp_gt_f64_e32 vcc_lo, s[10:11], v[12:13]
	s_mov_b64 s[10:11], 0x3fc3ab76bf559e2b
	v_add_f64_e64 v[12:13], v[14:15], -v[10:11]
	v_add_f64_e64 v[14:15], v[8:9], -v[14:15]
	v_subrev_co_ci_u32_e64 v25, null, 0, v16, vcc_lo
	v_cmp_nge_f64_e32 vcc_lo, -1.0, v[8:9]
	s_delay_alu instid0(VALU_DEP_2) | instskip(NEXT) | instid1(VALU_DEP_1)
	v_sub_nc_u32_e32 v18, 0, v25
	v_ldexp_f64 v[10:11], v[10:11], v18
	s_and_b32 vcc_lo, vcc_lo, s1
	v_add_f64_e32 v[12:13], 1.0, v[12:13]
	s_delay_alu instid0(VALU_DEP_2) | instskip(SKIP_1) | instid1(VALU_DEP_3)
	v_add_f64_e32 v[16:17], 1.0, v[10:11]
	v_add_f64_e32 v[22:23], -1.0, v[10:11]
	v_add_f64_e32 v[12:13], v[14:15], v[12:13]
	s_delay_alu instid0(VALU_DEP_3) | instskip(NEXT) | instid1(VALU_DEP_3)
	v_add_f64_e32 v[14:15], -1.0, v[16:17]
	v_add_f64_e32 v[26:27], 1.0, v[22:23]
	s_delay_alu instid0(VALU_DEP_3) | instskip(NEXT) | instid1(VALU_DEP_3)
	v_ldexp_f64 v[12:13], v[12:13], v18
	v_add_f64_e64 v[14:15], v[10:11], -v[14:15]
	s_delay_alu instid0(VALU_DEP_3) | instskip(NEXT) | instid1(VALU_DEP_2)
	v_add_f64_e64 v[10:11], v[10:11], -v[26:27]
	v_add_f64_e32 v[14:15], v[12:13], v[14:15]
	s_delay_alu instid0(VALU_DEP_2) | instskip(NEXT) | instid1(VALU_DEP_2)
	v_add_f64_e32 v[10:11], v[12:13], v[10:11]
	v_add_f64_e32 v[18:19], v[16:17], v[14:15]
	s_delay_alu instid0(VALU_DEP_2) | instskip(NEXT) | instid1(VALU_DEP_2)
	v_add_f64_e32 v[26:27], v[22:23], v[10:11]
	v_rcp_f64_e32 v[20:21], v[18:19]
	v_add_f64_e64 v[16:17], v[18:19], -v[16:17]
	s_delay_alu instid0(VALU_DEP_2) | instskip(NEXT) | instid1(VALU_DEP_2)
	v_add_f64_e64 v[22:23], v[26:27], -v[22:23]
	v_add_f64_e64 v[14:15], v[14:15], -v[16:17]
	s_delay_alu instid0(VALU_DEP_2) | instskip(NEXT) | instid1(TRANS32_DEP_1)
	v_add_f64_e64 v[10:11], v[10:11], -v[22:23]
	v_fma_f64 v[28:29], -v[18:19], v[20:21], 1.0
	s_delay_alu instid0(VALU_DEP_1) | instskip(NEXT) | instid1(VALU_DEP_1)
	v_fmac_f64_e32 v[20:21], v[28:29], v[20:21]
	v_fma_f64 v[12:13], -v[18:19], v[20:21], 1.0
	s_delay_alu instid0(VALU_DEP_1) | instskip(NEXT) | instid1(VALU_DEP_1)
	v_fmac_f64_e32 v[20:21], v[12:13], v[20:21]
	v_mul_f64_e32 v[12:13], v[26:27], v[20:21]
	s_delay_alu instid0(VALU_DEP_1) | instskip(NEXT) | instid1(VALU_DEP_1)
	v_mul_f64_e32 v[28:29], v[18:19], v[12:13]
	v_fma_f64 v[16:17], v[12:13], v[18:19], -v[28:29]
	s_delay_alu instid0(VALU_DEP_1) | instskip(NEXT) | instid1(VALU_DEP_1)
	v_fmac_f64_e32 v[16:17], v[12:13], v[14:15]
	v_add_f64_e32 v[30:31], v[28:29], v[16:17]
	s_delay_alu instid0(VALU_DEP_1) | instskip(SKIP_1) | instid1(VALU_DEP_2)
	v_add_f64_e64 v[32:33], v[26:27], -v[30:31]
	v_add_f64_e64 v[22:23], v[30:31], -v[28:29]
	;; [unrolled: 1-line block ×3, first 2 shown]
	s_delay_alu instid0(VALU_DEP_2) | instskip(NEXT) | instid1(VALU_DEP_2)
	v_add_f64_e64 v[16:17], v[22:23], -v[16:17]
	v_add_f64_e64 v[26:27], v[26:27], -v[30:31]
	s_delay_alu instid0(VALU_DEP_1) | instskip(NEXT) | instid1(VALU_DEP_1)
	v_add_f64_e32 v[10:11], v[10:11], v[26:27]
	v_add_f64_e32 v[10:11], v[16:17], v[10:11]
	s_delay_alu instid0(VALU_DEP_1) | instskip(NEXT) | instid1(VALU_DEP_1)
	v_add_f64_e32 v[16:17], v[32:33], v[10:11]
	v_mul_f64_e32 v[22:23], v[20:21], v[16:17]
	v_add_f64_e64 v[30:31], v[32:33], -v[16:17]
	s_delay_alu instid0(VALU_DEP_2) | instskip(NEXT) | instid1(VALU_DEP_2)
	v_mul_f64_e32 v[26:27], v[18:19], v[22:23]
	v_add_f64_e32 v[10:11], v[10:11], v[30:31]
	s_delay_alu instid0(VALU_DEP_2) | instskip(NEXT) | instid1(VALU_DEP_1)
	v_fma_f64 v[18:19], v[22:23], v[18:19], -v[26:27]
	v_fmac_f64_e32 v[18:19], v[22:23], v[14:15]
	s_delay_alu instid0(VALU_DEP_1) | instskip(NEXT) | instid1(VALU_DEP_1)
	v_add_f64_e32 v[14:15], v[26:27], v[18:19]
	v_add_f64_e64 v[28:29], v[16:17], -v[14:15]
	v_add_f64_e64 v[26:27], v[14:15], -v[26:27]
	s_delay_alu instid0(VALU_DEP_2) | instskip(NEXT) | instid1(VALU_DEP_1)
	v_add_f64_e64 v[16:17], v[16:17], -v[28:29]
	v_add_f64_e64 v[14:15], v[16:17], -v[14:15]
	s_delay_alu instid0(VALU_DEP_3) | instskip(NEXT) | instid1(VALU_DEP_2)
	v_add_f64_e64 v[16:17], v[26:27], -v[18:19]
	v_add_f64_e32 v[10:11], v[10:11], v[14:15]
	v_add_f64_e32 v[14:15], v[12:13], v[22:23]
	s_delay_alu instid0(VALU_DEP_2) | instskip(NEXT) | instid1(VALU_DEP_2)
	v_add_f64_e32 v[10:11], v[16:17], v[10:11]
	v_add_f64_e64 v[12:13], v[14:15], -v[12:13]
	s_delay_alu instid0(VALU_DEP_2) | instskip(NEXT) | instid1(VALU_DEP_2)
	v_add_f64_e32 v[10:11], v[28:29], v[10:11]
	v_add_f64_e64 v[12:13], v[22:23], -v[12:13]
	s_delay_alu instid0(VALU_DEP_2) | instskip(NEXT) | instid1(VALU_DEP_1)
	v_mul_f64_e32 v[10:11], v[20:21], v[10:11]
	v_add_f64_e32 v[10:11], v[12:13], v[10:11]
	s_delay_alu instid0(VALU_DEP_1) | instskip(NEXT) | instid1(VALU_DEP_1)
	v_add_f64_e32 v[12:13], v[14:15], v[10:11]
	v_mul_f64_e32 v[16:17], v[12:13], v[12:13]
	s_delay_alu instid0(VALU_DEP_1) | instskip(SKIP_2) | instid1(VALU_DEP_2)
	v_fmaak_f64 v[18:19], s[10:11], v[16:17], 0x3fc385386b47b09a
	v_mul_f64_e32 v[20:21], v[12:13], v[16:17]
	s_mov_b64 s[10:11], 0x3fe62e42fefa39ef
	v_fmaak_f64 v[18:19], v[16:17], v[18:19], 0x3fc7474dd7f4df2e
	s_delay_alu instid0(VALU_DEP_1) | instskip(NEXT) | instid1(VALU_DEP_1)
	v_fmaak_f64 v[18:19], v[16:17], v[18:19], 0x3fcc71c016291751
	v_fmaak_f64 v[18:19], v[16:17], v[18:19], 0x3fd249249b27acf1
	s_delay_alu instid0(VALU_DEP_1) | instskip(NEXT) | instid1(VALU_DEP_1)
	v_fmaak_f64 v[18:19], v[16:17], v[18:19], 0x3fd99999998ef7b6
	v_fmaak_f64 v[16:17], v[16:17], v[18:19], 0x3fe5555555555780
	v_ldexp_f64 v[18:19], v[12:13], 1
	v_add_f64_e64 v[12:13], v[12:13], -v[14:15]
	s_delay_alu instid0(VALU_DEP_3) | instskip(SKIP_1) | instid1(VALU_DEP_3)
	v_mul_f64_e32 v[16:17], v[20:21], v[16:17]
	v_cvt_f64_i32_e32 v[20:21], v25
	v_add_f64_e64 v[10:11], v[10:11], -v[12:13]
	s_delay_alu instid0(VALU_DEP_3) | instskip(NEXT) | instid1(VALU_DEP_2)
	v_add_f64_e32 v[14:15], v[18:19], v[16:17]
	v_ldexp_f64 v[10:11], v[10:11], 1
	s_delay_alu instid0(VALU_DEP_2) | instskip(SKIP_1) | instid1(VALU_DEP_2)
	v_add_f64_e64 v[12:13], v[14:15], -v[18:19]
	v_mul_f64_e32 v[18:19], 0x3fe62e42fefa39ef, v[20:21]
	v_add_f64_e64 v[12:13], v[16:17], -v[12:13]
	s_delay_alu instid0(VALU_DEP_2) | instskip(NEXT) | instid1(VALU_DEP_2)
	v_fma_f64 v[16:17], v[20:21], s[10:11], -v[18:19]
	v_add_f64_e32 v[10:11], v[10:11], v[12:13]
	s_delay_alu instid0(VALU_DEP_2) | instskip(NEXT) | instid1(VALU_DEP_1)
	v_fmamk_f64 v[12:13], v[20:21], 0x3c7abc9e3b39803f, v[16:17]
	v_add_f64_e32 v[16:17], v[18:19], v[12:13]
	s_delay_alu instid0(VALU_DEP_3) | instskip(NEXT) | instid1(VALU_DEP_2)
	v_add_f64_e32 v[20:21], v[14:15], v[10:11]
	v_add_f64_e64 v[18:19], v[16:17], -v[18:19]
	s_delay_alu instid0(VALU_DEP_2) | instskip(SKIP_1) | instid1(VALU_DEP_3)
	v_add_f64_e32 v[22:23], v[16:17], v[20:21]
	v_add_f64_e64 v[14:15], v[20:21], -v[14:15]
	v_add_f64_e64 v[12:13], v[12:13], -v[18:19]
	s_delay_alu instid0(VALU_DEP_3) | instskip(NEXT) | instid1(VALU_DEP_3)
	v_add_f64_e64 v[26:27], v[22:23], -v[16:17]
	v_add_f64_e64 v[10:11], v[10:11], -v[14:15]
	s_delay_alu instid0(VALU_DEP_2) | instskip(SKIP_1) | instid1(VALU_DEP_3)
	v_add_f64_e64 v[28:29], v[22:23], -v[26:27]
	v_add_f64_e64 v[14:15], v[20:21], -v[26:27]
	v_add_f64_e32 v[18:19], v[12:13], v[10:11]
	s_delay_alu instid0(VALU_DEP_3) | instskip(NEXT) | instid1(VALU_DEP_1)
	v_add_f64_e64 v[16:17], v[16:17], -v[28:29]
	v_add_f64_e32 v[14:15], v[14:15], v[16:17]
	s_delay_alu instid0(VALU_DEP_3) | instskip(NEXT) | instid1(VALU_DEP_2)
	v_add_f64_e64 v[16:17], v[18:19], -v[12:13]
	v_add_f64_e32 v[14:15], v[18:19], v[14:15]
	s_delay_alu instid0(VALU_DEP_2) | instskip(SKIP_1) | instid1(VALU_DEP_3)
	v_add_f64_e64 v[18:19], v[18:19], -v[16:17]
	v_add_f64_e64 v[10:11], v[10:11], -v[16:17]
	v_add_f64_e32 v[20:21], v[22:23], v[14:15]
	s_delay_alu instid0(VALU_DEP_3) | instskip(NEXT) | instid1(VALU_DEP_2)
	v_add_f64_e64 v[12:13], v[12:13], -v[18:19]
	v_add_f64_e64 v[16:17], v[20:21], -v[22:23]
	s_delay_alu instid0(VALU_DEP_2) | instskip(NEXT) | instid1(VALU_DEP_2)
	v_add_f64_e32 v[10:11], v[10:11], v[12:13]
	v_add_f64_e64 v[12:13], v[14:15], -v[16:17]
	s_delay_alu instid0(VALU_DEP_1) | instskip(NEXT) | instid1(VALU_DEP_1)
	v_add_f64_e32 v[10:11], v[10:11], v[12:13]
	v_add_f64_e32 v[10:11], v[20:21], v[10:11]
	s_delay_alu instid0(VALU_DEP_1) | instskip(SKIP_1) | instid1(VALU_DEP_3)
	v_cndmask_b32_e32 v10, 0, v10, vcc_lo
	v_cmp_neq_f64_e32 vcc_lo, -1.0, v[8:9]
	v_cndmask_b32_e64 v11, 0x7ff00000, v11, s1
	s_delay_alu instid0(VALU_DEP_1) | instskip(NEXT) | instid1(VALU_DEP_1)
	v_cndmask_b32_e64 v11, 0x7ff80000, v11, s2
	v_cndmask_b32_e32 v11, 0xfff00000, v11, vcc_lo
	s_delay_alu instid0(VALU_DEP_1) | instskip(NEXT) | instid1(VALU_DEP_1)
	v_div_scale_f64 v[8:9], null, s[4:5], s[4:5], v[10:11]
	v_rcp_f64_e32 v[12:13], v[8:9]
	v_nop
	s_delay_alu instid0(TRANS32_DEP_1) | instskip(NEXT) | instid1(VALU_DEP_1)
	v_fma_f64 v[14:15], -v[8:9], v[12:13], 1.0
	v_fmac_f64_e32 v[12:13], v[12:13], v[14:15]
	s_delay_alu instid0(VALU_DEP_1) | instskip(NEXT) | instid1(VALU_DEP_1)
	v_fma_f64 v[14:15], -v[8:9], v[12:13], 1.0
	v_fmac_f64_e32 v[12:13], v[12:13], v[14:15]
	v_div_scale_f64 v[14:15], vcc_lo, v[10:11], s[4:5], v[10:11]
	s_delay_alu instid0(VALU_DEP_1) | instskip(NEXT) | instid1(VALU_DEP_1)
	v_mul_f64_e32 v[16:17], v[14:15], v[12:13]
	v_fma_f64 v[8:9], -v[8:9], v[16:17], v[14:15]
	s_delay_alu instid0(VALU_DEP_1) | instskip(NEXT) | instid1(VALU_DEP_1)
	v_div_fmas_f64 v[8:9], v[8:9], v[12:13], v[16:17]
	v_div_fixup_f64 v[18:19], v[8:9], s[4:5], v[10:11]
.LBB1_40:
	s_or_b32 exec_lo, exec_lo, s6
	s_delay_alu instid0(VALU_DEP_1) | instskip(SKIP_2) | instid1(SALU_CYCLE_1)
	v_dual_mov_b32 v8, v18 :: v_dual_mov_b32 v9, v19
	s_or_b32 exec_lo, exec_lo, s3
	s_and_saveexec_b32 s1, s0
	s_xor_b32 s0, exec_lo, s1
	s_cbranch_execz .LBB1_33
.LBB1_41:
	v_mov_b32_e32 v0, v24
	global_store_b64 v1, v[2:3], s[8:9] scale_offset
	s_wait_xcnt 0x0
	s_or_b32 exec_lo, exec_lo, s0
	s_delay_alu instid0(SALU_CYCLE_1)
	s_mov_b32 s0, exec_lo
	v_cmpx_gt_i32_e64 s14, v0
	s_cbranch_execz .LBB1_34
.LBB1_42:
	v_add_nc_u32_e32 v1, s12, v0
	v_add_nc_u32_e32 v0, 0x100, v0
	global_store_b64 v1, v[4:5], s[8:9] scale_offset
	s_wait_xcnt 0x0
	s_or_b32 exec_lo, exec_lo, s0
	s_delay_alu instid0(SALU_CYCLE_1)
	s_mov_b32 s0, exec_lo
	v_cmpx_gt_i32_e64 s14, v0
	s_cbranch_execz .LBB1_35
.LBB1_43:
	v_add_nc_u32_e32 v1, s12, v0
	v_add_nc_u32_e32 v0, 0x100, v0
	global_store_b64 v1, v[6:7], s[8:9] scale_offset
	s_wait_xcnt 0x0
	s_or_b32 exec_lo, exec_lo, s0
	s_delay_alu instid0(SALU_CYCLE_1)
	s_mov_b32 s0, exec_lo
	v_cmpx_gt_i32_e64 s14, v0
	s_cbranch_execnz .LBB1_36
	s_branch .LBB1_37
	.section	.rodata,"a",@progbits
	.p2align	6, 0x0
	.amdhsa_kernel _ZN2at6native29vectorized_elementwise_kernelILi8EZZZNS0_12_GLOBAL__N_115softplus_kernelERNS_18TensorIteratorBaseERKN3c106ScalarES8_ENKUlvE_clEvENKUlvE_clEvEUldE_St5arrayIPcLm2EEEEviT0_T1_
		.amdhsa_group_segment_fixed_size 0
		.amdhsa_private_segment_fixed_size 0
		.amdhsa_kernarg_size 40
		.amdhsa_user_sgpr_count 2
		.amdhsa_user_sgpr_dispatch_ptr 0
		.amdhsa_user_sgpr_queue_ptr 0
		.amdhsa_user_sgpr_kernarg_segment_ptr 1
		.amdhsa_user_sgpr_dispatch_id 0
		.amdhsa_user_sgpr_kernarg_preload_length 0
		.amdhsa_user_sgpr_kernarg_preload_offset 0
		.amdhsa_user_sgpr_private_segment_size 0
		.amdhsa_wavefront_size32 1
		.amdhsa_uses_dynamic_stack 0
		.amdhsa_enable_private_segment 0
		.amdhsa_system_sgpr_workgroup_id_x 1
		.amdhsa_system_sgpr_workgroup_id_y 0
		.amdhsa_system_sgpr_workgroup_id_z 0
		.amdhsa_system_sgpr_workgroup_info 0
		.amdhsa_system_vgpr_workitem_id 0
		.amdhsa_next_free_vgpr 38
		.amdhsa_next_free_sgpr 18
		.amdhsa_named_barrier_count 0
		.amdhsa_reserve_vcc 1
		.amdhsa_float_round_mode_32 0
		.amdhsa_float_round_mode_16_64 0
		.amdhsa_float_denorm_mode_32 3
		.amdhsa_float_denorm_mode_16_64 3
		.amdhsa_fp16_overflow 0
		.amdhsa_memory_ordered 1
		.amdhsa_forward_progress 1
		.amdhsa_inst_pref_size 95
		.amdhsa_round_robin_scheduling 0
		.amdhsa_exception_fp_ieee_invalid_op 0
		.amdhsa_exception_fp_denorm_src 0
		.amdhsa_exception_fp_ieee_div_zero 0
		.amdhsa_exception_fp_ieee_overflow 0
		.amdhsa_exception_fp_ieee_underflow 0
		.amdhsa_exception_fp_ieee_inexact 0
		.amdhsa_exception_int_div_zero 0
	.end_amdhsa_kernel
	.section	.text._ZN2at6native29vectorized_elementwise_kernelILi8EZZZNS0_12_GLOBAL__N_115softplus_kernelERNS_18TensorIteratorBaseERKN3c106ScalarES8_ENKUlvE_clEvENKUlvE_clEvEUldE_St5arrayIPcLm2EEEEviT0_T1_,"axG",@progbits,_ZN2at6native29vectorized_elementwise_kernelILi8EZZZNS0_12_GLOBAL__N_115softplus_kernelERNS_18TensorIteratorBaseERKN3c106ScalarES8_ENKUlvE_clEvENKUlvE_clEvEUldE_St5arrayIPcLm2EEEEviT0_T1_,comdat
.Lfunc_end1:
	.size	_ZN2at6native29vectorized_elementwise_kernelILi8EZZZNS0_12_GLOBAL__N_115softplus_kernelERNS_18TensorIteratorBaseERKN3c106ScalarES8_ENKUlvE_clEvENKUlvE_clEvEUldE_St5arrayIPcLm2EEEEviT0_T1_, .Lfunc_end1-_ZN2at6native29vectorized_elementwise_kernelILi8EZZZNS0_12_GLOBAL__N_115softplus_kernelERNS_18TensorIteratorBaseERKN3c106ScalarES8_ENKUlvE_clEvENKUlvE_clEvEUldE_St5arrayIPcLm2EEEEviT0_T1_
                                        ; -- End function
	.set _ZN2at6native29vectorized_elementwise_kernelILi8EZZZNS0_12_GLOBAL__N_115softplus_kernelERNS_18TensorIteratorBaseERKN3c106ScalarES8_ENKUlvE_clEvENKUlvE_clEvEUldE_St5arrayIPcLm2EEEEviT0_T1_.num_vgpr, 38
	.set _ZN2at6native29vectorized_elementwise_kernelILi8EZZZNS0_12_GLOBAL__N_115softplus_kernelERNS_18TensorIteratorBaseERKN3c106ScalarES8_ENKUlvE_clEvENKUlvE_clEvEUldE_St5arrayIPcLm2EEEEviT0_T1_.num_agpr, 0
	.set _ZN2at6native29vectorized_elementwise_kernelILi8EZZZNS0_12_GLOBAL__N_115softplus_kernelERNS_18TensorIteratorBaseERKN3c106ScalarES8_ENKUlvE_clEvENKUlvE_clEvEUldE_St5arrayIPcLm2EEEEviT0_T1_.numbered_sgpr, 18
	.set _ZN2at6native29vectorized_elementwise_kernelILi8EZZZNS0_12_GLOBAL__N_115softplus_kernelERNS_18TensorIteratorBaseERKN3c106ScalarES8_ENKUlvE_clEvENKUlvE_clEvEUldE_St5arrayIPcLm2EEEEviT0_T1_.num_named_barrier, 0
	.set _ZN2at6native29vectorized_elementwise_kernelILi8EZZZNS0_12_GLOBAL__N_115softplus_kernelERNS_18TensorIteratorBaseERKN3c106ScalarES8_ENKUlvE_clEvENKUlvE_clEvEUldE_St5arrayIPcLm2EEEEviT0_T1_.private_seg_size, 0
	.set _ZN2at6native29vectorized_elementwise_kernelILi8EZZZNS0_12_GLOBAL__N_115softplus_kernelERNS_18TensorIteratorBaseERKN3c106ScalarES8_ENKUlvE_clEvENKUlvE_clEvEUldE_St5arrayIPcLm2EEEEviT0_T1_.uses_vcc, 1
	.set _ZN2at6native29vectorized_elementwise_kernelILi8EZZZNS0_12_GLOBAL__N_115softplus_kernelERNS_18TensorIteratorBaseERKN3c106ScalarES8_ENKUlvE_clEvENKUlvE_clEvEUldE_St5arrayIPcLm2EEEEviT0_T1_.uses_flat_scratch, 0
	.set _ZN2at6native29vectorized_elementwise_kernelILi8EZZZNS0_12_GLOBAL__N_115softplus_kernelERNS_18TensorIteratorBaseERKN3c106ScalarES8_ENKUlvE_clEvENKUlvE_clEvEUldE_St5arrayIPcLm2EEEEviT0_T1_.has_dyn_sized_stack, 0
	.set _ZN2at6native29vectorized_elementwise_kernelILi8EZZZNS0_12_GLOBAL__N_115softplus_kernelERNS_18TensorIteratorBaseERKN3c106ScalarES8_ENKUlvE_clEvENKUlvE_clEvEUldE_St5arrayIPcLm2EEEEviT0_T1_.has_recursion, 0
	.set _ZN2at6native29vectorized_elementwise_kernelILi8EZZZNS0_12_GLOBAL__N_115softplus_kernelERNS_18TensorIteratorBaseERKN3c106ScalarES8_ENKUlvE_clEvENKUlvE_clEvEUldE_St5arrayIPcLm2EEEEviT0_T1_.has_indirect_call, 0
	.section	.AMDGPU.csdata,"",@progbits
; Kernel info:
; codeLenInByte = 12056
; TotalNumSgprs: 20
; NumVgprs: 38
; ScratchSize: 0
; MemoryBound: 1
; FloatMode: 240
; IeeeMode: 1
; LDSByteSize: 0 bytes/workgroup (compile time only)
; SGPRBlocks: 0
; VGPRBlocks: 2
; NumSGPRsForWavesPerEU: 20
; NumVGPRsForWavesPerEU: 38
; NamedBarCnt: 0
; Occupancy: 16
; WaveLimiterHint : 0
; COMPUTE_PGM_RSRC2:SCRATCH_EN: 0
; COMPUTE_PGM_RSRC2:USER_SGPR: 2
; COMPUTE_PGM_RSRC2:TRAP_HANDLER: 0
; COMPUTE_PGM_RSRC2:TGID_X_EN: 1
; COMPUTE_PGM_RSRC2:TGID_Y_EN: 0
; COMPUTE_PGM_RSRC2:TGID_Z_EN: 0
; COMPUTE_PGM_RSRC2:TIDIG_COMP_CNT: 0
	.section	.text._ZN2at6native29vectorized_elementwise_kernelILi4EZZZNS0_12_GLOBAL__N_115softplus_kernelERNS_18TensorIteratorBaseERKN3c106ScalarES8_ENKUlvE_clEvENKUlvE_clEvEUldE_St5arrayIPcLm2EEEEviT0_T1_,"axG",@progbits,_ZN2at6native29vectorized_elementwise_kernelILi4EZZZNS0_12_GLOBAL__N_115softplus_kernelERNS_18TensorIteratorBaseERKN3c106ScalarES8_ENKUlvE_clEvENKUlvE_clEvEUldE_St5arrayIPcLm2EEEEviT0_T1_,comdat
	.globl	_ZN2at6native29vectorized_elementwise_kernelILi4EZZZNS0_12_GLOBAL__N_115softplus_kernelERNS_18TensorIteratorBaseERKN3c106ScalarES8_ENKUlvE_clEvENKUlvE_clEvEUldE_St5arrayIPcLm2EEEEviT0_T1_ ; -- Begin function _ZN2at6native29vectorized_elementwise_kernelILi4EZZZNS0_12_GLOBAL__N_115softplus_kernelERNS_18TensorIteratorBaseERKN3c106ScalarES8_ENKUlvE_clEvENKUlvE_clEvEUldE_St5arrayIPcLm2EEEEviT0_T1_
	.p2align	8
	.type	_ZN2at6native29vectorized_elementwise_kernelILi4EZZZNS0_12_GLOBAL__N_115softplus_kernelERNS_18TensorIteratorBaseERKN3c106ScalarES8_ENKUlvE_clEvENKUlvE_clEvEUldE_St5arrayIPcLm2EEEEviT0_T1_,@function
_ZN2at6native29vectorized_elementwise_kernelILi4EZZZNS0_12_GLOBAL__N_115softplus_kernelERNS_18TensorIteratorBaseERKN3c106ScalarES8_ENKUlvE_clEvENKUlvE_clEvEUldE_St5arrayIPcLm2EEEEviT0_T1_: ; @_ZN2at6native29vectorized_elementwise_kernelILi4EZZZNS0_12_GLOBAL__N_115softplus_kernelERNS_18TensorIteratorBaseERKN3c106ScalarES8_ENKUlvE_clEvENKUlvE_clEvEUldE_St5arrayIPcLm2EEEEviT0_T1_
; %bb.0:
	s_clause 0x1
	s_load_b32 s2, s[0:1], 0x0
	s_load_b256 s[4:11], s[0:1], 0x8
	s_wait_xcnt 0x0
	s_bfe_u32 s0, ttmp6, 0x4000c
	s_and_b32 s1, ttmp6, 15
	s_add_co_i32 s0, s0, 1
	s_getreg_b32 s3, hwreg(HW_REG_IB_STS2, 6, 4)
	s_mul_i32 s0, ttmp9, s0
	s_delay_alu instid0(SALU_CYCLE_1) | instskip(SKIP_2) | instid1(SALU_CYCLE_1)
	s_add_co_i32 s1, s1, s0
	s_cmp_eq_u32 s3, 0
	s_cselect_b32 s0, ttmp9, s1
	s_lshl_b32 s12, s0, 10
	s_mov_b32 s0, -1
	s_wait_kmcnt 0x0
	s_sub_co_i32 s14, s2, s12
	s_delay_alu instid0(SALU_CYCLE_1)
	s_cmp_gt_i32 s14, 0x3ff
	s_cbranch_scc0 .LBB2_10
; %bb.1:
	s_ashr_i32 s13, s12, 31
	v_lshlrev_b32_e32 v1, 5, v0
	s_lshl_b64 s[2:3], s[12:13], 3
	s_mov_b32 s13, exec_lo
	s_add_nc_u64 s[0:1], s[10:11], s[2:3]
	s_clause 0x1
	global_load_b128 v[6:9], v1, s[0:1]
	global_load_b128 v[2:5], v1, s[0:1] offset:16
	s_wait_loadcnt 0x1
	v_mul_f64_e32 v[10:11], s[4:5], v[6:7]
	s_wait_xcnt 0x0
	s_delay_alu instid0(VALU_DEP_1)
	v_cmpx_nlt_f64_e32 s[6:7], v[10:11]
	s_cbranch_execz .LBB2_3
; %bb.2:
	v_mul_f64_e32 v[6:7], 0x3ff71547652b82fe, v[10:11]
	s_mov_b64 s[0:1], 0x3e5ade156a5dcb37
	v_cmp_nlt_f64_e32 vcc_lo, 0x40900000, v[10:11]
	s_delay_alu instid0(VALU_DEP_2) | instskip(NEXT) | instid1(VALU_DEP_1)
	v_rndne_f64_e32 v[6:7], v[6:7]
	v_fmamk_f64 v[12:13], v[6:7], 0xbfe62e42fefa39ef, v[10:11]
	v_cvt_i32_f64_e32 v16, v[6:7]
	s_delay_alu instid0(VALU_DEP_2) | instskip(NEXT) | instid1(VALU_DEP_1)
	v_fmamk_f64 v[12:13], v[6:7], 0xbc7abc9e3b39803f, v[12:13]
	v_fmaak_f64 v[14:15], s[0:1], v[12:13], 0x3e928af3fca7ab0c
	v_cmp_ngt_f64_e64 s0, 0xc090cc00, v[10:11]
	s_delay_alu instid0(VALU_DEP_2) | instskip(NEXT) | instid1(VALU_DEP_1)
	v_fmaak_f64 v[14:15], v[12:13], v[14:15], 0x3ec71dee623fde64
	v_fmaak_f64 v[14:15], v[12:13], v[14:15], 0x3efa01997c89e6b0
	s_delay_alu instid0(VALU_DEP_1) | instskip(NEXT) | instid1(VALU_DEP_1)
	v_fmaak_f64 v[14:15], v[12:13], v[14:15], 0x3f2a01a014761f6e
	v_fmaak_f64 v[14:15], v[12:13], v[14:15], 0x3f56c16c1852b7b0
	s_delay_alu instid0(VALU_DEP_1) | instskip(NEXT) | instid1(VALU_DEP_1)
	;; [unrolled: 3-line block ×4, first 2 shown]
	v_fma_f64 v[14:15], v[12:13], v[14:15], 1.0
	v_fma_f64 v[6:7], v[12:13], v[14:15], 1.0
	s_delay_alu instid0(VALU_DEP_1) | instskip(NEXT) | instid1(VALU_DEP_1)
	v_ldexp_f64 v[6:7], v[6:7], v16
	v_cndmask_b32_e32 v7, 0x7ff00000, v7, vcc_lo
	s_and_b32 vcc_lo, s0, vcc_lo
	s_delay_alu instid0(VALU_DEP_1) | instid1(SALU_CYCLE_1)
	v_dual_cndmask_b32 v6, 0, v6, vcc_lo :: v_dual_cndmask_b32 v7, 0, v7, s0
	s_mov_b64 s[0:1], 0x3fe5555555555555
	s_delay_alu instid0(VALU_DEP_1) | instskip(NEXT) | instid1(VALU_DEP_1)
	v_add_f64_e32 v[10:11], 1.0, v[6:7]
	v_frexp_mant_f64_e32 v[12:13], v[10:11]
	v_frexp_exp_i32_f64_e32 v16, v[10:11]
	v_add_f64_e32 v[14:15], -1.0, v[10:11]
	s_delay_alu instid0(VALU_DEP_3) | instskip(SKIP_1) | instid1(VALU_DEP_2)
	v_cmp_gt_f64_e32 vcc_lo, s[0:1], v[12:13]
	s_mov_b64 s[0:1], 0x3fc3ab76bf559e2b
	v_add_f64_e64 v[12:13], v[14:15], -v[10:11]
	v_add_f64_e64 v[14:15], v[6:7], -v[14:15]
	v_subrev_co_ci_u32_e64 v32, null, 0, v16, vcc_lo
	s_delay_alu instid0(VALU_DEP_3) | instskip(SKIP_1) | instid1(VALU_DEP_3)
	v_add_f64_e32 v[12:13], 1.0, v[12:13]
	v_cmp_nge_f64_e32 vcc_lo, -1.0, v[6:7]
	v_sub_nc_u32_e32 v18, 0, v32
	s_delay_alu instid0(VALU_DEP_1) | instskip(NEXT) | instid1(VALU_DEP_4)
	v_ldexp_f64 v[10:11], v[10:11], v18
	v_add_f64_e32 v[12:13], v[14:15], v[12:13]
	s_delay_alu instid0(VALU_DEP_2) | instskip(SKIP_1) | instid1(VALU_DEP_3)
	v_add_f64_e32 v[16:17], 1.0, v[10:11]
	v_add_f64_e32 v[22:23], -1.0, v[10:11]
	v_ldexp_f64 v[12:13], v[12:13], v18
	s_delay_alu instid0(VALU_DEP_3) | instskip(NEXT) | instid1(VALU_DEP_3)
	v_add_f64_e32 v[14:15], -1.0, v[16:17]
	v_add_f64_e32 v[24:25], 1.0, v[22:23]
	s_delay_alu instid0(VALU_DEP_2) | instskip(NEXT) | instid1(VALU_DEP_2)
	v_add_f64_e64 v[14:15], v[10:11], -v[14:15]
	v_add_f64_e64 v[10:11], v[10:11], -v[24:25]
	s_delay_alu instid0(VALU_DEP_2) | instskip(NEXT) | instid1(VALU_DEP_2)
	v_add_f64_e32 v[14:15], v[12:13], v[14:15]
	v_add_f64_e32 v[10:11], v[12:13], v[10:11]
	s_delay_alu instid0(VALU_DEP_2) | instskip(NEXT) | instid1(VALU_DEP_2)
	v_add_f64_e32 v[18:19], v[16:17], v[14:15]
	v_add_f64_e32 v[24:25], v[22:23], v[10:11]
	s_delay_alu instid0(VALU_DEP_2) | instskip(SKIP_1) | instid1(VALU_DEP_2)
	v_rcp_f64_e32 v[20:21], v[18:19]
	v_add_f64_e64 v[16:17], v[18:19], -v[16:17]
	v_add_f64_e64 v[22:23], v[24:25], -v[22:23]
	s_delay_alu instid0(VALU_DEP_2) | instskip(NEXT) | instid1(VALU_DEP_2)
	v_add_f64_e64 v[14:15], v[14:15], -v[16:17]
	v_add_f64_e64 v[10:11], v[10:11], -v[22:23]
	s_delay_alu instid0(TRANS32_DEP_1) | instskip(NEXT) | instid1(VALU_DEP_1)
	v_fma_f64 v[26:27], -v[18:19], v[20:21], 1.0
	v_fmac_f64_e32 v[20:21], v[26:27], v[20:21]
	s_delay_alu instid0(VALU_DEP_1) | instskip(NEXT) | instid1(VALU_DEP_1)
	v_fma_f64 v[12:13], -v[18:19], v[20:21], 1.0
	v_fmac_f64_e32 v[20:21], v[12:13], v[20:21]
	s_delay_alu instid0(VALU_DEP_1) | instskip(NEXT) | instid1(VALU_DEP_1)
	v_mul_f64_e32 v[12:13], v[24:25], v[20:21]
	v_mul_f64_e32 v[26:27], v[18:19], v[12:13]
	s_delay_alu instid0(VALU_DEP_1) | instskip(NEXT) | instid1(VALU_DEP_1)
	v_fma_f64 v[16:17], v[12:13], v[18:19], -v[26:27]
	v_fmac_f64_e32 v[16:17], v[12:13], v[14:15]
	s_delay_alu instid0(VALU_DEP_1) | instskip(NEXT) | instid1(VALU_DEP_1)
	v_add_f64_e32 v[28:29], v[26:27], v[16:17]
	v_add_f64_e64 v[30:31], v[24:25], -v[28:29]
	v_add_f64_e64 v[22:23], v[28:29], -v[26:27]
	s_delay_alu instid0(VALU_DEP_2) | instskip(NEXT) | instid1(VALU_DEP_2)
	v_add_f64_e64 v[24:25], v[24:25], -v[30:31]
	v_add_f64_e64 v[16:17], v[22:23], -v[16:17]
	s_delay_alu instid0(VALU_DEP_2) | instskip(NEXT) | instid1(VALU_DEP_1)
	v_add_f64_e64 v[24:25], v[24:25], -v[28:29]
	v_add_f64_e32 v[10:11], v[10:11], v[24:25]
	s_delay_alu instid0(VALU_DEP_1) | instskip(NEXT) | instid1(VALU_DEP_1)
	v_add_f64_e32 v[10:11], v[16:17], v[10:11]
	v_add_f64_e32 v[16:17], v[30:31], v[10:11]
	s_delay_alu instid0(VALU_DEP_1) | instskip(SKIP_1) | instid1(VALU_DEP_2)
	v_mul_f64_e32 v[22:23], v[20:21], v[16:17]
	v_add_f64_e64 v[28:29], v[30:31], -v[16:17]
	v_mul_f64_e32 v[24:25], v[18:19], v[22:23]
	s_delay_alu instid0(VALU_DEP_2) | instskip(NEXT) | instid1(VALU_DEP_2)
	v_add_f64_e32 v[10:11], v[10:11], v[28:29]
	v_fma_f64 v[18:19], v[22:23], v[18:19], -v[24:25]
	s_delay_alu instid0(VALU_DEP_1) | instskip(NEXT) | instid1(VALU_DEP_1)
	v_fmac_f64_e32 v[18:19], v[22:23], v[14:15]
	v_add_f64_e32 v[14:15], v[24:25], v[18:19]
	s_delay_alu instid0(VALU_DEP_1) | instskip(SKIP_1) | instid1(VALU_DEP_2)
	v_add_f64_e64 v[26:27], v[16:17], -v[14:15]
	v_add_f64_e64 v[24:25], v[14:15], -v[24:25]
	;; [unrolled: 1-line block ×3, first 2 shown]
	s_delay_alu instid0(VALU_DEP_1) | instskip(NEXT) | instid1(VALU_DEP_3)
	v_add_f64_e64 v[14:15], v[16:17], -v[14:15]
	v_add_f64_e64 v[16:17], v[24:25], -v[18:19]
	s_delay_alu instid0(VALU_DEP_2) | instskip(SKIP_1) | instid1(VALU_DEP_2)
	v_add_f64_e32 v[10:11], v[10:11], v[14:15]
	v_add_f64_e32 v[14:15], v[12:13], v[22:23]
	;; [unrolled: 1-line block ×3, first 2 shown]
	s_delay_alu instid0(VALU_DEP_2) | instskip(NEXT) | instid1(VALU_DEP_2)
	v_add_f64_e64 v[12:13], v[14:15], -v[12:13]
	v_add_f64_e32 v[10:11], v[26:27], v[10:11]
	s_delay_alu instid0(VALU_DEP_2) | instskip(NEXT) | instid1(VALU_DEP_2)
	v_add_f64_e64 v[12:13], v[22:23], -v[12:13]
	v_mul_f64_e32 v[10:11], v[20:21], v[10:11]
	s_delay_alu instid0(VALU_DEP_1) | instskip(NEXT) | instid1(VALU_DEP_1)
	v_add_f64_e32 v[10:11], v[12:13], v[10:11]
	v_add_f64_e32 v[12:13], v[14:15], v[10:11]
	s_delay_alu instid0(VALU_DEP_1) | instskip(NEXT) | instid1(VALU_DEP_1)
	v_mul_f64_e32 v[16:17], v[12:13], v[12:13]
	v_fmaak_f64 v[18:19], s[0:1], v[16:17], 0x3fc385386b47b09a
	v_mul_f64_e32 v[20:21], v[12:13], v[16:17]
	s_mov_b64 s[0:1], 0x3fe62e42fefa39ef
	s_delay_alu instid0(VALU_DEP_2) | instskip(NEXT) | instid1(VALU_DEP_1)
	v_fmaak_f64 v[18:19], v[16:17], v[18:19], 0x3fc7474dd7f4df2e
	v_fmaak_f64 v[18:19], v[16:17], v[18:19], 0x3fcc71c016291751
	s_delay_alu instid0(VALU_DEP_1) | instskip(NEXT) | instid1(VALU_DEP_1)
	v_fmaak_f64 v[18:19], v[16:17], v[18:19], 0x3fd249249b27acf1
	v_fmaak_f64 v[18:19], v[16:17], v[18:19], 0x3fd99999998ef7b6
	s_delay_alu instid0(VALU_DEP_1) | instskip(SKIP_2) | instid1(VALU_DEP_3)
	v_fmaak_f64 v[16:17], v[16:17], v[18:19], 0x3fe5555555555780
	v_ldexp_f64 v[18:19], v[12:13], 1
	v_add_f64_e64 v[12:13], v[12:13], -v[14:15]
	v_mul_f64_e32 v[16:17], v[20:21], v[16:17]
	v_cvt_f64_i32_e32 v[20:21], v32
	s_delay_alu instid0(VALU_DEP_3) | instskip(NEXT) | instid1(VALU_DEP_3)
	v_add_f64_e64 v[10:11], v[10:11], -v[12:13]
	v_add_f64_e32 v[14:15], v[18:19], v[16:17]
	s_delay_alu instid0(VALU_DEP_2) | instskip(NEXT) | instid1(VALU_DEP_2)
	v_ldexp_f64 v[10:11], v[10:11], 1
	v_add_f64_e64 v[12:13], v[14:15], -v[18:19]
	v_mul_f64_e32 v[18:19], 0x3fe62e42fefa39ef, v[20:21]
	s_delay_alu instid0(VALU_DEP_2) | instskip(NEXT) | instid1(VALU_DEP_2)
	v_add_f64_e64 v[12:13], v[16:17], -v[12:13]
	v_fma_f64 v[16:17], v[20:21], s[0:1], -v[18:19]
	v_cmp_neq_f64_e64 s0, 0x7ff00000, v[6:7]
	v_cmp_ngt_f64_e64 s1, -1.0, v[6:7]
	s_delay_alu instid0(VALU_DEP_4) | instskip(NEXT) | instid1(VALU_DEP_4)
	v_add_f64_e32 v[10:11], v[10:11], v[12:13]
	v_fmamk_f64 v[12:13], v[20:21], 0x3c7abc9e3b39803f, v[16:17]
	s_and_b32 vcc_lo, vcc_lo, s0
	s_delay_alu instid0(VALU_DEP_1) | instskip(NEXT) | instid1(VALU_DEP_3)
	v_add_f64_e32 v[16:17], v[18:19], v[12:13]
	v_add_f64_e32 v[20:21], v[14:15], v[10:11]
	s_delay_alu instid0(VALU_DEP_2) | instskip(NEXT) | instid1(VALU_DEP_2)
	v_add_f64_e64 v[18:19], v[16:17], -v[18:19]
	v_add_f64_e32 v[22:23], v[16:17], v[20:21]
	v_add_f64_e64 v[14:15], v[20:21], -v[14:15]
	s_delay_alu instid0(VALU_DEP_3) | instskip(NEXT) | instid1(VALU_DEP_3)
	v_add_f64_e64 v[12:13], v[12:13], -v[18:19]
	v_add_f64_e64 v[24:25], v[22:23], -v[16:17]
	s_delay_alu instid0(VALU_DEP_3) | instskip(NEXT) | instid1(VALU_DEP_2)
	v_add_f64_e64 v[10:11], v[10:11], -v[14:15]
	v_add_f64_e64 v[26:27], v[22:23], -v[24:25]
	;; [unrolled: 1-line block ×3, first 2 shown]
	s_delay_alu instid0(VALU_DEP_3) | instskip(NEXT) | instid1(VALU_DEP_3)
	v_add_f64_e32 v[18:19], v[12:13], v[10:11]
	v_add_f64_e64 v[16:17], v[16:17], -v[26:27]
	s_delay_alu instid0(VALU_DEP_1) | instskip(NEXT) | instid1(VALU_DEP_3)
	v_add_f64_e32 v[14:15], v[14:15], v[16:17]
	v_add_f64_e64 v[16:17], v[18:19], -v[12:13]
	s_delay_alu instid0(VALU_DEP_2) | instskip(NEXT) | instid1(VALU_DEP_2)
	v_add_f64_e32 v[14:15], v[18:19], v[14:15]
	v_add_f64_e64 v[18:19], v[18:19], -v[16:17]
	v_add_f64_e64 v[10:11], v[10:11], -v[16:17]
	s_delay_alu instid0(VALU_DEP_3) | instskip(NEXT) | instid1(VALU_DEP_3)
	v_add_f64_e32 v[20:21], v[22:23], v[14:15]
	v_add_f64_e64 v[12:13], v[12:13], -v[18:19]
	s_delay_alu instid0(VALU_DEP_2) | instskip(NEXT) | instid1(VALU_DEP_2)
	v_add_f64_e64 v[16:17], v[20:21], -v[22:23]
	v_add_f64_e32 v[10:11], v[10:11], v[12:13]
	s_delay_alu instid0(VALU_DEP_2) | instskip(NEXT) | instid1(VALU_DEP_1)
	v_add_f64_e64 v[12:13], v[14:15], -v[16:17]
	v_add_f64_e32 v[10:11], v[10:11], v[12:13]
	s_delay_alu instid0(VALU_DEP_1) | instskip(NEXT) | instid1(VALU_DEP_1)
	v_add_f64_e32 v[10:11], v[20:21], v[10:11]
	v_cndmask_b32_e32 v10, 0, v10, vcc_lo
	v_cmp_neq_f64_e32 vcc_lo, -1.0, v[6:7]
	s_delay_alu instid0(VALU_DEP_3) | instskip(NEXT) | instid1(VALU_DEP_1)
	v_cndmask_b32_e64 v11, 0x7ff00000, v11, s0
	v_cndmask_b32_e64 v11, 0x7ff80000, v11, s1
	s_delay_alu instid0(VALU_DEP_1) | instskip(NEXT) | instid1(VALU_DEP_1)
	v_cndmask_b32_e32 v11, 0xfff00000, v11, vcc_lo
	v_div_scale_f64 v[6:7], null, s[4:5], s[4:5], v[10:11]
	s_delay_alu instid0(VALU_DEP_1) | instskip(SKIP_1) | instid1(TRANS32_DEP_1)
	v_rcp_f64_e32 v[12:13], v[6:7]
	v_nop
	v_fma_f64 v[14:15], -v[6:7], v[12:13], 1.0
	s_delay_alu instid0(VALU_DEP_1) | instskip(NEXT) | instid1(VALU_DEP_1)
	v_fmac_f64_e32 v[12:13], v[12:13], v[14:15]
	v_fma_f64 v[14:15], -v[6:7], v[12:13], 1.0
	s_delay_alu instid0(VALU_DEP_1) | instskip(SKIP_1) | instid1(VALU_DEP_1)
	v_fmac_f64_e32 v[12:13], v[12:13], v[14:15]
	v_div_scale_f64 v[14:15], vcc_lo, v[10:11], s[4:5], v[10:11]
	v_mul_f64_e32 v[16:17], v[14:15], v[12:13]
	s_delay_alu instid0(VALU_DEP_1) | instskip(NEXT) | instid1(VALU_DEP_1)
	v_fma_f64 v[6:7], -v[6:7], v[16:17], v[14:15]
	v_div_fmas_f64 v[6:7], v[6:7], v[12:13], v[16:17]
	s_delay_alu instid0(VALU_DEP_1)
	v_div_fixup_f64 v[6:7], v[6:7], s[4:5], v[10:11]
.LBB2_3:
	s_or_b32 exec_lo, exec_lo, s13
	v_mul_f64_e32 v[10:11], s[4:5], v[8:9]
	s_mov_b32 s13, exec_lo
	s_delay_alu instid0(VALU_DEP_1)
	v_cmpx_nlt_f64_e32 s[6:7], v[10:11]
	s_cbranch_execz .LBB2_5
; %bb.4:
	v_mul_f64_e32 v[8:9], 0x3ff71547652b82fe, v[10:11]
	s_mov_b64 s[0:1], 0x3e5ade156a5dcb37
	v_cmp_nlt_f64_e32 vcc_lo, 0x40900000, v[10:11]
	s_delay_alu instid0(VALU_DEP_2) | instskip(NEXT) | instid1(VALU_DEP_1)
	v_rndne_f64_e32 v[8:9], v[8:9]
	v_fmamk_f64 v[12:13], v[8:9], 0xbfe62e42fefa39ef, v[10:11]
	v_cvt_i32_f64_e32 v16, v[8:9]
	s_delay_alu instid0(VALU_DEP_2) | instskip(NEXT) | instid1(VALU_DEP_1)
	v_fmamk_f64 v[12:13], v[8:9], 0xbc7abc9e3b39803f, v[12:13]
	v_fmaak_f64 v[14:15], s[0:1], v[12:13], 0x3e928af3fca7ab0c
	v_cmp_ngt_f64_e64 s0, 0xc090cc00, v[10:11]
	s_delay_alu instid0(VALU_DEP_2) | instskip(NEXT) | instid1(VALU_DEP_1)
	v_fmaak_f64 v[14:15], v[12:13], v[14:15], 0x3ec71dee623fde64
	v_fmaak_f64 v[14:15], v[12:13], v[14:15], 0x3efa01997c89e6b0
	s_delay_alu instid0(VALU_DEP_1) | instskip(NEXT) | instid1(VALU_DEP_1)
	v_fmaak_f64 v[14:15], v[12:13], v[14:15], 0x3f2a01a014761f6e
	v_fmaak_f64 v[14:15], v[12:13], v[14:15], 0x3f56c16c1852b7b0
	s_delay_alu instid0(VALU_DEP_1) | instskip(NEXT) | instid1(VALU_DEP_1)
	;; [unrolled: 3-line block ×4, first 2 shown]
	v_fma_f64 v[14:15], v[12:13], v[14:15], 1.0
	v_fma_f64 v[8:9], v[12:13], v[14:15], 1.0
	s_delay_alu instid0(VALU_DEP_1) | instskip(NEXT) | instid1(VALU_DEP_1)
	v_ldexp_f64 v[8:9], v[8:9], v16
	v_cndmask_b32_e32 v9, 0x7ff00000, v9, vcc_lo
	s_and_b32 vcc_lo, s0, vcc_lo
	s_delay_alu instid0(VALU_DEP_1) | instid1(SALU_CYCLE_1)
	v_dual_cndmask_b32 v8, 0, v8, vcc_lo :: v_dual_cndmask_b32 v9, 0, v9, s0
	s_mov_b64 s[0:1], 0x3fe5555555555555
	s_delay_alu instid0(VALU_DEP_1) | instskip(NEXT) | instid1(VALU_DEP_1)
	v_add_f64_e32 v[10:11], 1.0, v[8:9]
	v_frexp_mant_f64_e32 v[12:13], v[10:11]
	v_frexp_exp_i32_f64_e32 v16, v[10:11]
	v_add_f64_e32 v[14:15], -1.0, v[10:11]
	s_delay_alu instid0(VALU_DEP_3) | instskip(SKIP_1) | instid1(VALU_DEP_2)
	v_cmp_gt_f64_e32 vcc_lo, s[0:1], v[12:13]
	s_mov_b64 s[0:1], 0x3fc3ab76bf559e2b
	v_add_f64_e64 v[12:13], v[14:15], -v[10:11]
	v_add_f64_e64 v[14:15], v[8:9], -v[14:15]
	v_subrev_co_ci_u32_e64 v32, null, 0, v16, vcc_lo
	s_delay_alu instid0(VALU_DEP_3) | instskip(SKIP_1) | instid1(VALU_DEP_3)
	v_add_f64_e32 v[12:13], 1.0, v[12:13]
	v_cmp_nge_f64_e32 vcc_lo, -1.0, v[8:9]
	v_sub_nc_u32_e32 v18, 0, v32
	s_delay_alu instid0(VALU_DEP_1) | instskip(NEXT) | instid1(VALU_DEP_4)
	v_ldexp_f64 v[10:11], v[10:11], v18
	v_add_f64_e32 v[12:13], v[14:15], v[12:13]
	s_delay_alu instid0(VALU_DEP_2) | instskip(SKIP_1) | instid1(VALU_DEP_3)
	v_add_f64_e32 v[16:17], 1.0, v[10:11]
	v_add_f64_e32 v[22:23], -1.0, v[10:11]
	v_ldexp_f64 v[12:13], v[12:13], v18
	s_delay_alu instid0(VALU_DEP_3) | instskip(NEXT) | instid1(VALU_DEP_3)
	v_add_f64_e32 v[14:15], -1.0, v[16:17]
	v_add_f64_e32 v[24:25], 1.0, v[22:23]
	s_delay_alu instid0(VALU_DEP_2) | instskip(NEXT) | instid1(VALU_DEP_2)
	v_add_f64_e64 v[14:15], v[10:11], -v[14:15]
	v_add_f64_e64 v[10:11], v[10:11], -v[24:25]
	s_delay_alu instid0(VALU_DEP_2) | instskip(NEXT) | instid1(VALU_DEP_2)
	v_add_f64_e32 v[14:15], v[12:13], v[14:15]
	v_add_f64_e32 v[10:11], v[12:13], v[10:11]
	s_delay_alu instid0(VALU_DEP_2) | instskip(NEXT) | instid1(VALU_DEP_2)
	v_add_f64_e32 v[18:19], v[16:17], v[14:15]
	v_add_f64_e32 v[24:25], v[22:23], v[10:11]
	s_delay_alu instid0(VALU_DEP_2) | instskip(SKIP_1) | instid1(VALU_DEP_2)
	v_rcp_f64_e32 v[20:21], v[18:19]
	v_add_f64_e64 v[16:17], v[18:19], -v[16:17]
	v_add_f64_e64 v[22:23], v[24:25], -v[22:23]
	s_delay_alu instid0(VALU_DEP_2) | instskip(NEXT) | instid1(VALU_DEP_2)
	v_add_f64_e64 v[14:15], v[14:15], -v[16:17]
	v_add_f64_e64 v[10:11], v[10:11], -v[22:23]
	s_delay_alu instid0(TRANS32_DEP_1) | instskip(NEXT) | instid1(VALU_DEP_1)
	v_fma_f64 v[26:27], -v[18:19], v[20:21], 1.0
	v_fmac_f64_e32 v[20:21], v[26:27], v[20:21]
	s_delay_alu instid0(VALU_DEP_1) | instskip(NEXT) | instid1(VALU_DEP_1)
	v_fma_f64 v[12:13], -v[18:19], v[20:21], 1.0
	v_fmac_f64_e32 v[20:21], v[12:13], v[20:21]
	s_delay_alu instid0(VALU_DEP_1) | instskip(NEXT) | instid1(VALU_DEP_1)
	v_mul_f64_e32 v[12:13], v[24:25], v[20:21]
	v_mul_f64_e32 v[26:27], v[18:19], v[12:13]
	s_delay_alu instid0(VALU_DEP_1) | instskip(NEXT) | instid1(VALU_DEP_1)
	v_fma_f64 v[16:17], v[12:13], v[18:19], -v[26:27]
	v_fmac_f64_e32 v[16:17], v[12:13], v[14:15]
	s_delay_alu instid0(VALU_DEP_1) | instskip(NEXT) | instid1(VALU_DEP_1)
	v_add_f64_e32 v[28:29], v[26:27], v[16:17]
	v_add_f64_e64 v[30:31], v[24:25], -v[28:29]
	v_add_f64_e64 v[22:23], v[28:29], -v[26:27]
	s_delay_alu instid0(VALU_DEP_2) | instskip(NEXT) | instid1(VALU_DEP_2)
	v_add_f64_e64 v[24:25], v[24:25], -v[30:31]
	v_add_f64_e64 v[16:17], v[22:23], -v[16:17]
	s_delay_alu instid0(VALU_DEP_2) | instskip(NEXT) | instid1(VALU_DEP_1)
	v_add_f64_e64 v[24:25], v[24:25], -v[28:29]
	v_add_f64_e32 v[10:11], v[10:11], v[24:25]
	s_delay_alu instid0(VALU_DEP_1) | instskip(NEXT) | instid1(VALU_DEP_1)
	v_add_f64_e32 v[10:11], v[16:17], v[10:11]
	v_add_f64_e32 v[16:17], v[30:31], v[10:11]
	s_delay_alu instid0(VALU_DEP_1) | instskip(SKIP_1) | instid1(VALU_DEP_2)
	v_mul_f64_e32 v[22:23], v[20:21], v[16:17]
	v_add_f64_e64 v[28:29], v[30:31], -v[16:17]
	v_mul_f64_e32 v[24:25], v[18:19], v[22:23]
	s_delay_alu instid0(VALU_DEP_2) | instskip(NEXT) | instid1(VALU_DEP_2)
	v_add_f64_e32 v[10:11], v[10:11], v[28:29]
	v_fma_f64 v[18:19], v[22:23], v[18:19], -v[24:25]
	s_delay_alu instid0(VALU_DEP_1) | instskip(NEXT) | instid1(VALU_DEP_1)
	v_fmac_f64_e32 v[18:19], v[22:23], v[14:15]
	v_add_f64_e32 v[14:15], v[24:25], v[18:19]
	s_delay_alu instid0(VALU_DEP_1) | instskip(SKIP_1) | instid1(VALU_DEP_2)
	v_add_f64_e64 v[26:27], v[16:17], -v[14:15]
	v_add_f64_e64 v[24:25], v[14:15], -v[24:25]
	;; [unrolled: 1-line block ×3, first 2 shown]
	s_delay_alu instid0(VALU_DEP_1) | instskip(NEXT) | instid1(VALU_DEP_3)
	v_add_f64_e64 v[14:15], v[16:17], -v[14:15]
	v_add_f64_e64 v[16:17], v[24:25], -v[18:19]
	s_delay_alu instid0(VALU_DEP_2) | instskip(SKIP_1) | instid1(VALU_DEP_2)
	v_add_f64_e32 v[10:11], v[10:11], v[14:15]
	v_add_f64_e32 v[14:15], v[12:13], v[22:23]
	;; [unrolled: 1-line block ×3, first 2 shown]
	s_delay_alu instid0(VALU_DEP_2) | instskip(NEXT) | instid1(VALU_DEP_2)
	v_add_f64_e64 v[12:13], v[14:15], -v[12:13]
	v_add_f64_e32 v[10:11], v[26:27], v[10:11]
	s_delay_alu instid0(VALU_DEP_2) | instskip(NEXT) | instid1(VALU_DEP_2)
	v_add_f64_e64 v[12:13], v[22:23], -v[12:13]
	v_mul_f64_e32 v[10:11], v[20:21], v[10:11]
	s_delay_alu instid0(VALU_DEP_1) | instskip(NEXT) | instid1(VALU_DEP_1)
	v_add_f64_e32 v[10:11], v[12:13], v[10:11]
	v_add_f64_e32 v[12:13], v[14:15], v[10:11]
	s_delay_alu instid0(VALU_DEP_1) | instskip(NEXT) | instid1(VALU_DEP_1)
	v_mul_f64_e32 v[16:17], v[12:13], v[12:13]
	v_fmaak_f64 v[18:19], s[0:1], v[16:17], 0x3fc385386b47b09a
	v_mul_f64_e32 v[20:21], v[12:13], v[16:17]
	s_mov_b64 s[0:1], 0x3fe62e42fefa39ef
	s_delay_alu instid0(VALU_DEP_2) | instskip(NEXT) | instid1(VALU_DEP_1)
	v_fmaak_f64 v[18:19], v[16:17], v[18:19], 0x3fc7474dd7f4df2e
	v_fmaak_f64 v[18:19], v[16:17], v[18:19], 0x3fcc71c016291751
	s_delay_alu instid0(VALU_DEP_1) | instskip(NEXT) | instid1(VALU_DEP_1)
	v_fmaak_f64 v[18:19], v[16:17], v[18:19], 0x3fd249249b27acf1
	v_fmaak_f64 v[18:19], v[16:17], v[18:19], 0x3fd99999998ef7b6
	s_delay_alu instid0(VALU_DEP_1) | instskip(SKIP_2) | instid1(VALU_DEP_3)
	v_fmaak_f64 v[16:17], v[16:17], v[18:19], 0x3fe5555555555780
	v_ldexp_f64 v[18:19], v[12:13], 1
	v_add_f64_e64 v[12:13], v[12:13], -v[14:15]
	v_mul_f64_e32 v[16:17], v[20:21], v[16:17]
	v_cvt_f64_i32_e32 v[20:21], v32
	s_delay_alu instid0(VALU_DEP_3) | instskip(NEXT) | instid1(VALU_DEP_3)
	v_add_f64_e64 v[10:11], v[10:11], -v[12:13]
	v_add_f64_e32 v[14:15], v[18:19], v[16:17]
	s_delay_alu instid0(VALU_DEP_2) | instskip(NEXT) | instid1(VALU_DEP_2)
	v_ldexp_f64 v[10:11], v[10:11], 1
	v_add_f64_e64 v[12:13], v[14:15], -v[18:19]
	v_mul_f64_e32 v[18:19], 0x3fe62e42fefa39ef, v[20:21]
	s_delay_alu instid0(VALU_DEP_2) | instskip(NEXT) | instid1(VALU_DEP_2)
	v_add_f64_e64 v[12:13], v[16:17], -v[12:13]
	v_fma_f64 v[16:17], v[20:21], s[0:1], -v[18:19]
	v_cmp_neq_f64_e64 s0, 0x7ff00000, v[8:9]
	v_cmp_ngt_f64_e64 s1, -1.0, v[8:9]
	s_delay_alu instid0(VALU_DEP_4) | instskip(NEXT) | instid1(VALU_DEP_4)
	v_add_f64_e32 v[10:11], v[10:11], v[12:13]
	v_fmamk_f64 v[12:13], v[20:21], 0x3c7abc9e3b39803f, v[16:17]
	s_and_b32 vcc_lo, vcc_lo, s0
	s_delay_alu instid0(VALU_DEP_1) | instskip(NEXT) | instid1(VALU_DEP_3)
	v_add_f64_e32 v[16:17], v[18:19], v[12:13]
	v_add_f64_e32 v[20:21], v[14:15], v[10:11]
	s_delay_alu instid0(VALU_DEP_2) | instskip(NEXT) | instid1(VALU_DEP_2)
	v_add_f64_e64 v[18:19], v[16:17], -v[18:19]
	v_add_f64_e32 v[22:23], v[16:17], v[20:21]
	v_add_f64_e64 v[14:15], v[20:21], -v[14:15]
	s_delay_alu instid0(VALU_DEP_3) | instskip(NEXT) | instid1(VALU_DEP_3)
	v_add_f64_e64 v[12:13], v[12:13], -v[18:19]
	v_add_f64_e64 v[24:25], v[22:23], -v[16:17]
	s_delay_alu instid0(VALU_DEP_3) | instskip(NEXT) | instid1(VALU_DEP_2)
	v_add_f64_e64 v[10:11], v[10:11], -v[14:15]
	v_add_f64_e64 v[26:27], v[22:23], -v[24:25]
	;; [unrolled: 1-line block ×3, first 2 shown]
	s_delay_alu instid0(VALU_DEP_3) | instskip(NEXT) | instid1(VALU_DEP_3)
	v_add_f64_e32 v[18:19], v[12:13], v[10:11]
	v_add_f64_e64 v[16:17], v[16:17], -v[26:27]
	s_delay_alu instid0(VALU_DEP_1) | instskip(NEXT) | instid1(VALU_DEP_3)
	v_add_f64_e32 v[14:15], v[14:15], v[16:17]
	v_add_f64_e64 v[16:17], v[18:19], -v[12:13]
	s_delay_alu instid0(VALU_DEP_2) | instskip(NEXT) | instid1(VALU_DEP_2)
	v_add_f64_e32 v[14:15], v[18:19], v[14:15]
	v_add_f64_e64 v[18:19], v[18:19], -v[16:17]
	v_add_f64_e64 v[10:11], v[10:11], -v[16:17]
	s_delay_alu instid0(VALU_DEP_3) | instskip(NEXT) | instid1(VALU_DEP_3)
	v_add_f64_e32 v[20:21], v[22:23], v[14:15]
	v_add_f64_e64 v[12:13], v[12:13], -v[18:19]
	s_delay_alu instid0(VALU_DEP_2) | instskip(NEXT) | instid1(VALU_DEP_2)
	v_add_f64_e64 v[16:17], v[20:21], -v[22:23]
	v_add_f64_e32 v[10:11], v[10:11], v[12:13]
	s_delay_alu instid0(VALU_DEP_2) | instskip(NEXT) | instid1(VALU_DEP_1)
	v_add_f64_e64 v[12:13], v[14:15], -v[16:17]
	v_add_f64_e32 v[10:11], v[10:11], v[12:13]
	s_delay_alu instid0(VALU_DEP_1) | instskip(NEXT) | instid1(VALU_DEP_1)
	v_add_f64_e32 v[10:11], v[20:21], v[10:11]
	v_cndmask_b32_e32 v10, 0, v10, vcc_lo
	v_cmp_neq_f64_e32 vcc_lo, -1.0, v[8:9]
	s_delay_alu instid0(VALU_DEP_3) | instskip(NEXT) | instid1(VALU_DEP_1)
	v_cndmask_b32_e64 v11, 0x7ff00000, v11, s0
	v_cndmask_b32_e64 v11, 0x7ff80000, v11, s1
	s_delay_alu instid0(VALU_DEP_1) | instskip(NEXT) | instid1(VALU_DEP_1)
	v_cndmask_b32_e32 v11, 0xfff00000, v11, vcc_lo
	v_div_scale_f64 v[8:9], null, s[4:5], s[4:5], v[10:11]
	s_delay_alu instid0(VALU_DEP_1) | instskip(SKIP_1) | instid1(TRANS32_DEP_1)
	v_rcp_f64_e32 v[12:13], v[8:9]
	v_nop
	v_fma_f64 v[14:15], -v[8:9], v[12:13], 1.0
	s_delay_alu instid0(VALU_DEP_1) | instskip(NEXT) | instid1(VALU_DEP_1)
	v_fmac_f64_e32 v[12:13], v[12:13], v[14:15]
	v_fma_f64 v[14:15], -v[8:9], v[12:13], 1.0
	s_delay_alu instid0(VALU_DEP_1) | instskip(SKIP_1) | instid1(VALU_DEP_1)
	v_fmac_f64_e32 v[12:13], v[12:13], v[14:15]
	v_div_scale_f64 v[14:15], vcc_lo, v[10:11], s[4:5], v[10:11]
	v_mul_f64_e32 v[16:17], v[14:15], v[12:13]
	s_delay_alu instid0(VALU_DEP_1) | instskip(NEXT) | instid1(VALU_DEP_1)
	v_fma_f64 v[8:9], -v[8:9], v[16:17], v[14:15]
	v_div_fmas_f64 v[8:9], v[8:9], v[12:13], v[16:17]
	s_delay_alu instid0(VALU_DEP_1)
	v_div_fixup_f64 v[8:9], v[8:9], s[4:5], v[10:11]
.LBB2_5:
	s_or_b32 exec_lo, exec_lo, s13
	s_wait_loadcnt 0x0
	v_mul_f64_e32 v[10:11], s[4:5], v[2:3]
	s_mov_b32 s13, exec_lo
	s_delay_alu instid0(VALU_DEP_1)
	v_cmpx_nlt_f64_e32 s[6:7], v[10:11]
	s_cbranch_execz .LBB2_7
; %bb.6:
	v_mul_f64_e32 v[2:3], 0x3ff71547652b82fe, v[10:11]
	s_mov_b64 s[0:1], 0x3e5ade156a5dcb37
	v_cmp_nlt_f64_e32 vcc_lo, 0x40900000, v[10:11]
	s_delay_alu instid0(VALU_DEP_2) | instskip(NEXT) | instid1(VALU_DEP_1)
	v_rndne_f64_e32 v[2:3], v[2:3]
	v_fmamk_f64 v[12:13], v[2:3], 0xbfe62e42fefa39ef, v[10:11]
	v_cvt_i32_f64_e32 v16, v[2:3]
	s_delay_alu instid0(VALU_DEP_2) | instskip(NEXT) | instid1(VALU_DEP_1)
	v_fmamk_f64 v[12:13], v[2:3], 0xbc7abc9e3b39803f, v[12:13]
	v_fmaak_f64 v[14:15], s[0:1], v[12:13], 0x3e928af3fca7ab0c
	v_cmp_ngt_f64_e64 s0, 0xc090cc00, v[10:11]
	s_delay_alu instid0(VALU_DEP_2) | instskip(NEXT) | instid1(VALU_DEP_1)
	v_fmaak_f64 v[14:15], v[12:13], v[14:15], 0x3ec71dee623fde64
	v_fmaak_f64 v[14:15], v[12:13], v[14:15], 0x3efa01997c89e6b0
	s_delay_alu instid0(VALU_DEP_1) | instskip(NEXT) | instid1(VALU_DEP_1)
	v_fmaak_f64 v[14:15], v[12:13], v[14:15], 0x3f2a01a014761f6e
	v_fmaak_f64 v[14:15], v[12:13], v[14:15], 0x3f56c16c1852b7b0
	s_delay_alu instid0(VALU_DEP_1) | instskip(NEXT) | instid1(VALU_DEP_1)
	;; [unrolled: 3-line block ×4, first 2 shown]
	v_fma_f64 v[14:15], v[12:13], v[14:15], 1.0
	v_fma_f64 v[2:3], v[12:13], v[14:15], 1.0
	s_delay_alu instid0(VALU_DEP_1) | instskip(NEXT) | instid1(VALU_DEP_1)
	v_ldexp_f64 v[2:3], v[2:3], v16
	v_cndmask_b32_e32 v3, 0x7ff00000, v3, vcc_lo
	s_and_b32 vcc_lo, s0, vcc_lo
	s_delay_alu instid0(VALU_DEP_1) | instid1(SALU_CYCLE_1)
	v_dual_cndmask_b32 v2, 0, v2, vcc_lo :: v_dual_cndmask_b32 v3, 0, v3, s0
	s_mov_b64 s[0:1], 0x3fe5555555555555
	s_delay_alu instid0(VALU_DEP_1) | instskip(NEXT) | instid1(VALU_DEP_1)
	v_add_f64_e32 v[10:11], 1.0, v[2:3]
	v_frexp_mant_f64_e32 v[12:13], v[10:11]
	v_frexp_exp_i32_f64_e32 v16, v[10:11]
	v_add_f64_e32 v[14:15], -1.0, v[10:11]
	s_delay_alu instid0(VALU_DEP_3) | instskip(SKIP_1) | instid1(VALU_DEP_2)
	v_cmp_gt_f64_e32 vcc_lo, s[0:1], v[12:13]
	s_mov_b64 s[0:1], 0x3fc3ab76bf559e2b
	v_add_f64_e64 v[12:13], v[14:15], -v[10:11]
	v_add_f64_e64 v[14:15], v[2:3], -v[14:15]
	v_subrev_co_ci_u32_e64 v32, null, 0, v16, vcc_lo
	s_delay_alu instid0(VALU_DEP_3) | instskip(SKIP_1) | instid1(VALU_DEP_3)
	v_add_f64_e32 v[12:13], 1.0, v[12:13]
	v_cmp_nge_f64_e32 vcc_lo, -1.0, v[2:3]
	v_sub_nc_u32_e32 v18, 0, v32
	s_delay_alu instid0(VALU_DEP_1) | instskip(NEXT) | instid1(VALU_DEP_4)
	v_ldexp_f64 v[10:11], v[10:11], v18
	v_add_f64_e32 v[12:13], v[14:15], v[12:13]
	s_delay_alu instid0(VALU_DEP_2) | instskip(SKIP_1) | instid1(VALU_DEP_3)
	v_add_f64_e32 v[16:17], 1.0, v[10:11]
	v_add_f64_e32 v[22:23], -1.0, v[10:11]
	v_ldexp_f64 v[12:13], v[12:13], v18
	s_delay_alu instid0(VALU_DEP_3) | instskip(NEXT) | instid1(VALU_DEP_3)
	v_add_f64_e32 v[14:15], -1.0, v[16:17]
	v_add_f64_e32 v[24:25], 1.0, v[22:23]
	s_delay_alu instid0(VALU_DEP_2) | instskip(NEXT) | instid1(VALU_DEP_2)
	v_add_f64_e64 v[14:15], v[10:11], -v[14:15]
	v_add_f64_e64 v[10:11], v[10:11], -v[24:25]
	s_delay_alu instid0(VALU_DEP_2) | instskip(NEXT) | instid1(VALU_DEP_2)
	v_add_f64_e32 v[14:15], v[12:13], v[14:15]
	v_add_f64_e32 v[10:11], v[12:13], v[10:11]
	s_delay_alu instid0(VALU_DEP_2) | instskip(NEXT) | instid1(VALU_DEP_2)
	v_add_f64_e32 v[18:19], v[16:17], v[14:15]
	v_add_f64_e32 v[24:25], v[22:23], v[10:11]
	s_delay_alu instid0(VALU_DEP_2) | instskip(SKIP_1) | instid1(VALU_DEP_2)
	v_rcp_f64_e32 v[20:21], v[18:19]
	v_add_f64_e64 v[16:17], v[18:19], -v[16:17]
	v_add_f64_e64 v[22:23], v[24:25], -v[22:23]
	s_delay_alu instid0(VALU_DEP_2) | instskip(NEXT) | instid1(VALU_DEP_2)
	v_add_f64_e64 v[14:15], v[14:15], -v[16:17]
	v_add_f64_e64 v[10:11], v[10:11], -v[22:23]
	s_delay_alu instid0(TRANS32_DEP_1) | instskip(NEXT) | instid1(VALU_DEP_1)
	v_fma_f64 v[26:27], -v[18:19], v[20:21], 1.0
	v_fmac_f64_e32 v[20:21], v[26:27], v[20:21]
	s_delay_alu instid0(VALU_DEP_1) | instskip(NEXT) | instid1(VALU_DEP_1)
	v_fma_f64 v[12:13], -v[18:19], v[20:21], 1.0
	v_fmac_f64_e32 v[20:21], v[12:13], v[20:21]
	s_delay_alu instid0(VALU_DEP_1) | instskip(NEXT) | instid1(VALU_DEP_1)
	v_mul_f64_e32 v[12:13], v[24:25], v[20:21]
	v_mul_f64_e32 v[26:27], v[18:19], v[12:13]
	s_delay_alu instid0(VALU_DEP_1) | instskip(NEXT) | instid1(VALU_DEP_1)
	v_fma_f64 v[16:17], v[12:13], v[18:19], -v[26:27]
	v_fmac_f64_e32 v[16:17], v[12:13], v[14:15]
	s_delay_alu instid0(VALU_DEP_1) | instskip(NEXT) | instid1(VALU_DEP_1)
	v_add_f64_e32 v[28:29], v[26:27], v[16:17]
	v_add_f64_e64 v[30:31], v[24:25], -v[28:29]
	v_add_f64_e64 v[22:23], v[28:29], -v[26:27]
	s_delay_alu instid0(VALU_DEP_2) | instskip(NEXT) | instid1(VALU_DEP_2)
	v_add_f64_e64 v[24:25], v[24:25], -v[30:31]
	v_add_f64_e64 v[16:17], v[22:23], -v[16:17]
	s_delay_alu instid0(VALU_DEP_2) | instskip(NEXT) | instid1(VALU_DEP_1)
	v_add_f64_e64 v[24:25], v[24:25], -v[28:29]
	v_add_f64_e32 v[10:11], v[10:11], v[24:25]
	s_delay_alu instid0(VALU_DEP_1) | instskip(NEXT) | instid1(VALU_DEP_1)
	v_add_f64_e32 v[10:11], v[16:17], v[10:11]
	v_add_f64_e32 v[16:17], v[30:31], v[10:11]
	s_delay_alu instid0(VALU_DEP_1) | instskip(SKIP_1) | instid1(VALU_DEP_2)
	v_mul_f64_e32 v[22:23], v[20:21], v[16:17]
	v_add_f64_e64 v[28:29], v[30:31], -v[16:17]
	v_mul_f64_e32 v[24:25], v[18:19], v[22:23]
	s_delay_alu instid0(VALU_DEP_2) | instskip(NEXT) | instid1(VALU_DEP_2)
	v_add_f64_e32 v[10:11], v[10:11], v[28:29]
	v_fma_f64 v[18:19], v[22:23], v[18:19], -v[24:25]
	s_delay_alu instid0(VALU_DEP_1) | instskip(NEXT) | instid1(VALU_DEP_1)
	v_fmac_f64_e32 v[18:19], v[22:23], v[14:15]
	v_add_f64_e32 v[14:15], v[24:25], v[18:19]
	s_delay_alu instid0(VALU_DEP_1) | instskip(SKIP_1) | instid1(VALU_DEP_2)
	v_add_f64_e64 v[26:27], v[16:17], -v[14:15]
	v_add_f64_e64 v[24:25], v[14:15], -v[24:25]
	;; [unrolled: 1-line block ×3, first 2 shown]
	s_delay_alu instid0(VALU_DEP_1) | instskip(NEXT) | instid1(VALU_DEP_3)
	v_add_f64_e64 v[14:15], v[16:17], -v[14:15]
	v_add_f64_e64 v[16:17], v[24:25], -v[18:19]
	s_delay_alu instid0(VALU_DEP_2) | instskip(SKIP_1) | instid1(VALU_DEP_2)
	v_add_f64_e32 v[10:11], v[10:11], v[14:15]
	v_add_f64_e32 v[14:15], v[12:13], v[22:23]
	;; [unrolled: 1-line block ×3, first 2 shown]
	s_delay_alu instid0(VALU_DEP_2) | instskip(NEXT) | instid1(VALU_DEP_2)
	v_add_f64_e64 v[12:13], v[14:15], -v[12:13]
	v_add_f64_e32 v[10:11], v[26:27], v[10:11]
	s_delay_alu instid0(VALU_DEP_2) | instskip(NEXT) | instid1(VALU_DEP_2)
	v_add_f64_e64 v[12:13], v[22:23], -v[12:13]
	v_mul_f64_e32 v[10:11], v[20:21], v[10:11]
	s_delay_alu instid0(VALU_DEP_1) | instskip(NEXT) | instid1(VALU_DEP_1)
	v_add_f64_e32 v[10:11], v[12:13], v[10:11]
	v_add_f64_e32 v[12:13], v[14:15], v[10:11]
	s_delay_alu instid0(VALU_DEP_1) | instskip(NEXT) | instid1(VALU_DEP_1)
	v_mul_f64_e32 v[16:17], v[12:13], v[12:13]
	v_fmaak_f64 v[18:19], s[0:1], v[16:17], 0x3fc385386b47b09a
	v_mul_f64_e32 v[20:21], v[12:13], v[16:17]
	s_mov_b64 s[0:1], 0x3fe62e42fefa39ef
	s_delay_alu instid0(VALU_DEP_2) | instskip(NEXT) | instid1(VALU_DEP_1)
	v_fmaak_f64 v[18:19], v[16:17], v[18:19], 0x3fc7474dd7f4df2e
	v_fmaak_f64 v[18:19], v[16:17], v[18:19], 0x3fcc71c016291751
	s_delay_alu instid0(VALU_DEP_1) | instskip(NEXT) | instid1(VALU_DEP_1)
	v_fmaak_f64 v[18:19], v[16:17], v[18:19], 0x3fd249249b27acf1
	v_fmaak_f64 v[18:19], v[16:17], v[18:19], 0x3fd99999998ef7b6
	s_delay_alu instid0(VALU_DEP_1) | instskip(SKIP_2) | instid1(VALU_DEP_3)
	v_fmaak_f64 v[16:17], v[16:17], v[18:19], 0x3fe5555555555780
	v_ldexp_f64 v[18:19], v[12:13], 1
	v_add_f64_e64 v[12:13], v[12:13], -v[14:15]
	v_mul_f64_e32 v[16:17], v[20:21], v[16:17]
	v_cvt_f64_i32_e32 v[20:21], v32
	s_delay_alu instid0(VALU_DEP_3) | instskip(NEXT) | instid1(VALU_DEP_3)
	v_add_f64_e64 v[10:11], v[10:11], -v[12:13]
	v_add_f64_e32 v[14:15], v[18:19], v[16:17]
	s_delay_alu instid0(VALU_DEP_2) | instskip(NEXT) | instid1(VALU_DEP_2)
	v_ldexp_f64 v[10:11], v[10:11], 1
	v_add_f64_e64 v[12:13], v[14:15], -v[18:19]
	v_mul_f64_e32 v[18:19], 0x3fe62e42fefa39ef, v[20:21]
	s_delay_alu instid0(VALU_DEP_2) | instskip(NEXT) | instid1(VALU_DEP_2)
	v_add_f64_e64 v[12:13], v[16:17], -v[12:13]
	v_fma_f64 v[16:17], v[20:21], s[0:1], -v[18:19]
	v_cmp_neq_f64_e64 s0, 0x7ff00000, v[2:3]
	v_cmp_ngt_f64_e64 s1, -1.0, v[2:3]
	s_delay_alu instid0(VALU_DEP_4) | instskip(NEXT) | instid1(VALU_DEP_4)
	v_add_f64_e32 v[10:11], v[10:11], v[12:13]
	v_fmamk_f64 v[12:13], v[20:21], 0x3c7abc9e3b39803f, v[16:17]
	s_and_b32 vcc_lo, vcc_lo, s0
	s_delay_alu instid0(VALU_DEP_1) | instskip(NEXT) | instid1(VALU_DEP_3)
	v_add_f64_e32 v[16:17], v[18:19], v[12:13]
	v_add_f64_e32 v[20:21], v[14:15], v[10:11]
	s_delay_alu instid0(VALU_DEP_2) | instskip(NEXT) | instid1(VALU_DEP_2)
	v_add_f64_e64 v[18:19], v[16:17], -v[18:19]
	v_add_f64_e32 v[22:23], v[16:17], v[20:21]
	v_add_f64_e64 v[14:15], v[20:21], -v[14:15]
	s_delay_alu instid0(VALU_DEP_3) | instskip(NEXT) | instid1(VALU_DEP_3)
	v_add_f64_e64 v[12:13], v[12:13], -v[18:19]
	v_add_f64_e64 v[24:25], v[22:23], -v[16:17]
	s_delay_alu instid0(VALU_DEP_3) | instskip(NEXT) | instid1(VALU_DEP_2)
	v_add_f64_e64 v[10:11], v[10:11], -v[14:15]
	v_add_f64_e64 v[26:27], v[22:23], -v[24:25]
	v_add_f64_e64 v[14:15], v[20:21], -v[24:25]
	s_delay_alu instid0(VALU_DEP_3) | instskip(NEXT) | instid1(VALU_DEP_3)
	v_add_f64_e32 v[18:19], v[12:13], v[10:11]
	v_add_f64_e64 v[16:17], v[16:17], -v[26:27]
	s_delay_alu instid0(VALU_DEP_1) | instskip(NEXT) | instid1(VALU_DEP_3)
	v_add_f64_e32 v[14:15], v[14:15], v[16:17]
	v_add_f64_e64 v[16:17], v[18:19], -v[12:13]
	s_delay_alu instid0(VALU_DEP_2) | instskip(NEXT) | instid1(VALU_DEP_2)
	v_add_f64_e32 v[14:15], v[18:19], v[14:15]
	v_add_f64_e64 v[18:19], v[18:19], -v[16:17]
	v_add_f64_e64 v[10:11], v[10:11], -v[16:17]
	s_delay_alu instid0(VALU_DEP_3) | instskip(NEXT) | instid1(VALU_DEP_3)
	v_add_f64_e32 v[20:21], v[22:23], v[14:15]
	v_add_f64_e64 v[12:13], v[12:13], -v[18:19]
	s_delay_alu instid0(VALU_DEP_2) | instskip(NEXT) | instid1(VALU_DEP_2)
	v_add_f64_e64 v[16:17], v[20:21], -v[22:23]
	v_add_f64_e32 v[10:11], v[10:11], v[12:13]
	s_delay_alu instid0(VALU_DEP_2) | instskip(NEXT) | instid1(VALU_DEP_1)
	v_add_f64_e64 v[12:13], v[14:15], -v[16:17]
	v_add_f64_e32 v[10:11], v[10:11], v[12:13]
	s_delay_alu instid0(VALU_DEP_1) | instskip(NEXT) | instid1(VALU_DEP_1)
	v_add_f64_e32 v[10:11], v[20:21], v[10:11]
	v_cndmask_b32_e32 v10, 0, v10, vcc_lo
	v_cmp_neq_f64_e32 vcc_lo, -1.0, v[2:3]
	s_delay_alu instid0(VALU_DEP_3) | instskip(NEXT) | instid1(VALU_DEP_1)
	v_cndmask_b32_e64 v11, 0x7ff00000, v11, s0
	v_cndmask_b32_e64 v11, 0x7ff80000, v11, s1
	s_delay_alu instid0(VALU_DEP_1) | instskip(NEXT) | instid1(VALU_DEP_1)
	v_cndmask_b32_e32 v11, 0xfff00000, v11, vcc_lo
	v_div_scale_f64 v[2:3], null, s[4:5], s[4:5], v[10:11]
	s_delay_alu instid0(VALU_DEP_1) | instskip(SKIP_1) | instid1(TRANS32_DEP_1)
	v_rcp_f64_e32 v[12:13], v[2:3]
	v_nop
	v_fma_f64 v[14:15], -v[2:3], v[12:13], 1.0
	s_delay_alu instid0(VALU_DEP_1) | instskip(NEXT) | instid1(VALU_DEP_1)
	v_fmac_f64_e32 v[12:13], v[12:13], v[14:15]
	v_fma_f64 v[14:15], -v[2:3], v[12:13], 1.0
	s_delay_alu instid0(VALU_DEP_1) | instskip(SKIP_1) | instid1(VALU_DEP_1)
	v_fmac_f64_e32 v[12:13], v[12:13], v[14:15]
	v_div_scale_f64 v[14:15], vcc_lo, v[10:11], s[4:5], v[10:11]
	v_mul_f64_e32 v[16:17], v[14:15], v[12:13]
	s_delay_alu instid0(VALU_DEP_1) | instskip(NEXT) | instid1(VALU_DEP_1)
	v_fma_f64 v[2:3], -v[2:3], v[16:17], v[14:15]
	v_div_fmas_f64 v[2:3], v[2:3], v[12:13], v[16:17]
	s_delay_alu instid0(VALU_DEP_1)
	v_div_fixup_f64 v[2:3], v[2:3], s[4:5], v[10:11]
.LBB2_7:
	s_or_b32 exec_lo, exec_lo, s13
	v_mul_f64_e32 v[10:11], s[4:5], v[4:5]
	s_mov_b32 s13, exec_lo
	s_delay_alu instid0(VALU_DEP_1)
	v_cmpx_nlt_f64_e32 s[6:7], v[10:11]
	s_cbranch_execz .LBB2_9
; %bb.8:
	v_mul_f64_e32 v[4:5], 0x3ff71547652b82fe, v[10:11]
	s_mov_b64 s[0:1], 0x3e5ade156a5dcb37
	v_cmp_nlt_f64_e32 vcc_lo, 0x40900000, v[10:11]
	s_delay_alu instid0(VALU_DEP_2) | instskip(NEXT) | instid1(VALU_DEP_1)
	v_rndne_f64_e32 v[4:5], v[4:5]
	v_fmamk_f64 v[12:13], v[4:5], 0xbfe62e42fefa39ef, v[10:11]
	v_cvt_i32_f64_e32 v16, v[4:5]
	s_delay_alu instid0(VALU_DEP_2) | instskip(NEXT) | instid1(VALU_DEP_1)
	v_fmamk_f64 v[12:13], v[4:5], 0xbc7abc9e3b39803f, v[12:13]
	v_fmaak_f64 v[14:15], s[0:1], v[12:13], 0x3e928af3fca7ab0c
	v_cmp_ngt_f64_e64 s0, 0xc090cc00, v[10:11]
	s_delay_alu instid0(VALU_DEP_2) | instskip(NEXT) | instid1(VALU_DEP_1)
	v_fmaak_f64 v[14:15], v[12:13], v[14:15], 0x3ec71dee623fde64
	v_fmaak_f64 v[14:15], v[12:13], v[14:15], 0x3efa01997c89e6b0
	s_delay_alu instid0(VALU_DEP_1) | instskip(NEXT) | instid1(VALU_DEP_1)
	v_fmaak_f64 v[14:15], v[12:13], v[14:15], 0x3f2a01a014761f6e
	v_fmaak_f64 v[14:15], v[12:13], v[14:15], 0x3f56c16c1852b7b0
	s_delay_alu instid0(VALU_DEP_1) | instskip(NEXT) | instid1(VALU_DEP_1)
	;; [unrolled: 3-line block ×4, first 2 shown]
	v_fma_f64 v[14:15], v[12:13], v[14:15], 1.0
	v_fma_f64 v[4:5], v[12:13], v[14:15], 1.0
	s_delay_alu instid0(VALU_DEP_1) | instskip(NEXT) | instid1(VALU_DEP_1)
	v_ldexp_f64 v[4:5], v[4:5], v16
	v_cndmask_b32_e32 v5, 0x7ff00000, v5, vcc_lo
	s_and_b32 vcc_lo, s0, vcc_lo
	s_delay_alu instid0(VALU_DEP_1) | instid1(SALU_CYCLE_1)
	v_dual_cndmask_b32 v4, 0, v4, vcc_lo :: v_dual_cndmask_b32 v5, 0, v5, s0
	s_mov_b64 s[0:1], 0x3fe5555555555555
	s_delay_alu instid0(VALU_DEP_1) | instskip(NEXT) | instid1(VALU_DEP_1)
	v_add_f64_e32 v[10:11], 1.0, v[4:5]
	v_frexp_mant_f64_e32 v[12:13], v[10:11]
	v_frexp_exp_i32_f64_e32 v16, v[10:11]
	v_add_f64_e32 v[14:15], -1.0, v[10:11]
	s_delay_alu instid0(VALU_DEP_3) | instskip(SKIP_1) | instid1(VALU_DEP_2)
	v_cmp_gt_f64_e32 vcc_lo, s[0:1], v[12:13]
	s_mov_b64 s[0:1], 0x3fc3ab76bf559e2b
	v_add_f64_e64 v[12:13], v[14:15], -v[10:11]
	v_add_f64_e64 v[14:15], v[4:5], -v[14:15]
	v_subrev_co_ci_u32_e64 v32, null, 0, v16, vcc_lo
	s_delay_alu instid0(VALU_DEP_3) | instskip(SKIP_1) | instid1(VALU_DEP_3)
	v_add_f64_e32 v[12:13], 1.0, v[12:13]
	v_cmp_nge_f64_e32 vcc_lo, -1.0, v[4:5]
	v_sub_nc_u32_e32 v18, 0, v32
	s_delay_alu instid0(VALU_DEP_1) | instskip(NEXT) | instid1(VALU_DEP_4)
	v_ldexp_f64 v[10:11], v[10:11], v18
	v_add_f64_e32 v[12:13], v[14:15], v[12:13]
	s_delay_alu instid0(VALU_DEP_2) | instskip(SKIP_1) | instid1(VALU_DEP_3)
	v_add_f64_e32 v[16:17], 1.0, v[10:11]
	v_add_f64_e32 v[22:23], -1.0, v[10:11]
	v_ldexp_f64 v[12:13], v[12:13], v18
	s_delay_alu instid0(VALU_DEP_3) | instskip(NEXT) | instid1(VALU_DEP_3)
	v_add_f64_e32 v[14:15], -1.0, v[16:17]
	v_add_f64_e32 v[24:25], 1.0, v[22:23]
	s_delay_alu instid0(VALU_DEP_2) | instskip(NEXT) | instid1(VALU_DEP_2)
	v_add_f64_e64 v[14:15], v[10:11], -v[14:15]
	v_add_f64_e64 v[10:11], v[10:11], -v[24:25]
	s_delay_alu instid0(VALU_DEP_2) | instskip(NEXT) | instid1(VALU_DEP_2)
	v_add_f64_e32 v[14:15], v[12:13], v[14:15]
	v_add_f64_e32 v[10:11], v[12:13], v[10:11]
	s_delay_alu instid0(VALU_DEP_2) | instskip(NEXT) | instid1(VALU_DEP_2)
	v_add_f64_e32 v[18:19], v[16:17], v[14:15]
	v_add_f64_e32 v[24:25], v[22:23], v[10:11]
	s_delay_alu instid0(VALU_DEP_2) | instskip(SKIP_1) | instid1(VALU_DEP_2)
	v_rcp_f64_e32 v[20:21], v[18:19]
	v_add_f64_e64 v[16:17], v[18:19], -v[16:17]
	v_add_f64_e64 v[22:23], v[24:25], -v[22:23]
	s_delay_alu instid0(VALU_DEP_2) | instskip(NEXT) | instid1(VALU_DEP_2)
	v_add_f64_e64 v[14:15], v[14:15], -v[16:17]
	v_add_f64_e64 v[10:11], v[10:11], -v[22:23]
	s_delay_alu instid0(TRANS32_DEP_1) | instskip(NEXT) | instid1(VALU_DEP_1)
	v_fma_f64 v[26:27], -v[18:19], v[20:21], 1.0
	v_fmac_f64_e32 v[20:21], v[26:27], v[20:21]
	s_delay_alu instid0(VALU_DEP_1) | instskip(NEXT) | instid1(VALU_DEP_1)
	v_fma_f64 v[12:13], -v[18:19], v[20:21], 1.0
	v_fmac_f64_e32 v[20:21], v[12:13], v[20:21]
	s_delay_alu instid0(VALU_DEP_1) | instskip(NEXT) | instid1(VALU_DEP_1)
	v_mul_f64_e32 v[12:13], v[24:25], v[20:21]
	v_mul_f64_e32 v[26:27], v[18:19], v[12:13]
	s_delay_alu instid0(VALU_DEP_1) | instskip(NEXT) | instid1(VALU_DEP_1)
	v_fma_f64 v[16:17], v[12:13], v[18:19], -v[26:27]
	v_fmac_f64_e32 v[16:17], v[12:13], v[14:15]
	s_delay_alu instid0(VALU_DEP_1) | instskip(NEXT) | instid1(VALU_DEP_1)
	v_add_f64_e32 v[28:29], v[26:27], v[16:17]
	v_add_f64_e64 v[30:31], v[24:25], -v[28:29]
	v_add_f64_e64 v[22:23], v[28:29], -v[26:27]
	s_delay_alu instid0(VALU_DEP_2) | instskip(NEXT) | instid1(VALU_DEP_2)
	v_add_f64_e64 v[24:25], v[24:25], -v[30:31]
	v_add_f64_e64 v[16:17], v[22:23], -v[16:17]
	s_delay_alu instid0(VALU_DEP_2) | instskip(NEXT) | instid1(VALU_DEP_1)
	v_add_f64_e64 v[24:25], v[24:25], -v[28:29]
	v_add_f64_e32 v[10:11], v[10:11], v[24:25]
	s_delay_alu instid0(VALU_DEP_1) | instskip(NEXT) | instid1(VALU_DEP_1)
	v_add_f64_e32 v[10:11], v[16:17], v[10:11]
	v_add_f64_e32 v[16:17], v[30:31], v[10:11]
	s_delay_alu instid0(VALU_DEP_1) | instskip(SKIP_1) | instid1(VALU_DEP_2)
	v_mul_f64_e32 v[22:23], v[20:21], v[16:17]
	v_add_f64_e64 v[28:29], v[30:31], -v[16:17]
	v_mul_f64_e32 v[24:25], v[18:19], v[22:23]
	s_delay_alu instid0(VALU_DEP_2) | instskip(NEXT) | instid1(VALU_DEP_2)
	v_add_f64_e32 v[10:11], v[10:11], v[28:29]
	v_fma_f64 v[18:19], v[22:23], v[18:19], -v[24:25]
	s_delay_alu instid0(VALU_DEP_1) | instskip(NEXT) | instid1(VALU_DEP_1)
	v_fmac_f64_e32 v[18:19], v[22:23], v[14:15]
	v_add_f64_e32 v[14:15], v[24:25], v[18:19]
	s_delay_alu instid0(VALU_DEP_1) | instskip(SKIP_1) | instid1(VALU_DEP_2)
	v_add_f64_e64 v[26:27], v[16:17], -v[14:15]
	v_add_f64_e64 v[24:25], v[14:15], -v[24:25]
	;; [unrolled: 1-line block ×3, first 2 shown]
	s_delay_alu instid0(VALU_DEP_1) | instskip(NEXT) | instid1(VALU_DEP_3)
	v_add_f64_e64 v[14:15], v[16:17], -v[14:15]
	v_add_f64_e64 v[16:17], v[24:25], -v[18:19]
	s_delay_alu instid0(VALU_DEP_2) | instskip(SKIP_1) | instid1(VALU_DEP_2)
	v_add_f64_e32 v[10:11], v[10:11], v[14:15]
	v_add_f64_e32 v[14:15], v[12:13], v[22:23]
	;; [unrolled: 1-line block ×3, first 2 shown]
	s_delay_alu instid0(VALU_DEP_2) | instskip(NEXT) | instid1(VALU_DEP_2)
	v_add_f64_e64 v[12:13], v[14:15], -v[12:13]
	v_add_f64_e32 v[10:11], v[26:27], v[10:11]
	s_delay_alu instid0(VALU_DEP_2) | instskip(NEXT) | instid1(VALU_DEP_2)
	v_add_f64_e64 v[12:13], v[22:23], -v[12:13]
	v_mul_f64_e32 v[10:11], v[20:21], v[10:11]
	s_delay_alu instid0(VALU_DEP_1) | instskip(NEXT) | instid1(VALU_DEP_1)
	v_add_f64_e32 v[10:11], v[12:13], v[10:11]
	v_add_f64_e32 v[12:13], v[14:15], v[10:11]
	s_delay_alu instid0(VALU_DEP_1) | instskip(NEXT) | instid1(VALU_DEP_1)
	v_mul_f64_e32 v[16:17], v[12:13], v[12:13]
	v_fmaak_f64 v[18:19], s[0:1], v[16:17], 0x3fc385386b47b09a
	v_mul_f64_e32 v[20:21], v[12:13], v[16:17]
	s_mov_b64 s[0:1], 0x3fe62e42fefa39ef
	s_delay_alu instid0(VALU_DEP_2) | instskip(NEXT) | instid1(VALU_DEP_1)
	v_fmaak_f64 v[18:19], v[16:17], v[18:19], 0x3fc7474dd7f4df2e
	v_fmaak_f64 v[18:19], v[16:17], v[18:19], 0x3fcc71c016291751
	s_delay_alu instid0(VALU_DEP_1) | instskip(NEXT) | instid1(VALU_DEP_1)
	v_fmaak_f64 v[18:19], v[16:17], v[18:19], 0x3fd249249b27acf1
	v_fmaak_f64 v[18:19], v[16:17], v[18:19], 0x3fd99999998ef7b6
	s_delay_alu instid0(VALU_DEP_1) | instskip(SKIP_2) | instid1(VALU_DEP_3)
	v_fmaak_f64 v[16:17], v[16:17], v[18:19], 0x3fe5555555555780
	v_ldexp_f64 v[18:19], v[12:13], 1
	v_add_f64_e64 v[12:13], v[12:13], -v[14:15]
	v_mul_f64_e32 v[16:17], v[20:21], v[16:17]
	v_cvt_f64_i32_e32 v[20:21], v32
	s_delay_alu instid0(VALU_DEP_3) | instskip(NEXT) | instid1(VALU_DEP_3)
	v_add_f64_e64 v[10:11], v[10:11], -v[12:13]
	v_add_f64_e32 v[14:15], v[18:19], v[16:17]
	s_delay_alu instid0(VALU_DEP_2) | instskip(NEXT) | instid1(VALU_DEP_2)
	v_ldexp_f64 v[10:11], v[10:11], 1
	v_add_f64_e64 v[12:13], v[14:15], -v[18:19]
	v_mul_f64_e32 v[18:19], 0x3fe62e42fefa39ef, v[20:21]
	s_delay_alu instid0(VALU_DEP_2) | instskip(NEXT) | instid1(VALU_DEP_2)
	v_add_f64_e64 v[12:13], v[16:17], -v[12:13]
	v_fma_f64 v[16:17], v[20:21], s[0:1], -v[18:19]
	v_cmp_neq_f64_e64 s0, 0x7ff00000, v[4:5]
	v_cmp_ngt_f64_e64 s1, -1.0, v[4:5]
	s_delay_alu instid0(VALU_DEP_4) | instskip(NEXT) | instid1(VALU_DEP_4)
	v_add_f64_e32 v[10:11], v[10:11], v[12:13]
	v_fmamk_f64 v[12:13], v[20:21], 0x3c7abc9e3b39803f, v[16:17]
	s_and_b32 vcc_lo, vcc_lo, s0
	s_delay_alu instid0(VALU_DEP_1) | instskip(NEXT) | instid1(VALU_DEP_3)
	v_add_f64_e32 v[16:17], v[18:19], v[12:13]
	v_add_f64_e32 v[20:21], v[14:15], v[10:11]
	s_delay_alu instid0(VALU_DEP_2) | instskip(NEXT) | instid1(VALU_DEP_2)
	v_add_f64_e64 v[18:19], v[16:17], -v[18:19]
	v_add_f64_e32 v[22:23], v[16:17], v[20:21]
	v_add_f64_e64 v[14:15], v[20:21], -v[14:15]
	s_delay_alu instid0(VALU_DEP_3) | instskip(NEXT) | instid1(VALU_DEP_3)
	v_add_f64_e64 v[12:13], v[12:13], -v[18:19]
	v_add_f64_e64 v[24:25], v[22:23], -v[16:17]
	s_delay_alu instid0(VALU_DEP_3) | instskip(NEXT) | instid1(VALU_DEP_2)
	v_add_f64_e64 v[10:11], v[10:11], -v[14:15]
	v_add_f64_e64 v[26:27], v[22:23], -v[24:25]
	;; [unrolled: 1-line block ×3, first 2 shown]
	s_delay_alu instid0(VALU_DEP_3) | instskip(NEXT) | instid1(VALU_DEP_3)
	v_add_f64_e32 v[18:19], v[12:13], v[10:11]
	v_add_f64_e64 v[16:17], v[16:17], -v[26:27]
	s_delay_alu instid0(VALU_DEP_1) | instskip(NEXT) | instid1(VALU_DEP_3)
	v_add_f64_e32 v[14:15], v[14:15], v[16:17]
	v_add_f64_e64 v[16:17], v[18:19], -v[12:13]
	s_delay_alu instid0(VALU_DEP_2) | instskip(NEXT) | instid1(VALU_DEP_2)
	v_add_f64_e32 v[14:15], v[18:19], v[14:15]
	v_add_f64_e64 v[18:19], v[18:19], -v[16:17]
	v_add_f64_e64 v[10:11], v[10:11], -v[16:17]
	s_delay_alu instid0(VALU_DEP_3) | instskip(NEXT) | instid1(VALU_DEP_3)
	v_add_f64_e32 v[20:21], v[22:23], v[14:15]
	v_add_f64_e64 v[12:13], v[12:13], -v[18:19]
	s_delay_alu instid0(VALU_DEP_2) | instskip(NEXT) | instid1(VALU_DEP_2)
	v_add_f64_e64 v[16:17], v[20:21], -v[22:23]
	v_add_f64_e32 v[10:11], v[10:11], v[12:13]
	s_delay_alu instid0(VALU_DEP_2) | instskip(NEXT) | instid1(VALU_DEP_1)
	v_add_f64_e64 v[12:13], v[14:15], -v[16:17]
	v_add_f64_e32 v[10:11], v[10:11], v[12:13]
	s_delay_alu instid0(VALU_DEP_1) | instskip(NEXT) | instid1(VALU_DEP_1)
	v_add_f64_e32 v[10:11], v[20:21], v[10:11]
	v_cndmask_b32_e32 v10, 0, v10, vcc_lo
	v_cmp_neq_f64_e32 vcc_lo, -1.0, v[4:5]
	s_delay_alu instid0(VALU_DEP_3) | instskip(NEXT) | instid1(VALU_DEP_1)
	v_cndmask_b32_e64 v11, 0x7ff00000, v11, s0
	v_cndmask_b32_e64 v11, 0x7ff80000, v11, s1
	s_delay_alu instid0(VALU_DEP_1) | instskip(NEXT) | instid1(VALU_DEP_1)
	v_cndmask_b32_e32 v11, 0xfff00000, v11, vcc_lo
	v_div_scale_f64 v[4:5], null, s[4:5], s[4:5], v[10:11]
	s_delay_alu instid0(VALU_DEP_1) | instskip(SKIP_1) | instid1(TRANS32_DEP_1)
	v_rcp_f64_e32 v[12:13], v[4:5]
	v_nop
	v_fma_f64 v[14:15], -v[4:5], v[12:13], 1.0
	s_delay_alu instid0(VALU_DEP_1) | instskip(NEXT) | instid1(VALU_DEP_1)
	v_fmac_f64_e32 v[12:13], v[12:13], v[14:15]
	v_fma_f64 v[14:15], -v[4:5], v[12:13], 1.0
	s_delay_alu instid0(VALU_DEP_1) | instskip(SKIP_1) | instid1(VALU_DEP_1)
	v_fmac_f64_e32 v[12:13], v[12:13], v[14:15]
	v_div_scale_f64 v[14:15], vcc_lo, v[10:11], s[4:5], v[10:11]
	v_mul_f64_e32 v[16:17], v[14:15], v[12:13]
	s_delay_alu instid0(VALU_DEP_1) | instskip(NEXT) | instid1(VALU_DEP_1)
	v_fma_f64 v[4:5], -v[4:5], v[16:17], v[14:15]
	v_div_fmas_f64 v[4:5], v[4:5], v[12:13], v[16:17]
	s_delay_alu instid0(VALU_DEP_1)
	v_div_fixup_f64 v[4:5], v[4:5], s[4:5], v[10:11]
.LBB2_9:
	s_or_b32 exec_lo, exec_lo, s13
	s_add_nc_u64 s[2:3], s[8:9], s[2:3]
	s_mov_b32 s0, 0
	s_clause 0x1
	global_store_b128 v1, v[6:9], s[2:3]
	global_store_b128 v1, v[2:5], s[2:3] offset:16
.LBB2_10:
	s_and_b32 vcc_lo, exec_lo, s0
	s_cbranch_vccz .LBB2_37
; %bb.11:
	v_mov_b64_e32 v[22:23], 0
	v_mov_b64_e32 v[10:11], 0
	v_cmp_gt_i32_e64 s0, s14, v0
	s_wait_xcnt 0x0
	v_dual_mov_b32 v2, v0 :: v_dual_bitop2_b32 v1, s12, v0 bitop3:0x54
	v_or_b32_e32 v24, 0x100, v0
	s_and_saveexec_b32 s1, s0
	s_cbranch_execz .LBB2_13
; %bb.12:
	global_load_b64 v[10:11], v1, s[10:11] scale_offset
	v_or_b32_e32 v2, 0x100, v0
.LBB2_13:
	s_wait_xcnt 0x0
	s_or_b32 exec_lo, exec_lo, s1
	s_delay_alu instid0(SALU_CYCLE_1) | instskip(NEXT) | instid1(VALU_DEP_1)
	s_mov_b32 s1, exec_lo
	v_cmpx_gt_i32_e64 s14, v2
	s_cbranch_execz .LBB2_15
; %bb.14:
	v_add_nc_u32_e32 v3, s12, v2
	v_add_nc_u32_e32 v2, 0x100, v2
	global_load_b64 v[22:23], v3, s[10:11] scale_offset
.LBB2_15:
	s_wait_xcnt 0x0
	s_or_b32 exec_lo, exec_lo, s1
	v_mov_b64_e32 v[18:19], 0
	v_mov_b64_e32 v[20:21], 0
	s_mov_b32 s1, exec_lo
	v_cmpx_gt_i32_e64 s14, v2
	s_cbranch_execz .LBB2_17
; %bb.16:
	v_add_nc_u32_e32 v3, s12, v2
	v_add_nc_u32_e32 v2, 0x100, v2
	global_load_b64 v[20:21], v3, s[10:11] scale_offset
.LBB2_17:
	s_wait_xcnt 0x0
	s_or_b32 exec_lo, exec_lo, s1
	s_delay_alu instid0(SALU_CYCLE_1)
	s_mov_b32 s1, exec_lo
	v_cmpx_gt_i32_e64 s14, v2
	s_cbranch_execz .LBB2_19
; %bb.18:
	v_add_nc_u32_e32 v2, s12, v2
	global_load_b64 v[18:19], v2, s[10:11] scale_offset
.LBB2_19:
	s_wait_xcnt 0x0
	s_or_b32 exec_lo, exec_lo, s1
	v_mov_b32_e32 v2, 0
	s_delay_alu instid0(VALU_DEP_1)
	v_dual_mov_b32 v3, v2 :: v_dual_mov_b32 v4, v2
	v_dual_mov_b32 v5, v2 :: v_dual_mov_b32 v6, v2
	;; [unrolled: 1-line block ×3, first 2 shown]
	v_mov_b32_e32 v9, v2
	s_and_saveexec_b32 s3, s0
	s_cbranch_execz .LBB2_23
; %bb.20:
	s_wait_loadcnt 0x0
	v_mul_f64_e32 v[2:3], s[4:5], v[10:11]
	s_mov_b32 s10, exec_lo
	s_delay_alu instid0(VALU_DEP_1)
	v_cmpx_nlt_f64_e32 s[6:7], v[2:3]
	s_cbranch_execz .LBB2_22
; %bb.21:
	v_mul_f64_e32 v[4:5], 0x3ff71547652b82fe, v[2:3]
	s_mov_b64 s[16:17], 0x3e5ade156a5dcb37
	v_cmp_nlt_f64_e32 vcc_lo, 0x40900000, v[2:3]
	v_cmp_ngt_f64_e64 s1, 0xc090cc00, v[2:3]
	s_delay_alu instid0(VALU_DEP_3) | instskip(NEXT) | instid1(VALU_DEP_1)
	v_rndne_f64_e32 v[4:5], v[4:5]
	v_fmamk_f64 v[6:7], v[4:5], 0xbfe62e42fefa39ef, v[2:3]
	v_cvt_i32_f64_e32 v10, v[4:5]
	s_delay_alu instid0(VALU_DEP_2) | instskip(NEXT) | instid1(VALU_DEP_1)
	v_fmamk_f64 v[6:7], v[4:5], 0xbc7abc9e3b39803f, v[6:7]
	v_fmaak_f64 v[8:9], s[16:17], v[6:7], 0x3e928af3fca7ab0c
	s_mov_b64 s[16:17], 0x3fe5555555555555
	s_delay_alu instid0(VALU_DEP_1) | instskip(NEXT) | instid1(VALU_DEP_1)
	v_fmaak_f64 v[8:9], v[6:7], v[8:9], 0x3ec71dee623fde64
	v_fmaak_f64 v[8:9], v[6:7], v[8:9], 0x3efa01997c89e6b0
	s_delay_alu instid0(VALU_DEP_1) | instskip(NEXT) | instid1(VALU_DEP_1)
	v_fmaak_f64 v[8:9], v[6:7], v[8:9], 0x3f2a01a014761f6e
	v_fmaak_f64 v[8:9], v[6:7], v[8:9], 0x3f56c16c1852b7b0
	;; [unrolled: 3-line block ×4, first 2 shown]
	s_delay_alu instid0(VALU_DEP_1) | instskip(NEXT) | instid1(VALU_DEP_1)
	v_fma_f64 v[8:9], v[6:7], v[8:9], 1.0
	v_fma_f64 v[4:5], v[6:7], v[8:9], 1.0
	s_delay_alu instid0(VALU_DEP_1) | instskip(NEXT) | instid1(VALU_DEP_1)
	v_ldexp_f64 v[4:5], v[4:5], v10
	v_cndmask_b32_e32 v5, 0x7ff00000, v5, vcc_lo
	s_and_b32 vcc_lo, s1, vcc_lo
	s_delay_alu instid0(VALU_DEP_1) | instid1(SALU_CYCLE_1)
	v_dual_cndmask_b32 v2, 0, v4, vcc_lo :: v_dual_cndmask_b32 v3, 0, v5, s1
	s_delay_alu instid0(VALU_DEP_1) | instskip(SKIP_2) | instid1(VALU_DEP_3)
	v_add_f64_e32 v[4:5], 1.0, v[2:3]
	v_cmp_neq_f64_e64 s1, 0x7ff00000, v[2:3]
	v_cmp_ngt_f64_e64 s2, -1.0, v[2:3]
	v_frexp_mant_f64_e32 v[6:7], v[4:5]
	v_frexp_exp_i32_f64_e32 v10, v[4:5]
	s_delay_alu instid0(VALU_DEP_2) | instskip(SKIP_1) | instid1(VALU_DEP_2)
	v_cmp_gt_f64_e32 vcc_lo, s[16:17], v[6:7]
	s_mov_b64 s[16:17], 0x3fc3ab76bf559e2b
	v_subrev_co_ci_u32_e64 v25, null, 0, v10, vcc_lo
	v_cmp_nge_f64_e32 vcc_lo, -1.0, v[2:3]
	s_delay_alu instid0(VALU_DEP_2) | instskip(SKIP_2) | instid1(VALU_DEP_1)
	v_sub_nc_u32_e32 v12, 0, v25
	v_add_f64_e32 v[8:9], -1.0, v[4:5]
	s_and_b32 vcc_lo, vcc_lo, s1
	v_add_f64_e64 v[6:7], v[8:9], -v[4:5]
	s_delay_alu instid0(VALU_DEP_3) | instskip(SKIP_1) | instid1(VALU_DEP_3)
	v_ldexp_f64 v[4:5], v[4:5], v12
	v_add_f64_e64 v[8:9], v[2:3], -v[8:9]
	v_add_f64_e32 v[6:7], 1.0, v[6:7]
	s_delay_alu instid0(VALU_DEP_3) | instskip(SKIP_1) | instid1(VALU_DEP_3)
	v_add_f64_e32 v[10:11], 1.0, v[4:5]
	v_add_f64_e32 v[16:17], -1.0, v[4:5]
	v_add_f64_e32 v[6:7], v[8:9], v[6:7]
	s_delay_alu instid0(VALU_DEP_3) | instskip(NEXT) | instid1(VALU_DEP_3)
	v_add_f64_e32 v[8:9], -1.0, v[10:11]
	v_add_f64_e32 v[26:27], 1.0, v[16:17]
	s_delay_alu instid0(VALU_DEP_3) | instskip(NEXT) | instid1(VALU_DEP_3)
	v_ldexp_f64 v[6:7], v[6:7], v12
	v_add_f64_e64 v[8:9], v[4:5], -v[8:9]
	s_delay_alu instid0(VALU_DEP_3) | instskip(NEXT) | instid1(VALU_DEP_2)
	v_add_f64_e64 v[4:5], v[4:5], -v[26:27]
	v_add_f64_e32 v[8:9], v[6:7], v[8:9]
	s_delay_alu instid0(VALU_DEP_2) | instskip(NEXT) | instid1(VALU_DEP_2)
	v_add_f64_e32 v[4:5], v[6:7], v[4:5]
	v_add_f64_e32 v[12:13], v[10:11], v[8:9]
	s_delay_alu instid0(VALU_DEP_2) | instskip(NEXT) | instid1(VALU_DEP_2)
	v_add_f64_e32 v[26:27], v[16:17], v[4:5]
	v_rcp_f64_e32 v[14:15], v[12:13]
	v_add_f64_e64 v[10:11], v[12:13], -v[10:11]
	s_delay_alu instid0(VALU_DEP_2) | instskip(NEXT) | instid1(VALU_DEP_2)
	v_add_f64_e64 v[16:17], v[26:27], -v[16:17]
	v_add_f64_e64 v[8:9], v[8:9], -v[10:11]
	s_delay_alu instid0(VALU_DEP_2) | instskip(NEXT) | instid1(TRANS32_DEP_1)
	v_add_f64_e64 v[4:5], v[4:5], -v[16:17]
	v_fma_f64 v[28:29], -v[12:13], v[14:15], 1.0
	s_delay_alu instid0(VALU_DEP_1) | instskip(NEXT) | instid1(VALU_DEP_1)
	v_fmac_f64_e32 v[14:15], v[28:29], v[14:15]
	v_fma_f64 v[6:7], -v[12:13], v[14:15], 1.0
	s_delay_alu instid0(VALU_DEP_1) | instskip(NEXT) | instid1(VALU_DEP_1)
	v_fmac_f64_e32 v[14:15], v[6:7], v[14:15]
	v_mul_f64_e32 v[6:7], v[26:27], v[14:15]
	s_delay_alu instid0(VALU_DEP_1) | instskip(NEXT) | instid1(VALU_DEP_1)
	v_mul_f64_e32 v[28:29], v[12:13], v[6:7]
	v_fma_f64 v[10:11], v[6:7], v[12:13], -v[28:29]
	s_delay_alu instid0(VALU_DEP_1) | instskip(NEXT) | instid1(VALU_DEP_1)
	v_fmac_f64_e32 v[10:11], v[6:7], v[8:9]
	v_add_f64_e32 v[30:31], v[28:29], v[10:11]
	s_delay_alu instid0(VALU_DEP_1) | instskip(SKIP_1) | instid1(VALU_DEP_2)
	v_add_f64_e64 v[32:33], v[26:27], -v[30:31]
	v_add_f64_e64 v[16:17], v[30:31], -v[28:29]
	;; [unrolled: 1-line block ×3, first 2 shown]
	s_delay_alu instid0(VALU_DEP_2) | instskip(NEXT) | instid1(VALU_DEP_2)
	v_add_f64_e64 v[10:11], v[16:17], -v[10:11]
	v_add_f64_e64 v[26:27], v[26:27], -v[30:31]
	s_delay_alu instid0(VALU_DEP_1) | instskip(NEXT) | instid1(VALU_DEP_1)
	v_add_f64_e32 v[4:5], v[4:5], v[26:27]
	v_add_f64_e32 v[4:5], v[10:11], v[4:5]
	s_delay_alu instid0(VALU_DEP_1) | instskip(NEXT) | instid1(VALU_DEP_1)
	v_add_f64_e32 v[10:11], v[32:33], v[4:5]
	v_mul_f64_e32 v[16:17], v[14:15], v[10:11]
	v_add_f64_e64 v[30:31], v[32:33], -v[10:11]
	s_delay_alu instid0(VALU_DEP_2) | instskip(NEXT) | instid1(VALU_DEP_2)
	v_mul_f64_e32 v[26:27], v[12:13], v[16:17]
	v_add_f64_e32 v[4:5], v[4:5], v[30:31]
	s_delay_alu instid0(VALU_DEP_2) | instskip(NEXT) | instid1(VALU_DEP_1)
	v_fma_f64 v[12:13], v[16:17], v[12:13], -v[26:27]
	v_fmac_f64_e32 v[12:13], v[16:17], v[8:9]
	s_delay_alu instid0(VALU_DEP_1) | instskip(NEXT) | instid1(VALU_DEP_1)
	v_add_f64_e32 v[8:9], v[26:27], v[12:13]
	v_add_f64_e64 v[28:29], v[10:11], -v[8:9]
	v_add_f64_e64 v[26:27], v[8:9], -v[26:27]
	s_delay_alu instid0(VALU_DEP_2) | instskip(NEXT) | instid1(VALU_DEP_1)
	v_add_f64_e64 v[10:11], v[10:11], -v[28:29]
	v_add_f64_e64 v[8:9], v[10:11], -v[8:9]
	s_delay_alu instid0(VALU_DEP_3) | instskip(NEXT) | instid1(VALU_DEP_2)
	v_add_f64_e64 v[10:11], v[26:27], -v[12:13]
	v_add_f64_e32 v[4:5], v[4:5], v[8:9]
	v_add_f64_e32 v[8:9], v[6:7], v[16:17]
	s_delay_alu instid0(VALU_DEP_2) | instskip(NEXT) | instid1(VALU_DEP_2)
	v_add_f64_e32 v[4:5], v[10:11], v[4:5]
	v_add_f64_e64 v[6:7], v[8:9], -v[6:7]
	s_delay_alu instid0(VALU_DEP_2) | instskip(NEXT) | instid1(VALU_DEP_2)
	v_add_f64_e32 v[4:5], v[28:29], v[4:5]
	v_add_f64_e64 v[6:7], v[16:17], -v[6:7]
	s_delay_alu instid0(VALU_DEP_2) | instskip(NEXT) | instid1(VALU_DEP_1)
	v_mul_f64_e32 v[4:5], v[14:15], v[4:5]
	v_add_f64_e32 v[4:5], v[6:7], v[4:5]
	s_delay_alu instid0(VALU_DEP_1) | instskip(NEXT) | instid1(VALU_DEP_1)
	v_add_f64_e32 v[6:7], v[8:9], v[4:5]
	v_mul_f64_e32 v[10:11], v[6:7], v[6:7]
	s_delay_alu instid0(VALU_DEP_1) | instskip(SKIP_2) | instid1(VALU_DEP_2)
	v_fmaak_f64 v[12:13], s[16:17], v[10:11], 0x3fc385386b47b09a
	v_mul_f64_e32 v[14:15], v[6:7], v[10:11]
	s_mov_b64 s[16:17], 0x3fe62e42fefa39ef
	v_fmaak_f64 v[12:13], v[10:11], v[12:13], 0x3fc7474dd7f4df2e
	s_delay_alu instid0(VALU_DEP_1) | instskip(NEXT) | instid1(VALU_DEP_1)
	v_fmaak_f64 v[12:13], v[10:11], v[12:13], 0x3fcc71c016291751
	v_fmaak_f64 v[12:13], v[10:11], v[12:13], 0x3fd249249b27acf1
	s_delay_alu instid0(VALU_DEP_1) | instskip(NEXT) | instid1(VALU_DEP_1)
	v_fmaak_f64 v[12:13], v[10:11], v[12:13], 0x3fd99999998ef7b6
	v_fmaak_f64 v[10:11], v[10:11], v[12:13], 0x3fe5555555555780
	v_ldexp_f64 v[12:13], v[6:7], 1
	v_add_f64_e64 v[6:7], v[6:7], -v[8:9]
	s_delay_alu instid0(VALU_DEP_3) | instskip(SKIP_1) | instid1(VALU_DEP_3)
	v_mul_f64_e32 v[10:11], v[14:15], v[10:11]
	v_cvt_f64_i32_e32 v[14:15], v25
	v_add_f64_e64 v[4:5], v[4:5], -v[6:7]
	s_delay_alu instid0(VALU_DEP_3) | instskip(NEXT) | instid1(VALU_DEP_2)
	v_add_f64_e32 v[8:9], v[12:13], v[10:11]
	v_ldexp_f64 v[4:5], v[4:5], 1
	s_delay_alu instid0(VALU_DEP_2) | instskip(SKIP_1) | instid1(VALU_DEP_2)
	v_add_f64_e64 v[6:7], v[8:9], -v[12:13]
	v_mul_f64_e32 v[12:13], 0x3fe62e42fefa39ef, v[14:15]
	v_add_f64_e64 v[6:7], v[10:11], -v[6:7]
	s_delay_alu instid0(VALU_DEP_2) | instskip(NEXT) | instid1(VALU_DEP_2)
	v_fma_f64 v[10:11], v[14:15], s[16:17], -v[12:13]
	v_add_f64_e32 v[4:5], v[4:5], v[6:7]
	s_delay_alu instid0(VALU_DEP_2) | instskip(NEXT) | instid1(VALU_DEP_1)
	v_fmamk_f64 v[6:7], v[14:15], 0x3c7abc9e3b39803f, v[10:11]
	v_add_f64_e32 v[10:11], v[12:13], v[6:7]
	s_delay_alu instid0(VALU_DEP_3) | instskip(NEXT) | instid1(VALU_DEP_2)
	v_add_f64_e32 v[14:15], v[8:9], v[4:5]
	v_add_f64_e64 v[12:13], v[10:11], -v[12:13]
	s_delay_alu instid0(VALU_DEP_2) | instskip(SKIP_1) | instid1(VALU_DEP_3)
	v_add_f64_e32 v[16:17], v[10:11], v[14:15]
	v_add_f64_e64 v[8:9], v[14:15], -v[8:9]
	v_add_f64_e64 v[6:7], v[6:7], -v[12:13]
	s_delay_alu instid0(VALU_DEP_3) | instskip(NEXT) | instid1(VALU_DEP_3)
	v_add_f64_e64 v[26:27], v[16:17], -v[10:11]
	v_add_f64_e64 v[4:5], v[4:5], -v[8:9]
	s_delay_alu instid0(VALU_DEP_2) | instskip(SKIP_1) | instid1(VALU_DEP_3)
	v_add_f64_e64 v[28:29], v[16:17], -v[26:27]
	v_add_f64_e64 v[8:9], v[14:15], -v[26:27]
	v_add_f64_e32 v[12:13], v[6:7], v[4:5]
	s_delay_alu instid0(VALU_DEP_3) | instskip(NEXT) | instid1(VALU_DEP_1)
	v_add_f64_e64 v[10:11], v[10:11], -v[28:29]
	v_add_f64_e32 v[8:9], v[8:9], v[10:11]
	s_delay_alu instid0(VALU_DEP_3) | instskip(NEXT) | instid1(VALU_DEP_2)
	v_add_f64_e64 v[10:11], v[12:13], -v[6:7]
	v_add_f64_e32 v[8:9], v[12:13], v[8:9]
	s_delay_alu instid0(VALU_DEP_2) | instskip(SKIP_1) | instid1(VALU_DEP_3)
	v_add_f64_e64 v[12:13], v[12:13], -v[10:11]
	v_add_f64_e64 v[4:5], v[4:5], -v[10:11]
	v_add_f64_e32 v[14:15], v[16:17], v[8:9]
	s_delay_alu instid0(VALU_DEP_3) | instskip(NEXT) | instid1(VALU_DEP_2)
	v_add_f64_e64 v[6:7], v[6:7], -v[12:13]
	v_add_f64_e64 v[10:11], v[14:15], -v[16:17]
	s_delay_alu instid0(VALU_DEP_2) | instskip(NEXT) | instid1(VALU_DEP_2)
	v_add_f64_e32 v[4:5], v[4:5], v[6:7]
	v_add_f64_e64 v[6:7], v[8:9], -v[10:11]
	s_delay_alu instid0(VALU_DEP_1) | instskip(NEXT) | instid1(VALU_DEP_1)
	v_add_f64_e32 v[4:5], v[4:5], v[6:7]
	v_add_f64_e32 v[4:5], v[14:15], v[4:5]
	s_delay_alu instid0(VALU_DEP_1) | instskip(SKIP_1) | instid1(VALU_DEP_3)
	v_cndmask_b32_e32 v4, 0, v4, vcc_lo
	v_cmp_neq_f64_e32 vcc_lo, -1.0, v[2:3]
	v_cndmask_b32_e64 v5, 0x7ff00000, v5, s1
	s_delay_alu instid0(VALU_DEP_1) | instskip(NEXT) | instid1(VALU_DEP_1)
	v_cndmask_b32_e64 v5, 0x7ff80000, v5, s2
	v_cndmask_b32_e32 v5, 0xfff00000, v5, vcc_lo
	s_delay_alu instid0(VALU_DEP_1) | instskip(NEXT) | instid1(VALU_DEP_1)
	v_div_scale_f64 v[2:3], null, s[4:5], s[4:5], v[4:5]
	v_rcp_f64_e32 v[6:7], v[2:3]
	v_nop
	s_delay_alu instid0(TRANS32_DEP_1) | instskip(NEXT) | instid1(VALU_DEP_1)
	v_fma_f64 v[8:9], -v[2:3], v[6:7], 1.0
	v_fmac_f64_e32 v[6:7], v[6:7], v[8:9]
	s_delay_alu instid0(VALU_DEP_1) | instskip(NEXT) | instid1(VALU_DEP_1)
	v_fma_f64 v[8:9], -v[2:3], v[6:7], 1.0
	v_fmac_f64_e32 v[6:7], v[6:7], v[8:9]
	v_div_scale_f64 v[8:9], vcc_lo, v[4:5], s[4:5], v[4:5]
	s_delay_alu instid0(VALU_DEP_1) | instskip(NEXT) | instid1(VALU_DEP_1)
	v_mul_f64_e32 v[10:11], v[8:9], v[6:7]
	v_fma_f64 v[2:3], -v[2:3], v[10:11], v[8:9]
	s_delay_alu instid0(VALU_DEP_1) | instskip(NEXT) | instid1(VALU_DEP_1)
	v_div_fmas_f64 v[2:3], v[2:3], v[6:7], v[10:11]
	v_div_fixup_f64 v[10:11], v[2:3], s[4:5], v[4:5]
.LBB2_22:
	s_or_b32 exec_lo, exec_lo, s10
	v_mov_b32_e32 v12, 0
	s_delay_alu instid0(VALU_DEP_1) | instskip(SKIP_3) | instid1(VALU_DEP_4)
	v_dual_mov_b32 v13, v12 :: v_dual_mov_b32 v14, v12
	v_dual_mov_b32 v15, v12 :: v_dual_mov_b32 v16, v12
	v_mov_b32_e32 v17, v12
	v_mov_b64_e32 v[2:3], v[10:11]
	v_mov_b64_e32 v[4:5], v[12:13]
	s_delay_alu instid0(VALU_DEP_4) | instskip(NEXT) | instid1(VALU_DEP_4)
	v_mov_b64_e32 v[6:7], v[14:15]
	v_mov_b64_e32 v[8:9], v[16:17]
.LBB2_23:
	s_or_b32 exec_lo, exec_lo, s3
	s_delay_alu instid0(SALU_CYCLE_1)
	s_mov_b32 s3, exec_lo
	v_cmpx_gt_i32_e64 s14, v24
	s_cbranch_execz .LBB2_27
; %bb.24:
	s_wait_loadcnt 0x0
	v_mul_f64_e32 v[4:5], s[4:5], v[22:23]
	s_mov_b32 s10, exec_lo
	s_delay_alu instid0(VALU_DEP_1)
	v_cmpx_nlt_f64_e32 s[6:7], v[4:5]
	s_cbranch_execz .LBB2_26
; %bb.25:
	v_mul_f64_e32 v[10:11], 0x3ff71547652b82fe, v[4:5]
	s_mov_b64 s[16:17], 0x3e5ade156a5dcb37
	v_cmp_nlt_f64_e32 vcc_lo, 0x40900000, v[4:5]
	v_cmp_ngt_f64_e64 s1, 0xc090cc00, v[4:5]
	s_delay_alu instid0(VALU_DEP_3) | instskip(NEXT) | instid1(VALU_DEP_1)
	v_rndne_f64_e32 v[10:11], v[10:11]
	v_fmamk_f64 v[12:13], v[10:11], 0xbfe62e42fefa39ef, v[4:5]
	v_cvt_i32_f64_e32 v16, v[10:11]
	s_delay_alu instid0(VALU_DEP_2) | instskip(NEXT) | instid1(VALU_DEP_1)
	v_fmamk_f64 v[12:13], v[10:11], 0xbc7abc9e3b39803f, v[12:13]
	v_fmaak_f64 v[14:15], s[16:17], v[12:13], 0x3e928af3fca7ab0c
	s_mov_b64 s[16:17], 0x3fe5555555555555
	s_delay_alu instid0(VALU_DEP_1) | instskip(NEXT) | instid1(VALU_DEP_1)
	v_fmaak_f64 v[14:15], v[12:13], v[14:15], 0x3ec71dee623fde64
	v_fmaak_f64 v[14:15], v[12:13], v[14:15], 0x3efa01997c89e6b0
	s_delay_alu instid0(VALU_DEP_1) | instskip(NEXT) | instid1(VALU_DEP_1)
	v_fmaak_f64 v[14:15], v[12:13], v[14:15], 0x3f2a01a014761f6e
	v_fmaak_f64 v[14:15], v[12:13], v[14:15], 0x3f56c16c1852b7b0
	;; [unrolled: 3-line block ×4, first 2 shown]
	s_delay_alu instid0(VALU_DEP_1) | instskip(NEXT) | instid1(VALU_DEP_1)
	v_fma_f64 v[14:15], v[12:13], v[14:15], 1.0
	v_fma_f64 v[10:11], v[12:13], v[14:15], 1.0
	s_delay_alu instid0(VALU_DEP_1) | instskip(NEXT) | instid1(VALU_DEP_1)
	v_ldexp_f64 v[10:11], v[10:11], v16
	v_cndmask_b32_e32 v11, 0x7ff00000, v11, vcc_lo
	s_and_b32 vcc_lo, s1, vcc_lo
	s_delay_alu instid0(VALU_DEP_1) | instid1(SALU_CYCLE_1)
	v_dual_cndmask_b32 v4, 0, v10, vcc_lo :: v_dual_cndmask_b32 v5, 0, v11, s1
	s_delay_alu instid0(VALU_DEP_1) | instskip(SKIP_2) | instid1(VALU_DEP_3)
	v_add_f64_e32 v[10:11], 1.0, v[4:5]
	v_cmp_neq_f64_e64 s1, 0x7ff00000, v[4:5]
	v_cmp_ngt_f64_e64 s2, -1.0, v[4:5]
	v_frexp_mant_f64_e32 v[12:13], v[10:11]
	v_frexp_exp_i32_f64_e32 v16, v[10:11]
	v_add_f64_e32 v[14:15], -1.0, v[10:11]
	s_delay_alu instid0(VALU_DEP_3) | instskip(SKIP_1) | instid1(VALU_DEP_2)
	v_cmp_gt_f64_e32 vcc_lo, s[16:17], v[12:13]
	s_mov_b64 s[16:17], 0x3fc3ab76bf559e2b
	v_add_f64_e64 v[12:13], v[14:15], -v[10:11]
	v_add_f64_e64 v[14:15], v[4:5], -v[14:15]
	v_subrev_co_ci_u32_e64 v25, null, 0, v16, vcc_lo
	v_cmp_nge_f64_e32 vcc_lo, -1.0, v[4:5]
	s_delay_alu instid0(VALU_DEP_2) | instskip(NEXT) | instid1(VALU_DEP_1)
	v_sub_nc_u32_e32 v22, 0, v25
	v_ldexp_f64 v[10:11], v[10:11], v22
	s_and_b32 vcc_lo, vcc_lo, s1
	v_add_f64_e32 v[12:13], 1.0, v[12:13]
	s_delay_alu instid0(VALU_DEP_2) | instskip(SKIP_1) | instid1(VALU_DEP_3)
	v_add_f64_e32 v[16:17], 1.0, v[10:11]
	v_add_f64_e32 v[28:29], -1.0, v[10:11]
	v_add_f64_e32 v[12:13], v[14:15], v[12:13]
	s_delay_alu instid0(VALU_DEP_3) | instskip(NEXT) | instid1(VALU_DEP_3)
	v_add_f64_e32 v[14:15], -1.0, v[16:17]
	v_add_f64_e32 v[30:31], 1.0, v[28:29]
	s_delay_alu instid0(VALU_DEP_3) | instskip(NEXT) | instid1(VALU_DEP_3)
	v_ldexp_f64 v[12:13], v[12:13], v22
	v_add_f64_e64 v[14:15], v[10:11], -v[14:15]
	s_delay_alu instid0(VALU_DEP_3) | instskip(NEXT) | instid1(VALU_DEP_2)
	v_add_f64_e64 v[10:11], v[10:11], -v[30:31]
	v_add_f64_e32 v[14:15], v[12:13], v[14:15]
	s_delay_alu instid0(VALU_DEP_2) | instskip(NEXT) | instid1(VALU_DEP_2)
	v_add_f64_e32 v[10:11], v[12:13], v[10:11]
	v_add_f64_e32 v[22:23], v[16:17], v[14:15]
	s_delay_alu instid0(VALU_DEP_2) | instskip(NEXT) | instid1(VALU_DEP_2)
	v_add_f64_e32 v[30:31], v[28:29], v[10:11]
	v_rcp_f64_e32 v[26:27], v[22:23]
	v_add_f64_e64 v[16:17], v[22:23], -v[16:17]
	s_delay_alu instid0(VALU_DEP_2) | instskip(NEXT) | instid1(VALU_DEP_2)
	v_add_f64_e64 v[28:29], v[30:31], -v[28:29]
	v_add_f64_e64 v[14:15], v[14:15], -v[16:17]
	s_delay_alu instid0(VALU_DEP_2) | instskip(NEXT) | instid1(TRANS32_DEP_1)
	v_add_f64_e64 v[10:11], v[10:11], -v[28:29]
	v_fma_f64 v[32:33], -v[22:23], v[26:27], 1.0
	s_delay_alu instid0(VALU_DEP_1) | instskip(NEXT) | instid1(VALU_DEP_1)
	v_fmac_f64_e32 v[26:27], v[32:33], v[26:27]
	v_fma_f64 v[12:13], -v[22:23], v[26:27], 1.0
	s_delay_alu instid0(VALU_DEP_1) | instskip(NEXT) | instid1(VALU_DEP_1)
	v_fmac_f64_e32 v[26:27], v[12:13], v[26:27]
	v_mul_f64_e32 v[12:13], v[30:31], v[26:27]
	s_delay_alu instid0(VALU_DEP_1) | instskip(NEXT) | instid1(VALU_DEP_1)
	v_mul_f64_e32 v[32:33], v[22:23], v[12:13]
	v_fma_f64 v[16:17], v[12:13], v[22:23], -v[32:33]
	s_delay_alu instid0(VALU_DEP_1) | instskip(NEXT) | instid1(VALU_DEP_1)
	v_fmac_f64_e32 v[16:17], v[12:13], v[14:15]
	v_add_f64_e32 v[34:35], v[32:33], v[16:17]
	s_delay_alu instid0(VALU_DEP_1) | instskip(SKIP_1) | instid1(VALU_DEP_2)
	v_add_f64_e64 v[36:37], v[30:31], -v[34:35]
	v_add_f64_e64 v[28:29], v[34:35], -v[32:33]
	;; [unrolled: 1-line block ×3, first 2 shown]
	s_delay_alu instid0(VALU_DEP_2) | instskip(NEXT) | instid1(VALU_DEP_2)
	v_add_f64_e64 v[16:17], v[28:29], -v[16:17]
	v_add_f64_e64 v[30:31], v[30:31], -v[34:35]
	s_delay_alu instid0(VALU_DEP_1) | instskip(NEXT) | instid1(VALU_DEP_1)
	v_add_f64_e32 v[10:11], v[10:11], v[30:31]
	v_add_f64_e32 v[10:11], v[16:17], v[10:11]
	s_delay_alu instid0(VALU_DEP_1) | instskip(NEXT) | instid1(VALU_DEP_1)
	v_add_f64_e32 v[16:17], v[36:37], v[10:11]
	v_mul_f64_e32 v[28:29], v[26:27], v[16:17]
	v_add_f64_e64 v[34:35], v[36:37], -v[16:17]
	s_delay_alu instid0(VALU_DEP_2) | instskip(NEXT) | instid1(VALU_DEP_2)
	v_mul_f64_e32 v[30:31], v[22:23], v[28:29]
	v_add_f64_e32 v[10:11], v[10:11], v[34:35]
	s_delay_alu instid0(VALU_DEP_2) | instskip(NEXT) | instid1(VALU_DEP_1)
	v_fma_f64 v[22:23], v[28:29], v[22:23], -v[30:31]
	v_fmac_f64_e32 v[22:23], v[28:29], v[14:15]
	s_delay_alu instid0(VALU_DEP_1) | instskip(NEXT) | instid1(VALU_DEP_1)
	v_add_f64_e32 v[14:15], v[30:31], v[22:23]
	v_add_f64_e64 v[32:33], v[16:17], -v[14:15]
	v_add_f64_e64 v[30:31], v[14:15], -v[30:31]
	s_delay_alu instid0(VALU_DEP_2) | instskip(NEXT) | instid1(VALU_DEP_1)
	v_add_f64_e64 v[16:17], v[16:17], -v[32:33]
	v_add_f64_e64 v[14:15], v[16:17], -v[14:15]
	s_delay_alu instid0(VALU_DEP_3) | instskip(NEXT) | instid1(VALU_DEP_2)
	v_add_f64_e64 v[16:17], v[30:31], -v[22:23]
	v_add_f64_e32 v[10:11], v[10:11], v[14:15]
	v_add_f64_e32 v[14:15], v[12:13], v[28:29]
	s_delay_alu instid0(VALU_DEP_2) | instskip(NEXT) | instid1(VALU_DEP_2)
	v_add_f64_e32 v[10:11], v[16:17], v[10:11]
	v_add_f64_e64 v[12:13], v[14:15], -v[12:13]
	s_delay_alu instid0(VALU_DEP_2) | instskip(NEXT) | instid1(VALU_DEP_2)
	v_add_f64_e32 v[10:11], v[32:33], v[10:11]
	v_add_f64_e64 v[12:13], v[28:29], -v[12:13]
	s_delay_alu instid0(VALU_DEP_2) | instskip(NEXT) | instid1(VALU_DEP_1)
	v_mul_f64_e32 v[10:11], v[26:27], v[10:11]
	v_add_f64_e32 v[10:11], v[12:13], v[10:11]
	s_delay_alu instid0(VALU_DEP_1) | instskip(NEXT) | instid1(VALU_DEP_1)
	v_add_f64_e32 v[12:13], v[14:15], v[10:11]
	v_mul_f64_e32 v[16:17], v[12:13], v[12:13]
	s_delay_alu instid0(VALU_DEP_1) | instskip(SKIP_2) | instid1(VALU_DEP_2)
	v_fmaak_f64 v[22:23], s[16:17], v[16:17], 0x3fc385386b47b09a
	v_mul_f64_e32 v[26:27], v[12:13], v[16:17]
	s_mov_b64 s[16:17], 0x3fe62e42fefa39ef
	v_fmaak_f64 v[22:23], v[16:17], v[22:23], 0x3fc7474dd7f4df2e
	s_delay_alu instid0(VALU_DEP_1) | instskip(NEXT) | instid1(VALU_DEP_1)
	v_fmaak_f64 v[22:23], v[16:17], v[22:23], 0x3fcc71c016291751
	v_fmaak_f64 v[22:23], v[16:17], v[22:23], 0x3fd249249b27acf1
	s_delay_alu instid0(VALU_DEP_1) | instskip(NEXT) | instid1(VALU_DEP_1)
	v_fmaak_f64 v[22:23], v[16:17], v[22:23], 0x3fd99999998ef7b6
	v_fmaak_f64 v[16:17], v[16:17], v[22:23], 0x3fe5555555555780
	v_ldexp_f64 v[22:23], v[12:13], 1
	v_add_f64_e64 v[12:13], v[12:13], -v[14:15]
	s_delay_alu instid0(VALU_DEP_3) | instskip(SKIP_1) | instid1(VALU_DEP_3)
	v_mul_f64_e32 v[16:17], v[26:27], v[16:17]
	v_cvt_f64_i32_e32 v[26:27], v25
	v_add_f64_e64 v[10:11], v[10:11], -v[12:13]
	s_delay_alu instid0(VALU_DEP_3) | instskip(NEXT) | instid1(VALU_DEP_2)
	v_add_f64_e32 v[14:15], v[22:23], v[16:17]
	v_ldexp_f64 v[10:11], v[10:11], 1
	s_delay_alu instid0(VALU_DEP_2) | instskip(SKIP_1) | instid1(VALU_DEP_2)
	v_add_f64_e64 v[12:13], v[14:15], -v[22:23]
	v_mul_f64_e32 v[22:23], 0x3fe62e42fefa39ef, v[26:27]
	v_add_f64_e64 v[12:13], v[16:17], -v[12:13]
	s_delay_alu instid0(VALU_DEP_2) | instskip(NEXT) | instid1(VALU_DEP_2)
	v_fma_f64 v[16:17], v[26:27], s[16:17], -v[22:23]
	v_add_f64_e32 v[10:11], v[10:11], v[12:13]
	s_delay_alu instid0(VALU_DEP_2) | instskip(NEXT) | instid1(VALU_DEP_1)
	v_fmamk_f64 v[12:13], v[26:27], 0x3c7abc9e3b39803f, v[16:17]
	v_add_f64_e32 v[16:17], v[22:23], v[12:13]
	s_delay_alu instid0(VALU_DEP_3) | instskip(NEXT) | instid1(VALU_DEP_2)
	v_add_f64_e32 v[26:27], v[14:15], v[10:11]
	v_add_f64_e64 v[22:23], v[16:17], -v[22:23]
	s_delay_alu instid0(VALU_DEP_2) | instskip(SKIP_1) | instid1(VALU_DEP_3)
	v_add_f64_e32 v[28:29], v[16:17], v[26:27]
	v_add_f64_e64 v[14:15], v[26:27], -v[14:15]
	v_add_f64_e64 v[12:13], v[12:13], -v[22:23]
	s_delay_alu instid0(VALU_DEP_3) | instskip(NEXT) | instid1(VALU_DEP_3)
	v_add_f64_e64 v[30:31], v[28:29], -v[16:17]
	v_add_f64_e64 v[10:11], v[10:11], -v[14:15]
	s_delay_alu instid0(VALU_DEP_2) | instskip(SKIP_1) | instid1(VALU_DEP_3)
	v_add_f64_e64 v[32:33], v[28:29], -v[30:31]
	v_add_f64_e64 v[14:15], v[26:27], -v[30:31]
	v_add_f64_e32 v[22:23], v[12:13], v[10:11]
	s_delay_alu instid0(VALU_DEP_3) | instskip(NEXT) | instid1(VALU_DEP_1)
	v_add_f64_e64 v[16:17], v[16:17], -v[32:33]
	v_add_f64_e32 v[14:15], v[14:15], v[16:17]
	s_delay_alu instid0(VALU_DEP_3) | instskip(NEXT) | instid1(VALU_DEP_2)
	v_add_f64_e64 v[16:17], v[22:23], -v[12:13]
	v_add_f64_e32 v[14:15], v[22:23], v[14:15]
	s_delay_alu instid0(VALU_DEP_2) | instskip(SKIP_1) | instid1(VALU_DEP_3)
	v_add_f64_e64 v[22:23], v[22:23], -v[16:17]
	v_add_f64_e64 v[10:11], v[10:11], -v[16:17]
	v_add_f64_e32 v[26:27], v[28:29], v[14:15]
	s_delay_alu instid0(VALU_DEP_3) | instskip(NEXT) | instid1(VALU_DEP_2)
	v_add_f64_e64 v[12:13], v[12:13], -v[22:23]
	v_add_f64_e64 v[16:17], v[26:27], -v[28:29]
	s_delay_alu instid0(VALU_DEP_2) | instskip(NEXT) | instid1(VALU_DEP_2)
	v_add_f64_e32 v[10:11], v[10:11], v[12:13]
	v_add_f64_e64 v[12:13], v[14:15], -v[16:17]
	s_delay_alu instid0(VALU_DEP_1) | instskip(NEXT) | instid1(VALU_DEP_1)
	v_add_f64_e32 v[10:11], v[10:11], v[12:13]
	v_add_f64_e32 v[10:11], v[26:27], v[10:11]
	s_delay_alu instid0(VALU_DEP_1) | instskip(SKIP_1) | instid1(VALU_DEP_3)
	v_cndmask_b32_e32 v10, 0, v10, vcc_lo
	v_cmp_neq_f64_e32 vcc_lo, -1.0, v[4:5]
	v_cndmask_b32_e64 v11, 0x7ff00000, v11, s1
	s_delay_alu instid0(VALU_DEP_1) | instskip(NEXT) | instid1(VALU_DEP_1)
	v_cndmask_b32_e64 v11, 0x7ff80000, v11, s2
	v_cndmask_b32_e32 v11, 0xfff00000, v11, vcc_lo
	s_delay_alu instid0(VALU_DEP_1) | instskip(NEXT) | instid1(VALU_DEP_1)
	v_div_scale_f64 v[4:5], null, s[4:5], s[4:5], v[10:11]
	v_rcp_f64_e32 v[12:13], v[4:5]
	v_nop
	s_delay_alu instid0(TRANS32_DEP_1) | instskip(NEXT) | instid1(VALU_DEP_1)
	v_fma_f64 v[14:15], -v[4:5], v[12:13], 1.0
	v_fmac_f64_e32 v[12:13], v[12:13], v[14:15]
	s_delay_alu instid0(VALU_DEP_1) | instskip(NEXT) | instid1(VALU_DEP_1)
	v_fma_f64 v[14:15], -v[4:5], v[12:13], 1.0
	v_fmac_f64_e32 v[12:13], v[12:13], v[14:15]
	v_div_scale_f64 v[14:15], vcc_lo, v[10:11], s[4:5], v[10:11]
	s_delay_alu instid0(VALU_DEP_1) | instskip(NEXT) | instid1(VALU_DEP_1)
	v_mul_f64_e32 v[16:17], v[14:15], v[12:13]
	v_fma_f64 v[4:5], -v[4:5], v[16:17], v[14:15]
	s_delay_alu instid0(VALU_DEP_1) | instskip(NEXT) | instid1(VALU_DEP_1)
	v_div_fmas_f64 v[4:5], v[4:5], v[12:13], v[16:17]
	v_div_fixup_f64 v[22:23], v[4:5], s[4:5], v[10:11]
.LBB2_26:
	s_or_b32 exec_lo, exec_lo, s10
	s_delay_alu instid0(VALU_DEP_1)
	v_dual_mov_b32 v4, v22 :: v_dual_mov_b32 v5, v23
.LBB2_27:
	s_or_b32 exec_lo, exec_lo, s3
	s_wait_loadcnt 0x0
	v_or_b32_e32 v10, 0x200, v0
	s_mov_b32 s3, exec_lo
	s_delay_alu instid0(VALU_DEP_1)
	v_cmpx_gt_i32_e64 s14, v10
	s_cbranch_execz .LBB2_31
; %bb.28:
	v_mul_f64_e32 v[6:7], s[4:5], v[20:21]
	s_mov_b32 s10, exec_lo
	s_delay_alu instid0(VALU_DEP_1)
	v_cmpx_nlt_f64_e32 s[6:7], v[6:7]
	s_cbranch_execz .LBB2_30
; %bb.29:
	v_mul_f64_e32 v[10:11], 0x3ff71547652b82fe, v[6:7]
	s_mov_b64 s[16:17], 0x3e5ade156a5dcb37
	v_cmp_nlt_f64_e32 vcc_lo, 0x40900000, v[6:7]
	v_cmp_ngt_f64_e64 s1, 0xc090cc00, v[6:7]
	s_delay_alu instid0(VALU_DEP_3) | instskip(NEXT) | instid1(VALU_DEP_1)
	v_rndne_f64_e32 v[10:11], v[10:11]
	v_fmamk_f64 v[12:13], v[10:11], 0xbfe62e42fefa39ef, v[6:7]
	v_cvt_i32_f64_e32 v16, v[10:11]
	s_delay_alu instid0(VALU_DEP_2) | instskip(NEXT) | instid1(VALU_DEP_1)
	v_fmamk_f64 v[12:13], v[10:11], 0xbc7abc9e3b39803f, v[12:13]
	v_fmaak_f64 v[14:15], s[16:17], v[12:13], 0x3e928af3fca7ab0c
	s_mov_b64 s[16:17], 0x3fe5555555555555
	s_delay_alu instid0(VALU_DEP_1) | instskip(NEXT) | instid1(VALU_DEP_1)
	v_fmaak_f64 v[14:15], v[12:13], v[14:15], 0x3ec71dee623fde64
	v_fmaak_f64 v[14:15], v[12:13], v[14:15], 0x3efa01997c89e6b0
	s_delay_alu instid0(VALU_DEP_1) | instskip(NEXT) | instid1(VALU_DEP_1)
	v_fmaak_f64 v[14:15], v[12:13], v[14:15], 0x3f2a01a014761f6e
	v_fmaak_f64 v[14:15], v[12:13], v[14:15], 0x3f56c16c1852b7b0
	;; [unrolled: 3-line block ×4, first 2 shown]
	s_delay_alu instid0(VALU_DEP_1) | instskip(NEXT) | instid1(VALU_DEP_1)
	v_fma_f64 v[14:15], v[12:13], v[14:15], 1.0
	v_fma_f64 v[10:11], v[12:13], v[14:15], 1.0
	s_delay_alu instid0(VALU_DEP_1) | instskip(NEXT) | instid1(VALU_DEP_1)
	v_ldexp_f64 v[10:11], v[10:11], v16
	v_cndmask_b32_e32 v11, 0x7ff00000, v11, vcc_lo
	s_and_b32 vcc_lo, s1, vcc_lo
	s_delay_alu instid0(VALU_DEP_1) | instid1(SALU_CYCLE_1)
	v_dual_cndmask_b32 v6, 0, v10, vcc_lo :: v_dual_cndmask_b32 v7, 0, v11, s1
	s_delay_alu instid0(VALU_DEP_1) | instskip(SKIP_2) | instid1(VALU_DEP_3)
	v_add_f64_e32 v[10:11], 1.0, v[6:7]
	v_cmp_neq_f64_e64 s1, 0x7ff00000, v[6:7]
	v_cmp_ngt_f64_e64 s2, -1.0, v[6:7]
	v_frexp_mant_f64_e32 v[12:13], v[10:11]
	v_frexp_exp_i32_f64_e32 v16, v[10:11]
	v_add_f64_e32 v[14:15], -1.0, v[10:11]
	s_delay_alu instid0(VALU_DEP_3) | instskip(SKIP_1) | instid1(VALU_DEP_2)
	v_cmp_gt_f64_e32 vcc_lo, s[16:17], v[12:13]
	s_mov_b64 s[16:17], 0x3fc3ab76bf559e2b
	v_add_f64_e64 v[12:13], v[14:15], -v[10:11]
	v_add_f64_e64 v[14:15], v[6:7], -v[14:15]
	v_subrev_co_ci_u32_e64 v25, null, 0, v16, vcc_lo
	v_cmp_nge_f64_e32 vcc_lo, -1.0, v[6:7]
	s_delay_alu instid0(VALU_DEP_2) | instskip(NEXT) | instid1(VALU_DEP_1)
	v_sub_nc_u32_e32 v20, 0, v25
	v_ldexp_f64 v[10:11], v[10:11], v20
	s_and_b32 vcc_lo, vcc_lo, s1
	v_add_f64_e32 v[12:13], 1.0, v[12:13]
	s_delay_alu instid0(VALU_DEP_2) | instskip(SKIP_1) | instid1(VALU_DEP_3)
	v_add_f64_e32 v[16:17], 1.0, v[10:11]
	v_add_f64_e32 v[26:27], -1.0, v[10:11]
	v_add_f64_e32 v[12:13], v[14:15], v[12:13]
	s_delay_alu instid0(VALU_DEP_3) | instskip(NEXT) | instid1(VALU_DEP_3)
	v_add_f64_e32 v[14:15], -1.0, v[16:17]
	v_add_f64_e32 v[28:29], 1.0, v[26:27]
	s_delay_alu instid0(VALU_DEP_3) | instskip(NEXT) | instid1(VALU_DEP_3)
	v_ldexp_f64 v[12:13], v[12:13], v20
	v_add_f64_e64 v[14:15], v[10:11], -v[14:15]
	s_delay_alu instid0(VALU_DEP_3) | instskip(NEXT) | instid1(VALU_DEP_2)
	v_add_f64_e64 v[10:11], v[10:11], -v[28:29]
	v_add_f64_e32 v[14:15], v[12:13], v[14:15]
	s_delay_alu instid0(VALU_DEP_2) | instskip(NEXT) | instid1(VALU_DEP_2)
	v_add_f64_e32 v[10:11], v[12:13], v[10:11]
	v_add_f64_e32 v[20:21], v[16:17], v[14:15]
	s_delay_alu instid0(VALU_DEP_2) | instskip(NEXT) | instid1(VALU_DEP_2)
	v_add_f64_e32 v[28:29], v[26:27], v[10:11]
	v_rcp_f64_e32 v[22:23], v[20:21]
	v_add_f64_e64 v[16:17], v[20:21], -v[16:17]
	s_delay_alu instid0(VALU_DEP_2) | instskip(NEXT) | instid1(VALU_DEP_2)
	v_add_f64_e64 v[26:27], v[28:29], -v[26:27]
	v_add_f64_e64 v[14:15], v[14:15], -v[16:17]
	s_delay_alu instid0(VALU_DEP_2) | instskip(NEXT) | instid1(TRANS32_DEP_1)
	v_add_f64_e64 v[10:11], v[10:11], -v[26:27]
	v_fma_f64 v[30:31], -v[20:21], v[22:23], 1.0
	s_delay_alu instid0(VALU_DEP_1) | instskip(NEXT) | instid1(VALU_DEP_1)
	v_fmac_f64_e32 v[22:23], v[30:31], v[22:23]
	v_fma_f64 v[12:13], -v[20:21], v[22:23], 1.0
	s_delay_alu instid0(VALU_DEP_1) | instskip(NEXT) | instid1(VALU_DEP_1)
	v_fmac_f64_e32 v[22:23], v[12:13], v[22:23]
	v_mul_f64_e32 v[12:13], v[28:29], v[22:23]
	s_delay_alu instid0(VALU_DEP_1) | instskip(NEXT) | instid1(VALU_DEP_1)
	v_mul_f64_e32 v[30:31], v[20:21], v[12:13]
	v_fma_f64 v[16:17], v[12:13], v[20:21], -v[30:31]
	s_delay_alu instid0(VALU_DEP_1) | instskip(NEXT) | instid1(VALU_DEP_1)
	v_fmac_f64_e32 v[16:17], v[12:13], v[14:15]
	v_add_f64_e32 v[32:33], v[30:31], v[16:17]
	s_delay_alu instid0(VALU_DEP_1) | instskip(SKIP_1) | instid1(VALU_DEP_2)
	v_add_f64_e64 v[34:35], v[28:29], -v[32:33]
	v_add_f64_e64 v[26:27], v[32:33], -v[30:31]
	v_add_f64_e64 v[28:29], v[28:29], -v[34:35]
	s_delay_alu instid0(VALU_DEP_2) | instskip(NEXT) | instid1(VALU_DEP_2)
	v_add_f64_e64 v[16:17], v[26:27], -v[16:17]
	v_add_f64_e64 v[28:29], v[28:29], -v[32:33]
	s_delay_alu instid0(VALU_DEP_1) | instskip(NEXT) | instid1(VALU_DEP_1)
	v_add_f64_e32 v[10:11], v[10:11], v[28:29]
	v_add_f64_e32 v[10:11], v[16:17], v[10:11]
	s_delay_alu instid0(VALU_DEP_1) | instskip(NEXT) | instid1(VALU_DEP_1)
	v_add_f64_e32 v[16:17], v[34:35], v[10:11]
	v_mul_f64_e32 v[26:27], v[22:23], v[16:17]
	v_add_f64_e64 v[32:33], v[34:35], -v[16:17]
	s_delay_alu instid0(VALU_DEP_2) | instskip(NEXT) | instid1(VALU_DEP_2)
	v_mul_f64_e32 v[28:29], v[20:21], v[26:27]
	v_add_f64_e32 v[10:11], v[10:11], v[32:33]
	s_delay_alu instid0(VALU_DEP_2) | instskip(NEXT) | instid1(VALU_DEP_1)
	v_fma_f64 v[20:21], v[26:27], v[20:21], -v[28:29]
	v_fmac_f64_e32 v[20:21], v[26:27], v[14:15]
	s_delay_alu instid0(VALU_DEP_1) | instskip(NEXT) | instid1(VALU_DEP_1)
	v_add_f64_e32 v[14:15], v[28:29], v[20:21]
	v_add_f64_e64 v[30:31], v[16:17], -v[14:15]
	v_add_f64_e64 v[28:29], v[14:15], -v[28:29]
	s_delay_alu instid0(VALU_DEP_2) | instskip(NEXT) | instid1(VALU_DEP_1)
	v_add_f64_e64 v[16:17], v[16:17], -v[30:31]
	v_add_f64_e64 v[14:15], v[16:17], -v[14:15]
	s_delay_alu instid0(VALU_DEP_3) | instskip(NEXT) | instid1(VALU_DEP_2)
	v_add_f64_e64 v[16:17], v[28:29], -v[20:21]
	v_add_f64_e32 v[10:11], v[10:11], v[14:15]
	v_add_f64_e32 v[14:15], v[12:13], v[26:27]
	s_delay_alu instid0(VALU_DEP_2) | instskip(NEXT) | instid1(VALU_DEP_2)
	v_add_f64_e32 v[10:11], v[16:17], v[10:11]
	v_add_f64_e64 v[12:13], v[14:15], -v[12:13]
	s_delay_alu instid0(VALU_DEP_2) | instskip(NEXT) | instid1(VALU_DEP_2)
	v_add_f64_e32 v[10:11], v[30:31], v[10:11]
	v_add_f64_e64 v[12:13], v[26:27], -v[12:13]
	s_delay_alu instid0(VALU_DEP_2) | instskip(NEXT) | instid1(VALU_DEP_1)
	v_mul_f64_e32 v[10:11], v[22:23], v[10:11]
	v_add_f64_e32 v[10:11], v[12:13], v[10:11]
	s_delay_alu instid0(VALU_DEP_1) | instskip(NEXT) | instid1(VALU_DEP_1)
	v_add_f64_e32 v[12:13], v[14:15], v[10:11]
	v_mul_f64_e32 v[16:17], v[12:13], v[12:13]
	s_delay_alu instid0(VALU_DEP_1) | instskip(SKIP_2) | instid1(VALU_DEP_2)
	v_fmaak_f64 v[20:21], s[16:17], v[16:17], 0x3fc385386b47b09a
	v_mul_f64_e32 v[22:23], v[12:13], v[16:17]
	s_mov_b64 s[16:17], 0x3fe62e42fefa39ef
	v_fmaak_f64 v[20:21], v[16:17], v[20:21], 0x3fc7474dd7f4df2e
	s_delay_alu instid0(VALU_DEP_1) | instskip(NEXT) | instid1(VALU_DEP_1)
	v_fmaak_f64 v[20:21], v[16:17], v[20:21], 0x3fcc71c016291751
	v_fmaak_f64 v[20:21], v[16:17], v[20:21], 0x3fd249249b27acf1
	s_delay_alu instid0(VALU_DEP_1) | instskip(NEXT) | instid1(VALU_DEP_1)
	v_fmaak_f64 v[20:21], v[16:17], v[20:21], 0x3fd99999998ef7b6
	v_fmaak_f64 v[16:17], v[16:17], v[20:21], 0x3fe5555555555780
	v_ldexp_f64 v[20:21], v[12:13], 1
	v_add_f64_e64 v[12:13], v[12:13], -v[14:15]
	s_delay_alu instid0(VALU_DEP_3) | instskip(SKIP_1) | instid1(VALU_DEP_3)
	v_mul_f64_e32 v[16:17], v[22:23], v[16:17]
	v_cvt_f64_i32_e32 v[22:23], v25
	v_add_f64_e64 v[10:11], v[10:11], -v[12:13]
	s_delay_alu instid0(VALU_DEP_3) | instskip(NEXT) | instid1(VALU_DEP_2)
	v_add_f64_e32 v[14:15], v[20:21], v[16:17]
	v_ldexp_f64 v[10:11], v[10:11], 1
	s_delay_alu instid0(VALU_DEP_2) | instskip(SKIP_1) | instid1(VALU_DEP_2)
	v_add_f64_e64 v[12:13], v[14:15], -v[20:21]
	v_mul_f64_e32 v[20:21], 0x3fe62e42fefa39ef, v[22:23]
	v_add_f64_e64 v[12:13], v[16:17], -v[12:13]
	s_delay_alu instid0(VALU_DEP_2) | instskip(NEXT) | instid1(VALU_DEP_2)
	v_fma_f64 v[16:17], v[22:23], s[16:17], -v[20:21]
	v_add_f64_e32 v[10:11], v[10:11], v[12:13]
	s_delay_alu instid0(VALU_DEP_2) | instskip(NEXT) | instid1(VALU_DEP_1)
	v_fmamk_f64 v[12:13], v[22:23], 0x3c7abc9e3b39803f, v[16:17]
	v_add_f64_e32 v[16:17], v[20:21], v[12:13]
	s_delay_alu instid0(VALU_DEP_3) | instskip(NEXT) | instid1(VALU_DEP_2)
	v_add_f64_e32 v[22:23], v[14:15], v[10:11]
	v_add_f64_e64 v[20:21], v[16:17], -v[20:21]
	s_delay_alu instid0(VALU_DEP_2) | instskip(SKIP_1) | instid1(VALU_DEP_3)
	v_add_f64_e32 v[26:27], v[16:17], v[22:23]
	v_add_f64_e64 v[14:15], v[22:23], -v[14:15]
	v_add_f64_e64 v[12:13], v[12:13], -v[20:21]
	s_delay_alu instid0(VALU_DEP_3) | instskip(NEXT) | instid1(VALU_DEP_3)
	v_add_f64_e64 v[28:29], v[26:27], -v[16:17]
	v_add_f64_e64 v[10:11], v[10:11], -v[14:15]
	s_delay_alu instid0(VALU_DEP_2) | instskip(SKIP_1) | instid1(VALU_DEP_3)
	v_add_f64_e64 v[30:31], v[26:27], -v[28:29]
	v_add_f64_e64 v[14:15], v[22:23], -v[28:29]
	v_add_f64_e32 v[20:21], v[12:13], v[10:11]
	s_delay_alu instid0(VALU_DEP_3) | instskip(NEXT) | instid1(VALU_DEP_1)
	v_add_f64_e64 v[16:17], v[16:17], -v[30:31]
	v_add_f64_e32 v[14:15], v[14:15], v[16:17]
	s_delay_alu instid0(VALU_DEP_3) | instskip(NEXT) | instid1(VALU_DEP_2)
	v_add_f64_e64 v[16:17], v[20:21], -v[12:13]
	v_add_f64_e32 v[14:15], v[20:21], v[14:15]
	s_delay_alu instid0(VALU_DEP_2) | instskip(SKIP_1) | instid1(VALU_DEP_3)
	v_add_f64_e64 v[20:21], v[20:21], -v[16:17]
	v_add_f64_e64 v[10:11], v[10:11], -v[16:17]
	v_add_f64_e32 v[22:23], v[26:27], v[14:15]
	s_delay_alu instid0(VALU_DEP_3) | instskip(NEXT) | instid1(VALU_DEP_2)
	v_add_f64_e64 v[12:13], v[12:13], -v[20:21]
	v_add_f64_e64 v[16:17], v[22:23], -v[26:27]
	s_delay_alu instid0(VALU_DEP_2) | instskip(NEXT) | instid1(VALU_DEP_2)
	v_add_f64_e32 v[10:11], v[10:11], v[12:13]
	v_add_f64_e64 v[12:13], v[14:15], -v[16:17]
	s_delay_alu instid0(VALU_DEP_1) | instskip(NEXT) | instid1(VALU_DEP_1)
	v_add_f64_e32 v[10:11], v[10:11], v[12:13]
	v_add_f64_e32 v[10:11], v[22:23], v[10:11]
	s_delay_alu instid0(VALU_DEP_1) | instskip(SKIP_1) | instid1(VALU_DEP_3)
	v_cndmask_b32_e32 v10, 0, v10, vcc_lo
	v_cmp_neq_f64_e32 vcc_lo, -1.0, v[6:7]
	v_cndmask_b32_e64 v11, 0x7ff00000, v11, s1
	s_delay_alu instid0(VALU_DEP_1) | instskip(NEXT) | instid1(VALU_DEP_1)
	v_cndmask_b32_e64 v11, 0x7ff80000, v11, s2
	v_cndmask_b32_e32 v11, 0xfff00000, v11, vcc_lo
	s_delay_alu instid0(VALU_DEP_1) | instskip(NEXT) | instid1(VALU_DEP_1)
	v_div_scale_f64 v[6:7], null, s[4:5], s[4:5], v[10:11]
	v_rcp_f64_e32 v[12:13], v[6:7]
	v_nop
	s_delay_alu instid0(TRANS32_DEP_1) | instskip(NEXT) | instid1(VALU_DEP_1)
	v_fma_f64 v[14:15], -v[6:7], v[12:13], 1.0
	v_fmac_f64_e32 v[12:13], v[12:13], v[14:15]
	s_delay_alu instid0(VALU_DEP_1) | instskip(NEXT) | instid1(VALU_DEP_1)
	v_fma_f64 v[14:15], -v[6:7], v[12:13], 1.0
	v_fmac_f64_e32 v[12:13], v[12:13], v[14:15]
	v_div_scale_f64 v[14:15], vcc_lo, v[10:11], s[4:5], v[10:11]
	s_delay_alu instid0(VALU_DEP_1) | instskip(NEXT) | instid1(VALU_DEP_1)
	v_mul_f64_e32 v[16:17], v[14:15], v[12:13]
	v_fma_f64 v[6:7], -v[6:7], v[16:17], v[14:15]
	s_delay_alu instid0(VALU_DEP_1) | instskip(NEXT) | instid1(VALU_DEP_1)
	v_div_fmas_f64 v[6:7], v[6:7], v[12:13], v[16:17]
	v_div_fixup_f64 v[20:21], v[6:7], s[4:5], v[10:11]
.LBB2_30:
	s_or_b32 exec_lo, exec_lo, s10
	s_delay_alu instid0(VALU_DEP_1)
	v_dual_mov_b32 v6, v20 :: v_dual_mov_b32 v7, v21
.LBB2_31:
	s_or_b32 exec_lo, exec_lo, s3
	v_or_b32_e32 v10, 0x300, v0
	s_mov_b32 s3, exec_lo
	s_delay_alu instid0(VALU_DEP_1)
	v_cmpx_gt_i32_e64 s14, v10
	s_cbranch_execnz .LBB2_38
; %bb.32:
	s_or_b32 exec_lo, exec_lo, s3
	s_and_saveexec_b32 s1, s0
	s_delay_alu instid0(SALU_CYCLE_1)
	s_xor_b32 s0, exec_lo, s1
	s_cbranch_execnz .LBB2_41
.LBB2_33:
	s_or_b32 exec_lo, exec_lo, s0
	s_delay_alu instid0(SALU_CYCLE_1)
	s_mov_b32 s0, exec_lo
	v_cmpx_gt_i32_e64 s14, v0
	s_cbranch_execnz .LBB2_42
.LBB2_34:
	s_or_b32 exec_lo, exec_lo, s0
	s_delay_alu instid0(SALU_CYCLE_1)
	s_mov_b32 s0, exec_lo
	v_cmpx_gt_i32_e64 s14, v0
	s_cbranch_execnz .LBB2_43
.LBB2_35:
	s_or_b32 exec_lo, exec_lo, s0
	s_delay_alu instid0(SALU_CYCLE_1)
	s_mov_b32 s0, exec_lo
	v_cmpx_gt_i32_e64 s14, v0
	s_cbranch_execz .LBB2_37
.LBB2_36:
	v_add_nc_u32_e32 v0, s12, v0
	global_store_b64 v0, v[8:9], s[8:9] scale_offset
.LBB2_37:
	s_endpgm
.LBB2_38:
	v_mul_f64_e32 v[8:9], s[4:5], v[18:19]
	s_delay_alu instid0(VALU_DEP_1)
	v_cmp_nlt_f64_e32 vcc_lo, s[6:7], v[8:9]
	s_and_saveexec_b32 s6, vcc_lo
	s_cbranch_execz .LBB2_40
; %bb.39:
	v_mul_f64_e32 v[10:11], 0x3ff71547652b82fe, v[8:9]
	s_mov_b64 s[10:11], 0x3e5ade156a5dcb37
	v_cmp_nlt_f64_e32 vcc_lo, 0x40900000, v[8:9]
	v_cmp_ngt_f64_e64 s1, 0xc090cc00, v[8:9]
	s_delay_alu instid0(VALU_DEP_3) | instskip(NEXT) | instid1(VALU_DEP_1)
	v_rndne_f64_e32 v[10:11], v[10:11]
	v_fmamk_f64 v[12:13], v[10:11], 0xbfe62e42fefa39ef, v[8:9]
	v_cvt_i32_f64_e32 v16, v[10:11]
	s_delay_alu instid0(VALU_DEP_2) | instskip(NEXT) | instid1(VALU_DEP_1)
	v_fmamk_f64 v[12:13], v[10:11], 0xbc7abc9e3b39803f, v[12:13]
	v_fmaak_f64 v[14:15], s[10:11], v[12:13], 0x3e928af3fca7ab0c
	s_mov_b64 s[10:11], 0x3fe5555555555555
	s_delay_alu instid0(VALU_DEP_1) | instskip(NEXT) | instid1(VALU_DEP_1)
	v_fmaak_f64 v[14:15], v[12:13], v[14:15], 0x3ec71dee623fde64
	v_fmaak_f64 v[14:15], v[12:13], v[14:15], 0x3efa01997c89e6b0
	s_delay_alu instid0(VALU_DEP_1) | instskip(NEXT) | instid1(VALU_DEP_1)
	v_fmaak_f64 v[14:15], v[12:13], v[14:15], 0x3f2a01a014761f6e
	v_fmaak_f64 v[14:15], v[12:13], v[14:15], 0x3f56c16c1852b7b0
	;; [unrolled: 3-line block ×4, first 2 shown]
	s_delay_alu instid0(VALU_DEP_1) | instskip(NEXT) | instid1(VALU_DEP_1)
	v_fma_f64 v[14:15], v[12:13], v[14:15], 1.0
	v_fma_f64 v[10:11], v[12:13], v[14:15], 1.0
	s_delay_alu instid0(VALU_DEP_1) | instskip(NEXT) | instid1(VALU_DEP_1)
	v_ldexp_f64 v[10:11], v[10:11], v16
	v_cndmask_b32_e32 v11, 0x7ff00000, v11, vcc_lo
	s_and_b32 vcc_lo, s1, vcc_lo
	s_delay_alu instid0(VALU_DEP_1) | instid1(SALU_CYCLE_1)
	v_dual_cndmask_b32 v8, 0, v10, vcc_lo :: v_dual_cndmask_b32 v9, 0, v11, s1
	s_delay_alu instid0(VALU_DEP_1) | instskip(SKIP_2) | instid1(VALU_DEP_3)
	v_add_f64_e32 v[10:11], 1.0, v[8:9]
	v_cmp_neq_f64_e64 s1, 0x7ff00000, v[8:9]
	v_cmp_ngt_f64_e64 s2, -1.0, v[8:9]
	v_frexp_mant_f64_e32 v[12:13], v[10:11]
	v_frexp_exp_i32_f64_e32 v16, v[10:11]
	v_add_f64_e32 v[14:15], -1.0, v[10:11]
	s_delay_alu instid0(VALU_DEP_3) | instskip(SKIP_1) | instid1(VALU_DEP_2)
	v_cmp_gt_f64_e32 vcc_lo, s[10:11], v[12:13]
	s_mov_b64 s[10:11], 0x3fc3ab76bf559e2b
	v_add_f64_e64 v[12:13], v[14:15], -v[10:11]
	v_add_f64_e64 v[14:15], v[8:9], -v[14:15]
	v_subrev_co_ci_u32_e64 v25, null, 0, v16, vcc_lo
	v_cmp_nge_f64_e32 vcc_lo, -1.0, v[8:9]
	s_delay_alu instid0(VALU_DEP_2) | instskip(NEXT) | instid1(VALU_DEP_1)
	v_sub_nc_u32_e32 v18, 0, v25
	v_ldexp_f64 v[10:11], v[10:11], v18
	s_and_b32 vcc_lo, vcc_lo, s1
	v_add_f64_e32 v[12:13], 1.0, v[12:13]
	s_delay_alu instid0(VALU_DEP_2) | instskip(SKIP_1) | instid1(VALU_DEP_3)
	v_add_f64_e32 v[16:17], 1.0, v[10:11]
	v_add_f64_e32 v[22:23], -1.0, v[10:11]
	v_add_f64_e32 v[12:13], v[14:15], v[12:13]
	s_delay_alu instid0(VALU_DEP_3) | instskip(NEXT) | instid1(VALU_DEP_3)
	v_add_f64_e32 v[14:15], -1.0, v[16:17]
	v_add_f64_e32 v[26:27], 1.0, v[22:23]
	s_delay_alu instid0(VALU_DEP_3) | instskip(NEXT) | instid1(VALU_DEP_3)
	v_ldexp_f64 v[12:13], v[12:13], v18
	v_add_f64_e64 v[14:15], v[10:11], -v[14:15]
	s_delay_alu instid0(VALU_DEP_3) | instskip(NEXT) | instid1(VALU_DEP_2)
	v_add_f64_e64 v[10:11], v[10:11], -v[26:27]
	v_add_f64_e32 v[14:15], v[12:13], v[14:15]
	s_delay_alu instid0(VALU_DEP_2) | instskip(NEXT) | instid1(VALU_DEP_2)
	v_add_f64_e32 v[10:11], v[12:13], v[10:11]
	v_add_f64_e32 v[18:19], v[16:17], v[14:15]
	s_delay_alu instid0(VALU_DEP_2) | instskip(NEXT) | instid1(VALU_DEP_2)
	v_add_f64_e32 v[26:27], v[22:23], v[10:11]
	v_rcp_f64_e32 v[20:21], v[18:19]
	v_add_f64_e64 v[16:17], v[18:19], -v[16:17]
	s_delay_alu instid0(VALU_DEP_2) | instskip(NEXT) | instid1(VALU_DEP_2)
	v_add_f64_e64 v[22:23], v[26:27], -v[22:23]
	v_add_f64_e64 v[14:15], v[14:15], -v[16:17]
	s_delay_alu instid0(VALU_DEP_2) | instskip(NEXT) | instid1(TRANS32_DEP_1)
	v_add_f64_e64 v[10:11], v[10:11], -v[22:23]
	v_fma_f64 v[28:29], -v[18:19], v[20:21], 1.0
	s_delay_alu instid0(VALU_DEP_1) | instskip(NEXT) | instid1(VALU_DEP_1)
	v_fmac_f64_e32 v[20:21], v[28:29], v[20:21]
	v_fma_f64 v[12:13], -v[18:19], v[20:21], 1.0
	s_delay_alu instid0(VALU_DEP_1) | instskip(NEXT) | instid1(VALU_DEP_1)
	v_fmac_f64_e32 v[20:21], v[12:13], v[20:21]
	v_mul_f64_e32 v[12:13], v[26:27], v[20:21]
	s_delay_alu instid0(VALU_DEP_1) | instskip(NEXT) | instid1(VALU_DEP_1)
	v_mul_f64_e32 v[28:29], v[18:19], v[12:13]
	v_fma_f64 v[16:17], v[12:13], v[18:19], -v[28:29]
	s_delay_alu instid0(VALU_DEP_1) | instskip(NEXT) | instid1(VALU_DEP_1)
	v_fmac_f64_e32 v[16:17], v[12:13], v[14:15]
	v_add_f64_e32 v[30:31], v[28:29], v[16:17]
	s_delay_alu instid0(VALU_DEP_1) | instskip(SKIP_1) | instid1(VALU_DEP_2)
	v_add_f64_e64 v[32:33], v[26:27], -v[30:31]
	v_add_f64_e64 v[22:23], v[30:31], -v[28:29]
	;; [unrolled: 1-line block ×3, first 2 shown]
	s_delay_alu instid0(VALU_DEP_2) | instskip(NEXT) | instid1(VALU_DEP_2)
	v_add_f64_e64 v[16:17], v[22:23], -v[16:17]
	v_add_f64_e64 v[26:27], v[26:27], -v[30:31]
	s_delay_alu instid0(VALU_DEP_1) | instskip(NEXT) | instid1(VALU_DEP_1)
	v_add_f64_e32 v[10:11], v[10:11], v[26:27]
	v_add_f64_e32 v[10:11], v[16:17], v[10:11]
	s_delay_alu instid0(VALU_DEP_1) | instskip(NEXT) | instid1(VALU_DEP_1)
	v_add_f64_e32 v[16:17], v[32:33], v[10:11]
	v_mul_f64_e32 v[22:23], v[20:21], v[16:17]
	v_add_f64_e64 v[30:31], v[32:33], -v[16:17]
	s_delay_alu instid0(VALU_DEP_2) | instskip(NEXT) | instid1(VALU_DEP_2)
	v_mul_f64_e32 v[26:27], v[18:19], v[22:23]
	v_add_f64_e32 v[10:11], v[10:11], v[30:31]
	s_delay_alu instid0(VALU_DEP_2) | instskip(NEXT) | instid1(VALU_DEP_1)
	v_fma_f64 v[18:19], v[22:23], v[18:19], -v[26:27]
	v_fmac_f64_e32 v[18:19], v[22:23], v[14:15]
	s_delay_alu instid0(VALU_DEP_1) | instskip(NEXT) | instid1(VALU_DEP_1)
	v_add_f64_e32 v[14:15], v[26:27], v[18:19]
	v_add_f64_e64 v[28:29], v[16:17], -v[14:15]
	v_add_f64_e64 v[26:27], v[14:15], -v[26:27]
	s_delay_alu instid0(VALU_DEP_2) | instskip(NEXT) | instid1(VALU_DEP_1)
	v_add_f64_e64 v[16:17], v[16:17], -v[28:29]
	v_add_f64_e64 v[14:15], v[16:17], -v[14:15]
	s_delay_alu instid0(VALU_DEP_3) | instskip(NEXT) | instid1(VALU_DEP_2)
	v_add_f64_e64 v[16:17], v[26:27], -v[18:19]
	v_add_f64_e32 v[10:11], v[10:11], v[14:15]
	v_add_f64_e32 v[14:15], v[12:13], v[22:23]
	s_delay_alu instid0(VALU_DEP_2) | instskip(NEXT) | instid1(VALU_DEP_2)
	v_add_f64_e32 v[10:11], v[16:17], v[10:11]
	v_add_f64_e64 v[12:13], v[14:15], -v[12:13]
	s_delay_alu instid0(VALU_DEP_2) | instskip(NEXT) | instid1(VALU_DEP_2)
	v_add_f64_e32 v[10:11], v[28:29], v[10:11]
	v_add_f64_e64 v[12:13], v[22:23], -v[12:13]
	s_delay_alu instid0(VALU_DEP_2) | instskip(NEXT) | instid1(VALU_DEP_1)
	v_mul_f64_e32 v[10:11], v[20:21], v[10:11]
	v_add_f64_e32 v[10:11], v[12:13], v[10:11]
	s_delay_alu instid0(VALU_DEP_1) | instskip(NEXT) | instid1(VALU_DEP_1)
	v_add_f64_e32 v[12:13], v[14:15], v[10:11]
	v_mul_f64_e32 v[16:17], v[12:13], v[12:13]
	s_delay_alu instid0(VALU_DEP_1) | instskip(SKIP_2) | instid1(VALU_DEP_2)
	v_fmaak_f64 v[18:19], s[10:11], v[16:17], 0x3fc385386b47b09a
	v_mul_f64_e32 v[20:21], v[12:13], v[16:17]
	s_mov_b64 s[10:11], 0x3fe62e42fefa39ef
	v_fmaak_f64 v[18:19], v[16:17], v[18:19], 0x3fc7474dd7f4df2e
	s_delay_alu instid0(VALU_DEP_1) | instskip(NEXT) | instid1(VALU_DEP_1)
	v_fmaak_f64 v[18:19], v[16:17], v[18:19], 0x3fcc71c016291751
	v_fmaak_f64 v[18:19], v[16:17], v[18:19], 0x3fd249249b27acf1
	s_delay_alu instid0(VALU_DEP_1) | instskip(NEXT) | instid1(VALU_DEP_1)
	v_fmaak_f64 v[18:19], v[16:17], v[18:19], 0x3fd99999998ef7b6
	v_fmaak_f64 v[16:17], v[16:17], v[18:19], 0x3fe5555555555780
	v_ldexp_f64 v[18:19], v[12:13], 1
	v_add_f64_e64 v[12:13], v[12:13], -v[14:15]
	s_delay_alu instid0(VALU_DEP_3) | instskip(SKIP_1) | instid1(VALU_DEP_3)
	v_mul_f64_e32 v[16:17], v[20:21], v[16:17]
	v_cvt_f64_i32_e32 v[20:21], v25
	v_add_f64_e64 v[10:11], v[10:11], -v[12:13]
	s_delay_alu instid0(VALU_DEP_3) | instskip(NEXT) | instid1(VALU_DEP_2)
	v_add_f64_e32 v[14:15], v[18:19], v[16:17]
	v_ldexp_f64 v[10:11], v[10:11], 1
	s_delay_alu instid0(VALU_DEP_2) | instskip(SKIP_1) | instid1(VALU_DEP_2)
	v_add_f64_e64 v[12:13], v[14:15], -v[18:19]
	v_mul_f64_e32 v[18:19], 0x3fe62e42fefa39ef, v[20:21]
	v_add_f64_e64 v[12:13], v[16:17], -v[12:13]
	s_delay_alu instid0(VALU_DEP_2) | instskip(NEXT) | instid1(VALU_DEP_2)
	v_fma_f64 v[16:17], v[20:21], s[10:11], -v[18:19]
	v_add_f64_e32 v[10:11], v[10:11], v[12:13]
	s_delay_alu instid0(VALU_DEP_2) | instskip(NEXT) | instid1(VALU_DEP_1)
	v_fmamk_f64 v[12:13], v[20:21], 0x3c7abc9e3b39803f, v[16:17]
	v_add_f64_e32 v[16:17], v[18:19], v[12:13]
	s_delay_alu instid0(VALU_DEP_3) | instskip(NEXT) | instid1(VALU_DEP_2)
	v_add_f64_e32 v[20:21], v[14:15], v[10:11]
	v_add_f64_e64 v[18:19], v[16:17], -v[18:19]
	s_delay_alu instid0(VALU_DEP_2) | instskip(SKIP_1) | instid1(VALU_DEP_3)
	v_add_f64_e32 v[22:23], v[16:17], v[20:21]
	v_add_f64_e64 v[14:15], v[20:21], -v[14:15]
	v_add_f64_e64 v[12:13], v[12:13], -v[18:19]
	s_delay_alu instid0(VALU_DEP_3) | instskip(NEXT) | instid1(VALU_DEP_3)
	v_add_f64_e64 v[26:27], v[22:23], -v[16:17]
	v_add_f64_e64 v[10:11], v[10:11], -v[14:15]
	s_delay_alu instid0(VALU_DEP_2) | instskip(SKIP_1) | instid1(VALU_DEP_3)
	v_add_f64_e64 v[28:29], v[22:23], -v[26:27]
	v_add_f64_e64 v[14:15], v[20:21], -v[26:27]
	v_add_f64_e32 v[18:19], v[12:13], v[10:11]
	s_delay_alu instid0(VALU_DEP_3) | instskip(NEXT) | instid1(VALU_DEP_1)
	v_add_f64_e64 v[16:17], v[16:17], -v[28:29]
	v_add_f64_e32 v[14:15], v[14:15], v[16:17]
	s_delay_alu instid0(VALU_DEP_3) | instskip(NEXT) | instid1(VALU_DEP_2)
	v_add_f64_e64 v[16:17], v[18:19], -v[12:13]
	v_add_f64_e32 v[14:15], v[18:19], v[14:15]
	s_delay_alu instid0(VALU_DEP_2) | instskip(SKIP_1) | instid1(VALU_DEP_3)
	v_add_f64_e64 v[18:19], v[18:19], -v[16:17]
	v_add_f64_e64 v[10:11], v[10:11], -v[16:17]
	v_add_f64_e32 v[20:21], v[22:23], v[14:15]
	s_delay_alu instid0(VALU_DEP_3) | instskip(NEXT) | instid1(VALU_DEP_2)
	v_add_f64_e64 v[12:13], v[12:13], -v[18:19]
	v_add_f64_e64 v[16:17], v[20:21], -v[22:23]
	s_delay_alu instid0(VALU_DEP_2) | instskip(NEXT) | instid1(VALU_DEP_2)
	v_add_f64_e32 v[10:11], v[10:11], v[12:13]
	v_add_f64_e64 v[12:13], v[14:15], -v[16:17]
	s_delay_alu instid0(VALU_DEP_1) | instskip(NEXT) | instid1(VALU_DEP_1)
	v_add_f64_e32 v[10:11], v[10:11], v[12:13]
	v_add_f64_e32 v[10:11], v[20:21], v[10:11]
	s_delay_alu instid0(VALU_DEP_1) | instskip(SKIP_1) | instid1(VALU_DEP_3)
	v_cndmask_b32_e32 v10, 0, v10, vcc_lo
	v_cmp_neq_f64_e32 vcc_lo, -1.0, v[8:9]
	v_cndmask_b32_e64 v11, 0x7ff00000, v11, s1
	s_delay_alu instid0(VALU_DEP_1) | instskip(NEXT) | instid1(VALU_DEP_1)
	v_cndmask_b32_e64 v11, 0x7ff80000, v11, s2
	v_cndmask_b32_e32 v11, 0xfff00000, v11, vcc_lo
	s_delay_alu instid0(VALU_DEP_1) | instskip(NEXT) | instid1(VALU_DEP_1)
	v_div_scale_f64 v[8:9], null, s[4:5], s[4:5], v[10:11]
	v_rcp_f64_e32 v[12:13], v[8:9]
	v_nop
	s_delay_alu instid0(TRANS32_DEP_1) | instskip(NEXT) | instid1(VALU_DEP_1)
	v_fma_f64 v[14:15], -v[8:9], v[12:13], 1.0
	v_fmac_f64_e32 v[12:13], v[12:13], v[14:15]
	s_delay_alu instid0(VALU_DEP_1) | instskip(NEXT) | instid1(VALU_DEP_1)
	v_fma_f64 v[14:15], -v[8:9], v[12:13], 1.0
	v_fmac_f64_e32 v[12:13], v[12:13], v[14:15]
	v_div_scale_f64 v[14:15], vcc_lo, v[10:11], s[4:5], v[10:11]
	s_delay_alu instid0(VALU_DEP_1) | instskip(NEXT) | instid1(VALU_DEP_1)
	v_mul_f64_e32 v[16:17], v[14:15], v[12:13]
	v_fma_f64 v[8:9], -v[8:9], v[16:17], v[14:15]
	s_delay_alu instid0(VALU_DEP_1) | instskip(NEXT) | instid1(VALU_DEP_1)
	v_div_fmas_f64 v[8:9], v[8:9], v[12:13], v[16:17]
	v_div_fixup_f64 v[18:19], v[8:9], s[4:5], v[10:11]
.LBB2_40:
	s_or_b32 exec_lo, exec_lo, s6
	s_delay_alu instid0(VALU_DEP_1) | instskip(SKIP_2) | instid1(SALU_CYCLE_1)
	v_dual_mov_b32 v8, v18 :: v_dual_mov_b32 v9, v19
	s_or_b32 exec_lo, exec_lo, s3
	s_and_saveexec_b32 s1, s0
	s_xor_b32 s0, exec_lo, s1
	s_cbranch_execz .LBB2_33
.LBB2_41:
	v_mov_b32_e32 v0, v24
	global_store_b64 v1, v[2:3], s[8:9] scale_offset
	s_wait_xcnt 0x0
	s_or_b32 exec_lo, exec_lo, s0
	s_delay_alu instid0(SALU_CYCLE_1)
	s_mov_b32 s0, exec_lo
	v_cmpx_gt_i32_e64 s14, v0
	s_cbranch_execz .LBB2_34
.LBB2_42:
	v_add_nc_u32_e32 v1, s12, v0
	v_add_nc_u32_e32 v0, 0x100, v0
	global_store_b64 v1, v[4:5], s[8:9] scale_offset
	s_wait_xcnt 0x0
	s_or_b32 exec_lo, exec_lo, s0
	s_delay_alu instid0(SALU_CYCLE_1)
	s_mov_b32 s0, exec_lo
	v_cmpx_gt_i32_e64 s14, v0
	s_cbranch_execz .LBB2_35
.LBB2_43:
	v_add_nc_u32_e32 v1, s12, v0
	v_add_nc_u32_e32 v0, 0x100, v0
	global_store_b64 v1, v[6:7], s[8:9] scale_offset
	s_wait_xcnt 0x0
	s_or_b32 exec_lo, exec_lo, s0
	s_delay_alu instid0(SALU_CYCLE_1)
	s_mov_b32 s0, exec_lo
	v_cmpx_gt_i32_e64 s14, v0
	s_cbranch_execnz .LBB2_36
	s_branch .LBB2_37
	.section	.rodata,"a",@progbits
	.p2align	6, 0x0
	.amdhsa_kernel _ZN2at6native29vectorized_elementwise_kernelILi4EZZZNS0_12_GLOBAL__N_115softplus_kernelERNS_18TensorIteratorBaseERKN3c106ScalarES8_ENKUlvE_clEvENKUlvE_clEvEUldE_St5arrayIPcLm2EEEEviT0_T1_
		.amdhsa_group_segment_fixed_size 0
		.amdhsa_private_segment_fixed_size 0
		.amdhsa_kernarg_size 40
		.amdhsa_user_sgpr_count 2
		.amdhsa_user_sgpr_dispatch_ptr 0
		.amdhsa_user_sgpr_queue_ptr 0
		.amdhsa_user_sgpr_kernarg_segment_ptr 1
		.amdhsa_user_sgpr_dispatch_id 0
		.amdhsa_user_sgpr_kernarg_preload_length 0
		.amdhsa_user_sgpr_kernarg_preload_offset 0
		.amdhsa_user_sgpr_private_segment_size 0
		.amdhsa_wavefront_size32 1
		.amdhsa_uses_dynamic_stack 0
		.amdhsa_enable_private_segment 0
		.amdhsa_system_sgpr_workgroup_id_x 1
		.amdhsa_system_sgpr_workgroup_id_y 0
		.amdhsa_system_sgpr_workgroup_id_z 0
		.amdhsa_system_sgpr_workgroup_info 0
		.amdhsa_system_vgpr_workitem_id 0
		.amdhsa_next_free_vgpr 38
		.amdhsa_next_free_sgpr 18
		.amdhsa_named_barrier_count 0
		.amdhsa_reserve_vcc 1
		.amdhsa_float_round_mode_32 0
		.amdhsa_float_round_mode_16_64 0
		.amdhsa_float_denorm_mode_32 3
		.amdhsa_float_denorm_mode_16_64 3
		.amdhsa_fp16_overflow 0
		.amdhsa_memory_ordered 1
		.amdhsa_forward_progress 1
		.amdhsa_inst_pref_size 95
		.amdhsa_round_robin_scheduling 0
		.amdhsa_exception_fp_ieee_invalid_op 0
		.amdhsa_exception_fp_denorm_src 0
		.amdhsa_exception_fp_ieee_div_zero 0
		.amdhsa_exception_fp_ieee_overflow 0
		.amdhsa_exception_fp_ieee_underflow 0
		.amdhsa_exception_fp_ieee_inexact 0
		.amdhsa_exception_int_div_zero 0
	.end_amdhsa_kernel
	.section	.text._ZN2at6native29vectorized_elementwise_kernelILi4EZZZNS0_12_GLOBAL__N_115softplus_kernelERNS_18TensorIteratorBaseERKN3c106ScalarES8_ENKUlvE_clEvENKUlvE_clEvEUldE_St5arrayIPcLm2EEEEviT0_T1_,"axG",@progbits,_ZN2at6native29vectorized_elementwise_kernelILi4EZZZNS0_12_GLOBAL__N_115softplus_kernelERNS_18TensorIteratorBaseERKN3c106ScalarES8_ENKUlvE_clEvENKUlvE_clEvEUldE_St5arrayIPcLm2EEEEviT0_T1_,comdat
.Lfunc_end2:
	.size	_ZN2at6native29vectorized_elementwise_kernelILi4EZZZNS0_12_GLOBAL__N_115softplus_kernelERNS_18TensorIteratorBaseERKN3c106ScalarES8_ENKUlvE_clEvENKUlvE_clEvEUldE_St5arrayIPcLm2EEEEviT0_T1_, .Lfunc_end2-_ZN2at6native29vectorized_elementwise_kernelILi4EZZZNS0_12_GLOBAL__N_115softplus_kernelERNS_18TensorIteratorBaseERKN3c106ScalarES8_ENKUlvE_clEvENKUlvE_clEvEUldE_St5arrayIPcLm2EEEEviT0_T1_
                                        ; -- End function
	.set _ZN2at6native29vectorized_elementwise_kernelILi4EZZZNS0_12_GLOBAL__N_115softplus_kernelERNS_18TensorIteratorBaseERKN3c106ScalarES8_ENKUlvE_clEvENKUlvE_clEvEUldE_St5arrayIPcLm2EEEEviT0_T1_.num_vgpr, 38
	.set _ZN2at6native29vectorized_elementwise_kernelILi4EZZZNS0_12_GLOBAL__N_115softplus_kernelERNS_18TensorIteratorBaseERKN3c106ScalarES8_ENKUlvE_clEvENKUlvE_clEvEUldE_St5arrayIPcLm2EEEEviT0_T1_.num_agpr, 0
	.set _ZN2at6native29vectorized_elementwise_kernelILi4EZZZNS0_12_GLOBAL__N_115softplus_kernelERNS_18TensorIteratorBaseERKN3c106ScalarES8_ENKUlvE_clEvENKUlvE_clEvEUldE_St5arrayIPcLm2EEEEviT0_T1_.numbered_sgpr, 18
	.set _ZN2at6native29vectorized_elementwise_kernelILi4EZZZNS0_12_GLOBAL__N_115softplus_kernelERNS_18TensorIteratorBaseERKN3c106ScalarES8_ENKUlvE_clEvENKUlvE_clEvEUldE_St5arrayIPcLm2EEEEviT0_T1_.num_named_barrier, 0
	.set _ZN2at6native29vectorized_elementwise_kernelILi4EZZZNS0_12_GLOBAL__N_115softplus_kernelERNS_18TensorIteratorBaseERKN3c106ScalarES8_ENKUlvE_clEvENKUlvE_clEvEUldE_St5arrayIPcLm2EEEEviT0_T1_.private_seg_size, 0
	.set _ZN2at6native29vectorized_elementwise_kernelILi4EZZZNS0_12_GLOBAL__N_115softplus_kernelERNS_18TensorIteratorBaseERKN3c106ScalarES8_ENKUlvE_clEvENKUlvE_clEvEUldE_St5arrayIPcLm2EEEEviT0_T1_.uses_vcc, 1
	.set _ZN2at6native29vectorized_elementwise_kernelILi4EZZZNS0_12_GLOBAL__N_115softplus_kernelERNS_18TensorIteratorBaseERKN3c106ScalarES8_ENKUlvE_clEvENKUlvE_clEvEUldE_St5arrayIPcLm2EEEEviT0_T1_.uses_flat_scratch, 0
	.set _ZN2at6native29vectorized_elementwise_kernelILi4EZZZNS0_12_GLOBAL__N_115softplus_kernelERNS_18TensorIteratorBaseERKN3c106ScalarES8_ENKUlvE_clEvENKUlvE_clEvEUldE_St5arrayIPcLm2EEEEviT0_T1_.has_dyn_sized_stack, 0
	.set _ZN2at6native29vectorized_elementwise_kernelILi4EZZZNS0_12_GLOBAL__N_115softplus_kernelERNS_18TensorIteratorBaseERKN3c106ScalarES8_ENKUlvE_clEvENKUlvE_clEvEUldE_St5arrayIPcLm2EEEEviT0_T1_.has_recursion, 0
	.set _ZN2at6native29vectorized_elementwise_kernelILi4EZZZNS0_12_GLOBAL__N_115softplus_kernelERNS_18TensorIteratorBaseERKN3c106ScalarES8_ENKUlvE_clEvENKUlvE_clEvEUldE_St5arrayIPcLm2EEEEviT0_T1_.has_indirect_call, 0
	.section	.AMDGPU.csdata,"",@progbits
; Kernel info:
; codeLenInByte = 12056
; TotalNumSgprs: 20
; NumVgprs: 38
; ScratchSize: 0
; MemoryBound: 1
; FloatMode: 240
; IeeeMode: 1
; LDSByteSize: 0 bytes/workgroup (compile time only)
; SGPRBlocks: 0
; VGPRBlocks: 2
; NumSGPRsForWavesPerEU: 20
; NumVGPRsForWavesPerEU: 38
; NamedBarCnt: 0
; Occupancy: 16
; WaveLimiterHint : 0
; COMPUTE_PGM_RSRC2:SCRATCH_EN: 0
; COMPUTE_PGM_RSRC2:USER_SGPR: 2
; COMPUTE_PGM_RSRC2:TRAP_HANDLER: 0
; COMPUTE_PGM_RSRC2:TGID_X_EN: 1
; COMPUTE_PGM_RSRC2:TGID_Y_EN: 0
; COMPUTE_PGM_RSRC2:TGID_Z_EN: 0
; COMPUTE_PGM_RSRC2:TIDIG_COMP_CNT: 0
	.section	.text._ZN2at6native29vectorized_elementwise_kernelILi2EZZZNS0_12_GLOBAL__N_115softplus_kernelERNS_18TensorIteratorBaseERKN3c106ScalarES8_ENKUlvE_clEvENKUlvE_clEvEUldE_St5arrayIPcLm2EEEEviT0_T1_,"axG",@progbits,_ZN2at6native29vectorized_elementwise_kernelILi2EZZZNS0_12_GLOBAL__N_115softplus_kernelERNS_18TensorIteratorBaseERKN3c106ScalarES8_ENKUlvE_clEvENKUlvE_clEvEUldE_St5arrayIPcLm2EEEEviT0_T1_,comdat
	.globl	_ZN2at6native29vectorized_elementwise_kernelILi2EZZZNS0_12_GLOBAL__N_115softplus_kernelERNS_18TensorIteratorBaseERKN3c106ScalarES8_ENKUlvE_clEvENKUlvE_clEvEUldE_St5arrayIPcLm2EEEEviT0_T1_ ; -- Begin function _ZN2at6native29vectorized_elementwise_kernelILi2EZZZNS0_12_GLOBAL__N_115softplus_kernelERNS_18TensorIteratorBaseERKN3c106ScalarES8_ENKUlvE_clEvENKUlvE_clEvEUldE_St5arrayIPcLm2EEEEviT0_T1_
	.p2align	8
	.type	_ZN2at6native29vectorized_elementwise_kernelILi2EZZZNS0_12_GLOBAL__N_115softplus_kernelERNS_18TensorIteratorBaseERKN3c106ScalarES8_ENKUlvE_clEvENKUlvE_clEvEUldE_St5arrayIPcLm2EEEEviT0_T1_,@function
_ZN2at6native29vectorized_elementwise_kernelILi2EZZZNS0_12_GLOBAL__N_115softplus_kernelERNS_18TensorIteratorBaseERKN3c106ScalarES8_ENKUlvE_clEvENKUlvE_clEvEUldE_St5arrayIPcLm2EEEEviT0_T1_: ; @_ZN2at6native29vectorized_elementwise_kernelILi2EZZZNS0_12_GLOBAL__N_115softplus_kernelERNS_18TensorIteratorBaseERKN3c106ScalarES8_ENKUlvE_clEvENKUlvE_clEvEUldE_St5arrayIPcLm2EEEEviT0_T1_
; %bb.0:
	s_clause 0x1
	s_load_b32 s2, s[0:1], 0x0
	s_load_b256 s[4:11], s[0:1], 0x8
	s_wait_xcnt 0x0
	s_bfe_u32 s0, ttmp6, 0x4000c
	s_and_b32 s1, ttmp6, 15
	s_add_co_i32 s0, s0, 1
	s_getreg_b32 s3, hwreg(HW_REG_IB_STS2, 6, 4)
	s_mul_i32 s0, ttmp9, s0
	s_delay_alu instid0(SALU_CYCLE_1) | instskip(SKIP_2) | instid1(SALU_CYCLE_1)
	s_add_co_i32 s1, s1, s0
	s_cmp_eq_u32 s3, 0
	s_cselect_b32 s0, ttmp9, s1
	s_lshl_b32 s12, s0, 10
	s_mov_b32 s0, -1
	s_wait_kmcnt 0x0
	s_sub_co_i32 s14, s2, s12
	s_delay_alu instid0(SALU_CYCLE_1)
	s_cmp_gt_i32 s14, 0x3ff
	s_cbranch_scc0 .LBB3_10
; %bb.1:
	s_ashr_i32 s13, s12, 31
	s_delay_alu instid0(SALU_CYCLE_1)
	s_lshl_b64 s[2:3], s[12:13], 3
	s_mov_b32 s13, exec_lo
	s_add_nc_u64 s[0:1], s[10:11], s[2:3]
	s_clause 0x1
	global_load_b128 v[2:5], v0, s[0:1] scale_offset
	global_load_b128 v[6:9], v0, s[0:1] offset:4096 scale_offset
	s_wait_loadcnt 0x1
	v_mul_f64_e32 v[10:11], s[4:5], v[2:3]
	s_wait_xcnt 0x0
	s_delay_alu instid0(VALU_DEP_1)
	v_cmpx_nlt_f64_e32 s[6:7], v[10:11]
	s_cbranch_execz .LBB3_3
; %bb.2:
	v_mul_f64_e32 v[2:3], 0x3ff71547652b82fe, v[10:11]
	s_mov_b64 s[0:1], 0x3e5ade156a5dcb37
	v_cmp_nlt_f64_e32 vcc_lo, 0x40900000, v[10:11]
	s_delay_alu instid0(VALU_DEP_2) | instskip(NEXT) | instid1(VALU_DEP_1)
	v_rndne_f64_e32 v[2:3], v[2:3]
	v_fmamk_f64 v[12:13], v[2:3], 0xbfe62e42fefa39ef, v[10:11]
	v_cvt_i32_f64_e32 v1, v[2:3]
	s_delay_alu instid0(VALU_DEP_2) | instskip(NEXT) | instid1(VALU_DEP_1)
	v_fmamk_f64 v[12:13], v[2:3], 0xbc7abc9e3b39803f, v[12:13]
	v_fmaak_f64 v[14:15], s[0:1], v[12:13], 0x3e928af3fca7ab0c
	v_cmp_ngt_f64_e64 s0, 0xc090cc00, v[10:11]
	s_delay_alu instid0(VALU_DEP_2) | instskip(NEXT) | instid1(VALU_DEP_1)
	v_fmaak_f64 v[14:15], v[12:13], v[14:15], 0x3ec71dee623fde64
	v_fmaak_f64 v[14:15], v[12:13], v[14:15], 0x3efa01997c89e6b0
	s_delay_alu instid0(VALU_DEP_1) | instskip(NEXT) | instid1(VALU_DEP_1)
	v_fmaak_f64 v[14:15], v[12:13], v[14:15], 0x3f2a01a014761f6e
	v_fmaak_f64 v[14:15], v[12:13], v[14:15], 0x3f56c16c1852b7b0
	s_delay_alu instid0(VALU_DEP_1) | instskip(NEXT) | instid1(VALU_DEP_1)
	;; [unrolled: 3-line block ×4, first 2 shown]
	v_fma_f64 v[14:15], v[12:13], v[14:15], 1.0
	v_fma_f64 v[2:3], v[12:13], v[14:15], 1.0
	s_delay_alu instid0(VALU_DEP_1) | instskip(NEXT) | instid1(VALU_DEP_1)
	v_ldexp_f64 v[2:3], v[2:3], v1
	v_cndmask_b32_e32 v1, 0x7ff00000, v3, vcc_lo
	s_and_b32 vcc_lo, s0, vcc_lo
	s_delay_alu instid0(VALU_DEP_1) | instid1(SALU_CYCLE_1)
	v_dual_cndmask_b32 v2, 0, v2, vcc_lo :: v_dual_cndmask_b32 v3, 0, v1, s0
	s_mov_b64 s[0:1], 0x3fe5555555555555
	s_delay_alu instid0(VALU_DEP_1) | instskip(NEXT) | instid1(VALU_DEP_1)
	v_add_f64_e32 v[10:11], 1.0, v[2:3]
	v_frexp_mant_f64_e32 v[12:13], v[10:11]
	v_frexp_exp_i32_f64_e32 v1, v[10:11]
	s_delay_alu instid0(VALU_DEP_2) | instskip(SKIP_1) | instid1(VALU_DEP_2)
	v_cmp_gt_f64_e32 vcc_lo, s[0:1], v[12:13]
	s_mov_b64 s[0:1], 0x3fc3ab76bf559e2b
	v_subrev_co_ci_u32_e64 v1, null, 0, v1, vcc_lo
	v_cmp_nge_f64_e32 vcc_lo, -1.0, v[2:3]
	s_delay_alu instid0(VALU_DEP_2) | instskip(NEXT) | instid1(VALU_DEP_1)
	v_dual_add_f64 v[14:15], -1.0, v[10:11] :: v_dual_sub_nc_u32 v18, 0, v1
	v_add_f64_e64 v[12:13], v[14:15], -v[10:11]
	s_delay_alu instid0(VALU_DEP_2) | instskip(SKIP_1) | instid1(VALU_DEP_3)
	v_ldexp_f64 v[10:11], v[10:11], v18
	v_add_f64_e64 v[14:15], v[2:3], -v[14:15]
	v_add_f64_e32 v[12:13], 1.0, v[12:13]
	s_delay_alu instid0(VALU_DEP_3) | instskip(SKIP_1) | instid1(VALU_DEP_3)
	v_add_f64_e32 v[16:17], 1.0, v[10:11]
	v_add_f64_e32 v[22:23], -1.0, v[10:11]
	v_add_f64_e32 v[12:13], v[14:15], v[12:13]
	s_delay_alu instid0(VALU_DEP_3) | instskip(NEXT) | instid1(VALU_DEP_3)
	v_add_f64_e32 v[14:15], -1.0, v[16:17]
	v_add_f64_e32 v[24:25], 1.0, v[22:23]
	s_delay_alu instid0(VALU_DEP_3) | instskip(NEXT) | instid1(VALU_DEP_3)
	v_ldexp_f64 v[12:13], v[12:13], v18
	v_add_f64_e64 v[14:15], v[10:11], -v[14:15]
	s_delay_alu instid0(VALU_DEP_3) | instskip(NEXT) | instid1(VALU_DEP_2)
	v_add_f64_e64 v[10:11], v[10:11], -v[24:25]
	v_add_f64_e32 v[14:15], v[12:13], v[14:15]
	s_delay_alu instid0(VALU_DEP_2) | instskip(NEXT) | instid1(VALU_DEP_2)
	v_add_f64_e32 v[10:11], v[12:13], v[10:11]
	v_add_f64_e32 v[18:19], v[16:17], v[14:15]
	s_delay_alu instid0(VALU_DEP_2) | instskip(NEXT) | instid1(VALU_DEP_2)
	v_add_f64_e32 v[24:25], v[22:23], v[10:11]
	v_rcp_f64_e32 v[20:21], v[18:19]
	v_add_f64_e64 v[16:17], v[18:19], -v[16:17]
	s_delay_alu instid0(VALU_DEP_2) | instskip(NEXT) | instid1(VALU_DEP_2)
	v_add_f64_e64 v[22:23], v[24:25], -v[22:23]
	v_add_f64_e64 v[14:15], v[14:15], -v[16:17]
	s_delay_alu instid0(VALU_DEP_2) | instskip(NEXT) | instid1(TRANS32_DEP_1)
	v_add_f64_e64 v[10:11], v[10:11], -v[22:23]
	v_fma_f64 v[26:27], -v[18:19], v[20:21], 1.0
	s_delay_alu instid0(VALU_DEP_1) | instskip(NEXT) | instid1(VALU_DEP_1)
	v_fmac_f64_e32 v[20:21], v[26:27], v[20:21]
	v_fma_f64 v[12:13], -v[18:19], v[20:21], 1.0
	s_delay_alu instid0(VALU_DEP_1) | instskip(NEXT) | instid1(VALU_DEP_1)
	v_fmac_f64_e32 v[20:21], v[12:13], v[20:21]
	v_mul_f64_e32 v[12:13], v[24:25], v[20:21]
	s_delay_alu instid0(VALU_DEP_1) | instskip(NEXT) | instid1(VALU_DEP_1)
	v_mul_f64_e32 v[26:27], v[18:19], v[12:13]
	v_fma_f64 v[16:17], v[12:13], v[18:19], -v[26:27]
	s_delay_alu instid0(VALU_DEP_1) | instskip(NEXT) | instid1(VALU_DEP_1)
	v_fmac_f64_e32 v[16:17], v[12:13], v[14:15]
	v_add_f64_e32 v[28:29], v[26:27], v[16:17]
	s_delay_alu instid0(VALU_DEP_1) | instskip(SKIP_1) | instid1(VALU_DEP_2)
	v_add_f64_e64 v[30:31], v[24:25], -v[28:29]
	v_add_f64_e64 v[22:23], v[28:29], -v[26:27]
	;; [unrolled: 1-line block ×3, first 2 shown]
	s_delay_alu instid0(VALU_DEP_2) | instskip(NEXT) | instid1(VALU_DEP_2)
	v_add_f64_e64 v[16:17], v[22:23], -v[16:17]
	v_add_f64_e64 v[24:25], v[24:25], -v[28:29]
	s_delay_alu instid0(VALU_DEP_1) | instskip(NEXT) | instid1(VALU_DEP_1)
	v_add_f64_e32 v[10:11], v[10:11], v[24:25]
	v_add_f64_e32 v[10:11], v[16:17], v[10:11]
	s_delay_alu instid0(VALU_DEP_1) | instskip(NEXT) | instid1(VALU_DEP_1)
	v_add_f64_e32 v[16:17], v[30:31], v[10:11]
	v_mul_f64_e32 v[22:23], v[20:21], v[16:17]
	v_add_f64_e64 v[28:29], v[30:31], -v[16:17]
	s_delay_alu instid0(VALU_DEP_2) | instskip(NEXT) | instid1(VALU_DEP_2)
	v_mul_f64_e32 v[24:25], v[18:19], v[22:23]
	v_add_f64_e32 v[10:11], v[10:11], v[28:29]
	s_delay_alu instid0(VALU_DEP_2) | instskip(NEXT) | instid1(VALU_DEP_1)
	v_fma_f64 v[18:19], v[22:23], v[18:19], -v[24:25]
	v_fmac_f64_e32 v[18:19], v[22:23], v[14:15]
	s_delay_alu instid0(VALU_DEP_1) | instskip(NEXT) | instid1(VALU_DEP_1)
	v_add_f64_e32 v[14:15], v[24:25], v[18:19]
	v_add_f64_e64 v[26:27], v[16:17], -v[14:15]
	v_add_f64_e64 v[24:25], v[14:15], -v[24:25]
	s_delay_alu instid0(VALU_DEP_2) | instskip(NEXT) | instid1(VALU_DEP_1)
	v_add_f64_e64 v[16:17], v[16:17], -v[26:27]
	v_add_f64_e64 v[14:15], v[16:17], -v[14:15]
	s_delay_alu instid0(VALU_DEP_3) | instskip(NEXT) | instid1(VALU_DEP_2)
	v_add_f64_e64 v[16:17], v[24:25], -v[18:19]
	v_add_f64_e32 v[10:11], v[10:11], v[14:15]
	v_add_f64_e32 v[14:15], v[12:13], v[22:23]
	s_delay_alu instid0(VALU_DEP_2) | instskip(NEXT) | instid1(VALU_DEP_2)
	v_add_f64_e32 v[10:11], v[16:17], v[10:11]
	v_add_f64_e64 v[12:13], v[14:15], -v[12:13]
	s_delay_alu instid0(VALU_DEP_2) | instskip(NEXT) | instid1(VALU_DEP_2)
	v_add_f64_e32 v[10:11], v[26:27], v[10:11]
	v_add_f64_e64 v[12:13], v[22:23], -v[12:13]
	s_delay_alu instid0(VALU_DEP_2) | instskip(NEXT) | instid1(VALU_DEP_1)
	v_mul_f64_e32 v[10:11], v[20:21], v[10:11]
	v_add_f64_e32 v[10:11], v[12:13], v[10:11]
	s_delay_alu instid0(VALU_DEP_1) | instskip(NEXT) | instid1(VALU_DEP_1)
	v_add_f64_e32 v[12:13], v[14:15], v[10:11]
	v_mul_f64_e32 v[16:17], v[12:13], v[12:13]
	s_delay_alu instid0(VALU_DEP_1) | instskip(SKIP_2) | instid1(VALU_DEP_2)
	v_fmaak_f64 v[18:19], s[0:1], v[16:17], 0x3fc385386b47b09a
	v_mul_f64_e32 v[20:21], v[12:13], v[16:17]
	s_mov_b64 s[0:1], 0x3fe62e42fefa39ef
	v_fmaak_f64 v[18:19], v[16:17], v[18:19], 0x3fc7474dd7f4df2e
	s_delay_alu instid0(VALU_DEP_1) | instskip(NEXT) | instid1(VALU_DEP_1)
	v_fmaak_f64 v[18:19], v[16:17], v[18:19], 0x3fcc71c016291751
	v_fmaak_f64 v[18:19], v[16:17], v[18:19], 0x3fd249249b27acf1
	s_delay_alu instid0(VALU_DEP_1) | instskip(NEXT) | instid1(VALU_DEP_1)
	v_fmaak_f64 v[18:19], v[16:17], v[18:19], 0x3fd99999998ef7b6
	v_fmaak_f64 v[16:17], v[16:17], v[18:19], 0x3fe5555555555780
	v_ldexp_f64 v[18:19], v[12:13], 1
	v_add_f64_e64 v[12:13], v[12:13], -v[14:15]
	s_delay_alu instid0(VALU_DEP_3) | instskip(SKIP_1) | instid1(VALU_DEP_3)
	v_mul_f64_e32 v[16:17], v[20:21], v[16:17]
	v_cvt_f64_i32_e32 v[20:21], v1
	v_add_f64_e64 v[10:11], v[10:11], -v[12:13]
	s_delay_alu instid0(VALU_DEP_3) | instskip(NEXT) | instid1(VALU_DEP_2)
	v_add_f64_e32 v[14:15], v[18:19], v[16:17]
	v_ldexp_f64 v[10:11], v[10:11], 1
	s_delay_alu instid0(VALU_DEP_2) | instskip(SKIP_1) | instid1(VALU_DEP_2)
	v_add_f64_e64 v[12:13], v[14:15], -v[18:19]
	v_mul_f64_e32 v[18:19], 0x3fe62e42fefa39ef, v[20:21]
	v_add_f64_e64 v[12:13], v[16:17], -v[12:13]
	s_delay_alu instid0(VALU_DEP_2) | instskip(SKIP_2) | instid1(VALU_DEP_4)
	v_fma_f64 v[16:17], v[20:21], s[0:1], -v[18:19]
	v_cmp_neq_f64_e64 s0, 0x7ff00000, v[2:3]
	v_cmp_ngt_f64_e64 s1, -1.0, v[2:3]
	v_add_f64_e32 v[10:11], v[10:11], v[12:13]
	s_delay_alu instid0(VALU_DEP_4) | instskip(SKIP_1) | instid1(VALU_DEP_1)
	v_fmamk_f64 v[12:13], v[20:21], 0x3c7abc9e3b39803f, v[16:17]
	s_and_b32 vcc_lo, vcc_lo, s0
	v_add_f64_e32 v[16:17], v[18:19], v[12:13]
	s_delay_alu instid0(VALU_DEP_3) | instskip(NEXT) | instid1(VALU_DEP_2)
	v_add_f64_e32 v[20:21], v[14:15], v[10:11]
	v_add_f64_e64 v[18:19], v[16:17], -v[18:19]
	s_delay_alu instid0(VALU_DEP_2) | instskip(SKIP_1) | instid1(VALU_DEP_3)
	v_add_f64_e32 v[22:23], v[16:17], v[20:21]
	v_add_f64_e64 v[14:15], v[20:21], -v[14:15]
	v_add_f64_e64 v[12:13], v[12:13], -v[18:19]
	s_delay_alu instid0(VALU_DEP_3) | instskip(NEXT) | instid1(VALU_DEP_3)
	v_add_f64_e64 v[24:25], v[22:23], -v[16:17]
	v_add_f64_e64 v[10:11], v[10:11], -v[14:15]
	s_delay_alu instid0(VALU_DEP_2) | instskip(SKIP_1) | instid1(VALU_DEP_3)
	v_add_f64_e64 v[26:27], v[22:23], -v[24:25]
	v_add_f64_e64 v[14:15], v[20:21], -v[24:25]
	v_add_f64_e32 v[18:19], v[12:13], v[10:11]
	s_delay_alu instid0(VALU_DEP_3) | instskip(NEXT) | instid1(VALU_DEP_1)
	v_add_f64_e64 v[16:17], v[16:17], -v[26:27]
	v_add_f64_e32 v[14:15], v[14:15], v[16:17]
	s_delay_alu instid0(VALU_DEP_3) | instskip(NEXT) | instid1(VALU_DEP_2)
	v_add_f64_e64 v[16:17], v[18:19], -v[12:13]
	v_add_f64_e32 v[14:15], v[18:19], v[14:15]
	s_delay_alu instid0(VALU_DEP_2) | instskip(SKIP_1) | instid1(VALU_DEP_3)
	v_add_f64_e64 v[18:19], v[18:19], -v[16:17]
	v_add_f64_e64 v[10:11], v[10:11], -v[16:17]
	v_add_f64_e32 v[20:21], v[22:23], v[14:15]
	s_delay_alu instid0(VALU_DEP_3) | instskip(NEXT) | instid1(VALU_DEP_2)
	v_add_f64_e64 v[12:13], v[12:13], -v[18:19]
	v_add_f64_e64 v[16:17], v[20:21], -v[22:23]
	s_delay_alu instid0(VALU_DEP_2) | instskip(NEXT) | instid1(VALU_DEP_2)
	v_add_f64_e32 v[10:11], v[10:11], v[12:13]
	v_add_f64_e64 v[12:13], v[14:15], -v[16:17]
	s_delay_alu instid0(VALU_DEP_1) | instskip(NEXT) | instid1(VALU_DEP_1)
	v_add_f64_e32 v[10:11], v[10:11], v[12:13]
	v_add_f64_e32 v[10:11], v[20:21], v[10:11]
	s_delay_alu instid0(VALU_DEP_1) | instskip(SKIP_1) | instid1(VALU_DEP_3)
	v_cndmask_b32_e32 v10, 0, v10, vcc_lo
	v_cmp_neq_f64_e32 vcc_lo, -1.0, v[2:3]
	v_cndmask_b32_e64 v1, 0x7ff00000, v11, s0
	s_delay_alu instid0(VALU_DEP_1) | instskip(NEXT) | instid1(VALU_DEP_1)
	v_cndmask_b32_e64 v1, 0x7ff80000, v1, s1
	v_cndmask_b32_e32 v11, 0xfff00000, v1, vcc_lo
	s_delay_alu instid0(VALU_DEP_1) | instskip(NEXT) | instid1(VALU_DEP_1)
	v_div_scale_f64 v[2:3], null, s[4:5], s[4:5], v[10:11]
	v_rcp_f64_e32 v[12:13], v[2:3]
	v_nop
	s_delay_alu instid0(TRANS32_DEP_1) | instskip(NEXT) | instid1(VALU_DEP_1)
	v_fma_f64 v[14:15], -v[2:3], v[12:13], 1.0
	v_fmac_f64_e32 v[12:13], v[12:13], v[14:15]
	s_delay_alu instid0(VALU_DEP_1) | instskip(NEXT) | instid1(VALU_DEP_1)
	v_fma_f64 v[14:15], -v[2:3], v[12:13], 1.0
	v_fmac_f64_e32 v[12:13], v[12:13], v[14:15]
	v_div_scale_f64 v[14:15], vcc_lo, v[10:11], s[4:5], v[10:11]
	s_delay_alu instid0(VALU_DEP_1) | instskip(NEXT) | instid1(VALU_DEP_1)
	v_mul_f64_e32 v[16:17], v[14:15], v[12:13]
	v_fma_f64 v[2:3], -v[2:3], v[16:17], v[14:15]
	s_delay_alu instid0(VALU_DEP_1) | instskip(NEXT) | instid1(VALU_DEP_1)
	v_div_fmas_f64 v[2:3], v[2:3], v[12:13], v[16:17]
	v_div_fixup_f64 v[2:3], v[2:3], s[4:5], v[10:11]
.LBB3_3:
	s_or_b32 exec_lo, exec_lo, s13
	v_mul_f64_e32 v[10:11], s[4:5], v[4:5]
	s_mov_b32 s13, exec_lo
	s_delay_alu instid0(VALU_DEP_1)
	v_cmpx_nlt_f64_e32 s[6:7], v[10:11]
	s_cbranch_execz .LBB3_5
; %bb.4:
	v_mul_f64_e32 v[4:5], 0x3ff71547652b82fe, v[10:11]
	s_mov_b64 s[0:1], 0x3e5ade156a5dcb37
	v_cmp_nlt_f64_e32 vcc_lo, 0x40900000, v[10:11]
	s_delay_alu instid0(VALU_DEP_2) | instskip(NEXT) | instid1(VALU_DEP_1)
	v_rndne_f64_e32 v[4:5], v[4:5]
	v_fmamk_f64 v[12:13], v[4:5], 0xbfe62e42fefa39ef, v[10:11]
	v_cvt_i32_f64_e32 v1, v[4:5]
	s_delay_alu instid0(VALU_DEP_2) | instskip(NEXT) | instid1(VALU_DEP_1)
	v_fmamk_f64 v[12:13], v[4:5], 0xbc7abc9e3b39803f, v[12:13]
	v_fmaak_f64 v[14:15], s[0:1], v[12:13], 0x3e928af3fca7ab0c
	v_cmp_ngt_f64_e64 s0, 0xc090cc00, v[10:11]
	s_delay_alu instid0(VALU_DEP_2) | instskip(NEXT) | instid1(VALU_DEP_1)
	v_fmaak_f64 v[14:15], v[12:13], v[14:15], 0x3ec71dee623fde64
	v_fmaak_f64 v[14:15], v[12:13], v[14:15], 0x3efa01997c89e6b0
	s_delay_alu instid0(VALU_DEP_1) | instskip(NEXT) | instid1(VALU_DEP_1)
	v_fmaak_f64 v[14:15], v[12:13], v[14:15], 0x3f2a01a014761f6e
	v_fmaak_f64 v[14:15], v[12:13], v[14:15], 0x3f56c16c1852b7b0
	s_delay_alu instid0(VALU_DEP_1) | instskip(NEXT) | instid1(VALU_DEP_1)
	;; [unrolled: 3-line block ×4, first 2 shown]
	v_fma_f64 v[14:15], v[12:13], v[14:15], 1.0
	v_fma_f64 v[4:5], v[12:13], v[14:15], 1.0
	s_delay_alu instid0(VALU_DEP_1) | instskip(NEXT) | instid1(VALU_DEP_1)
	v_ldexp_f64 v[4:5], v[4:5], v1
	v_cndmask_b32_e32 v1, 0x7ff00000, v5, vcc_lo
	s_and_b32 vcc_lo, s0, vcc_lo
	s_delay_alu instid0(VALU_DEP_1) | instid1(SALU_CYCLE_1)
	v_dual_cndmask_b32 v4, 0, v4, vcc_lo :: v_dual_cndmask_b32 v5, 0, v1, s0
	s_mov_b64 s[0:1], 0x3fe5555555555555
	s_delay_alu instid0(VALU_DEP_1) | instskip(NEXT) | instid1(VALU_DEP_1)
	v_add_f64_e32 v[10:11], 1.0, v[4:5]
	v_frexp_mant_f64_e32 v[12:13], v[10:11]
	v_frexp_exp_i32_f64_e32 v1, v[10:11]
	s_delay_alu instid0(VALU_DEP_2) | instskip(SKIP_1) | instid1(VALU_DEP_2)
	v_cmp_gt_f64_e32 vcc_lo, s[0:1], v[12:13]
	s_mov_b64 s[0:1], 0x3fc3ab76bf559e2b
	v_subrev_co_ci_u32_e64 v1, null, 0, v1, vcc_lo
	v_add_f64_e32 v[14:15], -1.0, v[10:11]
	v_cmp_nge_f64_e32 vcc_lo, -1.0, v[4:5]
	s_delay_alu instid0(VALU_DEP_2) | instskip(NEXT) | instid1(VALU_DEP_1)
	v_dual_add_f64 v[12:13], v[14:15], -v[10:11] :: v_dual_sub_nc_u32 v18, 0, v1
	v_ldexp_f64 v[10:11], v[10:11], v18
	v_add_f64_e64 v[14:15], v[4:5], -v[14:15]
	s_delay_alu instid0(VALU_DEP_3) | instskip(NEXT) | instid1(VALU_DEP_3)
	v_add_f64_e32 v[12:13], 1.0, v[12:13]
	v_add_f64_e32 v[16:17], 1.0, v[10:11]
	v_add_f64_e32 v[22:23], -1.0, v[10:11]
	s_delay_alu instid0(VALU_DEP_3) | instskip(NEXT) | instid1(VALU_DEP_3)
	v_add_f64_e32 v[12:13], v[14:15], v[12:13]
	v_add_f64_e32 v[14:15], -1.0, v[16:17]
	s_delay_alu instid0(VALU_DEP_3) | instskip(NEXT) | instid1(VALU_DEP_3)
	v_add_f64_e32 v[24:25], 1.0, v[22:23]
	v_ldexp_f64 v[12:13], v[12:13], v18
	s_delay_alu instid0(VALU_DEP_3) | instskip(NEXT) | instid1(VALU_DEP_3)
	v_add_f64_e64 v[14:15], v[10:11], -v[14:15]
	v_add_f64_e64 v[10:11], v[10:11], -v[24:25]
	s_delay_alu instid0(VALU_DEP_2) | instskip(NEXT) | instid1(VALU_DEP_2)
	v_add_f64_e32 v[14:15], v[12:13], v[14:15]
	v_add_f64_e32 v[10:11], v[12:13], v[10:11]
	s_delay_alu instid0(VALU_DEP_2) | instskip(NEXT) | instid1(VALU_DEP_2)
	v_add_f64_e32 v[18:19], v[16:17], v[14:15]
	v_add_f64_e32 v[24:25], v[22:23], v[10:11]
	s_delay_alu instid0(VALU_DEP_2) | instskip(SKIP_1) | instid1(VALU_DEP_2)
	v_rcp_f64_e32 v[20:21], v[18:19]
	v_add_f64_e64 v[16:17], v[18:19], -v[16:17]
	v_add_f64_e64 v[22:23], v[24:25], -v[22:23]
	s_delay_alu instid0(VALU_DEP_2) | instskip(NEXT) | instid1(VALU_DEP_2)
	v_add_f64_e64 v[14:15], v[14:15], -v[16:17]
	v_add_f64_e64 v[10:11], v[10:11], -v[22:23]
	s_delay_alu instid0(TRANS32_DEP_1) | instskip(NEXT) | instid1(VALU_DEP_1)
	v_fma_f64 v[26:27], -v[18:19], v[20:21], 1.0
	v_fmac_f64_e32 v[20:21], v[26:27], v[20:21]
	s_delay_alu instid0(VALU_DEP_1) | instskip(NEXT) | instid1(VALU_DEP_1)
	v_fma_f64 v[12:13], -v[18:19], v[20:21], 1.0
	v_fmac_f64_e32 v[20:21], v[12:13], v[20:21]
	s_delay_alu instid0(VALU_DEP_1) | instskip(NEXT) | instid1(VALU_DEP_1)
	v_mul_f64_e32 v[12:13], v[24:25], v[20:21]
	v_mul_f64_e32 v[26:27], v[18:19], v[12:13]
	s_delay_alu instid0(VALU_DEP_1) | instskip(NEXT) | instid1(VALU_DEP_1)
	v_fma_f64 v[16:17], v[12:13], v[18:19], -v[26:27]
	v_fmac_f64_e32 v[16:17], v[12:13], v[14:15]
	s_delay_alu instid0(VALU_DEP_1) | instskip(NEXT) | instid1(VALU_DEP_1)
	v_add_f64_e32 v[28:29], v[26:27], v[16:17]
	v_add_f64_e64 v[30:31], v[24:25], -v[28:29]
	v_add_f64_e64 v[22:23], v[28:29], -v[26:27]
	s_delay_alu instid0(VALU_DEP_2) | instskip(NEXT) | instid1(VALU_DEP_2)
	v_add_f64_e64 v[24:25], v[24:25], -v[30:31]
	v_add_f64_e64 v[16:17], v[22:23], -v[16:17]
	s_delay_alu instid0(VALU_DEP_2) | instskip(NEXT) | instid1(VALU_DEP_1)
	v_add_f64_e64 v[24:25], v[24:25], -v[28:29]
	v_add_f64_e32 v[10:11], v[10:11], v[24:25]
	s_delay_alu instid0(VALU_DEP_1) | instskip(NEXT) | instid1(VALU_DEP_1)
	v_add_f64_e32 v[10:11], v[16:17], v[10:11]
	v_add_f64_e32 v[16:17], v[30:31], v[10:11]
	s_delay_alu instid0(VALU_DEP_1) | instskip(SKIP_1) | instid1(VALU_DEP_2)
	v_mul_f64_e32 v[22:23], v[20:21], v[16:17]
	v_add_f64_e64 v[28:29], v[30:31], -v[16:17]
	v_mul_f64_e32 v[24:25], v[18:19], v[22:23]
	s_delay_alu instid0(VALU_DEP_2) | instskip(NEXT) | instid1(VALU_DEP_2)
	v_add_f64_e32 v[10:11], v[10:11], v[28:29]
	v_fma_f64 v[18:19], v[22:23], v[18:19], -v[24:25]
	s_delay_alu instid0(VALU_DEP_1) | instskip(NEXT) | instid1(VALU_DEP_1)
	v_fmac_f64_e32 v[18:19], v[22:23], v[14:15]
	v_add_f64_e32 v[14:15], v[24:25], v[18:19]
	s_delay_alu instid0(VALU_DEP_1) | instskip(SKIP_1) | instid1(VALU_DEP_2)
	v_add_f64_e64 v[26:27], v[16:17], -v[14:15]
	v_add_f64_e64 v[24:25], v[14:15], -v[24:25]
	;; [unrolled: 1-line block ×3, first 2 shown]
	s_delay_alu instid0(VALU_DEP_1) | instskip(NEXT) | instid1(VALU_DEP_3)
	v_add_f64_e64 v[14:15], v[16:17], -v[14:15]
	v_add_f64_e64 v[16:17], v[24:25], -v[18:19]
	s_delay_alu instid0(VALU_DEP_2) | instskip(SKIP_1) | instid1(VALU_DEP_2)
	v_add_f64_e32 v[10:11], v[10:11], v[14:15]
	v_add_f64_e32 v[14:15], v[12:13], v[22:23]
	;; [unrolled: 1-line block ×3, first 2 shown]
	s_delay_alu instid0(VALU_DEP_2) | instskip(NEXT) | instid1(VALU_DEP_2)
	v_add_f64_e64 v[12:13], v[14:15], -v[12:13]
	v_add_f64_e32 v[10:11], v[26:27], v[10:11]
	s_delay_alu instid0(VALU_DEP_2) | instskip(NEXT) | instid1(VALU_DEP_2)
	v_add_f64_e64 v[12:13], v[22:23], -v[12:13]
	v_mul_f64_e32 v[10:11], v[20:21], v[10:11]
	s_delay_alu instid0(VALU_DEP_1) | instskip(NEXT) | instid1(VALU_DEP_1)
	v_add_f64_e32 v[10:11], v[12:13], v[10:11]
	v_add_f64_e32 v[12:13], v[14:15], v[10:11]
	s_delay_alu instid0(VALU_DEP_1) | instskip(NEXT) | instid1(VALU_DEP_1)
	v_mul_f64_e32 v[16:17], v[12:13], v[12:13]
	v_fmaak_f64 v[18:19], s[0:1], v[16:17], 0x3fc385386b47b09a
	v_mul_f64_e32 v[20:21], v[12:13], v[16:17]
	s_mov_b64 s[0:1], 0x3fe62e42fefa39ef
	s_delay_alu instid0(VALU_DEP_2) | instskip(NEXT) | instid1(VALU_DEP_1)
	v_fmaak_f64 v[18:19], v[16:17], v[18:19], 0x3fc7474dd7f4df2e
	v_fmaak_f64 v[18:19], v[16:17], v[18:19], 0x3fcc71c016291751
	s_delay_alu instid0(VALU_DEP_1) | instskip(NEXT) | instid1(VALU_DEP_1)
	v_fmaak_f64 v[18:19], v[16:17], v[18:19], 0x3fd249249b27acf1
	v_fmaak_f64 v[18:19], v[16:17], v[18:19], 0x3fd99999998ef7b6
	s_delay_alu instid0(VALU_DEP_1) | instskip(SKIP_2) | instid1(VALU_DEP_3)
	v_fmaak_f64 v[16:17], v[16:17], v[18:19], 0x3fe5555555555780
	v_ldexp_f64 v[18:19], v[12:13], 1
	v_add_f64_e64 v[12:13], v[12:13], -v[14:15]
	v_mul_f64_e32 v[16:17], v[20:21], v[16:17]
	v_cvt_f64_i32_e32 v[20:21], v1
	s_delay_alu instid0(VALU_DEP_3) | instskip(NEXT) | instid1(VALU_DEP_3)
	v_add_f64_e64 v[10:11], v[10:11], -v[12:13]
	v_add_f64_e32 v[14:15], v[18:19], v[16:17]
	s_delay_alu instid0(VALU_DEP_2) | instskip(NEXT) | instid1(VALU_DEP_2)
	v_ldexp_f64 v[10:11], v[10:11], 1
	v_add_f64_e64 v[12:13], v[14:15], -v[18:19]
	v_mul_f64_e32 v[18:19], 0x3fe62e42fefa39ef, v[20:21]
	s_delay_alu instid0(VALU_DEP_2) | instskip(NEXT) | instid1(VALU_DEP_2)
	v_add_f64_e64 v[12:13], v[16:17], -v[12:13]
	v_fma_f64 v[16:17], v[20:21], s[0:1], -v[18:19]
	v_cmp_neq_f64_e64 s0, 0x7ff00000, v[4:5]
	v_cmp_ngt_f64_e64 s1, -1.0, v[4:5]
	s_delay_alu instid0(VALU_DEP_4) | instskip(NEXT) | instid1(VALU_DEP_4)
	v_add_f64_e32 v[10:11], v[10:11], v[12:13]
	v_fmamk_f64 v[12:13], v[20:21], 0x3c7abc9e3b39803f, v[16:17]
	s_and_b32 vcc_lo, vcc_lo, s0
	s_delay_alu instid0(VALU_DEP_1) | instskip(NEXT) | instid1(VALU_DEP_3)
	v_add_f64_e32 v[16:17], v[18:19], v[12:13]
	v_add_f64_e32 v[20:21], v[14:15], v[10:11]
	s_delay_alu instid0(VALU_DEP_2) | instskip(NEXT) | instid1(VALU_DEP_2)
	v_add_f64_e64 v[18:19], v[16:17], -v[18:19]
	v_add_f64_e32 v[22:23], v[16:17], v[20:21]
	v_add_f64_e64 v[14:15], v[20:21], -v[14:15]
	s_delay_alu instid0(VALU_DEP_3) | instskip(NEXT) | instid1(VALU_DEP_3)
	v_add_f64_e64 v[12:13], v[12:13], -v[18:19]
	v_add_f64_e64 v[24:25], v[22:23], -v[16:17]
	s_delay_alu instid0(VALU_DEP_3) | instskip(NEXT) | instid1(VALU_DEP_2)
	v_add_f64_e64 v[10:11], v[10:11], -v[14:15]
	v_add_f64_e64 v[26:27], v[22:23], -v[24:25]
	;; [unrolled: 1-line block ×3, first 2 shown]
	s_delay_alu instid0(VALU_DEP_3) | instskip(NEXT) | instid1(VALU_DEP_3)
	v_add_f64_e32 v[18:19], v[12:13], v[10:11]
	v_add_f64_e64 v[16:17], v[16:17], -v[26:27]
	s_delay_alu instid0(VALU_DEP_1) | instskip(NEXT) | instid1(VALU_DEP_3)
	v_add_f64_e32 v[14:15], v[14:15], v[16:17]
	v_add_f64_e64 v[16:17], v[18:19], -v[12:13]
	s_delay_alu instid0(VALU_DEP_2) | instskip(NEXT) | instid1(VALU_DEP_2)
	v_add_f64_e32 v[14:15], v[18:19], v[14:15]
	v_add_f64_e64 v[18:19], v[18:19], -v[16:17]
	v_add_f64_e64 v[10:11], v[10:11], -v[16:17]
	s_delay_alu instid0(VALU_DEP_3) | instskip(NEXT) | instid1(VALU_DEP_3)
	v_add_f64_e32 v[20:21], v[22:23], v[14:15]
	v_add_f64_e64 v[12:13], v[12:13], -v[18:19]
	s_delay_alu instid0(VALU_DEP_2) | instskip(NEXT) | instid1(VALU_DEP_2)
	v_add_f64_e64 v[16:17], v[20:21], -v[22:23]
	v_add_f64_e32 v[10:11], v[10:11], v[12:13]
	s_delay_alu instid0(VALU_DEP_2) | instskip(NEXT) | instid1(VALU_DEP_1)
	v_add_f64_e64 v[12:13], v[14:15], -v[16:17]
	v_add_f64_e32 v[10:11], v[10:11], v[12:13]
	s_delay_alu instid0(VALU_DEP_1) | instskip(NEXT) | instid1(VALU_DEP_1)
	v_add_f64_e32 v[10:11], v[20:21], v[10:11]
	v_cndmask_b32_e32 v10, 0, v10, vcc_lo
	v_cmp_neq_f64_e32 vcc_lo, -1.0, v[4:5]
	s_delay_alu instid0(VALU_DEP_3) | instskip(NEXT) | instid1(VALU_DEP_1)
	v_cndmask_b32_e64 v1, 0x7ff00000, v11, s0
	v_cndmask_b32_e64 v1, 0x7ff80000, v1, s1
	s_delay_alu instid0(VALU_DEP_1) | instskip(NEXT) | instid1(VALU_DEP_1)
	v_cndmask_b32_e32 v11, 0xfff00000, v1, vcc_lo
	v_div_scale_f64 v[4:5], null, s[4:5], s[4:5], v[10:11]
	s_delay_alu instid0(VALU_DEP_1) | instskip(SKIP_1) | instid1(TRANS32_DEP_1)
	v_rcp_f64_e32 v[12:13], v[4:5]
	v_nop
	v_fma_f64 v[14:15], -v[4:5], v[12:13], 1.0
	s_delay_alu instid0(VALU_DEP_1) | instskip(NEXT) | instid1(VALU_DEP_1)
	v_fmac_f64_e32 v[12:13], v[12:13], v[14:15]
	v_fma_f64 v[14:15], -v[4:5], v[12:13], 1.0
	s_delay_alu instid0(VALU_DEP_1) | instskip(SKIP_1) | instid1(VALU_DEP_1)
	v_fmac_f64_e32 v[12:13], v[12:13], v[14:15]
	v_div_scale_f64 v[14:15], vcc_lo, v[10:11], s[4:5], v[10:11]
	v_mul_f64_e32 v[16:17], v[14:15], v[12:13]
	s_delay_alu instid0(VALU_DEP_1) | instskip(NEXT) | instid1(VALU_DEP_1)
	v_fma_f64 v[4:5], -v[4:5], v[16:17], v[14:15]
	v_div_fmas_f64 v[4:5], v[4:5], v[12:13], v[16:17]
	s_delay_alu instid0(VALU_DEP_1)
	v_div_fixup_f64 v[4:5], v[4:5], s[4:5], v[10:11]
.LBB3_5:
	s_or_b32 exec_lo, exec_lo, s13
	s_wait_loadcnt 0x0
	v_mul_f64_e32 v[10:11], s[4:5], v[6:7]
	s_mov_b32 s13, exec_lo
	s_delay_alu instid0(VALU_DEP_1)
	v_cmpx_nlt_f64_e32 s[6:7], v[10:11]
	s_cbranch_execz .LBB3_7
; %bb.6:
	v_mul_f64_e32 v[6:7], 0x3ff71547652b82fe, v[10:11]
	s_mov_b64 s[0:1], 0x3e5ade156a5dcb37
	v_cmp_nlt_f64_e32 vcc_lo, 0x40900000, v[10:11]
	s_delay_alu instid0(VALU_DEP_2) | instskip(NEXT) | instid1(VALU_DEP_1)
	v_rndne_f64_e32 v[6:7], v[6:7]
	v_fmamk_f64 v[12:13], v[6:7], 0xbfe62e42fefa39ef, v[10:11]
	v_cvt_i32_f64_e32 v1, v[6:7]
	s_delay_alu instid0(VALU_DEP_2) | instskip(NEXT) | instid1(VALU_DEP_1)
	v_fmamk_f64 v[12:13], v[6:7], 0xbc7abc9e3b39803f, v[12:13]
	v_fmaak_f64 v[14:15], s[0:1], v[12:13], 0x3e928af3fca7ab0c
	v_cmp_ngt_f64_e64 s0, 0xc090cc00, v[10:11]
	s_delay_alu instid0(VALU_DEP_2) | instskip(NEXT) | instid1(VALU_DEP_1)
	v_fmaak_f64 v[14:15], v[12:13], v[14:15], 0x3ec71dee623fde64
	v_fmaak_f64 v[14:15], v[12:13], v[14:15], 0x3efa01997c89e6b0
	s_delay_alu instid0(VALU_DEP_1) | instskip(NEXT) | instid1(VALU_DEP_1)
	v_fmaak_f64 v[14:15], v[12:13], v[14:15], 0x3f2a01a014761f6e
	v_fmaak_f64 v[14:15], v[12:13], v[14:15], 0x3f56c16c1852b7b0
	s_delay_alu instid0(VALU_DEP_1) | instskip(NEXT) | instid1(VALU_DEP_1)
	v_fmaak_f64 v[14:15], v[12:13], v[14:15], 0x3f81111111122322
	v_fmaak_f64 v[14:15], v[12:13], v[14:15], 0x3fa55555555502a1
	s_delay_alu instid0(VALU_DEP_1) | instskip(NEXT) | instid1(VALU_DEP_1)
	v_fmaak_f64 v[14:15], v[12:13], v[14:15], 0x3fc5555555555511
	v_fmaak_f64 v[14:15], v[12:13], v[14:15], 0x3fe000000000000b
	s_delay_alu instid0(VALU_DEP_1) | instskip(NEXT) | instid1(VALU_DEP_1)
	v_fma_f64 v[14:15], v[12:13], v[14:15], 1.0
	v_fma_f64 v[6:7], v[12:13], v[14:15], 1.0
	s_delay_alu instid0(VALU_DEP_1) | instskip(NEXT) | instid1(VALU_DEP_1)
	v_ldexp_f64 v[6:7], v[6:7], v1
	v_cndmask_b32_e32 v1, 0x7ff00000, v7, vcc_lo
	s_and_b32 vcc_lo, s0, vcc_lo
	s_delay_alu instid0(VALU_DEP_1) | instid1(SALU_CYCLE_1)
	v_dual_cndmask_b32 v6, 0, v6, vcc_lo :: v_dual_cndmask_b32 v7, 0, v1, s0
	s_mov_b64 s[0:1], 0x3fe5555555555555
	s_delay_alu instid0(VALU_DEP_1) | instskip(NEXT) | instid1(VALU_DEP_1)
	v_add_f64_e32 v[10:11], 1.0, v[6:7]
	v_frexp_mant_f64_e32 v[12:13], v[10:11]
	v_frexp_exp_i32_f64_e32 v1, v[10:11]
	s_delay_alu instid0(VALU_DEP_2) | instskip(SKIP_1) | instid1(VALU_DEP_2)
	v_cmp_gt_f64_e32 vcc_lo, s[0:1], v[12:13]
	s_mov_b64 s[0:1], 0x3fc3ab76bf559e2b
	v_subrev_co_ci_u32_e64 v1, null, 0, v1, vcc_lo
	v_cmp_nge_f64_e32 vcc_lo, -1.0, v[6:7]
	s_delay_alu instid0(VALU_DEP_2) | instskip(NEXT) | instid1(VALU_DEP_1)
	v_dual_add_f64 v[14:15], -1.0, v[10:11] :: v_dual_sub_nc_u32 v18, 0, v1
	v_add_f64_e64 v[12:13], v[14:15], -v[10:11]
	s_delay_alu instid0(VALU_DEP_2) | instskip(SKIP_1) | instid1(VALU_DEP_3)
	v_ldexp_f64 v[10:11], v[10:11], v18
	v_add_f64_e64 v[14:15], v[6:7], -v[14:15]
	v_add_f64_e32 v[12:13], 1.0, v[12:13]
	s_delay_alu instid0(VALU_DEP_3) | instskip(SKIP_1) | instid1(VALU_DEP_3)
	v_add_f64_e32 v[16:17], 1.0, v[10:11]
	v_add_f64_e32 v[22:23], -1.0, v[10:11]
	v_add_f64_e32 v[12:13], v[14:15], v[12:13]
	s_delay_alu instid0(VALU_DEP_3) | instskip(NEXT) | instid1(VALU_DEP_3)
	v_add_f64_e32 v[14:15], -1.0, v[16:17]
	v_add_f64_e32 v[24:25], 1.0, v[22:23]
	s_delay_alu instid0(VALU_DEP_3) | instskip(NEXT) | instid1(VALU_DEP_3)
	v_ldexp_f64 v[12:13], v[12:13], v18
	v_add_f64_e64 v[14:15], v[10:11], -v[14:15]
	s_delay_alu instid0(VALU_DEP_3) | instskip(NEXT) | instid1(VALU_DEP_2)
	v_add_f64_e64 v[10:11], v[10:11], -v[24:25]
	v_add_f64_e32 v[14:15], v[12:13], v[14:15]
	s_delay_alu instid0(VALU_DEP_2) | instskip(NEXT) | instid1(VALU_DEP_2)
	v_add_f64_e32 v[10:11], v[12:13], v[10:11]
	v_add_f64_e32 v[18:19], v[16:17], v[14:15]
	s_delay_alu instid0(VALU_DEP_2) | instskip(NEXT) | instid1(VALU_DEP_2)
	v_add_f64_e32 v[24:25], v[22:23], v[10:11]
	v_rcp_f64_e32 v[20:21], v[18:19]
	v_add_f64_e64 v[16:17], v[18:19], -v[16:17]
	s_delay_alu instid0(VALU_DEP_2) | instskip(NEXT) | instid1(VALU_DEP_2)
	v_add_f64_e64 v[22:23], v[24:25], -v[22:23]
	v_add_f64_e64 v[14:15], v[14:15], -v[16:17]
	s_delay_alu instid0(VALU_DEP_2) | instskip(NEXT) | instid1(TRANS32_DEP_1)
	v_add_f64_e64 v[10:11], v[10:11], -v[22:23]
	v_fma_f64 v[26:27], -v[18:19], v[20:21], 1.0
	s_delay_alu instid0(VALU_DEP_1) | instskip(NEXT) | instid1(VALU_DEP_1)
	v_fmac_f64_e32 v[20:21], v[26:27], v[20:21]
	v_fma_f64 v[12:13], -v[18:19], v[20:21], 1.0
	s_delay_alu instid0(VALU_DEP_1) | instskip(NEXT) | instid1(VALU_DEP_1)
	v_fmac_f64_e32 v[20:21], v[12:13], v[20:21]
	v_mul_f64_e32 v[12:13], v[24:25], v[20:21]
	s_delay_alu instid0(VALU_DEP_1) | instskip(NEXT) | instid1(VALU_DEP_1)
	v_mul_f64_e32 v[26:27], v[18:19], v[12:13]
	v_fma_f64 v[16:17], v[12:13], v[18:19], -v[26:27]
	s_delay_alu instid0(VALU_DEP_1) | instskip(NEXT) | instid1(VALU_DEP_1)
	v_fmac_f64_e32 v[16:17], v[12:13], v[14:15]
	v_add_f64_e32 v[28:29], v[26:27], v[16:17]
	s_delay_alu instid0(VALU_DEP_1) | instskip(SKIP_1) | instid1(VALU_DEP_2)
	v_add_f64_e64 v[30:31], v[24:25], -v[28:29]
	v_add_f64_e64 v[22:23], v[28:29], -v[26:27]
	;; [unrolled: 1-line block ×3, first 2 shown]
	s_delay_alu instid0(VALU_DEP_2) | instskip(NEXT) | instid1(VALU_DEP_2)
	v_add_f64_e64 v[16:17], v[22:23], -v[16:17]
	v_add_f64_e64 v[24:25], v[24:25], -v[28:29]
	s_delay_alu instid0(VALU_DEP_1) | instskip(NEXT) | instid1(VALU_DEP_1)
	v_add_f64_e32 v[10:11], v[10:11], v[24:25]
	v_add_f64_e32 v[10:11], v[16:17], v[10:11]
	s_delay_alu instid0(VALU_DEP_1) | instskip(NEXT) | instid1(VALU_DEP_1)
	v_add_f64_e32 v[16:17], v[30:31], v[10:11]
	v_mul_f64_e32 v[22:23], v[20:21], v[16:17]
	v_add_f64_e64 v[28:29], v[30:31], -v[16:17]
	s_delay_alu instid0(VALU_DEP_2) | instskip(NEXT) | instid1(VALU_DEP_2)
	v_mul_f64_e32 v[24:25], v[18:19], v[22:23]
	v_add_f64_e32 v[10:11], v[10:11], v[28:29]
	s_delay_alu instid0(VALU_DEP_2) | instskip(NEXT) | instid1(VALU_DEP_1)
	v_fma_f64 v[18:19], v[22:23], v[18:19], -v[24:25]
	v_fmac_f64_e32 v[18:19], v[22:23], v[14:15]
	s_delay_alu instid0(VALU_DEP_1) | instskip(NEXT) | instid1(VALU_DEP_1)
	v_add_f64_e32 v[14:15], v[24:25], v[18:19]
	v_add_f64_e64 v[26:27], v[16:17], -v[14:15]
	v_add_f64_e64 v[24:25], v[14:15], -v[24:25]
	s_delay_alu instid0(VALU_DEP_2) | instskip(NEXT) | instid1(VALU_DEP_1)
	v_add_f64_e64 v[16:17], v[16:17], -v[26:27]
	v_add_f64_e64 v[14:15], v[16:17], -v[14:15]
	s_delay_alu instid0(VALU_DEP_3) | instskip(NEXT) | instid1(VALU_DEP_2)
	v_add_f64_e64 v[16:17], v[24:25], -v[18:19]
	v_add_f64_e32 v[10:11], v[10:11], v[14:15]
	v_add_f64_e32 v[14:15], v[12:13], v[22:23]
	s_delay_alu instid0(VALU_DEP_2) | instskip(NEXT) | instid1(VALU_DEP_2)
	v_add_f64_e32 v[10:11], v[16:17], v[10:11]
	v_add_f64_e64 v[12:13], v[14:15], -v[12:13]
	s_delay_alu instid0(VALU_DEP_2) | instskip(NEXT) | instid1(VALU_DEP_2)
	v_add_f64_e32 v[10:11], v[26:27], v[10:11]
	v_add_f64_e64 v[12:13], v[22:23], -v[12:13]
	s_delay_alu instid0(VALU_DEP_2) | instskip(NEXT) | instid1(VALU_DEP_1)
	v_mul_f64_e32 v[10:11], v[20:21], v[10:11]
	v_add_f64_e32 v[10:11], v[12:13], v[10:11]
	s_delay_alu instid0(VALU_DEP_1) | instskip(NEXT) | instid1(VALU_DEP_1)
	v_add_f64_e32 v[12:13], v[14:15], v[10:11]
	v_mul_f64_e32 v[16:17], v[12:13], v[12:13]
	s_delay_alu instid0(VALU_DEP_1) | instskip(SKIP_2) | instid1(VALU_DEP_2)
	v_fmaak_f64 v[18:19], s[0:1], v[16:17], 0x3fc385386b47b09a
	v_mul_f64_e32 v[20:21], v[12:13], v[16:17]
	s_mov_b64 s[0:1], 0x3fe62e42fefa39ef
	v_fmaak_f64 v[18:19], v[16:17], v[18:19], 0x3fc7474dd7f4df2e
	s_delay_alu instid0(VALU_DEP_1) | instskip(NEXT) | instid1(VALU_DEP_1)
	v_fmaak_f64 v[18:19], v[16:17], v[18:19], 0x3fcc71c016291751
	v_fmaak_f64 v[18:19], v[16:17], v[18:19], 0x3fd249249b27acf1
	s_delay_alu instid0(VALU_DEP_1) | instskip(NEXT) | instid1(VALU_DEP_1)
	v_fmaak_f64 v[18:19], v[16:17], v[18:19], 0x3fd99999998ef7b6
	v_fmaak_f64 v[16:17], v[16:17], v[18:19], 0x3fe5555555555780
	v_ldexp_f64 v[18:19], v[12:13], 1
	v_add_f64_e64 v[12:13], v[12:13], -v[14:15]
	s_delay_alu instid0(VALU_DEP_3) | instskip(SKIP_1) | instid1(VALU_DEP_3)
	v_mul_f64_e32 v[16:17], v[20:21], v[16:17]
	v_cvt_f64_i32_e32 v[20:21], v1
	v_add_f64_e64 v[10:11], v[10:11], -v[12:13]
	s_delay_alu instid0(VALU_DEP_3) | instskip(NEXT) | instid1(VALU_DEP_2)
	v_add_f64_e32 v[14:15], v[18:19], v[16:17]
	v_ldexp_f64 v[10:11], v[10:11], 1
	s_delay_alu instid0(VALU_DEP_2) | instskip(SKIP_1) | instid1(VALU_DEP_2)
	v_add_f64_e64 v[12:13], v[14:15], -v[18:19]
	v_mul_f64_e32 v[18:19], 0x3fe62e42fefa39ef, v[20:21]
	v_add_f64_e64 v[12:13], v[16:17], -v[12:13]
	s_delay_alu instid0(VALU_DEP_2) | instskip(SKIP_2) | instid1(VALU_DEP_4)
	v_fma_f64 v[16:17], v[20:21], s[0:1], -v[18:19]
	v_cmp_neq_f64_e64 s0, 0x7ff00000, v[6:7]
	v_cmp_ngt_f64_e64 s1, -1.0, v[6:7]
	v_add_f64_e32 v[10:11], v[10:11], v[12:13]
	s_delay_alu instid0(VALU_DEP_4) | instskip(SKIP_1) | instid1(VALU_DEP_1)
	v_fmamk_f64 v[12:13], v[20:21], 0x3c7abc9e3b39803f, v[16:17]
	s_and_b32 vcc_lo, vcc_lo, s0
	v_add_f64_e32 v[16:17], v[18:19], v[12:13]
	s_delay_alu instid0(VALU_DEP_3) | instskip(NEXT) | instid1(VALU_DEP_2)
	v_add_f64_e32 v[20:21], v[14:15], v[10:11]
	v_add_f64_e64 v[18:19], v[16:17], -v[18:19]
	s_delay_alu instid0(VALU_DEP_2) | instskip(SKIP_1) | instid1(VALU_DEP_3)
	v_add_f64_e32 v[22:23], v[16:17], v[20:21]
	v_add_f64_e64 v[14:15], v[20:21], -v[14:15]
	v_add_f64_e64 v[12:13], v[12:13], -v[18:19]
	s_delay_alu instid0(VALU_DEP_3) | instskip(NEXT) | instid1(VALU_DEP_3)
	v_add_f64_e64 v[24:25], v[22:23], -v[16:17]
	v_add_f64_e64 v[10:11], v[10:11], -v[14:15]
	s_delay_alu instid0(VALU_DEP_2) | instskip(SKIP_1) | instid1(VALU_DEP_3)
	v_add_f64_e64 v[26:27], v[22:23], -v[24:25]
	v_add_f64_e64 v[14:15], v[20:21], -v[24:25]
	v_add_f64_e32 v[18:19], v[12:13], v[10:11]
	s_delay_alu instid0(VALU_DEP_3) | instskip(NEXT) | instid1(VALU_DEP_1)
	v_add_f64_e64 v[16:17], v[16:17], -v[26:27]
	v_add_f64_e32 v[14:15], v[14:15], v[16:17]
	s_delay_alu instid0(VALU_DEP_3) | instskip(NEXT) | instid1(VALU_DEP_2)
	v_add_f64_e64 v[16:17], v[18:19], -v[12:13]
	v_add_f64_e32 v[14:15], v[18:19], v[14:15]
	s_delay_alu instid0(VALU_DEP_2) | instskip(SKIP_1) | instid1(VALU_DEP_3)
	v_add_f64_e64 v[18:19], v[18:19], -v[16:17]
	v_add_f64_e64 v[10:11], v[10:11], -v[16:17]
	v_add_f64_e32 v[20:21], v[22:23], v[14:15]
	s_delay_alu instid0(VALU_DEP_3) | instskip(NEXT) | instid1(VALU_DEP_2)
	v_add_f64_e64 v[12:13], v[12:13], -v[18:19]
	v_add_f64_e64 v[16:17], v[20:21], -v[22:23]
	s_delay_alu instid0(VALU_DEP_2) | instskip(NEXT) | instid1(VALU_DEP_2)
	v_add_f64_e32 v[10:11], v[10:11], v[12:13]
	v_add_f64_e64 v[12:13], v[14:15], -v[16:17]
	s_delay_alu instid0(VALU_DEP_1) | instskip(NEXT) | instid1(VALU_DEP_1)
	v_add_f64_e32 v[10:11], v[10:11], v[12:13]
	v_add_f64_e32 v[10:11], v[20:21], v[10:11]
	s_delay_alu instid0(VALU_DEP_1) | instskip(SKIP_1) | instid1(VALU_DEP_3)
	v_cndmask_b32_e32 v10, 0, v10, vcc_lo
	v_cmp_neq_f64_e32 vcc_lo, -1.0, v[6:7]
	v_cndmask_b32_e64 v1, 0x7ff00000, v11, s0
	s_delay_alu instid0(VALU_DEP_1) | instskip(NEXT) | instid1(VALU_DEP_1)
	v_cndmask_b32_e64 v1, 0x7ff80000, v1, s1
	v_cndmask_b32_e32 v11, 0xfff00000, v1, vcc_lo
	s_delay_alu instid0(VALU_DEP_1) | instskip(NEXT) | instid1(VALU_DEP_1)
	v_div_scale_f64 v[6:7], null, s[4:5], s[4:5], v[10:11]
	v_rcp_f64_e32 v[12:13], v[6:7]
	v_nop
	s_delay_alu instid0(TRANS32_DEP_1) | instskip(NEXT) | instid1(VALU_DEP_1)
	v_fma_f64 v[14:15], -v[6:7], v[12:13], 1.0
	v_fmac_f64_e32 v[12:13], v[12:13], v[14:15]
	s_delay_alu instid0(VALU_DEP_1) | instskip(NEXT) | instid1(VALU_DEP_1)
	v_fma_f64 v[14:15], -v[6:7], v[12:13], 1.0
	v_fmac_f64_e32 v[12:13], v[12:13], v[14:15]
	v_div_scale_f64 v[14:15], vcc_lo, v[10:11], s[4:5], v[10:11]
	s_delay_alu instid0(VALU_DEP_1) | instskip(NEXT) | instid1(VALU_DEP_1)
	v_mul_f64_e32 v[16:17], v[14:15], v[12:13]
	v_fma_f64 v[6:7], -v[6:7], v[16:17], v[14:15]
	s_delay_alu instid0(VALU_DEP_1) | instskip(NEXT) | instid1(VALU_DEP_1)
	v_div_fmas_f64 v[6:7], v[6:7], v[12:13], v[16:17]
	v_div_fixup_f64 v[6:7], v[6:7], s[4:5], v[10:11]
.LBB3_7:
	s_or_b32 exec_lo, exec_lo, s13
	v_mul_f64_e32 v[10:11], s[4:5], v[8:9]
	s_mov_b32 s13, exec_lo
	s_delay_alu instid0(VALU_DEP_1)
	v_cmpx_nlt_f64_e32 s[6:7], v[10:11]
	s_cbranch_execz .LBB3_9
; %bb.8:
	v_mul_f64_e32 v[8:9], 0x3ff71547652b82fe, v[10:11]
	s_mov_b64 s[0:1], 0x3e5ade156a5dcb37
	v_cmp_nlt_f64_e32 vcc_lo, 0x40900000, v[10:11]
	s_delay_alu instid0(VALU_DEP_2) | instskip(NEXT) | instid1(VALU_DEP_1)
	v_rndne_f64_e32 v[8:9], v[8:9]
	v_fmamk_f64 v[12:13], v[8:9], 0xbfe62e42fefa39ef, v[10:11]
	v_cvt_i32_f64_e32 v1, v[8:9]
	s_delay_alu instid0(VALU_DEP_2) | instskip(NEXT) | instid1(VALU_DEP_1)
	v_fmamk_f64 v[12:13], v[8:9], 0xbc7abc9e3b39803f, v[12:13]
	v_fmaak_f64 v[14:15], s[0:1], v[12:13], 0x3e928af3fca7ab0c
	v_cmp_ngt_f64_e64 s0, 0xc090cc00, v[10:11]
	s_delay_alu instid0(VALU_DEP_2) | instskip(NEXT) | instid1(VALU_DEP_1)
	v_fmaak_f64 v[14:15], v[12:13], v[14:15], 0x3ec71dee623fde64
	v_fmaak_f64 v[14:15], v[12:13], v[14:15], 0x3efa01997c89e6b0
	s_delay_alu instid0(VALU_DEP_1) | instskip(NEXT) | instid1(VALU_DEP_1)
	v_fmaak_f64 v[14:15], v[12:13], v[14:15], 0x3f2a01a014761f6e
	v_fmaak_f64 v[14:15], v[12:13], v[14:15], 0x3f56c16c1852b7b0
	s_delay_alu instid0(VALU_DEP_1) | instskip(NEXT) | instid1(VALU_DEP_1)
	;; [unrolled: 3-line block ×4, first 2 shown]
	v_fma_f64 v[14:15], v[12:13], v[14:15], 1.0
	v_fma_f64 v[8:9], v[12:13], v[14:15], 1.0
	s_delay_alu instid0(VALU_DEP_1) | instskip(NEXT) | instid1(VALU_DEP_1)
	v_ldexp_f64 v[8:9], v[8:9], v1
	v_cndmask_b32_e32 v1, 0x7ff00000, v9, vcc_lo
	s_and_b32 vcc_lo, s0, vcc_lo
	s_delay_alu instid0(VALU_DEP_1) | instid1(SALU_CYCLE_1)
	v_dual_cndmask_b32 v8, 0, v8, vcc_lo :: v_dual_cndmask_b32 v9, 0, v1, s0
	s_mov_b64 s[0:1], 0x3fe5555555555555
	s_delay_alu instid0(VALU_DEP_1) | instskip(NEXT) | instid1(VALU_DEP_1)
	v_add_f64_e32 v[10:11], 1.0, v[8:9]
	v_frexp_mant_f64_e32 v[12:13], v[10:11]
	v_frexp_exp_i32_f64_e32 v1, v[10:11]
	s_delay_alu instid0(VALU_DEP_2) | instskip(SKIP_1) | instid1(VALU_DEP_2)
	v_cmp_gt_f64_e32 vcc_lo, s[0:1], v[12:13]
	s_mov_b64 s[0:1], 0x3fc3ab76bf559e2b
	v_subrev_co_ci_u32_e64 v1, null, 0, v1, vcc_lo
	v_add_f64_e32 v[14:15], -1.0, v[10:11]
	v_cmp_nge_f64_e32 vcc_lo, -1.0, v[8:9]
	s_delay_alu instid0(VALU_DEP_2) | instskip(NEXT) | instid1(VALU_DEP_1)
	v_dual_add_f64 v[12:13], v[14:15], -v[10:11] :: v_dual_sub_nc_u32 v18, 0, v1
	v_ldexp_f64 v[10:11], v[10:11], v18
	v_add_f64_e64 v[14:15], v[8:9], -v[14:15]
	s_delay_alu instid0(VALU_DEP_3) | instskip(NEXT) | instid1(VALU_DEP_3)
	v_add_f64_e32 v[12:13], 1.0, v[12:13]
	v_add_f64_e32 v[16:17], 1.0, v[10:11]
	v_add_f64_e32 v[22:23], -1.0, v[10:11]
	s_delay_alu instid0(VALU_DEP_3) | instskip(NEXT) | instid1(VALU_DEP_3)
	v_add_f64_e32 v[12:13], v[14:15], v[12:13]
	v_add_f64_e32 v[14:15], -1.0, v[16:17]
	s_delay_alu instid0(VALU_DEP_3) | instskip(NEXT) | instid1(VALU_DEP_3)
	v_add_f64_e32 v[24:25], 1.0, v[22:23]
	v_ldexp_f64 v[12:13], v[12:13], v18
	s_delay_alu instid0(VALU_DEP_3) | instskip(NEXT) | instid1(VALU_DEP_3)
	v_add_f64_e64 v[14:15], v[10:11], -v[14:15]
	v_add_f64_e64 v[10:11], v[10:11], -v[24:25]
	s_delay_alu instid0(VALU_DEP_2) | instskip(NEXT) | instid1(VALU_DEP_2)
	v_add_f64_e32 v[14:15], v[12:13], v[14:15]
	v_add_f64_e32 v[10:11], v[12:13], v[10:11]
	s_delay_alu instid0(VALU_DEP_2) | instskip(NEXT) | instid1(VALU_DEP_2)
	v_add_f64_e32 v[18:19], v[16:17], v[14:15]
	v_add_f64_e32 v[24:25], v[22:23], v[10:11]
	s_delay_alu instid0(VALU_DEP_2) | instskip(SKIP_1) | instid1(VALU_DEP_2)
	v_rcp_f64_e32 v[20:21], v[18:19]
	v_add_f64_e64 v[16:17], v[18:19], -v[16:17]
	v_add_f64_e64 v[22:23], v[24:25], -v[22:23]
	s_delay_alu instid0(VALU_DEP_2) | instskip(NEXT) | instid1(VALU_DEP_2)
	v_add_f64_e64 v[14:15], v[14:15], -v[16:17]
	v_add_f64_e64 v[10:11], v[10:11], -v[22:23]
	s_delay_alu instid0(TRANS32_DEP_1) | instskip(NEXT) | instid1(VALU_DEP_1)
	v_fma_f64 v[26:27], -v[18:19], v[20:21], 1.0
	v_fmac_f64_e32 v[20:21], v[26:27], v[20:21]
	s_delay_alu instid0(VALU_DEP_1) | instskip(NEXT) | instid1(VALU_DEP_1)
	v_fma_f64 v[12:13], -v[18:19], v[20:21], 1.0
	v_fmac_f64_e32 v[20:21], v[12:13], v[20:21]
	s_delay_alu instid0(VALU_DEP_1) | instskip(NEXT) | instid1(VALU_DEP_1)
	v_mul_f64_e32 v[12:13], v[24:25], v[20:21]
	v_mul_f64_e32 v[26:27], v[18:19], v[12:13]
	s_delay_alu instid0(VALU_DEP_1) | instskip(NEXT) | instid1(VALU_DEP_1)
	v_fma_f64 v[16:17], v[12:13], v[18:19], -v[26:27]
	v_fmac_f64_e32 v[16:17], v[12:13], v[14:15]
	s_delay_alu instid0(VALU_DEP_1) | instskip(NEXT) | instid1(VALU_DEP_1)
	v_add_f64_e32 v[28:29], v[26:27], v[16:17]
	v_add_f64_e64 v[30:31], v[24:25], -v[28:29]
	v_add_f64_e64 v[22:23], v[28:29], -v[26:27]
	s_delay_alu instid0(VALU_DEP_2) | instskip(NEXT) | instid1(VALU_DEP_2)
	v_add_f64_e64 v[24:25], v[24:25], -v[30:31]
	v_add_f64_e64 v[16:17], v[22:23], -v[16:17]
	s_delay_alu instid0(VALU_DEP_2) | instskip(NEXT) | instid1(VALU_DEP_1)
	v_add_f64_e64 v[24:25], v[24:25], -v[28:29]
	v_add_f64_e32 v[10:11], v[10:11], v[24:25]
	s_delay_alu instid0(VALU_DEP_1) | instskip(NEXT) | instid1(VALU_DEP_1)
	v_add_f64_e32 v[10:11], v[16:17], v[10:11]
	v_add_f64_e32 v[16:17], v[30:31], v[10:11]
	s_delay_alu instid0(VALU_DEP_1) | instskip(SKIP_1) | instid1(VALU_DEP_2)
	v_mul_f64_e32 v[22:23], v[20:21], v[16:17]
	v_add_f64_e64 v[28:29], v[30:31], -v[16:17]
	v_mul_f64_e32 v[24:25], v[18:19], v[22:23]
	s_delay_alu instid0(VALU_DEP_2) | instskip(NEXT) | instid1(VALU_DEP_2)
	v_add_f64_e32 v[10:11], v[10:11], v[28:29]
	v_fma_f64 v[18:19], v[22:23], v[18:19], -v[24:25]
	s_delay_alu instid0(VALU_DEP_1) | instskip(NEXT) | instid1(VALU_DEP_1)
	v_fmac_f64_e32 v[18:19], v[22:23], v[14:15]
	v_add_f64_e32 v[14:15], v[24:25], v[18:19]
	s_delay_alu instid0(VALU_DEP_1) | instskip(SKIP_1) | instid1(VALU_DEP_2)
	v_add_f64_e64 v[26:27], v[16:17], -v[14:15]
	v_add_f64_e64 v[24:25], v[14:15], -v[24:25]
	v_add_f64_e64 v[16:17], v[16:17], -v[26:27]
	s_delay_alu instid0(VALU_DEP_1) | instskip(NEXT) | instid1(VALU_DEP_3)
	v_add_f64_e64 v[14:15], v[16:17], -v[14:15]
	v_add_f64_e64 v[16:17], v[24:25], -v[18:19]
	s_delay_alu instid0(VALU_DEP_2) | instskip(SKIP_1) | instid1(VALU_DEP_2)
	v_add_f64_e32 v[10:11], v[10:11], v[14:15]
	v_add_f64_e32 v[14:15], v[12:13], v[22:23]
	;; [unrolled: 1-line block ×3, first 2 shown]
	s_delay_alu instid0(VALU_DEP_2) | instskip(NEXT) | instid1(VALU_DEP_2)
	v_add_f64_e64 v[12:13], v[14:15], -v[12:13]
	v_add_f64_e32 v[10:11], v[26:27], v[10:11]
	s_delay_alu instid0(VALU_DEP_2) | instskip(NEXT) | instid1(VALU_DEP_2)
	v_add_f64_e64 v[12:13], v[22:23], -v[12:13]
	v_mul_f64_e32 v[10:11], v[20:21], v[10:11]
	s_delay_alu instid0(VALU_DEP_1) | instskip(NEXT) | instid1(VALU_DEP_1)
	v_add_f64_e32 v[10:11], v[12:13], v[10:11]
	v_add_f64_e32 v[12:13], v[14:15], v[10:11]
	s_delay_alu instid0(VALU_DEP_1) | instskip(NEXT) | instid1(VALU_DEP_1)
	v_mul_f64_e32 v[16:17], v[12:13], v[12:13]
	v_fmaak_f64 v[18:19], s[0:1], v[16:17], 0x3fc385386b47b09a
	v_mul_f64_e32 v[20:21], v[12:13], v[16:17]
	s_mov_b64 s[0:1], 0x3fe62e42fefa39ef
	s_delay_alu instid0(VALU_DEP_2) | instskip(NEXT) | instid1(VALU_DEP_1)
	v_fmaak_f64 v[18:19], v[16:17], v[18:19], 0x3fc7474dd7f4df2e
	v_fmaak_f64 v[18:19], v[16:17], v[18:19], 0x3fcc71c016291751
	s_delay_alu instid0(VALU_DEP_1) | instskip(NEXT) | instid1(VALU_DEP_1)
	v_fmaak_f64 v[18:19], v[16:17], v[18:19], 0x3fd249249b27acf1
	v_fmaak_f64 v[18:19], v[16:17], v[18:19], 0x3fd99999998ef7b6
	s_delay_alu instid0(VALU_DEP_1) | instskip(SKIP_2) | instid1(VALU_DEP_3)
	v_fmaak_f64 v[16:17], v[16:17], v[18:19], 0x3fe5555555555780
	v_ldexp_f64 v[18:19], v[12:13], 1
	v_add_f64_e64 v[12:13], v[12:13], -v[14:15]
	v_mul_f64_e32 v[16:17], v[20:21], v[16:17]
	v_cvt_f64_i32_e32 v[20:21], v1
	s_delay_alu instid0(VALU_DEP_3) | instskip(NEXT) | instid1(VALU_DEP_3)
	v_add_f64_e64 v[10:11], v[10:11], -v[12:13]
	v_add_f64_e32 v[14:15], v[18:19], v[16:17]
	s_delay_alu instid0(VALU_DEP_2) | instskip(NEXT) | instid1(VALU_DEP_2)
	v_ldexp_f64 v[10:11], v[10:11], 1
	v_add_f64_e64 v[12:13], v[14:15], -v[18:19]
	v_mul_f64_e32 v[18:19], 0x3fe62e42fefa39ef, v[20:21]
	s_delay_alu instid0(VALU_DEP_2) | instskip(NEXT) | instid1(VALU_DEP_2)
	v_add_f64_e64 v[12:13], v[16:17], -v[12:13]
	v_fma_f64 v[16:17], v[20:21], s[0:1], -v[18:19]
	v_cmp_neq_f64_e64 s0, 0x7ff00000, v[8:9]
	v_cmp_ngt_f64_e64 s1, -1.0, v[8:9]
	s_delay_alu instid0(VALU_DEP_4) | instskip(NEXT) | instid1(VALU_DEP_4)
	v_add_f64_e32 v[10:11], v[10:11], v[12:13]
	v_fmamk_f64 v[12:13], v[20:21], 0x3c7abc9e3b39803f, v[16:17]
	s_and_b32 vcc_lo, vcc_lo, s0
	s_delay_alu instid0(VALU_DEP_1) | instskip(NEXT) | instid1(VALU_DEP_3)
	v_add_f64_e32 v[16:17], v[18:19], v[12:13]
	v_add_f64_e32 v[20:21], v[14:15], v[10:11]
	s_delay_alu instid0(VALU_DEP_2) | instskip(NEXT) | instid1(VALU_DEP_2)
	v_add_f64_e64 v[18:19], v[16:17], -v[18:19]
	v_add_f64_e32 v[22:23], v[16:17], v[20:21]
	v_add_f64_e64 v[14:15], v[20:21], -v[14:15]
	s_delay_alu instid0(VALU_DEP_3) | instskip(NEXT) | instid1(VALU_DEP_3)
	v_add_f64_e64 v[12:13], v[12:13], -v[18:19]
	v_add_f64_e64 v[24:25], v[22:23], -v[16:17]
	s_delay_alu instid0(VALU_DEP_3) | instskip(NEXT) | instid1(VALU_DEP_2)
	v_add_f64_e64 v[10:11], v[10:11], -v[14:15]
	v_add_f64_e64 v[26:27], v[22:23], -v[24:25]
	;; [unrolled: 1-line block ×3, first 2 shown]
	s_delay_alu instid0(VALU_DEP_3) | instskip(NEXT) | instid1(VALU_DEP_3)
	v_add_f64_e32 v[18:19], v[12:13], v[10:11]
	v_add_f64_e64 v[16:17], v[16:17], -v[26:27]
	s_delay_alu instid0(VALU_DEP_1) | instskip(NEXT) | instid1(VALU_DEP_3)
	v_add_f64_e32 v[14:15], v[14:15], v[16:17]
	v_add_f64_e64 v[16:17], v[18:19], -v[12:13]
	s_delay_alu instid0(VALU_DEP_2) | instskip(NEXT) | instid1(VALU_DEP_2)
	v_add_f64_e32 v[14:15], v[18:19], v[14:15]
	v_add_f64_e64 v[18:19], v[18:19], -v[16:17]
	v_add_f64_e64 v[10:11], v[10:11], -v[16:17]
	s_delay_alu instid0(VALU_DEP_3) | instskip(NEXT) | instid1(VALU_DEP_3)
	v_add_f64_e32 v[20:21], v[22:23], v[14:15]
	v_add_f64_e64 v[12:13], v[12:13], -v[18:19]
	s_delay_alu instid0(VALU_DEP_2) | instskip(NEXT) | instid1(VALU_DEP_2)
	v_add_f64_e64 v[16:17], v[20:21], -v[22:23]
	v_add_f64_e32 v[10:11], v[10:11], v[12:13]
	s_delay_alu instid0(VALU_DEP_2) | instskip(NEXT) | instid1(VALU_DEP_1)
	v_add_f64_e64 v[12:13], v[14:15], -v[16:17]
	v_add_f64_e32 v[10:11], v[10:11], v[12:13]
	s_delay_alu instid0(VALU_DEP_1) | instskip(NEXT) | instid1(VALU_DEP_1)
	v_add_f64_e32 v[10:11], v[20:21], v[10:11]
	v_cndmask_b32_e32 v10, 0, v10, vcc_lo
	v_cmp_neq_f64_e32 vcc_lo, -1.0, v[8:9]
	s_delay_alu instid0(VALU_DEP_3) | instskip(NEXT) | instid1(VALU_DEP_1)
	v_cndmask_b32_e64 v1, 0x7ff00000, v11, s0
	v_cndmask_b32_e64 v1, 0x7ff80000, v1, s1
	s_delay_alu instid0(VALU_DEP_1) | instskip(NEXT) | instid1(VALU_DEP_1)
	v_cndmask_b32_e32 v11, 0xfff00000, v1, vcc_lo
	v_div_scale_f64 v[8:9], null, s[4:5], s[4:5], v[10:11]
	s_delay_alu instid0(VALU_DEP_1) | instskip(SKIP_1) | instid1(TRANS32_DEP_1)
	v_rcp_f64_e32 v[12:13], v[8:9]
	v_nop
	v_fma_f64 v[14:15], -v[8:9], v[12:13], 1.0
	s_delay_alu instid0(VALU_DEP_1) | instskip(NEXT) | instid1(VALU_DEP_1)
	v_fmac_f64_e32 v[12:13], v[12:13], v[14:15]
	v_fma_f64 v[14:15], -v[8:9], v[12:13], 1.0
	s_delay_alu instid0(VALU_DEP_1) | instskip(SKIP_1) | instid1(VALU_DEP_1)
	v_fmac_f64_e32 v[12:13], v[12:13], v[14:15]
	v_div_scale_f64 v[14:15], vcc_lo, v[10:11], s[4:5], v[10:11]
	v_mul_f64_e32 v[16:17], v[14:15], v[12:13]
	s_delay_alu instid0(VALU_DEP_1) | instskip(NEXT) | instid1(VALU_DEP_1)
	v_fma_f64 v[8:9], -v[8:9], v[16:17], v[14:15]
	v_div_fmas_f64 v[8:9], v[8:9], v[12:13], v[16:17]
	s_delay_alu instid0(VALU_DEP_1)
	v_div_fixup_f64 v[8:9], v[8:9], s[4:5], v[10:11]
.LBB3_9:
	s_or_b32 exec_lo, exec_lo, s13
	s_add_nc_u64 s[2:3], s[8:9], s[2:3]
	s_mov_b32 s0, 0
	s_clause 0x1
	global_store_b128 v0, v[2:5], s[2:3] scale_offset
	global_store_b128 v0, v[6:9], s[2:3] offset:4096 scale_offset
.LBB3_10:
	s_and_b32 vcc_lo, exec_lo, s0
	s_cbranch_vccz .LBB3_37
; %bb.11:
	v_mov_b64_e32 v[22:23], 0
	v_mov_b64_e32 v[10:11], 0
	v_cmp_gt_i32_e64 s0, s14, v0
	s_wait_xcnt 0x1
	v_dual_mov_b32 v2, v0 :: v_dual_bitop2_b32 v1, s12, v0 bitop3:0x54
	v_or_b32_e32 v24, 0x100, v0
	s_wait_xcnt 0x0
	s_and_saveexec_b32 s1, s0
	s_cbranch_execz .LBB3_13
; %bb.12:
	global_load_b64 v[10:11], v1, s[10:11] scale_offset
	v_or_b32_e32 v2, 0x100, v0
.LBB3_13:
	s_wait_xcnt 0x0
	s_or_b32 exec_lo, exec_lo, s1
	s_delay_alu instid0(SALU_CYCLE_1) | instskip(NEXT) | instid1(VALU_DEP_1)
	s_mov_b32 s1, exec_lo
	v_cmpx_gt_i32_e64 s14, v2
	s_cbranch_execz .LBB3_15
; %bb.14:
	v_add_nc_u32_e32 v3, s12, v2
	v_add_nc_u32_e32 v2, 0x100, v2
	global_load_b64 v[22:23], v3, s[10:11] scale_offset
.LBB3_15:
	s_wait_xcnt 0x0
	s_or_b32 exec_lo, exec_lo, s1
	v_mov_b64_e32 v[18:19], 0
	v_mov_b64_e32 v[20:21], 0
	s_mov_b32 s1, exec_lo
	v_cmpx_gt_i32_e64 s14, v2
	s_cbranch_execz .LBB3_17
; %bb.16:
	v_add_nc_u32_e32 v3, s12, v2
	v_add_nc_u32_e32 v2, 0x100, v2
	global_load_b64 v[20:21], v3, s[10:11] scale_offset
.LBB3_17:
	s_wait_xcnt 0x0
	s_or_b32 exec_lo, exec_lo, s1
	s_delay_alu instid0(SALU_CYCLE_1)
	s_mov_b32 s1, exec_lo
	v_cmpx_gt_i32_e64 s14, v2
	s_cbranch_execz .LBB3_19
; %bb.18:
	v_add_nc_u32_e32 v2, s12, v2
	global_load_b64 v[18:19], v2, s[10:11] scale_offset
.LBB3_19:
	s_wait_xcnt 0x0
	s_or_b32 exec_lo, exec_lo, s1
	v_mov_b32_e32 v2, 0
	s_delay_alu instid0(VALU_DEP_1)
	v_dual_mov_b32 v3, v2 :: v_dual_mov_b32 v4, v2
	v_dual_mov_b32 v5, v2 :: v_dual_mov_b32 v6, v2
	;; [unrolled: 1-line block ×3, first 2 shown]
	v_mov_b32_e32 v9, v2
	s_and_saveexec_b32 s3, s0
	s_cbranch_execz .LBB3_23
; %bb.20:
	s_wait_loadcnt 0x0
	v_mul_f64_e32 v[2:3], s[4:5], v[10:11]
	s_mov_b32 s10, exec_lo
	s_delay_alu instid0(VALU_DEP_1)
	v_cmpx_nlt_f64_e32 s[6:7], v[2:3]
	s_cbranch_execz .LBB3_22
; %bb.21:
	v_mul_f64_e32 v[4:5], 0x3ff71547652b82fe, v[2:3]
	s_mov_b64 s[16:17], 0x3e5ade156a5dcb37
	v_cmp_nlt_f64_e32 vcc_lo, 0x40900000, v[2:3]
	v_cmp_ngt_f64_e64 s1, 0xc090cc00, v[2:3]
	s_delay_alu instid0(VALU_DEP_3) | instskip(NEXT) | instid1(VALU_DEP_1)
	v_rndne_f64_e32 v[4:5], v[4:5]
	v_fmamk_f64 v[6:7], v[4:5], 0xbfe62e42fefa39ef, v[2:3]
	v_cvt_i32_f64_e32 v10, v[4:5]
	s_delay_alu instid0(VALU_DEP_2) | instskip(NEXT) | instid1(VALU_DEP_1)
	v_fmamk_f64 v[6:7], v[4:5], 0xbc7abc9e3b39803f, v[6:7]
	v_fmaak_f64 v[8:9], s[16:17], v[6:7], 0x3e928af3fca7ab0c
	s_mov_b64 s[16:17], 0x3fe5555555555555
	s_delay_alu instid0(VALU_DEP_1) | instskip(NEXT) | instid1(VALU_DEP_1)
	v_fmaak_f64 v[8:9], v[6:7], v[8:9], 0x3ec71dee623fde64
	v_fmaak_f64 v[8:9], v[6:7], v[8:9], 0x3efa01997c89e6b0
	s_delay_alu instid0(VALU_DEP_1) | instskip(NEXT) | instid1(VALU_DEP_1)
	v_fmaak_f64 v[8:9], v[6:7], v[8:9], 0x3f2a01a014761f6e
	v_fmaak_f64 v[8:9], v[6:7], v[8:9], 0x3f56c16c1852b7b0
	;; [unrolled: 3-line block ×4, first 2 shown]
	s_delay_alu instid0(VALU_DEP_1) | instskip(NEXT) | instid1(VALU_DEP_1)
	v_fma_f64 v[8:9], v[6:7], v[8:9], 1.0
	v_fma_f64 v[4:5], v[6:7], v[8:9], 1.0
	s_delay_alu instid0(VALU_DEP_1) | instskip(NEXT) | instid1(VALU_DEP_1)
	v_ldexp_f64 v[4:5], v[4:5], v10
	v_cndmask_b32_e32 v5, 0x7ff00000, v5, vcc_lo
	s_and_b32 vcc_lo, s1, vcc_lo
	s_delay_alu instid0(VALU_DEP_1) | instid1(SALU_CYCLE_1)
	v_dual_cndmask_b32 v2, 0, v4, vcc_lo :: v_dual_cndmask_b32 v3, 0, v5, s1
	s_delay_alu instid0(VALU_DEP_1) | instskip(SKIP_2) | instid1(VALU_DEP_3)
	v_add_f64_e32 v[4:5], 1.0, v[2:3]
	v_cmp_neq_f64_e64 s1, 0x7ff00000, v[2:3]
	v_cmp_ngt_f64_e64 s2, -1.0, v[2:3]
	v_frexp_mant_f64_e32 v[6:7], v[4:5]
	v_frexp_exp_i32_f64_e32 v10, v[4:5]
	s_delay_alu instid0(VALU_DEP_2) | instskip(SKIP_1) | instid1(VALU_DEP_2)
	v_cmp_gt_f64_e32 vcc_lo, s[16:17], v[6:7]
	s_mov_b64 s[16:17], 0x3fc3ab76bf559e2b
	v_subrev_co_ci_u32_e64 v25, null, 0, v10, vcc_lo
	v_cmp_nge_f64_e32 vcc_lo, -1.0, v[2:3]
	s_delay_alu instid0(VALU_DEP_2) | instskip(SKIP_2) | instid1(VALU_DEP_1)
	v_sub_nc_u32_e32 v12, 0, v25
	v_add_f64_e32 v[8:9], -1.0, v[4:5]
	s_and_b32 vcc_lo, vcc_lo, s1
	v_add_f64_e64 v[6:7], v[8:9], -v[4:5]
	s_delay_alu instid0(VALU_DEP_3) | instskip(SKIP_1) | instid1(VALU_DEP_3)
	v_ldexp_f64 v[4:5], v[4:5], v12
	v_add_f64_e64 v[8:9], v[2:3], -v[8:9]
	v_add_f64_e32 v[6:7], 1.0, v[6:7]
	s_delay_alu instid0(VALU_DEP_3) | instskip(SKIP_1) | instid1(VALU_DEP_3)
	v_add_f64_e32 v[10:11], 1.0, v[4:5]
	v_add_f64_e32 v[16:17], -1.0, v[4:5]
	v_add_f64_e32 v[6:7], v[8:9], v[6:7]
	s_delay_alu instid0(VALU_DEP_3) | instskip(NEXT) | instid1(VALU_DEP_3)
	v_add_f64_e32 v[8:9], -1.0, v[10:11]
	v_add_f64_e32 v[26:27], 1.0, v[16:17]
	s_delay_alu instid0(VALU_DEP_3) | instskip(NEXT) | instid1(VALU_DEP_3)
	v_ldexp_f64 v[6:7], v[6:7], v12
	v_add_f64_e64 v[8:9], v[4:5], -v[8:9]
	s_delay_alu instid0(VALU_DEP_3) | instskip(NEXT) | instid1(VALU_DEP_2)
	v_add_f64_e64 v[4:5], v[4:5], -v[26:27]
	v_add_f64_e32 v[8:9], v[6:7], v[8:9]
	s_delay_alu instid0(VALU_DEP_2) | instskip(NEXT) | instid1(VALU_DEP_2)
	v_add_f64_e32 v[4:5], v[6:7], v[4:5]
	v_add_f64_e32 v[12:13], v[10:11], v[8:9]
	s_delay_alu instid0(VALU_DEP_2) | instskip(NEXT) | instid1(VALU_DEP_2)
	v_add_f64_e32 v[26:27], v[16:17], v[4:5]
	v_rcp_f64_e32 v[14:15], v[12:13]
	v_add_f64_e64 v[10:11], v[12:13], -v[10:11]
	s_delay_alu instid0(VALU_DEP_2) | instskip(NEXT) | instid1(VALU_DEP_2)
	v_add_f64_e64 v[16:17], v[26:27], -v[16:17]
	v_add_f64_e64 v[8:9], v[8:9], -v[10:11]
	s_delay_alu instid0(VALU_DEP_2) | instskip(NEXT) | instid1(TRANS32_DEP_1)
	v_add_f64_e64 v[4:5], v[4:5], -v[16:17]
	v_fma_f64 v[28:29], -v[12:13], v[14:15], 1.0
	s_delay_alu instid0(VALU_DEP_1) | instskip(NEXT) | instid1(VALU_DEP_1)
	v_fmac_f64_e32 v[14:15], v[28:29], v[14:15]
	v_fma_f64 v[6:7], -v[12:13], v[14:15], 1.0
	s_delay_alu instid0(VALU_DEP_1) | instskip(NEXT) | instid1(VALU_DEP_1)
	v_fmac_f64_e32 v[14:15], v[6:7], v[14:15]
	v_mul_f64_e32 v[6:7], v[26:27], v[14:15]
	s_delay_alu instid0(VALU_DEP_1) | instskip(NEXT) | instid1(VALU_DEP_1)
	v_mul_f64_e32 v[28:29], v[12:13], v[6:7]
	v_fma_f64 v[10:11], v[6:7], v[12:13], -v[28:29]
	s_delay_alu instid0(VALU_DEP_1) | instskip(NEXT) | instid1(VALU_DEP_1)
	v_fmac_f64_e32 v[10:11], v[6:7], v[8:9]
	v_add_f64_e32 v[30:31], v[28:29], v[10:11]
	s_delay_alu instid0(VALU_DEP_1) | instskip(SKIP_1) | instid1(VALU_DEP_2)
	v_add_f64_e64 v[32:33], v[26:27], -v[30:31]
	v_add_f64_e64 v[16:17], v[30:31], -v[28:29]
	;; [unrolled: 1-line block ×3, first 2 shown]
	s_delay_alu instid0(VALU_DEP_2) | instskip(NEXT) | instid1(VALU_DEP_2)
	v_add_f64_e64 v[10:11], v[16:17], -v[10:11]
	v_add_f64_e64 v[26:27], v[26:27], -v[30:31]
	s_delay_alu instid0(VALU_DEP_1) | instskip(NEXT) | instid1(VALU_DEP_1)
	v_add_f64_e32 v[4:5], v[4:5], v[26:27]
	v_add_f64_e32 v[4:5], v[10:11], v[4:5]
	s_delay_alu instid0(VALU_DEP_1) | instskip(NEXT) | instid1(VALU_DEP_1)
	v_add_f64_e32 v[10:11], v[32:33], v[4:5]
	v_mul_f64_e32 v[16:17], v[14:15], v[10:11]
	v_add_f64_e64 v[30:31], v[32:33], -v[10:11]
	s_delay_alu instid0(VALU_DEP_2) | instskip(NEXT) | instid1(VALU_DEP_2)
	v_mul_f64_e32 v[26:27], v[12:13], v[16:17]
	v_add_f64_e32 v[4:5], v[4:5], v[30:31]
	s_delay_alu instid0(VALU_DEP_2) | instskip(NEXT) | instid1(VALU_DEP_1)
	v_fma_f64 v[12:13], v[16:17], v[12:13], -v[26:27]
	v_fmac_f64_e32 v[12:13], v[16:17], v[8:9]
	s_delay_alu instid0(VALU_DEP_1) | instskip(NEXT) | instid1(VALU_DEP_1)
	v_add_f64_e32 v[8:9], v[26:27], v[12:13]
	v_add_f64_e64 v[28:29], v[10:11], -v[8:9]
	v_add_f64_e64 v[26:27], v[8:9], -v[26:27]
	s_delay_alu instid0(VALU_DEP_2) | instskip(NEXT) | instid1(VALU_DEP_1)
	v_add_f64_e64 v[10:11], v[10:11], -v[28:29]
	v_add_f64_e64 v[8:9], v[10:11], -v[8:9]
	s_delay_alu instid0(VALU_DEP_3) | instskip(NEXT) | instid1(VALU_DEP_2)
	v_add_f64_e64 v[10:11], v[26:27], -v[12:13]
	v_add_f64_e32 v[4:5], v[4:5], v[8:9]
	v_add_f64_e32 v[8:9], v[6:7], v[16:17]
	s_delay_alu instid0(VALU_DEP_2) | instskip(NEXT) | instid1(VALU_DEP_2)
	v_add_f64_e32 v[4:5], v[10:11], v[4:5]
	v_add_f64_e64 v[6:7], v[8:9], -v[6:7]
	s_delay_alu instid0(VALU_DEP_2) | instskip(NEXT) | instid1(VALU_DEP_2)
	v_add_f64_e32 v[4:5], v[28:29], v[4:5]
	v_add_f64_e64 v[6:7], v[16:17], -v[6:7]
	s_delay_alu instid0(VALU_DEP_2) | instskip(NEXT) | instid1(VALU_DEP_1)
	v_mul_f64_e32 v[4:5], v[14:15], v[4:5]
	v_add_f64_e32 v[4:5], v[6:7], v[4:5]
	s_delay_alu instid0(VALU_DEP_1) | instskip(NEXT) | instid1(VALU_DEP_1)
	v_add_f64_e32 v[6:7], v[8:9], v[4:5]
	v_mul_f64_e32 v[10:11], v[6:7], v[6:7]
	s_delay_alu instid0(VALU_DEP_1) | instskip(SKIP_2) | instid1(VALU_DEP_2)
	v_fmaak_f64 v[12:13], s[16:17], v[10:11], 0x3fc385386b47b09a
	v_mul_f64_e32 v[14:15], v[6:7], v[10:11]
	s_mov_b64 s[16:17], 0x3fe62e42fefa39ef
	v_fmaak_f64 v[12:13], v[10:11], v[12:13], 0x3fc7474dd7f4df2e
	s_delay_alu instid0(VALU_DEP_1) | instskip(NEXT) | instid1(VALU_DEP_1)
	v_fmaak_f64 v[12:13], v[10:11], v[12:13], 0x3fcc71c016291751
	v_fmaak_f64 v[12:13], v[10:11], v[12:13], 0x3fd249249b27acf1
	s_delay_alu instid0(VALU_DEP_1) | instskip(NEXT) | instid1(VALU_DEP_1)
	v_fmaak_f64 v[12:13], v[10:11], v[12:13], 0x3fd99999998ef7b6
	v_fmaak_f64 v[10:11], v[10:11], v[12:13], 0x3fe5555555555780
	v_ldexp_f64 v[12:13], v[6:7], 1
	v_add_f64_e64 v[6:7], v[6:7], -v[8:9]
	s_delay_alu instid0(VALU_DEP_3) | instskip(SKIP_1) | instid1(VALU_DEP_3)
	v_mul_f64_e32 v[10:11], v[14:15], v[10:11]
	v_cvt_f64_i32_e32 v[14:15], v25
	v_add_f64_e64 v[4:5], v[4:5], -v[6:7]
	s_delay_alu instid0(VALU_DEP_3) | instskip(NEXT) | instid1(VALU_DEP_2)
	v_add_f64_e32 v[8:9], v[12:13], v[10:11]
	v_ldexp_f64 v[4:5], v[4:5], 1
	s_delay_alu instid0(VALU_DEP_2) | instskip(SKIP_1) | instid1(VALU_DEP_2)
	v_add_f64_e64 v[6:7], v[8:9], -v[12:13]
	v_mul_f64_e32 v[12:13], 0x3fe62e42fefa39ef, v[14:15]
	v_add_f64_e64 v[6:7], v[10:11], -v[6:7]
	s_delay_alu instid0(VALU_DEP_2) | instskip(NEXT) | instid1(VALU_DEP_2)
	v_fma_f64 v[10:11], v[14:15], s[16:17], -v[12:13]
	v_add_f64_e32 v[4:5], v[4:5], v[6:7]
	s_delay_alu instid0(VALU_DEP_2) | instskip(NEXT) | instid1(VALU_DEP_1)
	v_fmamk_f64 v[6:7], v[14:15], 0x3c7abc9e3b39803f, v[10:11]
	v_add_f64_e32 v[10:11], v[12:13], v[6:7]
	s_delay_alu instid0(VALU_DEP_3) | instskip(NEXT) | instid1(VALU_DEP_2)
	v_add_f64_e32 v[14:15], v[8:9], v[4:5]
	v_add_f64_e64 v[12:13], v[10:11], -v[12:13]
	s_delay_alu instid0(VALU_DEP_2) | instskip(SKIP_1) | instid1(VALU_DEP_3)
	v_add_f64_e32 v[16:17], v[10:11], v[14:15]
	v_add_f64_e64 v[8:9], v[14:15], -v[8:9]
	v_add_f64_e64 v[6:7], v[6:7], -v[12:13]
	s_delay_alu instid0(VALU_DEP_3) | instskip(NEXT) | instid1(VALU_DEP_3)
	v_add_f64_e64 v[26:27], v[16:17], -v[10:11]
	v_add_f64_e64 v[4:5], v[4:5], -v[8:9]
	s_delay_alu instid0(VALU_DEP_2) | instskip(SKIP_1) | instid1(VALU_DEP_3)
	v_add_f64_e64 v[28:29], v[16:17], -v[26:27]
	v_add_f64_e64 v[8:9], v[14:15], -v[26:27]
	v_add_f64_e32 v[12:13], v[6:7], v[4:5]
	s_delay_alu instid0(VALU_DEP_3) | instskip(NEXT) | instid1(VALU_DEP_1)
	v_add_f64_e64 v[10:11], v[10:11], -v[28:29]
	v_add_f64_e32 v[8:9], v[8:9], v[10:11]
	s_delay_alu instid0(VALU_DEP_3) | instskip(NEXT) | instid1(VALU_DEP_2)
	v_add_f64_e64 v[10:11], v[12:13], -v[6:7]
	v_add_f64_e32 v[8:9], v[12:13], v[8:9]
	s_delay_alu instid0(VALU_DEP_2) | instskip(SKIP_1) | instid1(VALU_DEP_3)
	v_add_f64_e64 v[12:13], v[12:13], -v[10:11]
	v_add_f64_e64 v[4:5], v[4:5], -v[10:11]
	v_add_f64_e32 v[14:15], v[16:17], v[8:9]
	s_delay_alu instid0(VALU_DEP_3) | instskip(NEXT) | instid1(VALU_DEP_2)
	v_add_f64_e64 v[6:7], v[6:7], -v[12:13]
	v_add_f64_e64 v[10:11], v[14:15], -v[16:17]
	s_delay_alu instid0(VALU_DEP_2) | instskip(NEXT) | instid1(VALU_DEP_2)
	v_add_f64_e32 v[4:5], v[4:5], v[6:7]
	v_add_f64_e64 v[6:7], v[8:9], -v[10:11]
	s_delay_alu instid0(VALU_DEP_1) | instskip(NEXT) | instid1(VALU_DEP_1)
	v_add_f64_e32 v[4:5], v[4:5], v[6:7]
	v_add_f64_e32 v[4:5], v[14:15], v[4:5]
	s_delay_alu instid0(VALU_DEP_1) | instskip(SKIP_1) | instid1(VALU_DEP_3)
	v_cndmask_b32_e32 v4, 0, v4, vcc_lo
	v_cmp_neq_f64_e32 vcc_lo, -1.0, v[2:3]
	v_cndmask_b32_e64 v5, 0x7ff00000, v5, s1
	s_delay_alu instid0(VALU_DEP_1) | instskip(NEXT) | instid1(VALU_DEP_1)
	v_cndmask_b32_e64 v5, 0x7ff80000, v5, s2
	v_cndmask_b32_e32 v5, 0xfff00000, v5, vcc_lo
	s_delay_alu instid0(VALU_DEP_1) | instskip(NEXT) | instid1(VALU_DEP_1)
	v_div_scale_f64 v[2:3], null, s[4:5], s[4:5], v[4:5]
	v_rcp_f64_e32 v[6:7], v[2:3]
	v_nop
	s_delay_alu instid0(TRANS32_DEP_1) | instskip(NEXT) | instid1(VALU_DEP_1)
	v_fma_f64 v[8:9], -v[2:3], v[6:7], 1.0
	v_fmac_f64_e32 v[6:7], v[6:7], v[8:9]
	s_delay_alu instid0(VALU_DEP_1) | instskip(NEXT) | instid1(VALU_DEP_1)
	v_fma_f64 v[8:9], -v[2:3], v[6:7], 1.0
	v_fmac_f64_e32 v[6:7], v[6:7], v[8:9]
	v_div_scale_f64 v[8:9], vcc_lo, v[4:5], s[4:5], v[4:5]
	s_delay_alu instid0(VALU_DEP_1) | instskip(NEXT) | instid1(VALU_DEP_1)
	v_mul_f64_e32 v[10:11], v[8:9], v[6:7]
	v_fma_f64 v[2:3], -v[2:3], v[10:11], v[8:9]
	s_delay_alu instid0(VALU_DEP_1) | instskip(NEXT) | instid1(VALU_DEP_1)
	v_div_fmas_f64 v[2:3], v[2:3], v[6:7], v[10:11]
	v_div_fixup_f64 v[10:11], v[2:3], s[4:5], v[4:5]
.LBB3_22:
	s_or_b32 exec_lo, exec_lo, s10
	v_mov_b32_e32 v12, 0
	s_delay_alu instid0(VALU_DEP_1) | instskip(SKIP_3) | instid1(VALU_DEP_4)
	v_dual_mov_b32 v13, v12 :: v_dual_mov_b32 v14, v12
	v_dual_mov_b32 v15, v12 :: v_dual_mov_b32 v16, v12
	v_mov_b32_e32 v17, v12
	v_mov_b64_e32 v[2:3], v[10:11]
	v_mov_b64_e32 v[4:5], v[12:13]
	s_delay_alu instid0(VALU_DEP_4) | instskip(NEXT) | instid1(VALU_DEP_4)
	v_mov_b64_e32 v[6:7], v[14:15]
	v_mov_b64_e32 v[8:9], v[16:17]
.LBB3_23:
	s_or_b32 exec_lo, exec_lo, s3
	s_delay_alu instid0(SALU_CYCLE_1)
	s_mov_b32 s3, exec_lo
	v_cmpx_gt_i32_e64 s14, v24
	s_cbranch_execz .LBB3_27
; %bb.24:
	s_wait_loadcnt 0x0
	v_mul_f64_e32 v[4:5], s[4:5], v[22:23]
	s_mov_b32 s10, exec_lo
	s_delay_alu instid0(VALU_DEP_1)
	v_cmpx_nlt_f64_e32 s[6:7], v[4:5]
	s_cbranch_execz .LBB3_26
; %bb.25:
	v_mul_f64_e32 v[10:11], 0x3ff71547652b82fe, v[4:5]
	s_mov_b64 s[16:17], 0x3e5ade156a5dcb37
	v_cmp_nlt_f64_e32 vcc_lo, 0x40900000, v[4:5]
	v_cmp_ngt_f64_e64 s1, 0xc090cc00, v[4:5]
	s_delay_alu instid0(VALU_DEP_3) | instskip(NEXT) | instid1(VALU_DEP_1)
	v_rndne_f64_e32 v[10:11], v[10:11]
	v_fmamk_f64 v[12:13], v[10:11], 0xbfe62e42fefa39ef, v[4:5]
	v_cvt_i32_f64_e32 v16, v[10:11]
	s_delay_alu instid0(VALU_DEP_2) | instskip(NEXT) | instid1(VALU_DEP_1)
	v_fmamk_f64 v[12:13], v[10:11], 0xbc7abc9e3b39803f, v[12:13]
	v_fmaak_f64 v[14:15], s[16:17], v[12:13], 0x3e928af3fca7ab0c
	s_mov_b64 s[16:17], 0x3fe5555555555555
	s_delay_alu instid0(VALU_DEP_1) | instskip(NEXT) | instid1(VALU_DEP_1)
	v_fmaak_f64 v[14:15], v[12:13], v[14:15], 0x3ec71dee623fde64
	v_fmaak_f64 v[14:15], v[12:13], v[14:15], 0x3efa01997c89e6b0
	s_delay_alu instid0(VALU_DEP_1) | instskip(NEXT) | instid1(VALU_DEP_1)
	v_fmaak_f64 v[14:15], v[12:13], v[14:15], 0x3f2a01a014761f6e
	v_fmaak_f64 v[14:15], v[12:13], v[14:15], 0x3f56c16c1852b7b0
	;; [unrolled: 3-line block ×4, first 2 shown]
	s_delay_alu instid0(VALU_DEP_1) | instskip(NEXT) | instid1(VALU_DEP_1)
	v_fma_f64 v[14:15], v[12:13], v[14:15], 1.0
	v_fma_f64 v[10:11], v[12:13], v[14:15], 1.0
	s_delay_alu instid0(VALU_DEP_1) | instskip(NEXT) | instid1(VALU_DEP_1)
	v_ldexp_f64 v[10:11], v[10:11], v16
	v_cndmask_b32_e32 v11, 0x7ff00000, v11, vcc_lo
	s_and_b32 vcc_lo, s1, vcc_lo
	s_delay_alu instid0(VALU_DEP_1) | instid1(SALU_CYCLE_1)
	v_dual_cndmask_b32 v4, 0, v10, vcc_lo :: v_dual_cndmask_b32 v5, 0, v11, s1
	s_delay_alu instid0(VALU_DEP_1) | instskip(SKIP_2) | instid1(VALU_DEP_3)
	v_add_f64_e32 v[10:11], 1.0, v[4:5]
	v_cmp_neq_f64_e64 s1, 0x7ff00000, v[4:5]
	v_cmp_ngt_f64_e64 s2, -1.0, v[4:5]
	v_frexp_mant_f64_e32 v[12:13], v[10:11]
	v_frexp_exp_i32_f64_e32 v16, v[10:11]
	v_add_f64_e32 v[14:15], -1.0, v[10:11]
	s_delay_alu instid0(VALU_DEP_3) | instskip(SKIP_1) | instid1(VALU_DEP_2)
	v_cmp_gt_f64_e32 vcc_lo, s[16:17], v[12:13]
	s_mov_b64 s[16:17], 0x3fc3ab76bf559e2b
	v_add_f64_e64 v[12:13], v[14:15], -v[10:11]
	v_add_f64_e64 v[14:15], v[4:5], -v[14:15]
	v_subrev_co_ci_u32_e64 v25, null, 0, v16, vcc_lo
	v_cmp_nge_f64_e32 vcc_lo, -1.0, v[4:5]
	s_delay_alu instid0(VALU_DEP_2) | instskip(NEXT) | instid1(VALU_DEP_1)
	v_sub_nc_u32_e32 v22, 0, v25
	v_ldexp_f64 v[10:11], v[10:11], v22
	s_and_b32 vcc_lo, vcc_lo, s1
	v_add_f64_e32 v[12:13], 1.0, v[12:13]
	s_delay_alu instid0(VALU_DEP_2) | instskip(SKIP_1) | instid1(VALU_DEP_3)
	v_add_f64_e32 v[16:17], 1.0, v[10:11]
	v_add_f64_e32 v[28:29], -1.0, v[10:11]
	v_add_f64_e32 v[12:13], v[14:15], v[12:13]
	s_delay_alu instid0(VALU_DEP_3) | instskip(NEXT) | instid1(VALU_DEP_3)
	v_add_f64_e32 v[14:15], -1.0, v[16:17]
	v_add_f64_e32 v[30:31], 1.0, v[28:29]
	s_delay_alu instid0(VALU_DEP_3) | instskip(NEXT) | instid1(VALU_DEP_3)
	v_ldexp_f64 v[12:13], v[12:13], v22
	v_add_f64_e64 v[14:15], v[10:11], -v[14:15]
	s_delay_alu instid0(VALU_DEP_3) | instskip(NEXT) | instid1(VALU_DEP_2)
	v_add_f64_e64 v[10:11], v[10:11], -v[30:31]
	v_add_f64_e32 v[14:15], v[12:13], v[14:15]
	s_delay_alu instid0(VALU_DEP_2) | instskip(NEXT) | instid1(VALU_DEP_2)
	v_add_f64_e32 v[10:11], v[12:13], v[10:11]
	v_add_f64_e32 v[22:23], v[16:17], v[14:15]
	s_delay_alu instid0(VALU_DEP_2) | instskip(NEXT) | instid1(VALU_DEP_2)
	v_add_f64_e32 v[30:31], v[28:29], v[10:11]
	v_rcp_f64_e32 v[26:27], v[22:23]
	v_add_f64_e64 v[16:17], v[22:23], -v[16:17]
	s_delay_alu instid0(VALU_DEP_2) | instskip(NEXT) | instid1(VALU_DEP_2)
	v_add_f64_e64 v[28:29], v[30:31], -v[28:29]
	v_add_f64_e64 v[14:15], v[14:15], -v[16:17]
	s_delay_alu instid0(VALU_DEP_2) | instskip(NEXT) | instid1(TRANS32_DEP_1)
	v_add_f64_e64 v[10:11], v[10:11], -v[28:29]
	v_fma_f64 v[32:33], -v[22:23], v[26:27], 1.0
	s_delay_alu instid0(VALU_DEP_1) | instskip(NEXT) | instid1(VALU_DEP_1)
	v_fmac_f64_e32 v[26:27], v[32:33], v[26:27]
	v_fma_f64 v[12:13], -v[22:23], v[26:27], 1.0
	s_delay_alu instid0(VALU_DEP_1) | instskip(NEXT) | instid1(VALU_DEP_1)
	v_fmac_f64_e32 v[26:27], v[12:13], v[26:27]
	v_mul_f64_e32 v[12:13], v[30:31], v[26:27]
	s_delay_alu instid0(VALU_DEP_1) | instskip(NEXT) | instid1(VALU_DEP_1)
	v_mul_f64_e32 v[32:33], v[22:23], v[12:13]
	v_fma_f64 v[16:17], v[12:13], v[22:23], -v[32:33]
	s_delay_alu instid0(VALU_DEP_1) | instskip(NEXT) | instid1(VALU_DEP_1)
	v_fmac_f64_e32 v[16:17], v[12:13], v[14:15]
	v_add_f64_e32 v[34:35], v[32:33], v[16:17]
	s_delay_alu instid0(VALU_DEP_1) | instskip(SKIP_1) | instid1(VALU_DEP_2)
	v_add_f64_e64 v[36:37], v[30:31], -v[34:35]
	v_add_f64_e64 v[28:29], v[34:35], -v[32:33]
	;; [unrolled: 1-line block ×3, first 2 shown]
	s_delay_alu instid0(VALU_DEP_2) | instskip(NEXT) | instid1(VALU_DEP_2)
	v_add_f64_e64 v[16:17], v[28:29], -v[16:17]
	v_add_f64_e64 v[30:31], v[30:31], -v[34:35]
	s_delay_alu instid0(VALU_DEP_1) | instskip(NEXT) | instid1(VALU_DEP_1)
	v_add_f64_e32 v[10:11], v[10:11], v[30:31]
	v_add_f64_e32 v[10:11], v[16:17], v[10:11]
	s_delay_alu instid0(VALU_DEP_1) | instskip(NEXT) | instid1(VALU_DEP_1)
	v_add_f64_e32 v[16:17], v[36:37], v[10:11]
	v_mul_f64_e32 v[28:29], v[26:27], v[16:17]
	v_add_f64_e64 v[34:35], v[36:37], -v[16:17]
	s_delay_alu instid0(VALU_DEP_2) | instskip(NEXT) | instid1(VALU_DEP_2)
	v_mul_f64_e32 v[30:31], v[22:23], v[28:29]
	v_add_f64_e32 v[10:11], v[10:11], v[34:35]
	s_delay_alu instid0(VALU_DEP_2) | instskip(NEXT) | instid1(VALU_DEP_1)
	v_fma_f64 v[22:23], v[28:29], v[22:23], -v[30:31]
	v_fmac_f64_e32 v[22:23], v[28:29], v[14:15]
	s_delay_alu instid0(VALU_DEP_1) | instskip(NEXT) | instid1(VALU_DEP_1)
	v_add_f64_e32 v[14:15], v[30:31], v[22:23]
	v_add_f64_e64 v[32:33], v[16:17], -v[14:15]
	v_add_f64_e64 v[30:31], v[14:15], -v[30:31]
	s_delay_alu instid0(VALU_DEP_2) | instskip(NEXT) | instid1(VALU_DEP_1)
	v_add_f64_e64 v[16:17], v[16:17], -v[32:33]
	v_add_f64_e64 v[14:15], v[16:17], -v[14:15]
	s_delay_alu instid0(VALU_DEP_3) | instskip(NEXT) | instid1(VALU_DEP_2)
	v_add_f64_e64 v[16:17], v[30:31], -v[22:23]
	v_add_f64_e32 v[10:11], v[10:11], v[14:15]
	v_add_f64_e32 v[14:15], v[12:13], v[28:29]
	s_delay_alu instid0(VALU_DEP_2) | instskip(NEXT) | instid1(VALU_DEP_2)
	v_add_f64_e32 v[10:11], v[16:17], v[10:11]
	v_add_f64_e64 v[12:13], v[14:15], -v[12:13]
	s_delay_alu instid0(VALU_DEP_2) | instskip(NEXT) | instid1(VALU_DEP_2)
	v_add_f64_e32 v[10:11], v[32:33], v[10:11]
	v_add_f64_e64 v[12:13], v[28:29], -v[12:13]
	s_delay_alu instid0(VALU_DEP_2) | instskip(NEXT) | instid1(VALU_DEP_1)
	v_mul_f64_e32 v[10:11], v[26:27], v[10:11]
	v_add_f64_e32 v[10:11], v[12:13], v[10:11]
	s_delay_alu instid0(VALU_DEP_1) | instskip(NEXT) | instid1(VALU_DEP_1)
	v_add_f64_e32 v[12:13], v[14:15], v[10:11]
	v_mul_f64_e32 v[16:17], v[12:13], v[12:13]
	s_delay_alu instid0(VALU_DEP_1) | instskip(SKIP_2) | instid1(VALU_DEP_2)
	v_fmaak_f64 v[22:23], s[16:17], v[16:17], 0x3fc385386b47b09a
	v_mul_f64_e32 v[26:27], v[12:13], v[16:17]
	s_mov_b64 s[16:17], 0x3fe62e42fefa39ef
	v_fmaak_f64 v[22:23], v[16:17], v[22:23], 0x3fc7474dd7f4df2e
	s_delay_alu instid0(VALU_DEP_1) | instskip(NEXT) | instid1(VALU_DEP_1)
	v_fmaak_f64 v[22:23], v[16:17], v[22:23], 0x3fcc71c016291751
	v_fmaak_f64 v[22:23], v[16:17], v[22:23], 0x3fd249249b27acf1
	s_delay_alu instid0(VALU_DEP_1) | instskip(NEXT) | instid1(VALU_DEP_1)
	v_fmaak_f64 v[22:23], v[16:17], v[22:23], 0x3fd99999998ef7b6
	v_fmaak_f64 v[16:17], v[16:17], v[22:23], 0x3fe5555555555780
	v_ldexp_f64 v[22:23], v[12:13], 1
	v_add_f64_e64 v[12:13], v[12:13], -v[14:15]
	s_delay_alu instid0(VALU_DEP_3) | instskip(SKIP_1) | instid1(VALU_DEP_3)
	v_mul_f64_e32 v[16:17], v[26:27], v[16:17]
	v_cvt_f64_i32_e32 v[26:27], v25
	v_add_f64_e64 v[10:11], v[10:11], -v[12:13]
	s_delay_alu instid0(VALU_DEP_3) | instskip(NEXT) | instid1(VALU_DEP_2)
	v_add_f64_e32 v[14:15], v[22:23], v[16:17]
	v_ldexp_f64 v[10:11], v[10:11], 1
	s_delay_alu instid0(VALU_DEP_2) | instskip(SKIP_1) | instid1(VALU_DEP_2)
	v_add_f64_e64 v[12:13], v[14:15], -v[22:23]
	v_mul_f64_e32 v[22:23], 0x3fe62e42fefa39ef, v[26:27]
	v_add_f64_e64 v[12:13], v[16:17], -v[12:13]
	s_delay_alu instid0(VALU_DEP_2) | instskip(NEXT) | instid1(VALU_DEP_2)
	v_fma_f64 v[16:17], v[26:27], s[16:17], -v[22:23]
	v_add_f64_e32 v[10:11], v[10:11], v[12:13]
	s_delay_alu instid0(VALU_DEP_2) | instskip(NEXT) | instid1(VALU_DEP_1)
	v_fmamk_f64 v[12:13], v[26:27], 0x3c7abc9e3b39803f, v[16:17]
	v_add_f64_e32 v[16:17], v[22:23], v[12:13]
	s_delay_alu instid0(VALU_DEP_3) | instskip(NEXT) | instid1(VALU_DEP_2)
	v_add_f64_e32 v[26:27], v[14:15], v[10:11]
	v_add_f64_e64 v[22:23], v[16:17], -v[22:23]
	s_delay_alu instid0(VALU_DEP_2) | instskip(SKIP_1) | instid1(VALU_DEP_3)
	v_add_f64_e32 v[28:29], v[16:17], v[26:27]
	v_add_f64_e64 v[14:15], v[26:27], -v[14:15]
	v_add_f64_e64 v[12:13], v[12:13], -v[22:23]
	s_delay_alu instid0(VALU_DEP_3) | instskip(NEXT) | instid1(VALU_DEP_3)
	v_add_f64_e64 v[30:31], v[28:29], -v[16:17]
	v_add_f64_e64 v[10:11], v[10:11], -v[14:15]
	s_delay_alu instid0(VALU_DEP_2) | instskip(SKIP_1) | instid1(VALU_DEP_3)
	v_add_f64_e64 v[32:33], v[28:29], -v[30:31]
	v_add_f64_e64 v[14:15], v[26:27], -v[30:31]
	v_add_f64_e32 v[22:23], v[12:13], v[10:11]
	s_delay_alu instid0(VALU_DEP_3) | instskip(NEXT) | instid1(VALU_DEP_1)
	v_add_f64_e64 v[16:17], v[16:17], -v[32:33]
	v_add_f64_e32 v[14:15], v[14:15], v[16:17]
	s_delay_alu instid0(VALU_DEP_3) | instskip(NEXT) | instid1(VALU_DEP_2)
	v_add_f64_e64 v[16:17], v[22:23], -v[12:13]
	v_add_f64_e32 v[14:15], v[22:23], v[14:15]
	s_delay_alu instid0(VALU_DEP_2) | instskip(SKIP_1) | instid1(VALU_DEP_3)
	v_add_f64_e64 v[22:23], v[22:23], -v[16:17]
	v_add_f64_e64 v[10:11], v[10:11], -v[16:17]
	v_add_f64_e32 v[26:27], v[28:29], v[14:15]
	s_delay_alu instid0(VALU_DEP_3) | instskip(NEXT) | instid1(VALU_DEP_2)
	v_add_f64_e64 v[12:13], v[12:13], -v[22:23]
	v_add_f64_e64 v[16:17], v[26:27], -v[28:29]
	s_delay_alu instid0(VALU_DEP_2) | instskip(NEXT) | instid1(VALU_DEP_2)
	v_add_f64_e32 v[10:11], v[10:11], v[12:13]
	v_add_f64_e64 v[12:13], v[14:15], -v[16:17]
	s_delay_alu instid0(VALU_DEP_1) | instskip(NEXT) | instid1(VALU_DEP_1)
	v_add_f64_e32 v[10:11], v[10:11], v[12:13]
	v_add_f64_e32 v[10:11], v[26:27], v[10:11]
	s_delay_alu instid0(VALU_DEP_1) | instskip(SKIP_1) | instid1(VALU_DEP_3)
	v_cndmask_b32_e32 v10, 0, v10, vcc_lo
	v_cmp_neq_f64_e32 vcc_lo, -1.0, v[4:5]
	v_cndmask_b32_e64 v11, 0x7ff00000, v11, s1
	s_delay_alu instid0(VALU_DEP_1) | instskip(NEXT) | instid1(VALU_DEP_1)
	v_cndmask_b32_e64 v11, 0x7ff80000, v11, s2
	v_cndmask_b32_e32 v11, 0xfff00000, v11, vcc_lo
	s_delay_alu instid0(VALU_DEP_1) | instskip(NEXT) | instid1(VALU_DEP_1)
	v_div_scale_f64 v[4:5], null, s[4:5], s[4:5], v[10:11]
	v_rcp_f64_e32 v[12:13], v[4:5]
	v_nop
	s_delay_alu instid0(TRANS32_DEP_1) | instskip(NEXT) | instid1(VALU_DEP_1)
	v_fma_f64 v[14:15], -v[4:5], v[12:13], 1.0
	v_fmac_f64_e32 v[12:13], v[12:13], v[14:15]
	s_delay_alu instid0(VALU_DEP_1) | instskip(NEXT) | instid1(VALU_DEP_1)
	v_fma_f64 v[14:15], -v[4:5], v[12:13], 1.0
	v_fmac_f64_e32 v[12:13], v[12:13], v[14:15]
	v_div_scale_f64 v[14:15], vcc_lo, v[10:11], s[4:5], v[10:11]
	s_delay_alu instid0(VALU_DEP_1) | instskip(NEXT) | instid1(VALU_DEP_1)
	v_mul_f64_e32 v[16:17], v[14:15], v[12:13]
	v_fma_f64 v[4:5], -v[4:5], v[16:17], v[14:15]
	s_delay_alu instid0(VALU_DEP_1) | instskip(NEXT) | instid1(VALU_DEP_1)
	v_div_fmas_f64 v[4:5], v[4:5], v[12:13], v[16:17]
	v_div_fixup_f64 v[22:23], v[4:5], s[4:5], v[10:11]
.LBB3_26:
	s_or_b32 exec_lo, exec_lo, s10
	s_delay_alu instid0(VALU_DEP_1)
	v_dual_mov_b32 v4, v22 :: v_dual_mov_b32 v5, v23
.LBB3_27:
	s_or_b32 exec_lo, exec_lo, s3
	s_wait_loadcnt 0x0
	v_or_b32_e32 v10, 0x200, v0
	s_mov_b32 s3, exec_lo
	s_delay_alu instid0(VALU_DEP_1)
	v_cmpx_gt_i32_e64 s14, v10
	s_cbranch_execz .LBB3_31
; %bb.28:
	v_mul_f64_e32 v[6:7], s[4:5], v[20:21]
	s_mov_b32 s10, exec_lo
	s_delay_alu instid0(VALU_DEP_1)
	v_cmpx_nlt_f64_e32 s[6:7], v[6:7]
	s_cbranch_execz .LBB3_30
; %bb.29:
	v_mul_f64_e32 v[10:11], 0x3ff71547652b82fe, v[6:7]
	s_mov_b64 s[16:17], 0x3e5ade156a5dcb37
	v_cmp_nlt_f64_e32 vcc_lo, 0x40900000, v[6:7]
	v_cmp_ngt_f64_e64 s1, 0xc090cc00, v[6:7]
	s_delay_alu instid0(VALU_DEP_3) | instskip(NEXT) | instid1(VALU_DEP_1)
	v_rndne_f64_e32 v[10:11], v[10:11]
	v_fmamk_f64 v[12:13], v[10:11], 0xbfe62e42fefa39ef, v[6:7]
	v_cvt_i32_f64_e32 v16, v[10:11]
	s_delay_alu instid0(VALU_DEP_2) | instskip(NEXT) | instid1(VALU_DEP_1)
	v_fmamk_f64 v[12:13], v[10:11], 0xbc7abc9e3b39803f, v[12:13]
	v_fmaak_f64 v[14:15], s[16:17], v[12:13], 0x3e928af3fca7ab0c
	s_mov_b64 s[16:17], 0x3fe5555555555555
	s_delay_alu instid0(VALU_DEP_1) | instskip(NEXT) | instid1(VALU_DEP_1)
	v_fmaak_f64 v[14:15], v[12:13], v[14:15], 0x3ec71dee623fde64
	v_fmaak_f64 v[14:15], v[12:13], v[14:15], 0x3efa01997c89e6b0
	s_delay_alu instid0(VALU_DEP_1) | instskip(NEXT) | instid1(VALU_DEP_1)
	v_fmaak_f64 v[14:15], v[12:13], v[14:15], 0x3f2a01a014761f6e
	v_fmaak_f64 v[14:15], v[12:13], v[14:15], 0x3f56c16c1852b7b0
	;; [unrolled: 3-line block ×4, first 2 shown]
	s_delay_alu instid0(VALU_DEP_1) | instskip(NEXT) | instid1(VALU_DEP_1)
	v_fma_f64 v[14:15], v[12:13], v[14:15], 1.0
	v_fma_f64 v[10:11], v[12:13], v[14:15], 1.0
	s_delay_alu instid0(VALU_DEP_1) | instskip(NEXT) | instid1(VALU_DEP_1)
	v_ldexp_f64 v[10:11], v[10:11], v16
	v_cndmask_b32_e32 v11, 0x7ff00000, v11, vcc_lo
	s_and_b32 vcc_lo, s1, vcc_lo
	s_delay_alu instid0(VALU_DEP_1) | instid1(SALU_CYCLE_1)
	v_dual_cndmask_b32 v6, 0, v10, vcc_lo :: v_dual_cndmask_b32 v7, 0, v11, s1
	s_delay_alu instid0(VALU_DEP_1) | instskip(SKIP_2) | instid1(VALU_DEP_3)
	v_add_f64_e32 v[10:11], 1.0, v[6:7]
	v_cmp_neq_f64_e64 s1, 0x7ff00000, v[6:7]
	v_cmp_ngt_f64_e64 s2, -1.0, v[6:7]
	v_frexp_mant_f64_e32 v[12:13], v[10:11]
	v_frexp_exp_i32_f64_e32 v16, v[10:11]
	v_add_f64_e32 v[14:15], -1.0, v[10:11]
	s_delay_alu instid0(VALU_DEP_3) | instskip(SKIP_1) | instid1(VALU_DEP_2)
	v_cmp_gt_f64_e32 vcc_lo, s[16:17], v[12:13]
	s_mov_b64 s[16:17], 0x3fc3ab76bf559e2b
	v_add_f64_e64 v[12:13], v[14:15], -v[10:11]
	v_add_f64_e64 v[14:15], v[6:7], -v[14:15]
	v_subrev_co_ci_u32_e64 v25, null, 0, v16, vcc_lo
	v_cmp_nge_f64_e32 vcc_lo, -1.0, v[6:7]
	s_delay_alu instid0(VALU_DEP_2) | instskip(NEXT) | instid1(VALU_DEP_1)
	v_sub_nc_u32_e32 v20, 0, v25
	v_ldexp_f64 v[10:11], v[10:11], v20
	s_and_b32 vcc_lo, vcc_lo, s1
	v_add_f64_e32 v[12:13], 1.0, v[12:13]
	s_delay_alu instid0(VALU_DEP_2) | instskip(SKIP_1) | instid1(VALU_DEP_3)
	v_add_f64_e32 v[16:17], 1.0, v[10:11]
	v_add_f64_e32 v[26:27], -1.0, v[10:11]
	v_add_f64_e32 v[12:13], v[14:15], v[12:13]
	s_delay_alu instid0(VALU_DEP_3) | instskip(NEXT) | instid1(VALU_DEP_3)
	v_add_f64_e32 v[14:15], -1.0, v[16:17]
	v_add_f64_e32 v[28:29], 1.0, v[26:27]
	s_delay_alu instid0(VALU_DEP_3) | instskip(NEXT) | instid1(VALU_DEP_3)
	v_ldexp_f64 v[12:13], v[12:13], v20
	v_add_f64_e64 v[14:15], v[10:11], -v[14:15]
	s_delay_alu instid0(VALU_DEP_3) | instskip(NEXT) | instid1(VALU_DEP_2)
	v_add_f64_e64 v[10:11], v[10:11], -v[28:29]
	v_add_f64_e32 v[14:15], v[12:13], v[14:15]
	s_delay_alu instid0(VALU_DEP_2) | instskip(NEXT) | instid1(VALU_DEP_2)
	v_add_f64_e32 v[10:11], v[12:13], v[10:11]
	v_add_f64_e32 v[20:21], v[16:17], v[14:15]
	s_delay_alu instid0(VALU_DEP_2) | instskip(NEXT) | instid1(VALU_DEP_2)
	v_add_f64_e32 v[28:29], v[26:27], v[10:11]
	v_rcp_f64_e32 v[22:23], v[20:21]
	v_add_f64_e64 v[16:17], v[20:21], -v[16:17]
	s_delay_alu instid0(VALU_DEP_2) | instskip(NEXT) | instid1(VALU_DEP_2)
	v_add_f64_e64 v[26:27], v[28:29], -v[26:27]
	v_add_f64_e64 v[14:15], v[14:15], -v[16:17]
	s_delay_alu instid0(VALU_DEP_2) | instskip(NEXT) | instid1(TRANS32_DEP_1)
	v_add_f64_e64 v[10:11], v[10:11], -v[26:27]
	v_fma_f64 v[30:31], -v[20:21], v[22:23], 1.0
	s_delay_alu instid0(VALU_DEP_1) | instskip(NEXT) | instid1(VALU_DEP_1)
	v_fmac_f64_e32 v[22:23], v[30:31], v[22:23]
	v_fma_f64 v[12:13], -v[20:21], v[22:23], 1.0
	s_delay_alu instid0(VALU_DEP_1) | instskip(NEXT) | instid1(VALU_DEP_1)
	v_fmac_f64_e32 v[22:23], v[12:13], v[22:23]
	v_mul_f64_e32 v[12:13], v[28:29], v[22:23]
	s_delay_alu instid0(VALU_DEP_1) | instskip(NEXT) | instid1(VALU_DEP_1)
	v_mul_f64_e32 v[30:31], v[20:21], v[12:13]
	v_fma_f64 v[16:17], v[12:13], v[20:21], -v[30:31]
	s_delay_alu instid0(VALU_DEP_1) | instskip(NEXT) | instid1(VALU_DEP_1)
	v_fmac_f64_e32 v[16:17], v[12:13], v[14:15]
	v_add_f64_e32 v[32:33], v[30:31], v[16:17]
	s_delay_alu instid0(VALU_DEP_1) | instskip(SKIP_1) | instid1(VALU_DEP_2)
	v_add_f64_e64 v[34:35], v[28:29], -v[32:33]
	v_add_f64_e64 v[26:27], v[32:33], -v[30:31]
	;; [unrolled: 1-line block ×3, first 2 shown]
	s_delay_alu instid0(VALU_DEP_2) | instskip(NEXT) | instid1(VALU_DEP_2)
	v_add_f64_e64 v[16:17], v[26:27], -v[16:17]
	v_add_f64_e64 v[28:29], v[28:29], -v[32:33]
	s_delay_alu instid0(VALU_DEP_1) | instskip(NEXT) | instid1(VALU_DEP_1)
	v_add_f64_e32 v[10:11], v[10:11], v[28:29]
	v_add_f64_e32 v[10:11], v[16:17], v[10:11]
	s_delay_alu instid0(VALU_DEP_1) | instskip(NEXT) | instid1(VALU_DEP_1)
	v_add_f64_e32 v[16:17], v[34:35], v[10:11]
	v_mul_f64_e32 v[26:27], v[22:23], v[16:17]
	v_add_f64_e64 v[32:33], v[34:35], -v[16:17]
	s_delay_alu instid0(VALU_DEP_2) | instskip(NEXT) | instid1(VALU_DEP_2)
	v_mul_f64_e32 v[28:29], v[20:21], v[26:27]
	v_add_f64_e32 v[10:11], v[10:11], v[32:33]
	s_delay_alu instid0(VALU_DEP_2) | instskip(NEXT) | instid1(VALU_DEP_1)
	v_fma_f64 v[20:21], v[26:27], v[20:21], -v[28:29]
	v_fmac_f64_e32 v[20:21], v[26:27], v[14:15]
	s_delay_alu instid0(VALU_DEP_1) | instskip(NEXT) | instid1(VALU_DEP_1)
	v_add_f64_e32 v[14:15], v[28:29], v[20:21]
	v_add_f64_e64 v[30:31], v[16:17], -v[14:15]
	v_add_f64_e64 v[28:29], v[14:15], -v[28:29]
	s_delay_alu instid0(VALU_DEP_2) | instskip(NEXT) | instid1(VALU_DEP_1)
	v_add_f64_e64 v[16:17], v[16:17], -v[30:31]
	v_add_f64_e64 v[14:15], v[16:17], -v[14:15]
	s_delay_alu instid0(VALU_DEP_3) | instskip(NEXT) | instid1(VALU_DEP_2)
	v_add_f64_e64 v[16:17], v[28:29], -v[20:21]
	v_add_f64_e32 v[10:11], v[10:11], v[14:15]
	v_add_f64_e32 v[14:15], v[12:13], v[26:27]
	s_delay_alu instid0(VALU_DEP_2) | instskip(NEXT) | instid1(VALU_DEP_2)
	v_add_f64_e32 v[10:11], v[16:17], v[10:11]
	v_add_f64_e64 v[12:13], v[14:15], -v[12:13]
	s_delay_alu instid0(VALU_DEP_2) | instskip(NEXT) | instid1(VALU_DEP_2)
	v_add_f64_e32 v[10:11], v[30:31], v[10:11]
	v_add_f64_e64 v[12:13], v[26:27], -v[12:13]
	s_delay_alu instid0(VALU_DEP_2) | instskip(NEXT) | instid1(VALU_DEP_1)
	v_mul_f64_e32 v[10:11], v[22:23], v[10:11]
	v_add_f64_e32 v[10:11], v[12:13], v[10:11]
	s_delay_alu instid0(VALU_DEP_1) | instskip(NEXT) | instid1(VALU_DEP_1)
	v_add_f64_e32 v[12:13], v[14:15], v[10:11]
	v_mul_f64_e32 v[16:17], v[12:13], v[12:13]
	s_delay_alu instid0(VALU_DEP_1) | instskip(SKIP_2) | instid1(VALU_DEP_2)
	v_fmaak_f64 v[20:21], s[16:17], v[16:17], 0x3fc385386b47b09a
	v_mul_f64_e32 v[22:23], v[12:13], v[16:17]
	s_mov_b64 s[16:17], 0x3fe62e42fefa39ef
	v_fmaak_f64 v[20:21], v[16:17], v[20:21], 0x3fc7474dd7f4df2e
	s_delay_alu instid0(VALU_DEP_1) | instskip(NEXT) | instid1(VALU_DEP_1)
	v_fmaak_f64 v[20:21], v[16:17], v[20:21], 0x3fcc71c016291751
	v_fmaak_f64 v[20:21], v[16:17], v[20:21], 0x3fd249249b27acf1
	s_delay_alu instid0(VALU_DEP_1) | instskip(NEXT) | instid1(VALU_DEP_1)
	v_fmaak_f64 v[20:21], v[16:17], v[20:21], 0x3fd99999998ef7b6
	v_fmaak_f64 v[16:17], v[16:17], v[20:21], 0x3fe5555555555780
	v_ldexp_f64 v[20:21], v[12:13], 1
	v_add_f64_e64 v[12:13], v[12:13], -v[14:15]
	s_delay_alu instid0(VALU_DEP_3) | instskip(SKIP_1) | instid1(VALU_DEP_3)
	v_mul_f64_e32 v[16:17], v[22:23], v[16:17]
	v_cvt_f64_i32_e32 v[22:23], v25
	v_add_f64_e64 v[10:11], v[10:11], -v[12:13]
	s_delay_alu instid0(VALU_DEP_3) | instskip(NEXT) | instid1(VALU_DEP_2)
	v_add_f64_e32 v[14:15], v[20:21], v[16:17]
	v_ldexp_f64 v[10:11], v[10:11], 1
	s_delay_alu instid0(VALU_DEP_2) | instskip(SKIP_1) | instid1(VALU_DEP_2)
	v_add_f64_e64 v[12:13], v[14:15], -v[20:21]
	v_mul_f64_e32 v[20:21], 0x3fe62e42fefa39ef, v[22:23]
	v_add_f64_e64 v[12:13], v[16:17], -v[12:13]
	s_delay_alu instid0(VALU_DEP_2) | instskip(NEXT) | instid1(VALU_DEP_2)
	v_fma_f64 v[16:17], v[22:23], s[16:17], -v[20:21]
	v_add_f64_e32 v[10:11], v[10:11], v[12:13]
	s_delay_alu instid0(VALU_DEP_2) | instskip(NEXT) | instid1(VALU_DEP_1)
	v_fmamk_f64 v[12:13], v[22:23], 0x3c7abc9e3b39803f, v[16:17]
	v_add_f64_e32 v[16:17], v[20:21], v[12:13]
	s_delay_alu instid0(VALU_DEP_3) | instskip(NEXT) | instid1(VALU_DEP_2)
	v_add_f64_e32 v[22:23], v[14:15], v[10:11]
	v_add_f64_e64 v[20:21], v[16:17], -v[20:21]
	s_delay_alu instid0(VALU_DEP_2) | instskip(SKIP_1) | instid1(VALU_DEP_3)
	v_add_f64_e32 v[26:27], v[16:17], v[22:23]
	v_add_f64_e64 v[14:15], v[22:23], -v[14:15]
	v_add_f64_e64 v[12:13], v[12:13], -v[20:21]
	s_delay_alu instid0(VALU_DEP_3) | instskip(NEXT) | instid1(VALU_DEP_3)
	v_add_f64_e64 v[28:29], v[26:27], -v[16:17]
	v_add_f64_e64 v[10:11], v[10:11], -v[14:15]
	s_delay_alu instid0(VALU_DEP_2) | instskip(SKIP_1) | instid1(VALU_DEP_3)
	v_add_f64_e64 v[30:31], v[26:27], -v[28:29]
	v_add_f64_e64 v[14:15], v[22:23], -v[28:29]
	v_add_f64_e32 v[20:21], v[12:13], v[10:11]
	s_delay_alu instid0(VALU_DEP_3) | instskip(NEXT) | instid1(VALU_DEP_1)
	v_add_f64_e64 v[16:17], v[16:17], -v[30:31]
	v_add_f64_e32 v[14:15], v[14:15], v[16:17]
	s_delay_alu instid0(VALU_DEP_3) | instskip(NEXT) | instid1(VALU_DEP_2)
	v_add_f64_e64 v[16:17], v[20:21], -v[12:13]
	v_add_f64_e32 v[14:15], v[20:21], v[14:15]
	s_delay_alu instid0(VALU_DEP_2) | instskip(SKIP_1) | instid1(VALU_DEP_3)
	v_add_f64_e64 v[20:21], v[20:21], -v[16:17]
	v_add_f64_e64 v[10:11], v[10:11], -v[16:17]
	v_add_f64_e32 v[22:23], v[26:27], v[14:15]
	s_delay_alu instid0(VALU_DEP_3) | instskip(NEXT) | instid1(VALU_DEP_2)
	v_add_f64_e64 v[12:13], v[12:13], -v[20:21]
	v_add_f64_e64 v[16:17], v[22:23], -v[26:27]
	s_delay_alu instid0(VALU_DEP_2) | instskip(NEXT) | instid1(VALU_DEP_2)
	v_add_f64_e32 v[10:11], v[10:11], v[12:13]
	v_add_f64_e64 v[12:13], v[14:15], -v[16:17]
	s_delay_alu instid0(VALU_DEP_1) | instskip(NEXT) | instid1(VALU_DEP_1)
	v_add_f64_e32 v[10:11], v[10:11], v[12:13]
	v_add_f64_e32 v[10:11], v[22:23], v[10:11]
	s_delay_alu instid0(VALU_DEP_1) | instskip(SKIP_1) | instid1(VALU_DEP_3)
	v_cndmask_b32_e32 v10, 0, v10, vcc_lo
	v_cmp_neq_f64_e32 vcc_lo, -1.0, v[6:7]
	v_cndmask_b32_e64 v11, 0x7ff00000, v11, s1
	s_delay_alu instid0(VALU_DEP_1) | instskip(NEXT) | instid1(VALU_DEP_1)
	v_cndmask_b32_e64 v11, 0x7ff80000, v11, s2
	v_cndmask_b32_e32 v11, 0xfff00000, v11, vcc_lo
	s_delay_alu instid0(VALU_DEP_1) | instskip(NEXT) | instid1(VALU_DEP_1)
	v_div_scale_f64 v[6:7], null, s[4:5], s[4:5], v[10:11]
	v_rcp_f64_e32 v[12:13], v[6:7]
	v_nop
	s_delay_alu instid0(TRANS32_DEP_1) | instskip(NEXT) | instid1(VALU_DEP_1)
	v_fma_f64 v[14:15], -v[6:7], v[12:13], 1.0
	v_fmac_f64_e32 v[12:13], v[12:13], v[14:15]
	s_delay_alu instid0(VALU_DEP_1) | instskip(NEXT) | instid1(VALU_DEP_1)
	v_fma_f64 v[14:15], -v[6:7], v[12:13], 1.0
	v_fmac_f64_e32 v[12:13], v[12:13], v[14:15]
	v_div_scale_f64 v[14:15], vcc_lo, v[10:11], s[4:5], v[10:11]
	s_delay_alu instid0(VALU_DEP_1) | instskip(NEXT) | instid1(VALU_DEP_1)
	v_mul_f64_e32 v[16:17], v[14:15], v[12:13]
	v_fma_f64 v[6:7], -v[6:7], v[16:17], v[14:15]
	s_delay_alu instid0(VALU_DEP_1) | instskip(NEXT) | instid1(VALU_DEP_1)
	v_div_fmas_f64 v[6:7], v[6:7], v[12:13], v[16:17]
	v_div_fixup_f64 v[20:21], v[6:7], s[4:5], v[10:11]
.LBB3_30:
	s_or_b32 exec_lo, exec_lo, s10
	s_delay_alu instid0(VALU_DEP_1)
	v_dual_mov_b32 v6, v20 :: v_dual_mov_b32 v7, v21
.LBB3_31:
	s_or_b32 exec_lo, exec_lo, s3
	v_or_b32_e32 v10, 0x300, v0
	s_mov_b32 s3, exec_lo
	s_delay_alu instid0(VALU_DEP_1)
	v_cmpx_gt_i32_e64 s14, v10
	s_cbranch_execnz .LBB3_38
; %bb.32:
	s_or_b32 exec_lo, exec_lo, s3
	s_and_saveexec_b32 s1, s0
	s_delay_alu instid0(SALU_CYCLE_1)
	s_xor_b32 s0, exec_lo, s1
	s_cbranch_execnz .LBB3_41
.LBB3_33:
	s_or_b32 exec_lo, exec_lo, s0
	s_delay_alu instid0(SALU_CYCLE_1)
	s_mov_b32 s0, exec_lo
	v_cmpx_gt_i32_e64 s14, v0
	s_cbranch_execnz .LBB3_42
.LBB3_34:
	s_or_b32 exec_lo, exec_lo, s0
	s_delay_alu instid0(SALU_CYCLE_1)
	s_mov_b32 s0, exec_lo
	v_cmpx_gt_i32_e64 s14, v0
	s_cbranch_execnz .LBB3_43
.LBB3_35:
	s_or_b32 exec_lo, exec_lo, s0
	s_delay_alu instid0(SALU_CYCLE_1)
	s_mov_b32 s0, exec_lo
	v_cmpx_gt_i32_e64 s14, v0
	s_cbranch_execz .LBB3_37
.LBB3_36:
	v_add_nc_u32_e32 v0, s12, v0
	global_store_b64 v0, v[8:9], s[8:9] scale_offset
.LBB3_37:
	s_endpgm
.LBB3_38:
	v_mul_f64_e32 v[8:9], s[4:5], v[18:19]
	s_delay_alu instid0(VALU_DEP_1)
	v_cmp_nlt_f64_e32 vcc_lo, s[6:7], v[8:9]
	s_and_saveexec_b32 s6, vcc_lo
	s_cbranch_execz .LBB3_40
; %bb.39:
	v_mul_f64_e32 v[10:11], 0x3ff71547652b82fe, v[8:9]
	s_mov_b64 s[10:11], 0x3e5ade156a5dcb37
	v_cmp_nlt_f64_e32 vcc_lo, 0x40900000, v[8:9]
	v_cmp_ngt_f64_e64 s1, 0xc090cc00, v[8:9]
	s_delay_alu instid0(VALU_DEP_3) | instskip(NEXT) | instid1(VALU_DEP_1)
	v_rndne_f64_e32 v[10:11], v[10:11]
	v_fmamk_f64 v[12:13], v[10:11], 0xbfe62e42fefa39ef, v[8:9]
	v_cvt_i32_f64_e32 v16, v[10:11]
	s_delay_alu instid0(VALU_DEP_2) | instskip(NEXT) | instid1(VALU_DEP_1)
	v_fmamk_f64 v[12:13], v[10:11], 0xbc7abc9e3b39803f, v[12:13]
	v_fmaak_f64 v[14:15], s[10:11], v[12:13], 0x3e928af3fca7ab0c
	s_mov_b64 s[10:11], 0x3fe5555555555555
	s_delay_alu instid0(VALU_DEP_1) | instskip(NEXT) | instid1(VALU_DEP_1)
	v_fmaak_f64 v[14:15], v[12:13], v[14:15], 0x3ec71dee623fde64
	v_fmaak_f64 v[14:15], v[12:13], v[14:15], 0x3efa01997c89e6b0
	s_delay_alu instid0(VALU_DEP_1) | instskip(NEXT) | instid1(VALU_DEP_1)
	v_fmaak_f64 v[14:15], v[12:13], v[14:15], 0x3f2a01a014761f6e
	v_fmaak_f64 v[14:15], v[12:13], v[14:15], 0x3f56c16c1852b7b0
	;; [unrolled: 3-line block ×4, first 2 shown]
	s_delay_alu instid0(VALU_DEP_1) | instskip(NEXT) | instid1(VALU_DEP_1)
	v_fma_f64 v[14:15], v[12:13], v[14:15], 1.0
	v_fma_f64 v[10:11], v[12:13], v[14:15], 1.0
	s_delay_alu instid0(VALU_DEP_1) | instskip(NEXT) | instid1(VALU_DEP_1)
	v_ldexp_f64 v[10:11], v[10:11], v16
	v_cndmask_b32_e32 v11, 0x7ff00000, v11, vcc_lo
	s_and_b32 vcc_lo, s1, vcc_lo
	s_delay_alu instid0(VALU_DEP_1) | instid1(SALU_CYCLE_1)
	v_dual_cndmask_b32 v8, 0, v10, vcc_lo :: v_dual_cndmask_b32 v9, 0, v11, s1
	s_delay_alu instid0(VALU_DEP_1) | instskip(SKIP_2) | instid1(VALU_DEP_3)
	v_add_f64_e32 v[10:11], 1.0, v[8:9]
	v_cmp_neq_f64_e64 s1, 0x7ff00000, v[8:9]
	v_cmp_ngt_f64_e64 s2, -1.0, v[8:9]
	v_frexp_mant_f64_e32 v[12:13], v[10:11]
	v_frexp_exp_i32_f64_e32 v16, v[10:11]
	v_add_f64_e32 v[14:15], -1.0, v[10:11]
	s_delay_alu instid0(VALU_DEP_3) | instskip(SKIP_1) | instid1(VALU_DEP_2)
	v_cmp_gt_f64_e32 vcc_lo, s[10:11], v[12:13]
	s_mov_b64 s[10:11], 0x3fc3ab76bf559e2b
	v_add_f64_e64 v[12:13], v[14:15], -v[10:11]
	v_add_f64_e64 v[14:15], v[8:9], -v[14:15]
	v_subrev_co_ci_u32_e64 v25, null, 0, v16, vcc_lo
	v_cmp_nge_f64_e32 vcc_lo, -1.0, v[8:9]
	s_delay_alu instid0(VALU_DEP_2) | instskip(NEXT) | instid1(VALU_DEP_1)
	v_sub_nc_u32_e32 v18, 0, v25
	v_ldexp_f64 v[10:11], v[10:11], v18
	s_and_b32 vcc_lo, vcc_lo, s1
	v_add_f64_e32 v[12:13], 1.0, v[12:13]
	s_delay_alu instid0(VALU_DEP_2) | instskip(SKIP_1) | instid1(VALU_DEP_3)
	v_add_f64_e32 v[16:17], 1.0, v[10:11]
	v_add_f64_e32 v[22:23], -1.0, v[10:11]
	v_add_f64_e32 v[12:13], v[14:15], v[12:13]
	s_delay_alu instid0(VALU_DEP_3) | instskip(NEXT) | instid1(VALU_DEP_3)
	v_add_f64_e32 v[14:15], -1.0, v[16:17]
	v_add_f64_e32 v[26:27], 1.0, v[22:23]
	s_delay_alu instid0(VALU_DEP_3) | instskip(NEXT) | instid1(VALU_DEP_3)
	v_ldexp_f64 v[12:13], v[12:13], v18
	v_add_f64_e64 v[14:15], v[10:11], -v[14:15]
	s_delay_alu instid0(VALU_DEP_3) | instskip(NEXT) | instid1(VALU_DEP_2)
	v_add_f64_e64 v[10:11], v[10:11], -v[26:27]
	v_add_f64_e32 v[14:15], v[12:13], v[14:15]
	s_delay_alu instid0(VALU_DEP_2) | instskip(NEXT) | instid1(VALU_DEP_2)
	v_add_f64_e32 v[10:11], v[12:13], v[10:11]
	v_add_f64_e32 v[18:19], v[16:17], v[14:15]
	s_delay_alu instid0(VALU_DEP_2) | instskip(NEXT) | instid1(VALU_DEP_2)
	v_add_f64_e32 v[26:27], v[22:23], v[10:11]
	v_rcp_f64_e32 v[20:21], v[18:19]
	v_add_f64_e64 v[16:17], v[18:19], -v[16:17]
	s_delay_alu instid0(VALU_DEP_2) | instskip(NEXT) | instid1(VALU_DEP_2)
	v_add_f64_e64 v[22:23], v[26:27], -v[22:23]
	v_add_f64_e64 v[14:15], v[14:15], -v[16:17]
	s_delay_alu instid0(VALU_DEP_2) | instskip(NEXT) | instid1(TRANS32_DEP_1)
	v_add_f64_e64 v[10:11], v[10:11], -v[22:23]
	v_fma_f64 v[28:29], -v[18:19], v[20:21], 1.0
	s_delay_alu instid0(VALU_DEP_1) | instskip(NEXT) | instid1(VALU_DEP_1)
	v_fmac_f64_e32 v[20:21], v[28:29], v[20:21]
	v_fma_f64 v[12:13], -v[18:19], v[20:21], 1.0
	s_delay_alu instid0(VALU_DEP_1) | instskip(NEXT) | instid1(VALU_DEP_1)
	v_fmac_f64_e32 v[20:21], v[12:13], v[20:21]
	v_mul_f64_e32 v[12:13], v[26:27], v[20:21]
	s_delay_alu instid0(VALU_DEP_1) | instskip(NEXT) | instid1(VALU_DEP_1)
	v_mul_f64_e32 v[28:29], v[18:19], v[12:13]
	v_fma_f64 v[16:17], v[12:13], v[18:19], -v[28:29]
	s_delay_alu instid0(VALU_DEP_1) | instskip(NEXT) | instid1(VALU_DEP_1)
	v_fmac_f64_e32 v[16:17], v[12:13], v[14:15]
	v_add_f64_e32 v[30:31], v[28:29], v[16:17]
	s_delay_alu instid0(VALU_DEP_1) | instskip(SKIP_1) | instid1(VALU_DEP_2)
	v_add_f64_e64 v[32:33], v[26:27], -v[30:31]
	v_add_f64_e64 v[22:23], v[30:31], -v[28:29]
	;; [unrolled: 1-line block ×3, first 2 shown]
	s_delay_alu instid0(VALU_DEP_2) | instskip(NEXT) | instid1(VALU_DEP_2)
	v_add_f64_e64 v[16:17], v[22:23], -v[16:17]
	v_add_f64_e64 v[26:27], v[26:27], -v[30:31]
	s_delay_alu instid0(VALU_DEP_1) | instskip(NEXT) | instid1(VALU_DEP_1)
	v_add_f64_e32 v[10:11], v[10:11], v[26:27]
	v_add_f64_e32 v[10:11], v[16:17], v[10:11]
	s_delay_alu instid0(VALU_DEP_1) | instskip(NEXT) | instid1(VALU_DEP_1)
	v_add_f64_e32 v[16:17], v[32:33], v[10:11]
	v_mul_f64_e32 v[22:23], v[20:21], v[16:17]
	v_add_f64_e64 v[30:31], v[32:33], -v[16:17]
	s_delay_alu instid0(VALU_DEP_2) | instskip(NEXT) | instid1(VALU_DEP_2)
	v_mul_f64_e32 v[26:27], v[18:19], v[22:23]
	v_add_f64_e32 v[10:11], v[10:11], v[30:31]
	s_delay_alu instid0(VALU_DEP_2) | instskip(NEXT) | instid1(VALU_DEP_1)
	v_fma_f64 v[18:19], v[22:23], v[18:19], -v[26:27]
	v_fmac_f64_e32 v[18:19], v[22:23], v[14:15]
	s_delay_alu instid0(VALU_DEP_1) | instskip(NEXT) | instid1(VALU_DEP_1)
	v_add_f64_e32 v[14:15], v[26:27], v[18:19]
	v_add_f64_e64 v[28:29], v[16:17], -v[14:15]
	v_add_f64_e64 v[26:27], v[14:15], -v[26:27]
	s_delay_alu instid0(VALU_DEP_2) | instskip(NEXT) | instid1(VALU_DEP_1)
	v_add_f64_e64 v[16:17], v[16:17], -v[28:29]
	v_add_f64_e64 v[14:15], v[16:17], -v[14:15]
	s_delay_alu instid0(VALU_DEP_3) | instskip(NEXT) | instid1(VALU_DEP_2)
	v_add_f64_e64 v[16:17], v[26:27], -v[18:19]
	v_add_f64_e32 v[10:11], v[10:11], v[14:15]
	v_add_f64_e32 v[14:15], v[12:13], v[22:23]
	s_delay_alu instid0(VALU_DEP_2) | instskip(NEXT) | instid1(VALU_DEP_2)
	v_add_f64_e32 v[10:11], v[16:17], v[10:11]
	v_add_f64_e64 v[12:13], v[14:15], -v[12:13]
	s_delay_alu instid0(VALU_DEP_2) | instskip(NEXT) | instid1(VALU_DEP_2)
	v_add_f64_e32 v[10:11], v[28:29], v[10:11]
	v_add_f64_e64 v[12:13], v[22:23], -v[12:13]
	s_delay_alu instid0(VALU_DEP_2) | instskip(NEXT) | instid1(VALU_DEP_1)
	v_mul_f64_e32 v[10:11], v[20:21], v[10:11]
	v_add_f64_e32 v[10:11], v[12:13], v[10:11]
	s_delay_alu instid0(VALU_DEP_1) | instskip(NEXT) | instid1(VALU_DEP_1)
	v_add_f64_e32 v[12:13], v[14:15], v[10:11]
	v_mul_f64_e32 v[16:17], v[12:13], v[12:13]
	s_delay_alu instid0(VALU_DEP_1) | instskip(SKIP_2) | instid1(VALU_DEP_2)
	v_fmaak_f64 v[18:19], s[10:11], v[16:17], 0x3fc385386b47b09a
	v_mul_f64_e32 v[20:21], v[12:13], v[16:17]
	s_mov_b64 s[10:11], 0x3fe62e42fefa39ef
	v_fmaak_f64 v[18:19], v[16:17], v[18:19], 0x3fc7474dd7f4df2e
	s_delay_alu instid0(VALU_DEP_1) | instskip(NEXT) | instid1(VALU_DEP_1)
	v_fmaak_f64 v[18:19], v[16:17], v[18:19], 0x3fcc71c016291751
	v_fmaak_f64 v[18:19], v[16:17], v[18:19], 0x3fd249249b27acf1
	s_delay_alu instid0(VALU_DEP_1) | instskip(NEXT) | instid1(VALU_DEP_1)
	v_fmaak_f64 v[18:19], v[16:17], v[18:19], 0x3fd99999998ef7b6
	v_fmaak_f64 v[16:17], v[16:17], v[18:19], 0x3fe5555555555780
	v_ldexp_f64 v[18:19], v[12:13], 1
	v_add_f64_e64 v[12:13], v[12:13], -v[14:15]
	s_delay_alu instid0(VALU_DEP_3) | instskip(SKIP_1) | instid1(VALU_DEP_3)
	v_mul_f64_e32 v[16:17], v[20:21], v[16:17]
	v_cvt_f64_i32_e32 v[20:21], v25
	v_add_f64_e64 v[10:11], v[10:11], -v[12:13]
	s_delay_alu instid0(VALU_DEP_3) | instskip(NEXT) | instid1(VALU_DEP_2)
	v_add_f64_e32 v[14:15], v[18:19], v[16:17]
	v_ldexp_f64 v[10:11], v[10:11], 1
	s_delay_alu instid0(VALU_DEP_2) | instskip(SKIP_1) | instid1(VALU_DEP_2)
	v_add_f64_e64 v[12:13], v[14:15], -v[18:19]
	v_mul_f64_e32 v[18:19], 0x3fe62e42fefa39ef, v[20:21]
	v_add_f64_e64 v[12:13], v[16:17], -v[12:13]
	s_delay_alu instid0(VALU_DEP_2) | instskip(NEXT) | instid1(VALU_DEP_2)
	v_fma_f64 v[16:17], v[20:21], s[10:11], -v[18:19]
	v_add_f64_e32 v[10:11], v[10:11], v[12:13]
	s_delay_alu instid0(VALU_DEP_2) | instskip(NEXT) | instid1(VALU_DEP_1)
	v_fmamk_f64 v[12:13], v[20:21], 0x3c7abc9e3b39803f, v[16:17]
	v_add_f64_e32 v[16:17], v[18:19], v[12:13]
	s_delay_alu instid0(VALU_DEP_3) | instskip(NEXT) | instid1(VALU_DEP_2)
	v_add_f64_e32 v[20:21], v[14:15], v[10:11]
	v_add_f64_e64 v[18:19], v[16:17], -v[18:19]
	s_delay_alu instid0(VALU_DEP_2) | instskip(SKIP_1) | instid1(VALU_DEP_3)
	v_add_f64_e32 v[22:23], v[16:17], v[20:21]
	v_add_f64_e64 v[14:15], v[20:21], -v[14:15]
	v_add_f64_e64 v[12:13], v[12:13], -v[18:19]
	s_delay_alu instid0(VALU_DEP_3) | instskip(NEXT) | instid1(VALU_DEP_3)
	v_add_f64_e64 v[26:27], v[22:23], -v[16:17]
	v_add_f64_e64 v[10:11], v[10:11], -v[14:15]
	s_delay_alu instid0(VALU_DEP_2) | instskip(SKIP_1) | instid1(VALU_DEP_3)
	v_add_f64_e64 v[28:29], v[22:23], -v[26:27]
	v_add_f64_e64 v[14:15], v[20:21], -v[26:27]
	v_add_f64_e32 v[18:19], v[12:13], v[10:11]
	s_delay_alu instid0(VALU_DEP_3) | instskip(NEXT) | instid1(VALU_DEP_1)
	v_add_f64_e64 v[16:17], v[16:17], -v[28:29]
	v_add_f64_e32 v[14:15], v[14:15], v[16:17]
	s_delay_alu instid0(VALU_DEP_3) | instskip(NEXT) | instid1(VALU_DEP_2)
	v_add_f64_e64 v[16:17], v[18:19], -v[12:13]
	v_add_f64_e32 v[14:15], v[18:19], v[14:15]
	s_delay_alu instid0(VALU_DEP_2) | instskip(SKIP_1) | instid1(VALU_DEP_3)
	v_add_f64_e64 v[18:19], v[18:19], -v[16:17]
	v_add_f64_e64 v[10:11], v[10:11], -v[16:17]
	v_add_f64_e32 v[20:21], v[22:23], v[14:15]
	s_delay_alu instid0(VALU_DEP_3) | instskip(NEXT) | instid1(VALU_DEP_2)
	v_add_f64_e64 v[12:13], v[12:13], -v[18:19]
	v_add_f64_e64 v[16:17], v[20:21], -v[22:23]
	s_delay_alu instid0(VALU_DEP_2) | instskip(NEXT) | instid1(VALU_DEP_2)
	v_add_f64_e32 v[10:11], v[10:11], v[12:13]
	v_add_f64_e64 v[12:13], v[14:15], -v[16:17]
	s_delay_alu instid0(VALU_DEP_1) | instskip(NEXT) | instid1(VALU_DEP_1)
	v_add_f64_e32 v[10:11], v[10:11], v[12:13]
	v_add_f64_e32 v[10:11], v[20:21], v[10:11]
	s_delay_alu instid0(VALU_DEP_1) | instskip(SKIP_1) | instid1(VALU_DEP_3)
	v_cndmask_b32_e32 v10, 0, v10, vcc_lo
	v_cmp_neq_f64_e32 vcc_lo, -1.0, v[8:9]
	v_cndmask_b32_e64 v11, 0x7ff00000, v11, s1
	s_delay_alu instid0(VALU_DEP_1) | instskip(NEXT) | instid1(VALU_DEP_1)
	v_cndmask_b32_e64 v11, 0x7ff80000, v11, s2
	v_cndmask_b32_e32 v11, 0xfff00000, v11, vcc_lo
	s_delay_alu instid0(VALU_DEP_1) | instskip(NEXT) | instid1(VALU_DEP_1)
	v_div_scale_f64 v[8:9], null, s[4:5], s[4:5], v[10:11]
	v_rcp_f64_e32 v[12:13], v[8:9]
	v_nop
	s_delay_alu instid0(TRANS32_DEP_1) | instskip(NEXT) | instid1(VALU_DEP_1)
	v_fma_f64 v[14:15], -v[8:9], v[12:13], 1.0
	v_fmac_f64_e32 v[12:13], v[12:13], v[14:15]
	s_delay_alu instid0(VALU_DEP_1) | instskip(NEXT) | instid1(VALU_DEP_1)
	v_fma_f64 v[14:15], -v[8:9], v[12:13], 1.0
	v_fmac_f64_e32 v[12:13], v[12:13], v[14:15]
	v_div_scale_f64 v[14:15], vcc_lo, v[10:11], s[4:5], v[10:11]
	s_delay_alu instid0(VALU_DEP_1) | instskip(NEXT) | instid1(VALU_DEP_1)
	v_mul_f64_e32 v[16:17], v[14:15], v[12:13]
	v_fma_f64 v[8:9], -v[8:9], v[16:17], v[14:15]
	s_delay_alu instid0(VALU_DEP_1) | instskip(NEXT) | instid1(VALU_DEP_1)
	v_div_fmas_f64 v[8:9], v[8:9], v[12:13], v[16:17]
	v_div_fixup_f64 v[18:19], v[8:9], s[4:5], v[10:11]
.LBB3_40:
	s_or_b32 exec_lo, exec_lo, s6
	s_delay_alu instid0(VALU_DEP_1) | instskip(SKIP_2) | instid1(SALU_CYCLE_1)
	v_dual_mov_b32 v8, v18 :: v_dual_mov_b32 v9, v19
	s_or_b32 exec_lo, exec_lo, s3
	s_and_saveexec_b32 s1, s0
	s_xor_b32 s0, exec_lo, s1
	s_cbranch_execz .LBB3_33
.LBB3_41:
	v_mov_b32_e32 v0, v24
	global_store_b64 v1, v[2:3], s[8:9] scale_offset
	s_wait_xcnt 0x0
	s_or_b32 exec_lo, exec_lo, s0
	s_delay_alu instid0(SALU_CYCLE_1)
	s_mov_b32 s0, exec_lo
	v_cmpx_gt_i32_e64 s14, v0
	s_cbranch_execz .LBB3_34
.LBB3_42:
	v_add_nc_u32_e32 v1, s12, v0
	v_add_nc_u32_e32 v0, 0x100, v0
	global_store_b64 v1, v[4:5], s[8:9] scale_offset
	s_wait_xcnt 0x0
	s_or_b32 exec_lo, exec_lo, s0
	s_delay_alu instid0(SALU_CYCLE_1)
	s_mov_b32 s0, exec_lo
	v_cmpx_gt_i32_e64 s14, v0
	s_cbranch_execz .LBB3_35
.LBB3_43:
	v_add_nc_u32_e32 v1, s12, v0
	v_add_nc_u32_e32 v0, 0x100, v0
	global_store_b64 v1, v[6:7], s[8:9] scale_offset
	s_wait_xcnt 0x0
	s_or_b32 exec_lo, exec_lo, s0
	s_delay_alu instid0(SALU_CYCLE_1)
	s_mov_b32 s0, exec_lo
	v_cmpx_gt_i32_e64 s14, v0
	s_cbranch_execnz .LBB3_36
	s_branch .LBB3_37
	.section	.rodata,"a",@progbits
	.p2align	6, 0x0
	.amdhsa_kernel _ZN2at6native29vectorized_elementwise_kernelILi2EZZZNS0_12_GLOBAL__N_115softplus_kernelERNS_18TensorIteratorBaseERKN3c106ScalarES8_ENKUlvE_clEvENKUlvE_clEvEUldE_St5arrayIPcLm2EEEEviT0_T1_
		.amdhsa_group_segment_fixed_size 0
		.amdhsa_private_segment_fixed_size 0
		.amdhsa_kernarg_size 40
		.amdhsa_user_sgpr_count 2
		.amdhsa_user_sgpr_dispatch_ptr 0
		.amdhsa_user_sgpr_queue_ptr 0
		.amdhsa_user_sgpr_kernarg_segment_ptr 1
		.amdhsa_user_sgpr_dispatch_id 0
		.amdhsa_user_sgpr_kernarg_preload_length 0
		.amdhsa_user_sgpr_kernarg_preload_offset 0
		.amdhsa_user_sgpr_private_segment_size 0
		.amdhsa_wavefront_size32 1
		.amdhsa_uses_dynamic_stack 0
		.amdhsa_enable_private_segment 0
		.amdhsa_system_sgpr_workgroup_id_x 1
		.amdhsa_system_sgpr_workgroup_id_y 0
		.amdhsa_system_sgpr_workgroup_id_z 0
		.amdhsa_system_sgpr_workgroup_info 0
		.amdhsa_system_vgpr_workitem_id 0
		.amdhsa_next_free_vgpr 38
		.amdhsa_next_free_sgpr 18
		.amdhsa_named_barrier_count 0
		.amdhsa_reserve_vcc 1
		.amdhsa_float_round_mode_32 0
		.amdhsa_float_round_mode_16_64 0
		.amdhsa_float_denorm_mode_32 3
		.amdhsa_float_denorm_mode_16_64 3
		.amdhsa_fp16_overflow 0
		.amdhsa_memory_ordered 1
		.amdhsa_forward_progress 1
		.amdhsa_inst_pref_size 95
		.amdhsa_round_robin_scheduling 0
		.amdhsa_exception_fp_ieee_invalid_op 0
		.amdhsa_exception_fp_denorm_src 0
		.amdhsa_exception_fp_ieee_div_zero 0
		.amdhsa_exception_fp_ieee_overflow 0
		.amdhsa_exception_fp_ieee_underflow 0
		.amdhsa_exception_fp_ieee_inexact 0
		.amdhsa_exception_int_div_zero 0
	.end_amdhsa_kernel
	.section	.text._ZN2at6native29vectorized_elementwise_kernelILi2EZZZNS0_12_GLOBAL__N_115softplus_kernelERNS_18TensorIteratorBaseERKN3c106ScalarES8_ENKUlvE_clEvENKUlvE_clEvEUldE_St5arrayIPcLm2EEEEviT0_T1_,"axG",@progbits,_ZN2at6native29vectorized_elementwise_kernelILi2EZZZNS0_12_GLOBAL__N_115softplus_kernelERNS_18TensorIteratorBaseERKN3c106ScalarES8_ENKUlvE_clEvENKUlvE_clEvEUldE_St5arrayIPcLm2EEEEviT0_T1_,comdat
.Lfunc_end3:
	.size	_ZN2at6native29vectorized_elementwise_kernelILi2EZZZNS0_12_GLOBAL__N_115softplus_kernelERNS_18TensorIteratorBaseERKN3c106ScalarES8_ENKUlvE_clEvENKUlvE_clEvEUldE_St5arrayIPcLm2EEEEviT0_T1_, .Lfunc_end3-_ZN2at6native29vectorized_elementwise_kernelILi2EZZZNS0_12_GLOBAL__N_115softplus_kernelERNS_18TensorIteratorBaseERKN3c106ScalarES8_ENKUlvE_clEvENKUlvE_clEvEUldE_St5arrayIPcLm2EEEEviT0_T1_
                                        ; -- End function
	.set _ZN2at6native29vectorized_elementwise_kernelILi2EZZZNS0_12_GLOBAL__N_115softplus_kernelERNS_18TensorIteratorBaseERKN3c106ScalarES8_ENKUlvE_clEvENKUlvE_clEvEUldE_St5arrayIPcLm2EEEEviT0_T1_.num_vgpr, 38
	.set _ZN2at6native29vectorized_elementwise_kernelILi2EZZZNS0_12_GLOBAL__N_115softplus_kernelERNS_18TensorIteratorBaseERKN3c106ScalarES8_ENKUlvE_clEvENKUlvE_clEvEUldE_St5arrayIPcLm2EEEEviT0_T1_.num_agpr, 0
	.set _ZN2at6native29vectorized_elementwise_kernelILi2EZZZNS0_12_GLOBAL__N_115softplus_kernelERNS_18TensorIteratorBaseERKN3c106ScalarES8_ENKUlvE_clEvENKUlvE_clEvEUldE_St5arrayIPcLm2EEEEviT0_T1_.numbered_sgpr, 18
	.set _ZN2at6native29vectorized_elementwise_kernelILi2EZZZNS0_12_GLOBAL__N_115softplus_kernelERNS_18TensorIteratorBaseERKN3c106ScalarES8_ENKUlvE_clEvENKUlvE_clEvEUldE_St5arrayIPcLm2EEEEviT0_T1_.num_named_barrier, 0
	.set _ZN2at6native29vectorized_elementwise_kernelILi2EZZZNS0_12_GLOBAL__N_115softplus_kernelERNS_18TensorIteratorBaseERKN3c106ScalarES8_ENKUlvE_clEvENKUlvE_clEvEUldE_St5arrayIPcLm2EEEEviT0_T1_.private_seg_size, 0
	.set _ZN2at6native29vectorized_elementwise_kernelILi2EZZZNS0_12_GLOBAL__N_115softplus_kernelERNS_18TensorIteratorBaseERKN3c106ScalarES8_ENKUlvE_clEvENKUlvE_clEvEUldE_St5arrayIPcLm2EEEEviT0_T1_.uses_vcc, 1
	.set _ZN2at6native29vectorized_elementwise_kernelILi2EZZZNS0_12_GLOBAL__N_115softplus_kernelERNS_18TensorIteratorBaseERKN3c106ScalarES8_ENKUlvE_clEvENKUlvE_clEvEUldE_St5arrayIPcLm2EEEEviT0_T1_.uses_flat_scratch, 0
	.set _ZN2at6native29vectorized_elementwise_kernelILi2EZZZNS0_12_GLOBAL__N_115softplus_kernelERNS_18TensorIteratorBaseERKN3c106ScalarES8_ENKUlvE_clEvENKUlvE_clEvEUldE_St5arrayIPcLm2EEEEviT0_T1_.has_dyn_sized_stack, 0
	.set _ZN2at6native29vectorized_elementwise_kernelILi2EZZZNS0_12_GLOBAL__N_115softplus_kernelERNS_18TensorIteratorBaseERKN3c106ScalarES8_ENKUlvE_clEvENKUlvE_clEvEUldE_St5arrayIPcLm2EEEEviT0_T1_.has_recursion, 0
	.set _ZN2at6native29vectorized_elementwise_kernelILi2EZZZNS0_12_GLOBAL__N_115softplus_kernelERNS_18TensorIteratorBaseERKN3c106ScalarES8_ENKUlvE_clEvENKUlvE_clEvEUldE_St5arrayIPcLm2EEEEviT0_T1_.has_indirect_call, 0
	.section	.AMDGPU.csdata,"",@progbits
; Kernel info:
; codeLenInByte = 12068
; TotalNumSgprs: 20
; NumVgprs: 38
; ScratchSize: 0
; MemoryBound: 0
; FloatMode: 240
; IeeeMode: 1
; LDSByteSize: 0 bytes/workgroup (compile time only)
; SGPRBlocks: 0
; VGPRBlocks: 2
; NumSGPRsForWavesPerEU: 20
; NumVGPRsForWavesPerEU: 38
; NamedBarCnt: 0
; Occupancy: 16
; WaveLimiterHint : 1
; COMPUTE_PGM_RSRC2:SCRATCH_EN: 0
; COMPUTE_PGM_RSRC2:USER_SGPR: 2
; COMPUTE_PGM_RSRC2:TRAP_HANDLER: 0
; COMPUTE_PGM_RSRC2:TGID_X_EN: 1
; COMPUTE_PGM_RSRC2:TGID_Y_EN: 0
; COMPUTE_PGM_RSRC2:TGID_Z_EN: 0
; COMPUTE_PGM_RSRC2:TIDIG_COMP_CNT: 0
	.section	.text._ZN2at6native27unrolled_elementwise_kernelIZZZNS0_12_GLOBAL__N_115softplus_kernelERNS_18TensorIteratorBaseERKN3c106ScalarES8_ENKUlvE_clEvENKUlvE_clEvEUldE_St5arrayIPcLm2EELi4E23TrivialOffsetCalculatorILi1EjESG_NS0_6memory15LoadWithoutCastENSH_16StoreWithoutCastEEEviT_T0_T2_T3_T4_T5_,"axG",@progbits,_ZN2at6native27unrolled_elementwise_kernelIZZZNS0_12_GLOBAL__N_115softplus_kernelERNS_18TensorIteratorBaseERKN3c106ScalarES8_ENKUlvE_clEvENKUlvE_clEvEUldE_St5arrayIPcLm2EELi4E23TrivialOffsetCalculatorILi1EjESG_NS0_6memory15LoadWithoutCastENSH_16StoreWithoutCastEEEviT_T0_T2_T3_T4_T5_,comdat
	.globl	_ZN2at6native27unrolled_elementwise_kernelIZZZNS0_12_GLOBAL__N_115softplus_kernelERNS_18TensorIteratorBaseERKN3c106ScalarES8_ENKUlvE_clEvENKUlvE_clEvEUldE_St5arrayIPcLm2EELi4E23TrivialOffsetCalculatorILi1EjESG_NS0_6memory15LoadWithoutCastENSH_16StoreWithoutCastEEEviT_T0_T2_T3_T4_T5_ ; -- Begin function _ZN2at6native27unrolled_elementwise_kernelIZZZNS0_12_GLOBAL__N_115softplus_kernelERNS_18TensorIteratorBaseERKN3c106ScalarES8_ENKUlvE_clEvENKUlvE_clEvEUldE_St5arrayIPcLm2EELi4E23TrivialOffsetCalculatorILi1EjESG_NS0_6memory15LoadWithoutCastENSH_16StoreWithoutCastEEEviT_T0_T2_T3_T4_T5_
	.p2align	8
	.type	_ZN2at6native27unrolled_elementwise_kernelIZZZNS0_12_GLOBAL__N_115softplus_kernelERNS_18TensorIteratorBaseERKN3c106ScalarES8_ENKUlvE_clEvENKUlvE_clEvEUldE_St5arrayIPcLm2EELi4E23TrivialOffsetCalculatorILi1EjESG_NS0_6memory15LoadWithoutCastENSH_16StoreWithoutCastEEEviT_T0_T2_T3_T4_T5_,@function
_ZN2at6native27unrolled_elementwise_kernelIZZZNS0_12_GLOBAL__N_115softplus_kernelERNS_18TensorIteratorBaseERKN3c106ScalarES8_ENKUlvE_clEvENKUlvE_clEvEUldE_St5arrayIPcLm2EELi4E23TrivialOffsetCalculatorILi1EjESG_NS0_6memory15LoadWithoutCastENSH_16StoreWithoutCastEEEviT_T0_T2_T3_T4_T5_: ; @_ZN2at6native27unrolled_elementwise_kernelIZZZNS0_12_GLOBAL__N_115softplus_kernelERNS_18TensorIteratorBaseERKN3c106ScalarES8_ENKUlvE_clEvENKUlvE_clEvEUldE_St5arrayIPcLm2EELi4E23TrivialOffsetCalculatorILi1EjESG_NS0_6memory15LoadWithoutCastENSH_16StoreWithoutCastEEEviT_T0_T2_T3_T4_T5_
; %bb.0:
	s_load_b32 s2, s[0:1], 0x0
	s_bfe_u32 s3, ttmp6, 0x4000c
	s_load_b256 s[4:11], s[0:1], 0x8
	s_add_co_i32 s3, s3, 1
	s_wait_xcnt 0x0
	s_and_b32 s0, ttmp6, 15
	s_mul_i32 s1, ttmp9, s3
	s_getreg_b32 s3, hwreg(HW_REG_IB_STS2, 6, 4)
	s_add_co_i32 s0, s0, s1
	s_cmp_eq_u32 s3, 0
	v_mov_b64_e32 v[22:23], 0
	s_cselect_b32 s0, ttmp9, s0
	v_mov_b64_e32 v[10:11], 0
	s_lshl_b32 s3, s0, 10
	v_or_b32_e32 v1, 0x100, v0
	v_dual_mov_b32 v2, v0 :: v_dual_bitop2_b32 v24, s3, v0 bitop3:0x54
	s_wait_kmcnt 0x0
	s_sub_co_i32 s12, s2, s3
	s_delay_alu instid0(SALU_CYCLE_1)
	v_cmp_gt_i32_e64 s0, s12, v0
	s_and_saveexec_b32 s1, s0
	s_cbranch_execz .LBB4_2
; %bb.1:
	global_load_b64 v[10:11], v24, s[10:11] scale_offset
	v_or_b32_e32 v2, 0x100, v0
.LBB4_2:
	s_wait_xcnt 0x0
	s_or_b32 exec_lo, exec_lo, s1
	s_delay_alu instid0(SALU_CYCLE_1) | instskip(NEXT) | instid1(VALU_DEP_1)
	s_mov_b32 s1, exec_lo
	v_cmpx_gt_i32_e64 s12, v2
	s_cbranch_execz .LBB4_4
; %bb.3:
	v_add_nc_u32_e32 v3, s3, v2
	v_add_nc_u32_e32 v2, 0x100, v2
	global_load_b64 v[22:23], v3, s[10:11] scale_offset
.LBB4_4:
	s_wait_xcnt 0x0
	s_or_b32 exec_lo, exec_lo, s1
	v_mov_b64_e32 v[18:19], 0
	v_mov_b64_e32 v[20:21], 0
	s_mov_b32 s1, exec_lo
	v_cmpx_gt_i32_e64 s12, v2
	s_cbranch_execz .LBB4_6
; %bb.5:
	v_add_nc_u32_e32 v3, s3, v2
	v_add_nc_u32_e32 v2, 0x100, v2
	global_load_b64 v[20:21], v3, s[10:11] scale_offset
.LBB4_6:
	s_wait_xcnt 0x0
	s_or_b32 exec_lo, exec_lo, s1
	s_delay_alu instid0(SALU_CYCLE_1)
	s_mov_b32 s1, exec_lo
	v_cmpx_gt_i32_e64 s12, v2
	s_cbranch_execz .LBB4_8
; %bb.7:
	v_add_nc_u32_e32 v2, s3, v2
	global_load_b64 v[18:19], v2, s[10:11] scale_offset
.LBB4_8:
	s_wait_xcnt 0x0
	s_or_b32 exec_lo, exec_lo, s1
	v_mov_b32_e32 v2, 0
	s_delay_alu instid0(VALU_DEP_1)
	v_dual_mov_b32 v3, v2 :: v_dual_mov_b32 v4, v2
	v_dual_mov_b32 v5, v2 :: v_dual_mov_b32 v6, v2
	;; [unrolled: 1-line block ×3, first 2 shown]
	v_mov_b32_e32 v9, v2
	s_and_saveexec_b32 s10, s0
	s_cbranch_execz .LBB4_12
; %bb.9:
	s_wait_loadcnt 0x0
	v_mul_f64_e32 v[2:3], s[4:5], v[10:11]
	s_mov_b32 s11, exec_lo
	s_delay_alu instid0(VALU_DEP_1)
	v_cmpx_nlt_f64_e32 s[6:7], v[2:3]
	s_cbranch_execz .LBB4_11
; %bb.10:
	v_mul_f64_e32 v[4:5], 0x3ff71547652b82fe, v[2:3]
	s_mov_b64 s[14:15], 0x3e5ade156a5dcb37
	v_cmp_nlt_f64_e32 vcc_lo, 0x40900000, v[2:3]
	v_cmp_ngt_f64_e64 s1, 0xc090cc00, v[2:3]
	s_delay_alu instid0(VALU_DEP_3) | instskip(NEXT) | instid1(VALU_DEP_1)
	v_rndne_f64_e32 v[4:5], v[4:5]
	v_fmamk_f64 v[6:7], v[4:5], 0xbfe62e42fefa39ef, v[2:3]
	v_cvt_i32_f64_e32 v10, v[4:5]
	s_delay_alu instid0(VALU_DEP_2) | instskip(NEXT) | instid1(VALU_DEP_1)
	v_fmamk_f64 v[6:7], v[4:5], 0xbc7abc9e3b39803f, v[6:7]
	v_fmaak_f64 v[8:9], s[14:15], v[6:7], 0x3e928af3fca7ab0c
	s_mov_b64 s[14:15], 0x3fe5555555555555
	s_delay_alu instid0(VALU_DEP_1) | instskip(NEXT) | instid1(VALU_DEP_1)
	v_fmaak_f64 v[8:9], v[6:7], v[8:9], 0x3ec71dee623fde64
	v_fmaak_f64 v[8:9], v[6:7], v[8:9], 0x3efa01997c89e6b0
	s_delay_alu instid0(VALU_DEP_1) | instskip(NEXT) | instid1(VALU_DEP_1)
	v_fmaak_f64 v[8:9], v[6:7], v[8:9], 0x3f2a01a014761f6e
	v_fmaak_f64 v[8:9], v[6:7], v[8:9], 0x3f56c16c1852b7b0
	;; [unrolled: 3-line block ×4, first 2 shown]
	s_delay_alu instid0(VALU_DEP_1) | instskip(NEXT) | instid1(VALU_DEP_1)
	v_fma_f64 v[8:9], v[6:7], v[8:9], 1.0
	v_fma_f64 v[4:5], v[6:7], v[8:9], 1.0
	s_delay_alu instid0(VALU_DEP_1) | instskip(NEXT) | instid1(VALU_DEP_1)
	v_ldexp_f64 v[4:5], v[4:5], v10
	v_cndmask_b32_e32 v5, 0x7ff00000, v5, vcc_lo
	s_and_b32 vcc_lo, s1, vcc_lo
	s_delay_alu instid0(VALU_DEP_1) | instid1(SALU_CYCLE_1)
	v_dual_cndmask_b32 v2, 0, v4, vcc_lo :: v_dual_cndmask_b32 v3, 0, v5, s1
	s_delay_alu instid0(VALU_DEP_1) | instskip(SKIP_2) | instid1(VALU_DEP_3)
	v_add_f64_e32 v[4:5], 1.0, v[2:3]
	v_cmp_neq_f64_e64 s1, 0x7ff00000, v[2:3]
	v_cmp_ngt_f64_e64 s2, -1.0, v[2:3]
	v_frexp_mant_f64_e32 v[6:7], v[4:5]
	v_frexp_exp_i32_f64_e32 v10, v[4:5]
	s_delay_alu instid0(VALU_DEP_2) | instskip(SKIP_1) | instid1(VALU_DEP_2)
	v_cmp_gt_f64_e32 vcc_lo, s[14:15], v[6:7]
	s_mov_b64 s[14:15], 0x3fc3ab76bf559e2b
	v_subrev_co_ci_u32_e64 v25, null, 0, v10, vcc_lo
	v_cmp_nge_f64_e32 vcc_lo, -1.0, v[2:3]
	s_delay_alu instid0(VALU_DEP_2) | instskip(SKIP_2) | instid1(VALU_DEP_1)
	v_sub_nc_u32_e32 v12, 0, v25
	v_add_f64_e32 v[8:9], -1.0, v[4:5]
	s_and_b32 vcc_lo, vcc_lo, s1
	v_add_f64_e64 v[6:7], v[8:9], -v[4:5]
	s_delay_alu instid0(VALU_DEP_3) | instskip(SKIP_1) | instid1(VALU_DEP_3)
	v_ldexp_f64 v[4:5], v[4:5], v12
	v_add_f64_e64 v[8:9], v[2:3], -v[8:9]
	v_add_f64_e32 v[6:7], 1.0, v[6:7]
	s_delay_alu instid0(VALU_DEP_3) | instskip(SKIP_1) | instid1(VALU_DEP_3)
	v_add_f64_e32 v[10:11], 1.0, v[4:5]
	v_add_f64_e32 v[16:17], -1.0, v[4:5]
	v_add_f64_e32 v[6:7], v[8:9], v[6:7]
	s_delay_alu instid0(VALU_DEP_3) | instskip(NEXT) | instid1(VALU_DEP_3)
	v_add_f64_e32 v[8:9], -1.0, v[10:11]
	v_add_f64_e32 v[26:27], 1.0, v[16:17]
	s_delay_alu instid0(VALU_DEP_3) | instskip(NEXT) | instid1(VALU_DEP_3)
	v_ldexp_f64 v[6:7], v[6:7], v12
	v_add_f64_e64 v[8:9], v[4:5], -v[8:9]
	s_delay_alu instid0(VALU_DEP_3) | instskip(NEXT) | instid1(VALU_DEP_2)
	v_add_f64_e64 v[4:5], v[4:5], -v[26:27]
	v_add_f64_e32 v[8:9], v[6:7], v[8:9]
	s_delay_alu instid0(VALU_DEP_2) | instskip(NEXT) | instid1(VALU_DEP_2)
	v_add_f64_e32 v[4:5], v[6:7], v[4:5]
	v_add_f64_e32 v[12:13], v[10:11], v[8:9]
	s_delay_alu instid0(VALU_DEP_2) | instskip(NEXT) | instid1(VALU_DEP_2)
	v_add_f64_e32 v[26:27], v[16:17], v[4:5]
	v_rcp_f64_e32 v[14:15], v[12:13]
	v_add_f64_e64 v[10:11], v[12:13], -v[10:11]
	s_delay_alu instid0(VALU_DEP_2) | instskip(NEXT) | instid1(VALU_DEP_2)
	v_add_f64_e64 v[16:17], v[26:27], -v[16:17]
	v_add_f64_e64 v[8:9], v[8:9], -v[10:11]
	s_delay_alu instid0(VALU_DEP_2) | instskip(NEXT) | instid1(TRANS32_DEP_1)
	v_add_f64_e64 v[4:5], v[4:5], -v[16:17]
	v_fma_f64 v[28:29], -v[12:13], v[14:15], 1.0
	s_delay_alu instid0(VALU_DEP_1) | instskip(NEXT) | instid1(VALU_DEP_1)
	v_fmac_f64_e32 v[14:15], v[28:29], v[14:15]
	v_fma_f64 v[6:7], -v[12:13], v[14:15], 1.0
	s_delay_alu instid0(VALU_DEP_1) | instskip(NEXT) | instid1(VALU_DEP_1)
	v_fmac_f64_e32 v[14:15], v[6:7], v[14:15]
	v_mul_f64_e32 v[6:7], v[26:27], v[14:15]
	s_delay_alu instid0(VALU_DEP_1) | instskip(NEXT) | instid1(VALU_DEP_1)
	v_mul_f64_e32 v[28:29], v[12:13], v[6:7]
	v_fma_f64 v[10:11], v[6:7], v[12:13], -v[28:29]
	s_delay_alu instid0(VALU_DEP_1) | instskip(NEXT) | instid1(VALU_DEP_1)
	v_fmac_f64_e32 v[10:11], v[6:7], v[8:9]
	v_add_f64_e32 v[30:31], v[28:29], v[10:11]
	s_delay_alu instid0(VALU_DEP_1) | instskip(SKIP_1) | instid1(VALU_DEP_2)
	v_add_f64_e64 v[32:33], v[26:27], -v[30:31]
	v_add_f64_e64 v[16:17], v[30:31], -v[28:29]
	;; [unrolled: 1-line block ×3, first 2 shown]
	s_delay_alu instid0(VALU_DEP_2) | instskip(NEXT) | instid1(VALU_DEP_2)
	v_add_f64_e64 v[10:11], v[16:17], -v[10:11]
	v_add_f64_e64 v[26:27], v[26:27], -v[30:31]
	s_delay_alu instid0(VALU_DEP_1) | instskip(NEXT) | instid1(VALU_DEP_1)
	v_add_f64_e32 v[4:5], v[4:5], v[26:27]
	v_add_f64_e32 v[4:5], v[10:11], v[4:5]
	s_delay_alu instid0(VALU_DEP_1) | instskip(NEXT) | instid1(VALU_DEP_1)
	v_add_f64_e32 v[10:11], v[32:33], v[4:5]
	v_mul_f64_e32 v[16:17], v[14:15], v[10:11]
	v_add_f64_e64 v[30:31], v[32:33], -v[10:11]
	s_delay_alu instid0(VALU_DEP_2) | instskip(NEXT) | instid1(VALU_DEP_2)
	v_mul_f64_e32 v[26:27], v[12:13], v[16:17]
	v_add_f64_e32 v[4:5], v[4:5], v[30:31]
	s_delay_alu instid0(VALU_DEP_2) | instskip(NEXT) | instid1(VALU_DEP_1)
	v_fma_f64 v[12:13], v[16:17], v[12:13], -v[26:27]
	v_fmac_f64_e32 v[12:13], v[16:17], v[8:9]
	s_delay_alu instid0(VALU_DEP_1) | instskip(NEXT) | instid1(VALU_DEP_1)
	v_add_f64_e32 v[8:9], v[26:27], v[12:13]
	v_add_f64_e64 v[28:29], v[10:11], -v[8:9]
	v_add_f64_e64 v[26:27], v[8:9], -v[26:27]
	s_delay_alu instid0(VALU_DEP_2) | instskip(NEXT) | instid1(VALU_DEP_1)
	v_add_f64_e64 v[10:11], v[10:11], -v[28:29]
	v_add_f64_e64 v[8:9], v[10:11], -v[8:9]
	s_delay_alu instid0(VALU_DEP_3) | instskip(NEXT) | instid1(VALU_DEP_2)
	v_add_f64_e64 v[10:11], v[26:27], -v[12:13]
	v_add_f64_e32 v[4:5], v[4:5], v[8:9]
	v_add_f64_e32 v[8:9], v[6:7], v[16:17]
	s_delay_alu instid0(VALU_DEP_2) | instskip(NEXT) | instid1(VALU_DEP_2)
	v_add_f64_e32 v[4:5], v[10:11], v[4:5]
	v_add_f64_e64 v[6:7], v[8:9], -v[6:7]
	s_delay_alu instid0(VALU_DEP_2) | instskip(NEXT) | instid1(VALU_DEP_2)
	v_add_f64_e32 v[4:5], v[28:29], v[4:5]
	v_add_f64_e64 v[6:7], v[16:17], -v[6:7]
	s_delay_alu instid0(VALU_DEP_2) | instskip(NEXT) | instid1(VALU_DEP_1)
	v_mul_f64_e32 v[4:5], v[14:15], v[4:5]
	v_add_f64_e32 v[4:5], v[6:7], v[4:5]
	s_delay_alu instid0(VALU_DEP_1) | instskip(NEXT) | instid1(VALU_DEP_1)
	v_add_f64_e32 v[6:7], v[8:9], v[4:5]
	v_mul_f64_e32 v[10:11], v[6:7], v[6:7]
	s_delay_alu instid0(VALU_DEP_1) | instskip(SKIP_2) | instid1(VALU_DEP_2)
	v_fmaak_f64 v[12:13], s[14:15], v[10:11], 0x3fc385386b47b09a
	v_mul_f64_e32 v[14:15], v[6:7], v[10:11]
	s_mov_b64 s[14:15], 0x3fe62e42fefa39ef
	v_fmaak_f64 v[12:13], v[10:11], v[12:13], 0x3fc7474dd7f4df2e
	s_delay_alu instid0(VALU_DEP_1) | instskip(NEXT) | instid1(VALU_DEP_1)
	v_fmaak_f64 v[12:13], v[10:11], v[12:13], 0x3fcc71c016291751
	v_fmaak_f64 v[12:13], v[10:11], v[12:13], 0x3fd249249b27acf1
	s_delay_alu instid0(VALU_DEP_1) | instskip(NEXT) | instid1(VALU_DEP_1)
	v_fmaak_f64 v[12:13], v[10:11], v[12:13], 0x3fd99999998ef7b6
	v_fmaak_f64 v[10:11], v[10:11], v[12:13], 0x3fe5555555555780
	v_ldexp_f64 v[12:13], v[6:7], 1
	v_add_f64_e64 v[6:7], v[6:7], -v[8:9]
	s_delay_alu instid0(VALU_DEP_3) | instskip(SKIP_1) | instid1(VALU_DEP_3)
	v_mul_f64_e32 v[10:11], v[14:15], v[10:11]
	v_cvt_f64_i32_e32 v[14:15], v25
	v_add_f64_e64 v[4:5], v[4:5], -v[6:7]
	s_delay_alu instid0(VALU_DEP_3) | instskip(NEXT) | instid1(VALU_DEP_2)
	v_add_f64_e32 v[8:9], v[12:13], v[10:11]
	v_ldexp_f64 v[4:5], v[4:5], 1
	s_delay_alu instid0(VALU_DEP_2) | instskip(SKIP_1) | instid1(VALU_DEP_2)
	v_add_f64_e64 v[6:7], v[8:9], -v[12:13]
	v_mul_f64_e32 v[12:13], 0x3fe62e42fefa39ef, v[14:15]
	v_add_f64_e64 v[6:7], v[10:11], -v[6:7]
	s_delay_alu instid0(VALU_DEP_2) | instskip(NEXT) | instid1(VALU_DEP_2)
	v_fma_f64 v[10:11], v[14:15], s[14:15], -v[12:13]
	v_add_f64_e32 v[4:5], v[4:5], v[6:7]
	s_delay_alu instid0(VALU_DEP_2) | instskip(NEXT) | instid1(VALU_DEP_1)
	v_fmamk_f64 v[6:7], v[14:15], 0x3c7abc9e3b39803f, v[10:11]
	v_add_f64_e32 v[10:11], v[12:13], v[6:7]
	s_delay_alu instid0(VALU_DEP_3) | instskip(NEXT) | instid1(VALU_DEP_2)
	v_add_f64_e32 v[14:15], v[8:9], v[4:5]
	v_add_f64_e64 v[12:13], v[10:11], -v[12:13]
	s_delay_alu instid0(VALU_DEP_2) | instskip(SKIP_1) | instid1(VALU_DEP_3)
	v_add_f64_e32 v[16:17], v[10:11], v[14:15]
	v_add_f64_e64 v[8:9], v[14:15], -v[8:9]
	v_add_f64_e64 v[6:7], v[6:7], -v[12:13]
	s_delay_alu instid0(VALU_DEP_3) | instskip(NEXT) | instid1(VALU_DEP_3)
	v_add_f64_e64 v[26:27], v[16:17], -v[10:11]
	v_add_f64_e64 v[4:5], v[4:5], -v[8:9]
	s_delay_alu instid0(VALU_DEP_2) | instskip(SKIP_1) | instid1(VALU_DEP_3)
	v_add_f64_e64 v[28:29], v[16:17], -v[26:27]
	v_add_f64_e64 v[8:9], v[14:15], -v[26:27]
	v_add_f64_e32 v[12:13], v[6:7], v[4:5]
	s_delay_alu instid0(VALU_DEP_3) | instskip(NEXT) | instid1(VALU_DEP_1)
	v_add_f64_e64 v[10:11], v[10:11], -v[28:29]
	v_add_f64_e32 v[8:9], v[8:9], v[10:11]
	s_delay_alu instid0(VALU_DEP_3) | instskip(NEXT) | instid1(VALU_DEP_2)
	v_add_f64_e64 v[10:11], v[12:13], -v[6:7]
	v_add_f64_e32 v[8:9], v[12:13], v[8:9]
	s_delay_alu instid0(VALU_DEP_2) | instskip(SKIP_1) | instid1(VALU_DEP_3)
	v_add_f64_e64 v[12:13], v[12:13], -v[10:11]
	v_add_f64_e64 v[4:5], v[4:5], -v[10:11]
	v_add_f64_e32 v[14:15], v[16:17], v[8:9]
	s_delay_alu instid0(VALU_DEP_3) | instskip(NEXT) | instid1(VALU_DEP_2)
	v_add_f64_e64 v[6:7], v[6:7], -v[12:13]
	v_add_f64_e64 v[10:11], v[14:15], -v[16:17]
	s_delay_alu instid0(VALU_DEP_2) | instskip(NEXT) | instid1(VALU_DEP_2)
	v_add_f64_e32 v[4:5], v[4:5], v[6:7]
	v_add_f64_e64 v[6:7], v[8:9], -v[10:11]
	s_delay_alu instid0(VALU_DEP_1) | instskip(NEXT) | instid1(VALU_DEP_1)
	v_add_f64_e32 v[4:5], v[4:5], v[6:7]
	v_add_f64_e32 v[4:5], v[14:15], v[4:5]
	s_delay_alu instid0(VALU_DEP_1) | instskip(SKIP_1) | instid1(VALU_DEP_3)
	v_cndmask_b32_e32 v4, 0, v4, vcc_lo
	v_cmp_neq_f64_e32 vcc_lo, -1.0, v[2:3]
	v_cndmask_b32_e64 v5, 0x7ff00000, v5, s1
	s_delay_alu instid0(VALU_DEP_1) | instskip(NEXT) | instid1(VALU_DEP_1)
	v_cndmask_b32_e64 v5, 0x7ff80000, v5, s2
	v_cndmask_b32_e32 v5, 0xfff00000, v5, vcc_lo
	s_delay_alu instid0(VALU_DEP_1) | instskip(NEXT) | instid1(VALU_DEP_1)
	v_div_scale_f64 v[2:3], null, s[4:5], s[4:5], v[4:5]
	v_rcp_f64_e32 v[6:7], v[2:3]
	v_nop
	s_delay_alu instid0(TRANS32_DEP_1) | instskip(NEXT) | instid1(VALU_DEP_1)
	v_fma_f64 v[8:9], -v[2:3], v[6:7], 1.0
	v_fmac_f64_e32 v[6:7], v[6:7], v[8:9]
	s_delay_alu instid0(VALU_DEP_1) | instskip(NEXT) | instid1(VALU_DEP_1)
	v_fma_f64 v[8:9], -v[2:3], v[6:7], 1.0
	v_fmac_f64_e32 v[6:7], v[6:7], v[8:9]
	v_div_scale_f64 v[8:9], vcc_lo, v[4:5], s[4:5], v[4:5]
	s_delay_alu instid0(VALU_DEP_1) | instskip(NEXT) | instid1(VALU_DEP_1)
	v_mul_f64_e32 v[10:11], v[8:9], v[6:7]
	v_fma_f64 v[2:3], -v[2:3], v[10:11], v[8:9]
	s_delay_alu instid0(VALU_DEP_1) | instskip(NEXT) | instid1(VALU_DEP_1)
	v_div_fmas_f64 v[2:3], v[2:3], v[6:7], v[10:11]
	v_div_fixup_f64 v[10:11], v[2:3], s[4:5], v[4:5]
.LBB4_11:
	s_or_b32 exec_lo, exec_lo, s11
	v_mov_b32_e32 v12, 0
	s_delay_alu instid0(VALU_DEP_1) | instskip(SKIP_3) | instid1(VALU_DEP_4)
	v_dual_mov_b32 v13, v12 :: v_dual_mov_b32 v14, v12
	v_dual_mov_b32 v15, v12 :: v_dual_mov_b32 v16, v12
	v_mov_b32_e32 v17, v12
	v_mov_b64_e32 v[2:3], v[10:11]
	v_mov_b64_e32 v[4:5], v[12:13]
	s_delay_alu instid0(VALU_DEP_4) | instskip(NEXT) | instid1(VALU_DEP_4)
	v_mov_b64_e32 v[6:7], v[14:15]
	v_mov_b64_e32 v[8:9], v[16:17]
.LBB4_12:
	s_or_b32 exec_lo, exec_lo, s10
	s_delay_alu instid0(SALU_CYCLE_1)
	s_mov_b32 s10, exec_lo
	v_cmpx_gt_i32_e64 s12, v1
	s_cbranch_execz .LBB4_16
; %bb.13:
	s_wait_loadcnt 0x0
	v_mul_f64_e32 v[4:5], s[4:5], v[22:23]
	s_mov_b32 s11, exec_lo
	s_delay_alu instid0(VALU_DEP_1)
	v_cmpx_nlt_f64_e32 s[6:7], v[4:5]
	s_cbranch_execz .LBB4_15
; %bb.14:
	v_mul_f64_e32 v[10:11], 0x3ff71547652b82fe, v[4:5]
	s_mov_b64 s[14:15], 0x3e5ade156a5dcb37
	v_cmp_nlt_f64_e32 vcc_lo, 0x40900000, v[4:5]
	v_cmp_ngt_f64_e64 s1, 0xc090cc00, v[4:5]
	s_delay_alu instid0(VALU_DEP_3) | instskip(NEXT) | instid1(VALU_DEP_1)
	v_rndne_f64_e32 v[10:11], v[10:11]
	v_fmamk_f64 v[12:13], v[10:11], 0xbfe62e42fefa39ef, v[4:5]
	v_cvt_i32_f64_e32 v16, v[10:11]
	s_delay_alu instid0(VALU_DEP_2) | instskip(NEXT) | instid1(VALU_DEP_1)
	v_fmamk_f64 v[12:13], v[10:11], 0xbc7abc9e3b39803f, v[12:13]
	v_fmaak_f64 v[14:15], s[14:15], v[12:13], 0x3e928af3fca7ab0c
	s_mov_b64 s[14:15], 0x3fe5555555555555
	s_delay_alu instid0(VALU_DEP_1) | instskip(NEXT) | instid1(VALU_DEP_1)
	v_fmaak_f64 v[14:15], v[12:13], v[14:15], 0x3ec71dee623fde64
	v_fmaak_f64 v[14:15], v[12:13], v[14:15], 0x3efa01997c89e6b0
	s_delay_alu instid0(VALU_DEP_1) | instskip(NEXT) | instid1(VALU_DEP_1)
	v_fmaak_f64 v[14:15], v[12:13], v[14:15], 0x3f2a01a014761f6e
	v_fmaak_f64 v[14:15], v[12:13], v[14:15], 0x3f56c16c1852b7b0
	;; [unrolled: 3-line block ×4, first 2 shown]
	s_delay_alu instid0(VALU_DEP_1) | instskip(NEXT) | instid1(VALU_DEP_1)
	v_fma_f64 v[14:15], v[12:13], v[14:15], 1.0
	v_fma_f64 v[10:11], v[12:13], v[14:15], 1.0
	s_delay_alu instid0(VALU_DEP_1) | instskip(NEXT) | instid1(VALU_DEP_1)
	v_ldexp_f64 v[10:11], v[10:11], v16
	v_cndmask_b32_e32 v11, 0x7ff00000, v11, vcc_lo
	s_and_b32 vcc_lo, s1, vcc_lo
	s_delay_alu instid0(VALU_DEP_1) | instid1(SALU_CYCLE_1)
	v_dual_cndmask_b32 v4, 0, v10, vcc_lo :: v_dual_cndmask_b32 v5, 0, v11, s1
	s_delay_alu instid0(VALU_DEP_1) | instskip(SKIP_2) | instid1(VALU_DEP_3)
	v_add_f64_e32 v[10:11], 1.0, v[4:5]
	v_cmp_neq_f64_e64 s1, 0x7ff00000, v[4:5]
	v_cmp_ngt_f64_e64 s2, -1.0, v[4:5]
	v_frexp_mant_f64_e32 v[12:13], v[10:11]
	v_frexp_exp_i32_f64_e32 v16, v[10:11]
	v_add_f64_e32 v[14:15], -1.0, v[10:11]
	s_delay_alu instid0(VALU_DEP_3) | instskip(SKIP_1) | instid1(VALU_DEP_2)
	v_cmp_gt_f64_e32 vcc_lo, s[14:15], v[12:13]
	s_mov_b64 s[14:15], 0x3fc3ab76bf559e2b
	v_add_f64_e64 v[12:13], v[14:15], -v[10:11]
	v_add_f64_e64 v[14:15], v[4:5], -v[14:15]
	v_subrev_co_ci_u32_e64 v25, null, 0, v16, vcc_lo
	v_cmp_nge_f64_e32 vcc_lo, -1.0, v[4:5]
	s_delay_alu instid0(VALU_DEP_2) | instskip(NEXT) | instid1(VALU_DEP_1)
	v_sub_nc_u32_e32 v22, 0, v25
	v_ldexp_f64 v[10:11], v[10:11], v22
	s_and_b32 vcc_lo, vcc_lo, s1
	v_add_f64_e32 v[12:13], 1.0, v[12:13]
	s_delay_alu instid0(VALU_DEP_2) | instskip(SKIP_1) | instid1(VALU_DEP_3)
	v_add_f64_e32 v[16:17], 1.0, v[10:11]
	v_add_f64_e32 v[28:29], -1.0, v[10:11]
	v_add_f64_e32 v[12:13], v[14:15], v[12:13]
	s_delay_alu instid0(VALU_DEP_3) | instskip(NEXT) | instid1(VALU_DEP_3)
	v_add_f64_e32 v[14:15], -1.0, v[16:17]
	v_add_f64_e32 v[30:31], 1.0, v[28:29]
	s_delay_alu instid0(VALU_DEP_3) | instskip(NEXT) | instid1(VALU_DEP_3)
	v_ldexp_f64 v[12:13], v[12:13], v22
	v_add_f64_e64 v[14:15], v[10:11], -v[14:15]
	s_delay_alu instid0(VALU_DEP_3) | instskip(NEXT) | instid1(VALU_DEP_2)
	v_add_f64_e64 v[10:11], v[10:11], -v[30:31]
	v_add_f64_e32 v[14:15], v[12:13], v[14:15]
	s_delay_alu instid0(VALU_DEP_2) | instskip(NEXT) | instid1(VALU_DEP_2)
	v_add_f64_e32 v[10:11], v[12:13], v[10:11]
	v_add_f64_e32 v[22:23], v[16:17], v[14:15]
	s_delay_alu instid0(VALU_DEP_2) | instskip(NEXT) | instid1(VALU_DEP_2)
	v_add_f64_e32 v[30:31], v[28:29], v[10:11]
	v_rcp_f64_e32 v[26:27], v[22:23]
	v_add_f64_e64 v[16:17], v[22:23], -v[16:17]
	s_delay_alu instid0(VALU_DEP_2) | instskip(NEXT) | instid1(VALU_DEP_2)
	v_add_f64_e64 v[28:29], v[30:31], -v[28:29]
	v_add_f64_e64 v[14:15], v[14:15], -v[16:17]
	s_delay_alu instid0(VALU_DEP_2) | instskip(NEXT) | instid1(TRANS32_DEP_1)
	v_add_f64_e64 v[10:11], v[10:11], -v[28:29]
	v_fma_f64 v[32:33], -v[22:23], v[26:27], 1.0
	s_delay_alu instid0(VALU_DEP_1) | instskip(NEXT) | instid1(VALU_DEP_1)
	v_fmac_f64_e32 v[26:27], v[32:33], v[26:27]
	v_fma_f64 v[12:13], -v[22:23], v[26:27], 1.0
	s_delay_alu instid0(VALU_DEP_1) | instskip(NEXT) | instid1(VALU_DEP_1)
	v_fmac_f64_e32 v[26:27], v[12:13], v[26:27]
	v_mul_f64_e32 v[12:13], v[30:31], v[26:27]
	s_delay_alu instid0(VALU_DEP_1) | instskip(NEXT) | instid1(VALU_DEP_1)
	v_mul_f64_e32 v[32:33], v[22:23], v[12:13]
	v_fma_f64 v[16:17], v[12:13], v[22:23], -v[32:33]
	s_delay_alu instid0(VALU_DEP_1) | instskip(NEXT) | instid1(VALU_DEP_1)
	v_fmac_f64_e32 v[16:17], v[12:13], v[14:15]
	v_add_f64_e32 v[34:35], v[32:33], v[16:17]
	s_delay_alu instid0(VALU_DEP_1) | instskip(SKIP_1) | instid1(VALU_DEP_2)
	v_add_f64_e64 v[36:37], v[30:31], -v[34:35]
	v_add_f64_e64 v[28:29], v[34:35], -v[32:33]
	;; [unrolled: 1-line block ×3, first 2 shown]
	s_delay_alu instid0(VALU_DEP_2) | instskip(NEXT) | instid1(VALU_DEP_2)
	v_add_f64_e64 v[16:17], v[28:29], -v[16:17]
	v_add_f64_e64 v[30:31], v[30:31], -v[34:35]
	s_delay_alu instid0(VALU_DEP_1) | instskip(NEXT) | instid1(VALU_DEP_1)
	v_add_f64_e32 v[10:11], v[10:11], v[30:31]
	v_add_f64_e32 v[10:11], v[16:17], v[10:11]
	s_delay_alu instid0(VALU_DEP_1) | instskip(NEXT) | instid1(VALU_DEP_1)
	v_add_f64_e32 v[16:17], v[36:37], v[10:11]
	v_mul_f64_e32 v[28:29], v[26:27], v[16:17]
	v_add_f64_e64 v[34:35], v[36:37], -v[16:17]
	s_delay_alu instid0(VALU_DEP_2) | instskip(NEXT) | instid1(VALU_DEP_2)
	v_mul_f64_e32 v[30:31], v[22:23], v[28:29]
	v_add_f64_e32 v[10:11], v[10:11], v[34:35]
	s_delay_alu instid0(VALU_DEP_2) | instskip(NEXT) | instid1(VALU_DEP_1)
	v_fma_f64 v[22:23], v[28:29], v[22:23], -v[30:31]
	v_fmac_f64_e32 v[22:23], v[28:29], v[14:15]
	s_delay_alu instid0(VALU_DEP_1) | instskip(NEXT) | instid1(VALU_DEP_1)
	v_add_f64_e32 v[14:15], v[30:31], v[22:23]
	v_add_f64_e64 v[32:33], v[16:17], -v[14:15]
	v_add_f64_e64 v[30:31], v[14:15], -v[30:31]
	s_delay_alu instid0(VALU_DEP_2) | instskip(NEXT) | instid1(VALU_DEP_1)
	v_add_f64_e64 v[16:17], v[16:17], -v[32:33]
	v_add_f64_e64 v[14:15], v[16:17], -v[14:15]
	s_delay_alu instid0(VALU_DEP_3) | instskip(NEXT) | instid1(VALU_DEP_2)
	v_add_f64_e64 v[16:17], v[30:31], -v[22:23]
	v_add_f64_e32 v[10:11], v[10:11], v[14:15]
	v_add_f64_e32 v[14:15], v[12:13], v[28:29]
	s_delay_alu instid0(VALU_DEP_2) | instskip(NEXT) | instid1(VALU_DEP_2)
	v_add_f64_e32 v[10:11], v[16:17], v[10:11]
	v_add_f64_e64 v[12:13], v[14:15], -v[12:13]
	s_delay_alu instid0(VALU_DEP_2) | instskip(NEXT) | instid1(VALU_DEP_2)
	v_add_f64_e32 v[10:11], v[32:33], v[10:11]
	v_add_f64_e64 v[12:13], v[28:29], -v[12:13]
	s_delay_alu instid0(VALU_DEP_2) | instskip(NEXT) | instid1(VALU_DEP_1)
	v_mul_f64_e32 v[10:11], v[26:27], v[10:11]
	v_add_f64_e32 v[10:11], v[12:13], v[10:11]
	s_delay_alu instid0(VALU_DEP_1) | instskip(NEXT) | instid1(VALU_DEP_1)
	v_add_f64_e32 v[12:13], v[14:15], v[10:11]
	v_mul_f64_e32 v[16:17], v[12:13], v[12:13]
	s_delay_alu instid0(VALU_DEP_1) | instskip(SKIP_2) | instid1(VALU_DEP_2)
	v_fmaak_f64 v[22:23], s[14:15], v[16:17], 0x3fc385386b47b09a
	v_mul_f64_e32 v[26:27], v[12:13], v[16:17]
	s_mov_b64 s[14:15], 0x3fe62e42fefa39ef
	v_fmaak_f64 v[22:23], v[16:17], v[22:23], 0x3fc7474dd7f4df2e
	s_delay_alu instid0(VALU_DEP_1) | instskip(NEXT) | instid1(VALU_DEP_1)
	v_fmaak_f64 v[22:23], v[16:17], v[22:23], 0x3fcc71c016291751
	v_fmaak_f64 v[22:23], v[16:17], v[22:23], 0x3fd249249b27acf1
	s_delay_alu instid0(VALU_DEP_1) | instskip(NEXT) | instid1(VALU_DEP_1)
	v_fmaak_f64 v[22:23], v[16:17], v[22:23], 0x3fd99999998ef7b6
	v_fmaak_f64 v[16:17], v[16:17], v[22:23], 0x3fe5555555555780
	v_ldexp_f64 v[22:23], v[12:13], 1
	v_add_f64_e64 v[12:13], v[12:13], -v[14:15]
	s_delay_alu instid0(VALU_DEP_3) | instskip(SKIP_1) | instid1(VALU_DEP_3)
	v_mul_f64_e32 v[16:17], v[26:27], v[16:17]
	v_cvt_f64_i32_e32 v[26:27], v25
	v_add_f64_e64 v[10:11], v[10:11], -v[12:13]
	s_delay_alu instid0(VALU_DEP_3) | instskip(NEXT) | instid1(VALU_DEP_2)
	v_add_f64_e32 v[14:15], v[22:23], v[16:17]
	v_ldexp_f64 v[10:11], v[10:11], 1
	s_delay_alu instid0(VALU_DEP_2) | instskip(SKIP_1) | instid1(VALU_DEP_2)
	v_add_f64_e64 v[12:13], v[14:15], -v[22:23]
	v_mul_f64_e32 v[22:23], 0x3fe62e42fefa39ef, v[26:27]
	v_add_f64_e64 v[12:13], v[16:17], -v[12:13]
	s_delay_alu instid0(VALU_DEP_2) | instskip(NEXT) | instid1(VALU_DEP_2)
	v_fma_f64 v[16:17], v[26:27], s[14:15], -v[22:23]
	v_add_f64_e32 v[10:11], v[10:11], v[12:13]
	s_delay_alu instid0(VALU_DEP_2) | instskip(NEXT) | instid1(VALU_DEP_1)
	v_fmamk_f64 v[12:13], v[26:27], 0x3c7abc9e3b39803f, v[16:17]
	v_add_f64_e32 v[16:17], v[22:23], v[12:13]
	s_delay_alu instid0(VALU_DEP_3) | instskip(NEXT) | instid1(VALU_DEP_2)
	v_add_f64_e32 v[26:27], v[14:15], v[10:11]
	v_add_f64_e64 v[22:23], v[16:17], -v[22:23]
	s_delay_alu instid0(VALU_DEP_2) | instskip(SKIP_1) | instid1(VALU_DEP_3)
	v_add_f64_e32 v[28:29], v[16:17], v[26:27]
	v_add_f64_e64 v[14:15], v[26:27], -v[14:15]
	v_add_f64_e64 v[12:13], v[12:13], -v[22:23]
	s_delay_alu instid0(VALU_DEP_3) | instskip(NEXT) | instid1(VALU_DEP_3)
	v_add_f64_e64 v[30:31], v[28:29], -v[16:17]
	v_add_f64_e64 v[10:11], v[10:11], -v[14:15]
	s_delay_alu instid0(VALU_DEP_2) | instskip(SKIP_1) | instid1(VALU_DEP_3)
	v_add_f64_e64 v[32:33], v[28:29], -v[30:31]
	v_add_f64_e64 v[14:15], v[26:27], -v[30:31]
	v_add_f64_e32 v[22:23], v[12:13], v[10:11]
	s_delay_alu instid0(VALU_DEP_3) | instskip(NEXT) | instid1(VALU_DEP_1)
	v_add_f64_e64 v[16:17], v[16:17], -v[32:33]
	v_add_f64_e32 v[14:15], v[14:15], v[16:17]
	s_delay_alu instid0(VALU_DEP_3) | instskip(NEXT) | instid1(VALU_DEP_2)
	v_add_f64_e64 v[16:17], v[22:23], -v[12:13]
	v_add_f64_e32 v[14:15], v[22:23], v[14:15]
	s_delay_alu instid0(VALU_DEP_2) | instskip(SKIP_1) | instid1(VALU_DEP_3)
	v_add_f64_e64 v[22:23], v[22:23], -v[16:17]
	v_add_f64_e64 v[10:11], v[10:11], -v[16:17]
	v_add_f64_e32 v[26:27], v[28:29], v[14:15]
	s_delay_alu instid0(VALU_DEP_3) | instskip(NEXT) | instid1(VALU_DEP_2)
	v_add_f64_e64 v[12:13], v[12:13], -v[22:23]
	v_add_f64_e64 v[16:17], v[26:27], -v[28:29]
	s_delay_alu instid0(VALU_DEP_2) | instskip(NEXT) | instid1(VALU_DEP_2)
	v_add_f64_e32 v[10:11], v[10:11], v[12:13]
	v_add_f64_e64 v[12:13], v[14:15], -v[16:17]
	s_delay_alu instid0(VALU_DEP_1) | instskip(NEXT) | instid1(VALU_DEP_1)
	v_add_f64_e32 v[10:11], v[10:11], v[12:13]
	v_add_f64_e32 v[10:11], v[26:27], v[10:11]
	s_delay_alu instid0(VALU_DEP_1) | instskip(SKIP_1) | instid1(VALU_DEP_3)
	v_cndmask_b32_e32 v10, 0, v10, vcc_lo
	v_cmp_neq_f64_e32 vcc_lo, -1.0, v[4:5]
	v_cndmask_b32_e64 v11, 0x7ff00000, v11, s1
	s_delay_alu instid0(VALU_DEP_1) | instskip(NEXT) | instid1(VALU_DEP_1)
	v_cndmask_b32_e64 v11, 0x7ff80000, v11, s2
	v_cndmask_b32_e32 v11, 0xfff00000, v11, vcc_lo
	s_delay_alu instid0(VALU_DEP_1) | instskip(NEXT) | instid1(VALU_DEP_1)
	v_div_scale_f64 v[4:5], null, s[4:5], s[4:5], v[10:11]
	v_rcp_f64_e32 v[12:13], v[4:5]
	v_nop
	s_delay_alu instid0(TRANS32_DEP_1) | instskip(NEXT) | instid1(VALU_DEP_1)
	v_fma_f64 v[14:15], -v[4:5], v[12:13], 1.0
	v_fmac_f64_e32 v[12:13], v[12:13], v[14:15]
	s_delay_alu instid0(VALU_DEP_1) | instskip(NEXT) | instid1(VALU_DEP_1)
	v_fma_f64 v[14:15], -v[4:5], v[12:13], 1.0
	v_fmac_f64_e32 v[12:13], v[12:13], v[14:15]
	v_div_scale_f64 v[14:15], vcc_lo, v[10:11], s[4:5], v[10:11]
	s_delay_alu instid0(VALU_DEP_1) | instskip(NEXT) | instid1(VALU_DEP_1)
	v_mul_f64_e32 v[16:17], v[14:15], v[12:13]
	v_fma_f64 v[4:5], -v[4:5], v[16:17], v[14:15]
	s_delay_alu instid0(VALU_DEP_1) | instskip(NEXT) | instid1(VALU_DEP_1)
	v_div_fmas_f64 v[4:5], v[4:5], v[12:13], v[16:17]
	v_div_fixup_f64 v[22:23], v[4:5], s[4:5], v[10:11]
.LBB4_15:
	s_or_b32 exec_lo, exec_lo, s11
	s_delay_alu instid0(VALU_DEP_1)
	v_dual_mov_b32 v4, v22 :: v_dual_mov_b32 v5, v23
.LBB4_16:
	s_or_b32 exec_lo, exec_lo, s10
	s_wait_loadcnt 0x0
	v_or_b32_e32 v10, 0x200, v0
	s_mov_b32 s10, exec_lo
	s_delay_alu instid0(VALU_DEP_1)
	v_cmpx_gt_i32_e64 s12, v10
	s_cbranch_execz .LBB4_20
; %bb.17:
	v_mul_f64_e32 v[6:7], s[4:5], v[20:21]
	s_mov_b32 s11, exec_lo
	s_delay_alu instid0(VALU_DEP_1)
	v_cmpx_nlt_f64_e32 s[6:7], v[6:7]
	s_cbranch_execz .LBB4_19
; %bb.18:
	v_mul_f64_e32 v[10:11], 0x3ff71547652b82fe, v[6:7]
	s_mov_b64 s[14:15], 0x3e5ade156a5dcb37
	v_cmp_nlt_f64_e32 vcc_lo, 0x40900000, v[6:7]
	v_cmp_ngt_f64_e64 s1, 0xc090cc00, v[6:7]
	s_delay_alu instid0(VALU_DEP_3) | instskip(NEXT) | instid1(VALU_DEP_1)
	v_rndne_f64_e32 v[10:11], v[10:11]
	v_fmamk_f64 v[12:13], v[10:11], 0xbfe62e42fefa39ef, v[6:7]
	v_cvt_i32_f64_e32 v16, v[10:11]
	s_delay_alu instid0(VALU_DEP_2) | instskip(NEXT) | instid1(VALU_DEP_1)
	v_fmamk_f64 v[12:13], v[10:11], 0xbc7abc9e3b39803f, v[12:13]
	v_fmaak_f64 v[14:15], s[14:15], v[12:13], 0x3e928af3fca7ab0c
	s_mov_b64 s[14:15], 0x3fe5555555555555
	s_delay_alu instid0(VALU_DEP_1) | instskip(NEXT) | instid1(VALU_DEP_1)
	v_fmaak_f64 v[14:15], v[12:13], v[14:15], 0x3ec71dee623fde64
	v_fmaak_f64 v[14:15], v[12:13], v[14:15], 0x3efa01997c89e6b0
	s_delay_alu instid0(VALU_DEP_1) | instskip(NEXT) | instid1(VALU_DEP_1)
	v_fmaak_f64 v[14:15], v[12:13], v[14:15], 0x3f2a01a014761f6e
	v_fmaak_f64 v[14:15], v[12:13], v[14:15], 0x3f56c16c1852b7b0
	;; [unrolled: 3-line block ×4, first 2 shown]
	s_delay_alu instid0(VALU_DEP_1) | instskip(NEXT) | instid1(VALU_DEP_1)
	v_fma_f64 v[14:15], v[12:13], v[14:15], 1.0
	v_fma_f64 v[10:11], v[12:13], v[14:15], 1.0
	s_delay_alu instid0(VALU_DEP_1) | instskip(NEXT) | instid1(VALU_DEP_1)
	v_ldexp_f64 v[10:11], v[10:11], v16
	v_cndmask_b32_e32 v11, 0x7ff00000, v11, vcc_lo
	s_and_b32 vcc_lo, s1, vcc_lo
	s_delay_alu instid0(VALU_DEP_1) | instid1(SALU_CYCLE_1)
	v_dual_cndmask_b32 v6, 0, v10, vcc_lo :: v_dual_cndmask_b32 v7, 0, v11, s1
	s_delay_alu instid0(VALU_DEP_1) | instskip(SKIP_2) | instid1(VALU_DEP_3)
	v_add_f64_e32 v[10:11], 1.0, v[6:7]
	v_cmp_neq_f64_e64 s1, 0x7ff00000, v[6:7]
	v_cmp_ngt_f64_e64 s2, -1.0, v[6:7]
	v_frexp_mant_f64_e32 v[12:13], v[10:11]
	v_frexp_exp_i32_f64_e32 v16, v[10:11]
	v_add_f64_e32 v[14:15], -1.0, v[10:11]
	s_delay_alu instid0(VALU_DEP_3) | instskip(SKIP_1) | instid1(VALU_DEP_2)
	v_cmp_gt_f64_e32 vcc_lo, s[14:15], v[12:13]
	s_mov_b64 s[14:15], 0x3fc3ab76bf559e2b
	v_add_f64_e64 v[12:13], v[14:15], -v[10:11]
	v_add_f64_e64 v[14:15], v[6:7], -v[14:15]
	v_subrev_co_ci_u32_e64 v25, null, 0, v16, vcc_lo
	v_cmp_nge_f64_e32 vcc_lo, -1.0, v[6:7]
	s_delay_alu instid0(VALU_DEP_2) | instskip(NEXT) | instid1(VALU_DEP_1)
	v_sub_nc_u32_e32 v20, 0, v25
	v_ldexp_f64 v[10:11], v[10:11], v20
	s_and_b32 vcc_lo, vcc_lo, s1
	v_add_f64_e32 v[12:13], 1.0, v[12:13]
	s_delay_alu instid0(VALU_DEP_2) | instskip(SKIP_1) | instid1(VALU_DEP_3)
	v_add_f64_e32 v[16:17], 1.0, v[10:11]
	v_add_f64_e32 v[26:27], -1.0, v[10:11]
	v_add_f64_e32 v[12:13], v[14:15], v[12:13]
	s_delay_alu instid0(VALU_DEP_3) | instskip(NEXT) | instid1(VALU_DEP_3)
	v_add_f64_e32 v[14:15], -1.0, v[16:17]
	v_add_f64_e32 v[28:29], 1.0, v[26:27]
	s_delay_alu instid0(VALU_DEP_3) | instskip(NEXT) | instid1(VALU_DEP_3)
	v_ldexp_f64 v[12:13], v[12:13], v20
	v_add_f64_e64 v[14:15], v[10:11], -v[14:15]
	s_delay_alu instid0(VALU_DEP_3) | instskip(NEXT) | instid1(VALU_DEP_2)
	v_add_f64_e64 v[10:11], v[10:11], -v[28:29]
	v_add_f64_e32 v[14:15], v[12:13], v[14:15]
	s_delay_alu instid0(VALU_DEP_2) | instskip(NEXT) | instid1(VALU_DEP_2)
	v_add_f64_e32 v[10:11], v[12:13], v[10:11]
	v_add_f64_e32 v[20:21], v[16:17], v[14:15]
	s_delay_alu instid0(VALU_DEP_2) | instskip(NEXT) | instid1(VALU_DEP_2)
	v_add_f64_e32 v[28:29], v[26:27], v[10:11]
	v_rcp_f64_e32 v[22:23], v[20:21]
	v_add_f64_e64 v[16:17], v[20:21], -v[16:17]
	s_delay_alu instid0(VALU_DEP_2) | instskip(NEXT) | instid1(VALU_DEP_2)
	v_add_f64_e64 v[26:27], v[28:29], -v[26:27]
	v_add_f64_e64 v[14:15], v[14:15], -v[16:17]
	s_delay_alu instid0(VALU_DEP_2) | instskip(NEXT) | instid1(TRANS32_DEP_1)
	v_add_f64_e64 v[10:11], v[10:11], -v[26:27]
	v_fma_f64 v[30:31], -v[20:21], v[22:23], 1.0
	s_delay_alu instid0(VALU_DEP_1) | instskip(NEXT) | instid1(VALU_DEP_1)
	v_fmac_f64_e32 v[22:23], v[30:31], v[22:23]
	v_fma_f64 v[12:13], -v[20:21], v[22:23], 1.0
	s_delay_alu instid0(VALU_DEP_1) | instskip(NEXT) | instid1(VALU_DEP_1)
	v_fmac_f64_e32 v[22:23], v[12:13], v[22:23]
	v_mul_f64_e32 v[12:13], v[28:29], v[22:23]
	s_delay_alu instid0(VALU_DEP_1) | instskip(NEXT) | instid1(VALU_DEP_1)
	v_mul_f64_e32 v[30:31], v[20:21], v[12:13]
	v_fma_f64 v[16:17], v[12:13], v[20:21], -v[30:31]
	s_delay_alu instid0(VALU_DEP_1) | instskip(NEXT) | instid1(VALU_DEP_1)
	v_fmac_f64_e32 v[16:17], v[12:13], v[14:15]
	v_add_f64_e32 v[32:33], v[30:31], v[16:17]
	s_delay_alu instid0(VALU_DEP_1) | instskip(SKIP_1) | instid1(VALU_DEP_2)
	v_add_f64_e64 v[34:35], v[28:29], -v[32:33]
	v_add_f64_e64 v[26:27], v[32:33], -v[30:31]
	;; [unrolled: 1-line block ×3, first 2 shown]
	s_delay_alu instid0(VALU_DEP_2) | instskip(NEXT) | instid1(VALU_DEP_2)
	v_add_f64_e64 v[16:17], v[26:27], -v[16:17]
	v_add_f64_e64 v[28:29], v[28:29], -v[32:33]
	s_delay_alu instid0(VALU_DEP_1) | instskip(NEXT) | instid1(VALU_DEP_1)
	v_add_f64_e32 v[10:11], v[10:11], v[28:29]
	v_add_f64_e32 v[10:11], v[16:17], v[10:11]
	s_delay_alu instid0(VALU_DEP_1) | instskip(NEXT) | instid1(VALU_DEP_1)
	v_add_f64_e32 v[16:17], v[34:35], v[10:11]
	v_mul_f64_e32 v[26:27], v[22:23], v[16:17]
	v_add_f64_e64 v[32:33], v[34:35], -v[16:17]
	s_delay_alu instid0(VALU_DEP_2) | instskip(NEXT) | instid1(VALU_DEP_2)
	v_mul_f64_e32 v[28:29], v[20:21], v[26:27]
	v_add_f64_e32 v[10:11], v[10:11], v[32:33]
	s_delay_alu instid0(VALU_DEP_2) | instskip(NEXT) | instid1(VALU_DEP_1)
	v_fma_f64 v[20:21], v[26:27], v[20:21], -v[28:29]
	v_fmac_f64_e32 v[20:21], v[26:27], v[14:15]
	s_delay_alu instid0(VALU_DEP_1) | instskip(NEXT) | instid1(VALU_DEP_1)
	v_add_f64_e32 v[14:15], v[28:29], v[20:21]
	v_add_f64_e64 v[30:31], v[16:17], -v[14:15]
	v_add_f64_e64 v[28:29], v[14:15], -v[28:29]
	s_delay_alu instid0(VALU_DEP_2) | instskip(NEXT) | instid1(VALU_DEP_1)
	v_add_f64_e64 v[16:17], v[16:17], -v[30:31]
	v_add_f64_e64 v[14:15], v[16:17], -v[14:15]
	s_delay_alu instid0(VALU_DEP_3) | instskip(NEXT) | instid1(VALU_DEP_2)
	v_add_f64_e64 v[16:17], v[28:29], -v[20:21]
	v_add_f64_e32 v[10:11], v[10:11], v[14:15]
	v_add_f64_e32 v[14:15], v[12:13], v[26:27]
	s_delay_alu instid0(VALU_DEP_2) | instskip(NEXT) | instid1(VALU_DEP_2)
	v_add_f64_e32 v[10:11], v[16:17], v[10:11]
	v_add_f64_e64 v[12:13], v[14:15], -v[12:13]
	s_delay_alu instid0(VALU_DEP_2) | instskip(NEXT) | instid1(VALU_DEP_2)
	v_add_f64_e32 v[10:11], v[30:31], v[10:11]
	v_add_f64_e64 v[12:13], v[26:27], -v[12:13]
	s_delay_alu instid0(VALU_DEP_2) | instskip(NEXT) | instid1(VALU_DEP_1)
	v_mul_f64_e32 v[10:11], v[22:23], v[10:11]
	v_add_f64_e32 v[10:11], v[12:13], v[10:11]
	s_delay_alu instid0(VALU_DEP_1) | instskip(NEXT) | instid1(VALU_DEP_1)
	v_add_f64_e32 v[12:13], v[14:15], v[10:11]
	v_mul_f64_e32 v[16:17], v[12:13], v[12:13]
	s_delay_alu instid0(VALU_DEP_1) | instskip(SKIP_2) | instid1(VALU_DEP_2)
	v_fmaak_f64 v[20:21], s[14:15], v[16:17], 0x3fc385386b47b09a
	v_mul_f64_e32 v[22:23], v[12:13], v[16:17]
	s_mov_b64 s[14:15], 0x3fe62e42fefa39ef
	v_fmaak_f64 v[20:21], v[16:17], v[20:21], 0x3fc7474dd7f4df2e
	s_delay_alu instid0(VALU_DEP_1) | instskip(NEXT) | instid1(VALU_DEP_1)
	v_fmaak_f64 v[20:21], v[16:17], v[20:21], 0x3fcc71c016291751
	v_fmaak_f64 v[20:21], v[16:17], v[20:21], 0x3fd249249b27acf1
	s_delay_alu instid0(VALU_DEP_1) | instskip(NEXT) | instid1(VALU_DEP_1)
	v_fmaak_f64 v[20:21], v[16:17], v[20:21], 0x3fd99999998ef7b6
	v_fmaak_f64 v[16:17], v[16:17], v[20:21], 0x3fe5555555555780
	v_ldexp_f64 v[20:21], v[12:13], 1
	v_add_f64_e64 v[12:13], v[12:13], -v[14:15]
	s_delay_alu instid0(VALU_DEP_3) | instskip(SKIP_1) | instid1(VALU_DEP_3)
	v_mul_f64_e32 v[16:17], v[22:23], v[16:17]
	v_cvt_f64_i32_e32 v[22:23], v25
	v_add_f64_e64 v[10:11], v[10:11], -v[12:13]
	s_delay_alu instid0(VALU_DEP_3) | instskip(NEXT) | instid1(VALU_DEP_2)
	v_add_f64_e32 v[14:15], v[20:21], v[16:17]
	v_ldexp_f64 v[10:11], v[10:11], 1
	s_delay_alu instid0(VALU_DEP_2) | instskip(SKIP_1) | instid1(VALU_DEP_2)
	v_add_f64_e64 v[12:13], v[14:15], -v[20:21]
	v_mul_f64_e32 v[20:21], 0x3fe62e42fefa39ef, v[22:23]
	v_add_f64_e64 v[12:13], v[16:17], -v[12:13]
	s_delay_alu instid0(VALU_DEP_2) | instskip(NEXT) | instid1(VALU_DEP_2)
	v_fma_f64 v[16:17], v[22:23], s[14:15], -v[20:21]
	v_add_f64_e32 v[10:11], v[10:11], v[12:13]
	s_delay_alu instid0(VALU_DEP_2) | instskip(NEXT) | instid1(VALU_DEP_1)
	v_fmamk_f64 v[12:13], v[22:23], 0x3c7abc9e3b39803f, v[16:17]
	v_add_f64_e32 v[16:17], v[20:21], v[12:13]
	s_delay_alu instid0(VALU_DEP_3) | instskip(NEXT) | instid1(VALU_DEP_2)
	v_add_f64_e32 v[22:23], v[14:15], v[10:11]
	v_add_f64_e64 v[20:21], v[16:17], -v[20:21]
	s_delay_alu instid0(VALU_DEP_2) | instskip(SKIP_1) | instid1(VALU_DEP_3)
	v_add_f64_e32 v[26:27], v[16:17], v[22:23]
	v_add_f64_e64 v[14:15], v[22:23], -v[14:15]
	v_add_f64_e64 v[12:13], v[12:13], -v[20:21]
	s_delay_alu instid0(VALU_DEP_3) | instskip(NEXT) | instid1(VALU_DEP_3)
	v_add_f64_e64 v[28:29], v[26:27], -v[16:17]
	v_add_f64_e64 v[10:11], v[10:11], -v[14:15]
	s_delay_alu instid0(VALU_DEP_2) | instskip(SKIP_1) | instid1(VALU_DEP_3)
	v_add_f64_e64 v[30:31], v[26:27], -v[28:29]
	v_add_f64_e64 v[14:15], v[22:23], -v[28:29]
	v_add_f64_e32 v[20:21], v[12:13], v[10:11]
	s_delay_alu instid0(VALU_DEP_3) | instskip(NEXT) | instid1(VALU_DEP_1)
	v_add_f64_e64 v[16:17], v[16:17], -v[30:31]
	v_add_f64_e32 v[14:15], v[14:15], v[16:17]
	s_delay_alu instid0(VALU_DEP_3) | instskip(NEXT) | instid1(VALU_DEP_2)
	v_add_f64_e64 v[16:17], v[20:21], -v[12:13]
	v_add_f64_e32 v[14:15], v[20:21], v[14:15]
	s_delay_alu instid0(VALU_DEP_2) | instskip(SKIP_1) | instid1(VALU_DEP_3)
	v_add_f64_e64 v[20:21], v[20:21], -v[16:17]
	v_add_f64_e64 v[10:11], v[10:11], -v[16:17]
	v_add_f64_e32 v[22:23], v[26:27], v[14:15]
	s_delay_alu instid0(VALU_DEP_3) | instskip(NEXT) | instid1(VALU_DEP_2)
	v_add_f64_e64 v[12:13], v[12:13], -v[20:21]
	v_add_f64_e64 v[16:17], v[22:23], -v[26:27]
	s_delay_alu instid0(VALU_DEP_2) | instskip(NEXT) | instid1(VALU_DEP_2)
	v_add_f64_e32 v[10:11], v[10:11], v[12:13]
	v_add_f64_e64 v[12:13], v[14:15], -v[16:17]
	s_delay_alu instid0(VALU_DEP_1) | instskip(NEXT) | instid1(VALU_DEP_1)
	v_add_f64_e32 v[10:11], v[10:11], v[12:13]
	v_add_f64_e32 v[10:11], v[22:23], v[10:11]
	s_delay_alu instid0(VALU_DEP_1) | instskip(SKIP_1) | instid1(VALU_DEP_3)
	v_cndmask_b32_e32 v10, 0, v10, vcc_lo
	v_cmp_neq_f64_e32 vcc_lo, -1.0, v[6:7]
	v_cndmask_b32_e64 v11, 0x7ff00000, v11, s1
	s_delay_alu instid0(VALU_DEP_1) | instskip(NEXT) | instid1(VALU_DEP_1)
	v_cndmask_b32_e64 v11, 0x7ff80000, v11, s2
	v_cndmask_b32_e32 v11, 0xfff00000, v11, vcc_lo
	s_delay_alu instid0(VALU_DEP_1) | instskip(NEXT) | instid1(VALU_DEP_1)
	v_div_scale_f64 v[6:7], null, s[4:5], s[4:5], v[10:11]
	v_rcp_f64_e32 v[12:13], v[6:7]
	v_nop
	s_delay_alu instid0(TRANS32_DEP_1) | instskip(NEXT) | instid1(VALU_DEP_1)
	v_fma_f64 v[14:15], -v[6:7], v[12:13], 1.0
	v_fmac_f64_e32 v[12:13], v[12:13], v[14:15]
	s_delay_alu instid0(VALU_DEP_1) | instskip(NEXT) | instid1(VALU_DEP_1)
	v_fma_f64 v[14:15], -v[6:7], v[12:13], 1.0
	v_fmac_f64_e32 v[12:13], v[12:13], v[14:15]
	v_div_scale_f64 v[14:15], vcc_lo, v[10:11], s[4:5], v[10:11]
	s_delay_alu instid0(VALU_DEP_1) | instskip(NEXT) | instid1(VALU_DEP_1)
	v_mul_f64_e32 v[16:17], v[14:15], v[12:13]
	v_fma_f64 v[6:7], -v[6:7], v[16:17], v[14:15]
	s_delay_alu instid0(VALU_DEP_1) | instskip(NEXT) | instid1(VALU_DEP_1)
	v_div_fmas_f64 v[6:7], v[6:7], v[12:13], v[16:17]
	v_div_fixup_f64 v[20:21], v[6:7], s[4:5], v[10:11]
.LBB4_19:
	s_or_b32 exec_lo, exec_lo, s11
	s_delay_alu instid0(VALU_DEP_1)
	v_dual_mov_b32 v6, v20 :: v_dual_mov_b32 v7, v21
.LBB4_20:
	s_or_b32 exec_lo, exec_lo, s10
	v_or_b32_e32 v10, 0x300, v0
	s_mov_b32 s10, exec_lo
	s_delay_alu instid0(VALU_DEP_1)
	v_cmpx_gt_i32_e64 s12, v10
	s_cbranch_execnz .LBB4_26
; %bb.21:
	s_or_b32 exec_lo, exec_lo, s10
	s_and_saveexec_b32 s1, s0
	s_delay_alu instid0(SALU_CYCLE_1)
	s_xor_b32 s0, exec_lo, s1
	s_cbranch_execnz .LBB4_29
.LBB4_22:
	s_or_b32 exec_lo, exec_lo, s0
	s_delay_alu instid0(SALU_CYCLE_1)
	s_mov_b32 s0, exec_lo
	v_cmpx_gt_i32_e64 s12, v0
	s_cbranch_execnz .LBB4_30
.LBB4_23:
	s_or_b32 exec_lo, exec_lo, s0
	s_delay_alu instid0(SALU_CYCLE_1)
	s_mov_b32 s0, exec_lo
	v_cmpx_gt_i32_e64 s12, v0
	s_cbranch_execnz .LBB4_31
.LBB4_24:
	s_or_b32 exec_lo, exec_lo, s0
	s_delay_alu instid0(SALU_CYCLE_1)
	s_mov_b32 s0, exec_lo
	v_cmpx_gt_i32_e64 s12, v0
	s_cbranch_execnz .LBB4_32
.LBB4_25:
	s_endpgm
.LBB4_26:
	v_mul_f64_e32 v[8:9], s[4:5], v[18:19]
	s_delay_alu instid0(VALU_DEP_1)
	v_cmp_nlt_f64_e32 vcc_lo, s[6:7], v[8:9]
	s_and_saveexec_b32 s6, vcc_lo
	s_cbranch_execz .LBB4_28
; %bb.27:
	v_mul_f64_e32 v[10:11], 0x3ff71547652b82fe, v[8:9]
	s_mov_b64 s[14:15], 0x3e5ade156a5dcb37
	v_cmp_nlt_f64_e32 vcc_lo, 0x40900000, v[8:9]
	v_cmp_ngt_f64_e64 s1, 0xc090cc00, v[8:9]
	s_delay_alu instid0(VALU_DEP_3) | instskip(NEXT) | instid1(VALU_DEP_1)
	v_rndne_f64_e32 v[10:11], v[10:11]
	v_fmamk_f64 v[12:13], v[10:11], 0xbfe62e42fefa39ef, v[8:9]
	v_cvt_i32_f64_e32 v16, v[10:11]
	s_delay_alu instid0(VALU_DEP_2) | instskip(NEXT) | instid1(VALU_DEP_1)
	v_fmamk_f64 v[12:13], v[10:11], 0xbc7abc9e3b39803f, v[12:13]
	v_fmaak_f64 v[14:15], s[14:15], v[12:13], 0x3e928af3fca7ab0c
	s_mov_b64 s[14:15], 0x3fe5555555555555
	s_delay_alu instid0(VALU_DEP_1) | instskip(NEXT) | instid1(VALU_DEP_1)
	v_fmaak_f64 v[14:15], v[12:13], v[14:15], 0x3ec71dee623fde64
	v_fmaak_f64 v[14:15], v[12:13], v[14:15], 0x3efa01997c89e6b0
	s_delay_alu instid0(VALU_DEP_1) | instskip(NEXT) | instid1(VALU_DEP_1)
	v_fmaak_f64 v[14:15], v[12:13], v[14:15], 0x3f2a01a014761f6e
	v_fmaak_f64 v[14:15], v[12:13], v[14:15], 0x3f56c16c1852b7b0
	;; [unrolled: 3-line block ×4, first 2 shown]
	s_delay_alu instid0(VALU_DEP_1) | instskip(NEXT) | instid1(VALU_DEP_1)
	v_fma_f64 v[14:15], v[12:13], v[14:15], 1.0
	v_fma_f64 v[10:11], v[12:13], v[14:15], 1.0
	s_delay_alu instid0(VALU_DEP_1) | instskip(NEXT) | instid1(VALU_DEP_1)
	v_ldexp_f64 v[10:11], v[10:11], v16
	v_cndmask_b32_e32 v11, 0x7ff00000, v11, vcc_lo
	s_and_b32 vcc_lo, s1, vcc_lo
	s_delay_alu instid0(VALU_DEP_1) | instid1(SALU_CYCLE_1)
	v_dual_cndmask_b32 v8, 0, v10, vcc_lo :: v_dual_cndmask_b32 v9, 0, v11, s1
	s_delay_alu instid0(VALU_DEP_1) | instskip(SKIP_2) | instid1(VALU_DEP_3)
	v_add_f64_e32 v[10:11], 1.0, v[8:9]
	v_cmp_neq_f64_e64 s1, 0x7ff00000, v[8:9]
	v_cmp_ngt_f64_e64 s2, -1.0, v[8:9]
	v_frexp_mant_f64_e32 v[12:13], v[10:11]
	v_frexp_exp_i32_f64_e32 v16, v[10:11]
	v_add_f64_e32 v[14:15], -1.0, v[10:11]
	s_delay_alu instid0(VALU_DEP_3) | instskip(SKIP_1) | instid1(VALU_DEP_2)
	v_cmp_gt_f64_e32 vcc_lo, s[14:15], v[12:13]
	s_mov_b64 s[14:15], 0x3fc3ab76bf559e2b
	v_add_f64_e64 v[12:13], v[14:15], -v[10:11]
	v_add_f64_e64 v[14:15], v[8:9], -v[14:15]
	v_subrev_co_ci_u32_e64 v25, null, 0, v16, vcc_lo
	v_cmp_nge_f64_e32 vcc_lo, -1.0, v[8:9]
	s_delay_alu instid0(VALU_DEP_2) | instskip(NEXT) | instid1(VALU_DEP_1)
	v_sub_nc_u32_e32 v18, 0, v25
	v_ldexp_f64 v[10:11], v[10:11], v18
	s_and_b32 vcc_lo, vcc_lo, s1
	v_add_f64_e32 v[12:13], 1.0, v[12:13]
	s_delay_alu instid0(VALU_DEP_2) | instskip(SKIP_1) | instid1(VALU_DEP_3)
	v_add_f64_e32 v[16:17], 1.0, v[10:11]
	v_add_f64_e32 v[22:23], -1.0, v[10:11]
	v_add_f64_e32 v[12:13], v[14:15], v[12:13]
	s_delay_alu instid0(VALU_DEP_3) | instskip(NEXT) | instid1(VALU_DEP_3)
	v_add_f64_e32 v[14:15], -1.0, v[16:17]
	v_add_f64_e32 v[26:27], 1.0, v[22:23]
	s_delay_alu instid0(VALU_DEP_3) | instskip(NEXT) | instid1(VALU_DEP_3)
	v_ldexp_f64 v[12:13], v[12:13], v18
	v_add_f64_e64 v[14:15], v[10:11], -v[14:15]
	s_delay_alu instid0(VALU_DEP_3) | instskip(NEXT) | instid1(VALU_DEP_2)
	v_add_f64_e64 v[10:11], v[10:11], -v[26:27]
	v_add_f64_e32 v[14:15], v[12:13], v[14:15]
	s_delay_alu instid0(VALU_DEP_2) | instskip(NEXT) | instid1(VALU_DEP_2)
	v_add_f64_e32 v[10:11], v[12:13], v[10:11]
	v_add_f64_e32 v[18:19], v[16:17], v[14:15]
	s_delay_alu instid0(VALU_DEP_2) | instskip(NEXT) | instid1(VALU_DEP_2)
	v_add_f64_e32 v[26:27], v[22:23], v[10:11]
	v_rcp_f64_e32 v[20:21], v[18:19]
	v_add_f64_e64 v[16:17], v[18:19], -v[16:17]
	s_delay_alu instid0(VALU_DEP_2) | instskip(NEXT) | instid1(VALU_DEP_2)
	v_add_f64_e64 v[22:23], v[26:27], -v[22:23]
	v_add_f64_e64 v[14:15], v[14:15], -v[16:17]
	s_delay_alu instid0(VALU_DEP_2) | instskip(NEXT) | instid1(TRANS32_DEP_1)
	v_add_f64_e64 v[10:11], v[10:11], -v[22:23]
	v_fma_f64 v[28:29], -v[18:19], v[20:21], 1.0
	s_delay_alu instid0(VALU_DEP_1) | instskip(NEXT) | instid1(VALU_DEP_1)
	v_fmac_f64_e32 v[20:21], v[28:29], v[20:21]
	v_fma_f64 v[12:13], -v[18:19], v[20:21], 1.0
	s_delay_alu instid0(VALU_DEP_1) | instskip(NEXT) | instid1(VALU_DEP_1)
	v_fmac_f64_e32 v[20:21], v[12:13], v[20:21]
	v_mul_f64_e32 v[12:13], v[26:27], v[20:21]
	s_delay_alu instid0(VALU_DEP_1) | instskip(NEXT) | instid1(VALU_DEP_1)
	v_mul_f64_e32 v[28:29], v[18:19], v[12:13]
	v_fma_f64 v[16:17], v[12:13], v[18:19], -v[28:29]
	s_delay_alu instid0(VALU_DEP_1) | instskip(NEXT) | instid1(VALU_DEP_1)
	v_fmac_f64_e32 v[16:17], v[12:13], v[14:15]
	v_add_f64_e32 v[30:31], v[28:29], v[16:17]
	s_delay_alu instid0(VALU_DEP_1) | instskip(SKIP_1) | instid1(VALU_DEP_2)
	v_add_f64_e64 v[32:33], v[26:27], -v[30:31]
	v_add_f64_e64 v[22:23], v[30:31], -v[28:29]
	;; [unrolled: 1-line block ×3, first 2 shown]
	s_delay_alu instid0(VALU_DEP_2) | instskip(NEXT) | instid1(VALU_DEP_2)
	v_add_f64_e64 v[16:17], v[22:23], -v[16:17]
	v_add_f64_e64 v[26:27], v[26:27], -v[30:31]
	s_delay_alu instid0(VALU_DEP_1) | instskip(NEXT) | instid1(VALU_DEP_1)
	v_add_f64_e32 v[10:11], v[10:11], v[26:27]
	v_add_f64_e32 v[10:11], v[16:17], v[10:11]
	s_delay_alu instid0(VALU_DEP_1) | instskip(NEXT) | instid1(VALU_DEP_1)
	v_add_f64_e32 v[16:17], v[32:33], v[10:11]
	v_mul_f64_e32 v[22:23], v[20:21], v[16:17]
	v_add_f64_e64 v[30:31], v[32:33], -v[16:17]
	s_delay_alu instid0(VALU_DEP_2) | instskip(NEXT) | instid1(VALU_DEP_2)
	v_mul_f64_e32 v[26:27], v[18:19], v[22:23]
	v_add_f64_e32 v[10:11], v[10:11], v[30:31]
	s_delay_alu instid0(VALU_DEP_2) | instskip(NEXT) | instid1(VALU_DEP_1)
	v_fma_f64 v[18:19], v[22:23], v[18:19], -v[26:27]
	v_fmac_f64_e32 v[18:19], v[22:23], v[14:15]
	s_delay_alu instid0(VALU_DEP_1) | instskip(NEXT) | instid1(VALU_DEP_1)
	v_add_f64_e32 v[14:15], v[26:27], v[18:19]
	v_add_f64_e64 v[28:29], v[16:17], -v[14:15]
	v_add_f64_e64 v[26:27], v[14:15], -v[26:27]
	s_delay_alu instid0(VALU_DEP_2) | instskip(NEXT) | instid1(VALU_DEP_1)
	v_add_f64_e64 v[16:17], v[16:17], -v[28:29]
	v_add_f64_e64 v[14:15], v[16:17], -v[14:15]
	s_delay_alu instid0(VALU_DEP_3) | instskip(NEXT) | instid1(VALU_DEP_2)
	v_add_f64_e64 v[16:17], v[26:27], -v[18:19]
	v_add_f64_e32 v[10:11], v[10:11], v[14:15]
	v_add_f64_e32 v[14:15], v[12:13], v[22:23]
	s_delay_alu instid0(VALU_DEP_2) | instskip(NEXT) | instid1(VALU_DEP_2)
	v_add_f64_e32 v[10:11], v[16:17], v[10:11]
	v_add_f64_e64 v[12:13], v[14:15], -v[12:13]
	s_delay_alu instid0(VALU_DEP_2) | instskip(NEXT) | instid1(VALU_DEP_2)
	v_add_f64_e32 v[10:11], v[28:29], v[10:11]
	v_add_f64_e64 v[12:13], v[22:23], -v[12:13]
	s_delay_alu instid0(VALU_DEP_2) | instskip(NEXT) | instid1(VALU_DEP_1)
	v_mul_f64_e32 v[10:11], v[20:21], v[10:11]
	v_add_f64_e32 v[10:11], v[12:13], v[10:11]
	s_delay_alu instid0(VALU_DEP_1) | instskip(NEXT) | instid1(VALU_DEP_1)
	v_add_f64_e32 v[12:13], v[14:15], v[10:11]
	v_mul_f64_e32 v[16:17], v[12:13], v[12:13]
	s_delay_alu instid0(VALU_DEP_1) | instskip(SKIP_2) | instid1(VALU_DEP_2)
	v_fmaak_f64 v[18:19], s[14:15], v[16:17], 0x3fc385386b47b09a
	v_mul_f64_e32 v[20:21], v[12:13], v[16:17]
	s_mov_b64 s[14:15], 0x3fe62e42fefa39ef
	v_fmaak_f64 v[18:19], v[16:17], v[18:19], 0x3fc7474dd7f4df2e
	s_delay_alu instid0(VALU_DEP_1) | instskip(NEXT) | instid1(VALU_DEP_1)
	v_fmaak_f64 v[18:19], v[16:17], v[18:19], 0x3fcc71c016291751
	v_fmaak_f64 v[18:19], v[16:17], v[18:19], 0x3fd249249b27acf1
	s_delay_alu instid0(VALU_DEP_1) | instskip(NEXT) | instid1(VALU_DEP_1)
	v_fmaak_f64 v[18:19], v[16:17], v[18:19], 0x3fd99999998ef7b6
	v_fmaak_f64 v[16:17], v[16:17], v[18:19], 0x3fe5555555555780
	v_ldexp_f64 v[18:19], v[12:13], 1
	v_add_f64_e64 v[12:13], v[12:13], -v[14:15]
	s_delay_alu instid0(VALU_DEP_3) | instskip(SKIP_1) | instid1(VALU_DEP_3)
	v_mul_f64_e32 v[16:17], v[20:21], v[16:17]
	v_cvt_f64_i32_e32 v[20:21], v25
	v_add_f64_e64 v[10:11], v[10:11], -v[12:13]
	s_delay_alu instid0(VALU_DEP_3) | instskip(NEXT) | instid1(VALU_DEP_2)
	v_add_f64_e32 v[14:15], v[18:19], v[16:17]
	v_ldexp_f64 v[10:11], v[10:11], 1
	s_delay_alu instid0(VALU_DEP_2) | instskip(SKIP_1) | instid1(VALU_DEP_2)
	v_add_f64_e64 v[12:13], v[14:15], -v[18:19]
	v_mul_f64_e32 v[18:19], 0x3fe62e42fefa39ef, v[20:21]
	v_add_f64_e64 v[12:13], v[16:17], -v[12:13]
	s_delay_alu instid0(VALU_DEP_2) | instskip(NEXT) | instid1(VALU_DEP_2)
	v_fma_f64 v[16:17], v[20:21], s[14:15], -v[18:19]
	v_add_f64_e32 v[10:11], v[10:11], v[12:13]
	s_delay_alu instid0(VALU_DEP_2) | instskip(NEXT) | instid1(VALU_DEP_1)
	v_fmamk_f64 v[12:13], v[20:21], 0x3c7abc9e3b39803f, v[16:17]
	v_add_f64_e32 v[16:17], v[18:19], v[12:13]
	s_delay_alu instid0(VALU_DEP_3) | instskip(NEXT) | instid1(VALU_DEP_2)
	v_add_f64_e32 v[20:21], v[14:15], v[10:11]
	v_add_f64_e64 v[18:19], v[16:17], -v[18:19]
	s_delay_alu instid0(VALU_DEP_2) | instskip(SKIP_1) | instid1(VALU_DEP_3)
	v_add_f64_e32 v[22:23], v[16:17], v[20:21]
	v_add_f64_e64 v[14:15], v[20:21], -v[14:15]
	v_add_f64_e64 v[12:13], v[12:13], -v[18:19]
	s_delay_alu instid0(VALU_DEP_3) | instskip(NEXT) | instid1(VALU_DEP_3)
	v_add_f64_e64 v[26:27], v[22:23], -v[16:17]
	v_add_f64_e64 v[10:11], v[10:11], -v[14:15]
	s_delay_alu instid0(VALU_DEP_2) | instskip(SKIP_1) | instid1(VALU_DEP_3)
	v_add_f64_e64 v[28:29], v[22:23], -v[26:27]
	v_add_f64_e64 v[14:15], v[20:21], -v[26:27]
	v_add_f64_e32 v[18:19], v[12:13], v[10:11]
	s_delay_alu instid0(VALU_DEP_3) | instskip(NEXT) | instid1(VALU_DEP_1)
	v_add_f64_e64 v[16:17], v[16:17], -v[28:29]
	v_add_f64_e32 v[14:15], v[14:15], v[16:17]
	s_delay_alu instid0(VALU_DEP_3) | instskip(NEXT) | instid1(VALU_DEP_2)
	v_add_f64_e64 v[16:17], v[18:19], -v[12:13]
	v_add_f64_e32 v[14:15], v[18:19], v[14:15]
	s_delay_alu instid0(VALU_DEP_2) | instskip(SKIP_1) | instid1(VALU_DEP_3)
	v_add_f64_e64 v[18:19], v[18:19], -v[16:17]
	v_add_f64_e64 v[10:11], v[10:11], -v[16:17]
	v_add_f64_e32 v[20:21], v[22:23], v[14:15]
	s_delay_alu instid0(VALU_DEP_3) | instskip(NEXT) | instid1(VALU_DEP_2)
	v_add_f64_e64 v[12:13], v[12:13], -v[18:19]
	v_add_f64_e64 v[16:17], v[20:21], -v[22:23]
	s_delay_alu instid0(VALU_DEP_2) | instskip(NEXT) | instid1(VALU_DEP_2)
	v_add_f64_e32 v[10:11], v[10:11], v[12:13]
	v_add_f64_e64 v[12:13], v[14:15], -v[16:17]
	s_delay_alu instid0(VALU_DEP_1) | instskip(NEXT) | instid1(VALU_DEP_1)
	v_add_f64_e32 v[10:11], v[10:11], v[12:13]
	v_add_f64_e32 v[10:11], v[20:21], v[10:11]
	s_delay_alu instid0(VALU_DEP_1) | instskip(SKIP_1) | instid1(VALU_DEP_3)
	v_cndmask_b32_e32 v10, 0, v10, vcc_lo
	v_cmp_neq_f64_e32 vcc_lo, -1.0, v[8:9]
	v_cndmask_b32_e64 v11, 0x7ff00000, v11, s1
	s_delay_alu instid0(VALU_DEP_1) | instskip(NEXT) | instid1(VALU_DEP_1)
	v_cndmask_b32_e64 v11, 0x7ff80000, v11, s2
	v_cndmask_b32_e32 v11, 0xfff00000, v11, vcc_lo
	s_delay_alu instid0(VALU_DEP_1) | instskip(NEXT) | instid1(VALU_DEP_1)
	v_div_scale_f64 v[8:9], null, s[4:5], s[4:5], v[10:11]
	v_rcp_f64_e32 v[12:13], v[8:9]
	v_nop
	s_delay_alu instid0(TRANS32_DEP_1) | instskip(NEXT) | instid1(VALU_DEP_1)
	v_fma_f64 v[14:15], -v[8:9], v[12:13], 1.0
	v_fmac_f64_e32 v[12:13], v[12:13], v[14:15]
	s_delay_alu instid0(VALU_DEP_1) | instskip(NEXT) | instid1(VALU_DEP_1)
	v_fma_f64 v[14:15], -v[8:9], v[12:13], 1.0
	v_fmac_f64_e32 v[12:13], v[12:13], v[14:15]
	v_div_scale_f64 v[14:15], vcc_lo, v[10:11], s[4:5], v[10:11]
	s_delay_alu instid0(VALU_DEP_1) | instskip(NEXT) | instid1(VALU_DEP_1)
	v_mul_f64_e32 v[16:17], v[14:15], v[12:13]
	v_fma_f64 v[8:9], -v[8:9], v[16:17], v[14:15]
	s_delay_alu instid0(VALU_DEP_1) | instskip(NEXT) | instid1(VALU_DEP_1)
	v_div_fmas_f64 v[8:9], v[8:9], v[12:13], v[16:17]
	v_div_fixup_f64 v[18:19], v[8:9], s[4:5], v[10:11]
.LBB4_28:
	s_or_b32 exec_lo, exec_lo, s6
	s_delay_alu instid0(VALU_DEP_1) | instskip(SKIP_2) | instid1(SALU_CYCLE_1)
	v_dual_mov_b32 v8, v18 :: v_dual_mov_b32 v9, v19
	s_or_b32 exec_lo, exec_lo, s10
	s_and_saveexec_b32 s1, s0
	s_xor_b32 s0, exec_lo, s1
	s_cbranch_execz .LBB4_22
.LBB4_29:
	v_mov_b32_e32 v0, v1
	global_store_b64 v24, v[2:3], s[8:9] scale_offset
	s_wait_xcnt 0x0
	s_or_b32 exec_lo, exec_lo, s0
	s_delay_alu instid0(SALU_CYCLE_1)
	s_mov_b32 s0, exec_lo
	v_cmpx_gt_i32_e64 s12, v0
	s_cbranch_execz .LBB4_23
.LBB4_30:
	v_add_nc_u32_e32 v1, 0x100, v0
	s_delay_alu instid0(VALU_DEP_1) | instskip(SKIP_3) | instid1(SALU_CYCLE_1)
	v_dual_add_nc_u32 v2, s3, v0 :: v_dual_mov_b32 v0, v1
	global_store_b64 v2, v[4:5], s[8:9] scale_offset
	s_wait_xcnt 0x0
	s_or_b32 exec_lo, exec_lo, s0
	s_mov_b32 s0, exec_lo
	v_cmpx_gt_i32_e64 s12, v0
	s_cbranch_execz .LBB4_24
.LBB4_31:
	v_add_nc_u32_e32 v1, 0x100, v0
	s_delay_alu instid0(VALU_DEP_1) | instskip(SKIP_3) | instid1(SALU_CYCLE_1)
	v_dual_add_nc_u32 v2, s3, v0 :: v_dual_mov_b32 v0, v1
	global_store_b64 v2, v[6:7], s[8:9] scale_offset
	s_wait_xcnt 0x0
	s_or_b32 exec_lo, exec_lo, s0
	s_mov_b32 s0, exec_lo
	v_cmpx_gt_i32_e64 s12, v0
	s_cbranch_execz .LBB4_25
.LBB4_32:
	v_add_nc_u32_e32 v0, s3, v0
	global_store_b64 v0, v[8:9], s[8:9] scale_offset
	s_endpgm
	.section	.rodata,"a",@progbits
	.p2align	6, 0x0
	.amdhsa_kernel _ZN2at6native27unrolled_elementwise_kernelIZZZNS0_12_GLOBAL__N_115softplus_kernelERNS_18TensorIteratorBaseERKN3c106ScalarES8_ENKUlvE_clEvENKUlvE_clEvEUldE_St5arrayIPcLm2EELi4E23TrivialOffsetCalculatorILi1EjESG_NS0_6memory15LoadWithoutCastENSH_16StoreWithoutCastEEEviT_T0_T2_T3_T4_T5_
		.amdhsa_group_segment_fixed_size 0
		.amdhsa_private_segment_fixed_size 0
		.amdhsa_kernarg_size 44
		.amdhsa_user_sgpr_count 2
		.amdhsa_user_sgpr_dispatch_ptr 0
		.amdhsa_user_sgpr_queue_ptr 0
		.amdhsa_user_sgpr_kernarg_segment_ptr 1
		.amdhsa_user_sgpr_dispatch_id 0
		.amdhsa_user_sgpr_kernarg_preload_length 0
		.amdhsa_user_sgpr_kernarg_preload_offset 0
		.amdhsa_user_sgpr_private_segment_size 0
		.amdhsa_wavefront_size32 1
		.amdhsa_uses_dynamic_stack 0
		.amdhsa_enable_private_segment 0
		.amdhsa_system_sgpr_workgroup_id_x 1
		.amdhsa_system_sgpr_workgroup_id_y 0
		.amdhsa_system_sgpr_workgroup_id_z 0
		.amdhsa_system_sgpr_workgroup_info 0
		.amdhsa_system_vgpr_workitem_id 0
		.amdhsa_next_free_vgpr 38
		.amdhsa_next_free_sgpr 16
		.amdhsa_named_barrier_count 0
		.amdhsa_reserve_vcc 1
		.amdhsa_float_round_mode_32 0
		.amdhsa_float_round_mode_16_64 0
		.amdhsa_float_denorm_mode_32 3
		.amdhsa_float_denorm_mode_16_64 3
		.amdhsa_fp16_overflow 0
		.amdhsa_memory_ordered 1
		.amdhsa_forward_progress 1
		.amdhsa_inst_pref_size 50
		.amdhsa_round_robin_scheduling 0
		.amdhsa_exception_fp_ieee_invalid_op 0
		.amdhsa_exception_fp_denorm_src 0
		.amdhsa_exception_fp_ieee_div_zero 0
		.amdhsa_exception_fp_ieee_overflow 0
		.amdhsa_exception_fp_ieee_underflow 0
		.amdhsa_exception_fp_ieee_inexact 0
		.amdhsa_exception_int_div_zero 0
	.end_amdhsa_kernel
	.section	.text._ZN2at6native27unrolled_elementwise_kernelIZZZNS0_12_GLOBAL__N_115softplus_kernelERNS_18TensorIteratorBaseERKN3c106ScalarES8_ENKUlvE_clEvENKUlvE_clEvEUldE_St5arrayIPcLm2EELi4E23TrivialOffsetCalculatorILi1EjESG_NS0_6memory15LoadWithoutCastENSH_16StoreWithoutCastEEEviT_T0_T2_T3_T4_T5_,"axG",@progbits,_ZN2at6native27unrolled_elementwise_kernelIZZZNS0_12_GLOBAL__N_115softplus_kernelERNS_18TensorIteratorBaseERKN3c106ScalarES8_ENKUlvE_clEvENKUlvE_clEvEUldE_St5arrayIPcLm2EELi4E23TrivialOffsetCalculatorILi1EjESG_NS0_6memory15LoadWithoutCastENSH_16StoreWithoutCastEEEviT_T0_T2_T3_T4_T5_,comdat
.Lfunc_end4:
	.size	_ZN2at6native27unrolled_elementwise_kernelIZZZNS0_12_GLOBAL__N_115softplus_kernelERNS_18TensorIteratorBaseERKN3c106ScalarES8_ENKUlvE_clEvENKUlvE_clEvEUldE_St5arrayIPcLm2EELi4E23TrivialOffsetCalculatorILi1EjESG_NS0_6memory15LoadWithoutCastENSH_16StoreWithoutCastEEEviT_T0_T2_T3_T4_T5_, .Lfunc_end4-_ZN2at6native27unrolled_elementwise_kernelIZZZNS0_12_GLOBAL__N_115softplus_kernelERNS_18TensorIteratorBaseERKN3c106ScalarES8_ENKUlvE_clEvENKUlvE_clEvEUldE_St5arrayIPcLm2EELi4E23TrivialOffsetCalculatorILi1EjESG_NS0_6memory15LoadWithoutCastENSH_16StoreWithoutCastEEEviT_T0_T2_T3_T4_T5_
                                        ; -- End function
	.set _ZN2at6native27unrolled_elementwise_kernelIZZZNS0_12_GLOBAL__N_115softplus_kernelERNS_18TensorIteratorBaseERKN3c106ScalarES8_ENKUlvE_clEvENKUlvE_clEvEUldE_St5arrayIPcLm2EELi4E23TrivialOffsetCalculatorILi1EjESG_NS0_6memory15LoadWithoutCastENSH_16StoreWithoutCastEEEviT_T0_T2_T3_T4_T5_.num_vgpr, 38
	.set _ZN2at6native27unrolled_elementwise_kernelIZZZNS0_12_GLOBAL__N_115softplus_kernelERNS_18TensorIteratorBaseERKN3c106ScalarES8_ENKUlvE_clEvENKUlvE_clEvEUldE_St5arrayIPcLm2EELi4E23TrivialOffsetCalculatorILi1EjESG_NS0_6memory15LoadWithoutCastENSH_16StoreWithoutCastEEEviT_T0_T2_T3_T4_T5_.num_agpr, 0
	.set _ZN2at6native27unrolled_elementwise_kernelIZZZNS0_12_GLOBAL__N_115softplus_kernelERNS_18TensorIteratorBaseERKN3c106ScalarES8_ENKUlvE_clEvENKUlvE_clEvEUldE_St5arrayIPcLm2EELi4E23TrivialOffsetCalculatorILi1EjESG_NS0_6memory15LoadWithoutCastENSH_16StoreWithoutCastEEEviT_T0_T2_T3_T4_T5_.numbered_sgpr, 16
	.set _ZN2at6native27unrolled_elementwise_kernelIZZZNS0_12_GLOBAL__N_115softplus_kernelERNS_18TensorIteratorBaseERKN3c106ScalarES8_ENKUlvE_clEvENKUlvE_clEvEUldE_St5arrayIPcLm2EELi4E23TrivialOffsetCalculatorILi1EjESG_NS0_6memory15LoadWithoutCastENSH_16StoreWithoutCastEEEviT_T0_T2_T3_T4_T5_.num_named_barrier, 0
	.set _ZN2at6native27unrolled_elementwise_kernelIZZZNS0_12_GLOBAL__N_115softplus_kernelERNS_18TensorIteratorBaseERKN3c106ScalarES8_ENKUlvE_clEvENKUlvE_clEvEUldE_St5arrayIPcLm2EELi4E23TrivialOffsetCalculatorILi1EjESG_NS0_6memory15LoadWithoutCastENSH_16StoreWithoutCastEEEviT_T0_T2_T3_T4_T5_.private_seg_size, 0
	.set _ZN2at6native27unrolled_elementwise_kernelIZZZNS0_12_GLOBAL__N_115softplus_kernelERNS_18TensorIteratorBaseERKN3c106ScalarES8_ENKUlvE_clEvENKUlvE_clEvEUldE_St5arrayIPcLm2EELi4E23TrivialOffsetCalculatorILi1EjESG_NS0_6memory15LoadWithoutCastENSH_16StoreWithoutCastEEEviT_T0_T2_T3_T4_T5_.uses_vcc, 1
	.set _ZN2at6native27unrolled_elementwise_kernelIZZZNS0_12_GLOBAL__N_115softplus_kernelERNS_18TensorIteratorBaseERKN3c106ScalarES8_ENKUlvE_clEvENKUlvE_clEvEUldE_St5arrayIPcLm2EELi4E23TrivialOffsetCalculatorILi1EjESG_NS0_6memory15LoadWithoutCastENSH_16StoreWithoutCastEEEviT_T0_T2_T3_T4_T5_.uses_flat_scratch, 0
	.set _ZN2at6native27unrolled_elementwise_kernelIZZZNS0_12_GLOBAL__N_115softplus_kernelERNS_18TensorIteratorBaseERKN3c106ScalarES8_ENKUlvE_clEvENKUlvE_clEvEUldE_St5arrayIPcLm2EELi4E23TrivialOffsetCalculatorILi1EjESG_NS0_6memory15LoadWithoutCastENSH_16StoreWithoutCastEEEviT_T0_T2_T3_T4_T5_.has_dyn_sized_stack, 0
	.set _ZN2at6native27unrolled_elementwise_kernelIZZZNS0_12_GLOBAL__N_115softplus_kernelERNS_18TensorIteratorBaseERKN3c106ScalarES8_ENKUlvE_clEvENKUlvE_clEvEUldE_St5arrayIPcLm2EELi4E23TrivialOffsetCalculatorILi1EjESG_NS0_6memory15LoadWithoutCastENSH_16StoreWithoutCastEEEviT_T0_T2_T3_T4_T5_.has_recursion, 0
	.set _ZN2at6native27unrolled_elementwise_kernelIZZZNS0_12_GLOBAL__N_115softplus_kernelERNS_18TensorIteratorBaseERKN3c106ScalarES8_ENKUlvE_clEvENKUlvE_clEvEUldE_St5arrayIPcLm2EELi4E23TrivialOffsetCalculatorILi1EjESG_NS0_6memory15LoadWithoutCastENSH_16StoreWithoutCastEEEviT_T0_T2_T3_T4_T5_.has_indirect_call, 0
	.section	.AMDGPU.csdata,"",@progbits
; Kernel info:
; codeLenInByte = 6376
; TotalNumSgprs: 18
; NumVgprs: 38
; ScratchSize: 0
; MemoryBound: 0
; FloatMode: 240
; IeeeMode: 1
; LDSByteSize: 0 bytes/workgroup (compile time only)
; SGPRBlocks: 0
; VGPRBlocks: 2
; NumSGPRsForWavesPerEU: 18
; NumVGPRsForWavesPerEU: 38
; NamedBarCnt: 0
; Occupancy: 16
; WaveLimiterHint : 0
; COMPUTE_PGM_RSRC2:SCRATCH_EN: 0
; COMPUTE_PGM_RSRC2:USER_SGPR: 2
; COMPUTE_PGM_RSRC2:TRAP_HANDLER: 0
; COMPUTE_PGM_RSRC2:TGID_X_EN: 1
; COMPUTE_PGM_RSRC2:TGID_Y_EN: 0
; COMPUTE_PGM_RSRC2:TGID_Z_EN: 0
; COMPUTE_PGM_RSRC2:TIDIG_COMP_CNT: 0
	.section	.text._ZN2at6native32elementwise_kernel_manual_unrollILi128ELi4EZNS0_22gpu_kernel_impl_nocastIZZZNS0_12_GLOBAL__N_115softplus_kernelERNS_18TensorIteratorBaseERKN3c106ScalarES9_ENKUlvE_clEvENKUlvE_clEvEUldE_EEvS5_RKT_EUlibE_EEviT1_,"axG",@progbits,_ZN2at6native32elementwise_kernel_manual_unrollILi128ELi4EZNS0_22gpu_kernel_impl_nocastIZZZNS0_12_GLOBAL__N_115softplus_kernelERNS_18TensorIteratorBaseERKN3c106ScalarES9_ENKUlvE_clEvENKUlvE_clEvEUldE_EEvS5_RKT_EUlibE_EEviT1_,comdat
	.globl	_ZN2at6native32elementwise_kernel_manual_unrollILi128ELi4EZNS0_22gpu_kernel_impl_nocastIZZZNS0_12_GLOBAL__N_115softplus_kernelERNS_18TensorIteratorBaseERKN3c106ScalarES9_ENKUlvE_clEvENKUlvE_clEvEUldE_EEvS5_RKT_EUlibE_EEviT1_ ; -- Begin function _ZN2at6native32elementwise_kernel_manual_unrollILi128ELi4EZNS0_22gpu_kernel_impl_nocastIZZZNS0_12_GLOBAL__N_115softplus_kernelERNS_18TensorIteratorBaseERKN3c106ScalarES9_ENKUlvE_clEvENKUlvE_clEvEUldE_EEvS5_RKT_EUlibE_EEviT1_
	.p2align	8
	.type	_ZN2at6native32elementwise_kernel_manual_unrollILi128ELi4EZNS0_22gpu_kernel_impl_nocastIZZZNS0_12_GLOBAL__N_115softplus_kernelERNS_18TensorIteratorBaseERKN3c106ScalarES9_ENKUlvE_clEvENKUlvE_clEvEUldE_EEvS5_RKT_EUlibE_EEviT1_,@function
_ZN2at6native32elementwise_kernel_manual_unrollILi128ELi4EZNS0_22gpu_kernel_impl_nocastIZZZNS0_12_GLOBAL__N_115softplus_kernelERNS_18TensorIteratorBaseERKN3c106ScalarES9_ENKUlvE_clEvENKUlvE_clEvEUldE_EEvS5_RKT_EUlibE_EEviT1_: ; @_ZN2at6native32elementwise_kernel_manual_unrollILi128ELi4EZNS0_22gpu_kernel_impl_nocastIZZZNS0_12_GLOBAL__N_115softplus_kernelERNS_18TensorIteratorBaseERKN3c106ScalarES9_ENKUlvE_clEvENKUlvE_clEvEUldE_EEvS5_RKT_EUlibE_EEviT1_
; %bb.0:
	s_clause 0x1
	s_load_b32 s33, s[0:1], 0x8
	s_load_b32 s38, s[0:1], 0x0
	s_bfe_u32 s2, ttmp6, 0x4000c
	s_and_b32 s3, ttmp6, 15
	s_add_co_i32 s2, s2, 1
	s_getreg_b32 s4, hwreg(HW_REG_IB_STS2, 6, 4)
	s_mul_i32 s2, ttmp9, s2
	s_mov_b32 s23, 0
	s_add_co_i32 s3, s3, s2
	s_cmp_eq_u32 s4, 0
	s_cselect_b32 s2, ttmp9, s3
	s_delay_alu instid0(SALU_CYCLE_1) | instskip(SKIP_3) | instid1(VALU_DEP_1)
	v_lshl_or_b32 v0, s2, 9, v0
	s_add_nc_u64 s[2:3], s[0:1], 8
	s_wait_xcnt 0x0
	s_mov_b32 s0, exec_lo
	v_or_b32_e32 v8, 0x180, v0
	s_wait_kmcnt 0x0
	s_add_co_i32 s34, s33, -1
	s_delay_alu instid0(SALU_CYCLE_1)
	s_cmp_gt_u32 s34, 1
	s_cselect_b32 s35, -1, 0
	v_cmpx_le_i32_e64 s38, v8
	s_xor_b32 s36, exec_lo, s0
	s_cbranch_execz .LBB5_7
; %bb.1:
	s_clause 0x3
	s_load_b128 s[12:15], s[2:3], 0x4
	s_load_b64 s[20:21], s[2:3], 0x14
	s_load_b128 s[16:19], s[2:3], 0xc4
	s_load_b256 s[4:11], s[2:3], 0x148
	s_cmp_lg_u32 s33, 0
	s_add_nc_u64 s[26:27], s[2:3], 0xc4
	s_cselect_b32 s40, -1, 0
	s_min_u32 s39, s34, 15
	s_cmp_gt_u32 s33, 1
	s_mov_b32 s25, s23
	s_cselect_b32 s37, -1, 0
	s_wait_kmcnt 0x0
	s_mov_b32 s22, s13
	s_mov_b32 s24, s20
	s_mov_b32 s13, exec_lo
	v_cmpx_gt_i32_e64 s38, v0
	s_cbranch_execz .LBB5_14
; %bb.2:
	s_and_not1_b32 vcc_lo, exec_lo, s35
	s_cbranch_vccnz .LBB5_21
; %bb.3:
	s_and_not1_b32 vcc_lo, exec_lo, s40
	s_cbranch_vccnz .LBB5_81
; %bb.4:
	s_add_co_i32 s1, s39, 1
	s_cmp_eq_u32 s34, 2
	s_cbranch_scc1 .LBB5_83
; %bb.5:
	v_dual_mov_b32 v2, 0 :: v_dual_mov_b32 v3, 0
	v_mov_b32_e32 v1, v0
	s_and_b32 s0, s1, 28
	s_mov_b32 s20, 0
	s_mov_b64 s[28:29], s[2:3]
	s_mov_b64 s[30:31], s[26:27]
.LBB5_6:                                ; =>This Inner Loop Header: Depth=1
	s_clause 0x1
	s_load_b256 s[44:51], s[28:29], 0x4
	s_load_b128 s[60:63], s[28:29], 0x24
	s_load_b256 s[52:59], s[30:31], 0x0
	s_add_co_i32 s20, s20, 4
	s_wait_xcnt 0x0
	s_add_nc_u64 s[28:29], s[28:29], 48
	s_cmp_lg_u32 s0, s20
	s_add_nc_u64 s[30:31], s[30:31], 32
	s_wait_kmcnt 0x0
	v_mul_hi_u32 v4, s45, v1
	s_delay_alu instid0(VALU_DEP_1) | instskip(NEXT) | instid1(VALU_DEP_1)
	v_add_nc_u32_e32 v4, v1, v4
	v_lshrrev_b32_e32 v4, s46, v4
	s_delay_alu instid0(VALU_DEP_1) | instskip(NEXT) | instid1(VALU_DEP_1)
	v_mul_hi_u32 v5, s48, v4
	v_add_nc_u32_e32 v5, v4, v5
	s_delay_alu instid0(VALU_DEP_1) | instskip(NEXT) | instid1(VALU_DEP_1)
	v_lshrrev_b32_e32 v5, s49, v5
	v_mul_hi_u32 v6, s51, v5
	s_delay_alu instid0(VALU_DEP_1) | instskip(SKIP_1) | instid1(VALU_DEP_1)
	v_add_nc_u32_e32 v6, v5, v6
	v_mul_lo_u32 v7, v4, s44
	v_sub_nc_u32_e32 v1, v1, v7
	v_mul_lo_u32 v7, v5, s47
	s_delay_alu instid0(VALU_DEP_4) | instskip(NEXT) | instid1(VALU_DEP_3)
	v_lshrrev_b32_e32 v6, s60, v6
	v_mad_u32 v3, v1, s53, v3
	v_mad_u32 v1, v1, s52, v2
	s_delay_alu instid0(VALU_DEP_4) | instskip(NEXT) | instid1(VALU_DEP_4)
	v_sub_nc_u32_e32 v2, v4, v7
	v_mul_hi_u32 v8, s62, v6
	v_mul_lo_u32 v4, v6, s50
	s_delay_alu instid0(VALU_DEP_3) | instskip(SKIP_1) | instid1(VALU_DEP_4)
	v_mad_u32 v3, v2, s55, v3
	v_mad_u32 v2, v2, s54, v1
	v_add_nc_u32_e32 v7, v6, v8
	s_delay_alu instid0(VALU_DEP_1) | instskip(NEXT) | instid1(VALU_DEP_1)
	v_dual_sub_nc_u32 v4, v5, v4 :: v_dual_lshrrev_b32 v1, s63, v7
	v_mad_u32 v3, v4, s57, v3
	s_delay_alu instid0(VALU_DEP_4) | instskip(NEXT) | instid1(VALU_DEP_3)
	v_mad_u32 v2, v4, s56, v2
	v_mul_lo_u32 v5, v1, s61
	s_delay_alu instid0(VALU_DEP_1) | instskip(NEXT) | instid1(VALU_DEP_1)
	v_sub_nc_u32_e32 v4, v6, v5
	v_mad_u32 v3, v4, s59, v3
	s_delay_alu instid0(VALU_DEP_4)
	v_mad_u32 v2, v4, s58, v2
	s_cbranch_scc1 .LBB5_6
	s_branch .LBB5_84
.LBB5_7:
	s_and_not1_saveexec_b32 s0, s36
	s_cbranch_execz .LBB5_113
.LBB5_8:
	v_cndmask_b32_e64 v6, 0, 1, s35
	s_and_not1_b32 vcc_lo, exec_lo, s35
	s_cbranch_vccnz .LBB5_20
; %bb.9:
	s_cmp_lg_u32 s33, 0
	s_mov_b32 s8, 0
	s_cbranch_scc0 .LBB5_23
; %bb.10:
	s_min_u32 s1, s34, 15
	s_delay_alu instid0(SALU_CYCLE_1)
	s_add_co_i32 s1, s1, 1
	s_cmp_eq_u32 s34, 2
	s_cbranch_scc1 .LBB5_24
; %bb.11:
	v_dual_mov_b32 v2, 0 :: v_dual_mov_b32 v3, 0
	v_mov_b32_e32 v1, v0
	s_and_b32 s0, s1, 28
	s_add_nc_u64 s[4:5], s[2:3], 0xc4
	s_mov_b32 s9, 0
	s_mov_b64 s[6:7], s[2:3]
.LBB5_12:                               ; =>This Inner Loop Header: Depth=1
	s_clause 0x1
	s_load_b256 s[12:19], s[6:7], 0x4
	s_load_b128 s[28:31], s[6:7], 0x24
	s_load_b256 s[20:27], s[4:5], 0x0
	s_add_co_i32 s9, s9, 4
	s_wait_xcnt 0x0
	s_add_nc_u64 s[6:7], s[6:7], 48
	s_cmp_lg_u32 s0, s9
	s_add_nc_u64 s[4:5], s[4:5], 32
	s_wait_kmcnt 0x0
	v_mul_hi_u32 v4, s13, v1
	s_delay_alu instid0(VALU_DEP_1) | instskip(NEXT) | instid1(VALU_DEP_1)
	v_add_nc_u32_e32 v4, v1, v4
	v_lshrrev_b32_e32 v4, s14, v4
	s_delay_alu instid0(VALU_DEP_1) | instskip(NEXT) | instid1(VALU_DEP_1)
	v_mul_hi_u32 v5, s16, v4
	v_add_nc_u32_e32 v5, v4, v5
	s_delay_alu instid0(VALU_DEP_1) | instskip(NEXT) | instid1(VALU_DEP_1)
	v_lshrrev_b32_e32 v5, s17, v5
	v_mul_hi_u32 v7, s19, v5
	s_delay_alu instid0(VALU_DEP_1) | instskip(SKIP_1) | instid1(VALU_DEP_2)
	v_add_nc_u32_e32 v7, v5, v7
	v_mul_lo_u32 v9, v4, s12
	v_lshrrev_b32_e32 v7, s28, v7
	s_delay_alu instid0(VALU_DEP_1) | instskip(NEXT) | instid1(VALU_DEP_3)
	v_mul_hi_u32 v10, s30, v7
	v_sub_nc_u32_e32 v1, v1, v9
	v_mul_lo_u32 v9, v5, s15
	s_delay_alu instid0(VALU_DEP_2) | instskip(SKIP_1) | instid1(VALU_DEP_3)
	v_mad_u32 v3, v1, s21, v3
	v_mad_u32 v1, v1, s20, v2
	v_sub_nc_u32_e32 v2, v4, v9
	v_mul_lo_u32 v4, v7, s18
	v_add_nc_u32_e32 v9, v7, v10
	s_delay_alu instid0(VALU_DEP_3) | instskip(SKIP_1) | instid1(VALU_DEP_3)
	v_mad_u32 v3, v2, s23, v3
	v_mad_u32 v2, v2, s22, v1
	v_dual_sub_nc_u32 v4, v5, v4 :: v_dual_lshrrev_b32 v1, s31, v9
	s_delay_alu instid0(VALU_DEP_1) | instskip(NEXT) | instid1(VALU_DEP_2)
	v_mad_u32 v3, v4, s25, v3
	v_mul_lo_u32 v5, v1, s29
	s_delay_alu instid0(VALU_DEP_4) | instskip(NEXT) | instid1(VALU_DEP_2)
	v_mad_u32 v2, v4, s24, v2
	v_sub_nc_u32_e32 v4, v7, v5
	s_delay_alu instid0(VALU_DEP_1) | instskip(NEXT) | instid1(VALU_DEP_3)
	v_mad_u32 v3, v4, s27, v3
	v_mad_u32 v2, v4, s26, v2
	s_cbranch_scc1 .LBB5_12
; %bb.13:
	s_and_b32 s6, s1, 3
	s_mov_b32 s1, 0
	s_cmp_eq_u32 s6, 0
	s_cbranch_scc0 .LBB5_25
	s_branch .LBB5_27
.LBB5_14:
	s_or_b32 exec_lo, exec_lo, s13
	s_delay_alu instid0(SALU_CYCLE_1)
	s_mov_b32 s13, exec_lo
	v_cmpx_gt_i32_e64 s38, v0
	s_cbranch_execz .LBB5_93
.LBB5_15:
	s_and_not1_b32 vcc_lo, exec_lo, s35
	s_cbranch_vccnz .LBB5_22
; %bb.16:
	s_and_not1_b32 vcc_lo, exec_lo, s40
	s_cbranch_vccnz .LBB5_82
; %bb.17:
	s_add_co_i32 s1, s39, 1
	s_cmp_eq_u32 s34, 2
	s_cbranch_scc1 .LBB5_101
; %bb.18:
	v_dual_mov_b32 v2, 0 :: v_dual_mov_b32 v3, 0
	v_mov_b32_e32 v1, v0
	s_and_b32 s0, s1, 28
	s_mov_b32 s20, 0
	s_mov_b64 s[28:29], s[2:3]
	s_mov_b64 s[30:31], s[26:27]
.LBB5_19:                               ; =>This Inner Loop Header: Depth=1
	s_clause 0x1
	s_load_b256 s[44:51], s[28:29], 0x4
	s_load_b128 s[60:63], s[28:29], 0x24
	s_load_b256 s[52:59], s[30:31], 0x0
	s_add_co_i32 s20, s20, 4
	s_wait_xcnt 0x0
	s_add_nc_u64 s[28:29], s[28:29], 48
	s_cmp_eq_u32 s0, s20
	s_add_nc_u64 s[30:31], s[30:31], 32
	s_wait_kmcnt 0x0
	v_mul_hi_u32 v4, s45, v1
	s_delay_alu instid0(VALU_DEP_1) | instskip(NEXT) | instid1(VALU_DEP_1)
	v_add_nc_u32_e32 v4, v1, v4
	v_lshrrev_b32_e32 v4, s46, v4
	s_delay_alu instid0(VALU_DEP_1) | instskip(NEXT) | instid1(VALU_DEP_1)
	v_mul_hi_u32 v5, s48, v4
	v_add_nc_u32_e32 v5, v4, v5
	s_delay_alu instid0(VALU_DEP_1) | instskip(NEXT) | instid1(VALU_DEP_1)
	v_lshrrev_b32_e32 v5, s49, v5
	v_mul_hi_u32 v6, s51, v5
	s_delay_alu instid0(VALU_DEP_1) | instskip(SKIP_1) | instid1(VALU_DEP_1)
	v_add_nc_u32_e32 v6, v5, v6
	v_mul_lo_u32 v7, v4, s44
	v_sub_nc_u32_e32 v1, v1, v7
	v_mul_lo_u32 v7, v5, s47
	s_delay_alu instid0(VALU_DEP_4) | instskip(NEXT) | instid1(VALU_DEP_3)
	v_lshrrev_b32_e32 v6, s60, v6
	v_mad_u32 v3, v1, s53, v3
	v_mad_u32 v1, v1, s52, v2
	s_delay_alu instid0(VALU_DEP_4) | instskip(NEXT) | instid1(VALU_DEP_4)
	v_sub_nc_u32_e32 v2, v4, v7
	v_mul_hi_u32 v8, s62, v6
	v_mul_lo_u32 v4, v6, s50
	s_delay_alu instid0(VALU_DEP_3) | instskip(SKIP_1) | instid1(VALU_DEP_4)
	v_mad_u32 v3, v2, s55, v3
	v_mad_u32 v2, v2, s54, v1
	v_add_nc_u32_e32 v7, v6, v8
	s_delay_alu instid0(VALU_DEP_1) | instskip(NEXT) | instid1(VALU_DEP_1)
	v_dual_sub_nc_u32 v4, v5, v4 :: v_dual_lshrrev_b32 v1, s63, v7
	v_mad_u32 v3, v4, s57, v3
	s_delay_alu instid0(VALU_DEP_4) | instskip(NEXT) | instid1(VALU_DEP_3)
	v_mad_u32 v2, v4, s56, v2
	v_mul_lo_u32 v5, v1, s61
	s_delay_alu instid0(VALU_DEP_1) | instskip(NEXT) | instid1(VALU_DEP_1)
	v_sub_nc_u32_e32 v4, v6, v5
	v_mad_u32 v3, v4, s59, v3
	s_delay_alu instid0(VALU_DEP_4)
	v_mad_u32 v2, v4, s58, v2
	s_cbranch_scc0 .LBB5_19
	s_branch .LBB5_102
.LBB5_20:
	s_mov_b32 s8, -1
                                        ; implicit-def: $vgpr3
	s_branch .LBB5_27
.LBB5_21:
                                        ; implicit-def: $vgpr3
	s_branch .LBB5_88
.LBB5_22:
                                        ; implicit-def: $vgpr3
	s_branch .LBB5_106
.LBB5_23:
	v_dual_mov_b32 v3, 0 :: v_dual_mov_b32 v2, 0
	s_branch .LBB5_27
.LBB5_24:
	v_mov_b64_e32 v[2:3], 0
	v_mov_b32_e32 v1, v0
	s_mov_b32 s0, 0
	s_and_b32 s6, s1, 3
	s_mov_b32 s1, 0
	s_cmp_eq_u32 s6, 0
	s_cbranch_scc1 .LBB5_27
.LBB5_25:
	s_lshl_b32 s4, s0, 3
	s_mov_b32 s5, s1
	s_mul_u64 s[10:11], s[0:1], 12
	s_add_nc_u64 s[4:5], s[2:3], s[4:5]
	s_delay_alu instid0(SALU_CYCLE_1)
	s_add_nc_u64 s[0:1], s[4:5], 0xc4
	s_add_nc_u64 s[4:5], s[2:3], s[10:11]
.LBB5_26:                               ; =>This Inner Loop Header: Depth=1
	s_load_b96 s[12:14], s[4:5], 0x4
	s_load_b64 s[10:11], s[0:1], 0x0
	s_add_co_i32 s6, s6, -1
	s_wait_xcnt 0x0
	s_add_nc_u64 s[4:5], s[4:5], 12
	s_cmp_lg_u32 s6, 0
	s_add_nc_u64 s[0:1], s[0:1], 8
	s_wait_kmcnt 0x0
	v_mul_hi_u32 v4, s13, v1
	s_delay_alu instid0(VALU_DEP_1) | instskip(NEXT) | instid1(VALU_DEP_1)
	v_add_nc_u32_e32 v4, v1, v4
	v_lshrrev_b32_e32 v4, s14, v4
	s_delay_alu instid0(VALU_DEP_1) | instskip(NEXT) | instid1(VALU_DEP_1)
	v_mul_lo_u32 v5, v4, s12
	v_sub_nc_u32_e32 v1, v1, v5
	s_delay_alu instid0(VALU_DEP_1)
	v_mad_u32 v3, v1, s11, v3
	v_mad_u32 v2, v1, s10, v2
	v_mov_b32_e32 v1, v4
	s_cbranch_scc1 .LBB5_26
.LBB5_27:
	s_and_not1_b32 vcc_lo, exec_lo, s8
	s_cbranch_vccnz .LBB5_30
; %bb.28:
	s_clause 0x1
	s_load_b96 s[4:6], s[2:3], 0x4
	s_load_b64 s[0:1], s[2:3], 0xc4
	s_cmp_lt_u32 s33, 2
	s_wait_kmcnt 0x0
	v_mul_hi_u32 v1, s5, v0
	s_delay_alu instid0(VALU_DEP_1) | instskip(NEXT) | instid1(VALU_DEP_1)
	v_add_nc_u32_e32 v1, v0, v1
	v_lshrrev_b32_e32 v1, s6, v1
	s_delay_alu instid0(VALU_DEP_1) | instskip(NEXT) | instid1(VALU_DEP_1)
	v_mul_lo_u32 v2, v1, s4
	v_sub_nc_u32_e32 v2, v0, v2
	s_delay_alu instid0(VALU_DEP_1)
	v_mul_lo_u32 v3, v2, s1
	v_mul_lo_u32 v2, v2, s0
	s_cbranch_scc1 .LBB5_30
; %bb.29:
	s_clause 0x1
	s_load_b96 s[4:6], s[2:3], 0x10
	s_load_b64 s[0:1], s[2:3], 0xcc
	s_wait_kmcnt 0x0
	v_mul_hi_u32 v4, s5, v1
	s_delay_alu instid0(VALU_DEP_1) | instskip(NEXT) | instid1(VALU_DEP_1)
	v_add_nc_u32_e32 v4, v1, v4
	v_lshrrev_b32_e32 v4, s6, v4
	s_delay_alu instid0(VALU_DEP_1) | instskip(NEXT) | instid1(VALU_DEP_1)
	v_mul_lo_u32 v4, v4, s4
	v_sub_nc_u32_e32 v1, v1, v4
	s_delay_alu instid0(VALU_DEP_1)
	v_mad_u32 v2, v1, s0, v2
	v_mad_u32 v3, v1, s1, v3
.LBB5_30:
	v_cmp_ne_u32_e32 vcc_lo, 1, v6
	v_add_nc_u32_e32 v1, 0x80, v0
	s_cbranch_vccnz .LBB5_36
; %bb.31:
	s_cmp_lg_u32 s33, 0
	s_mov_b32 s8, 0
	s_cbranch_scc0 .LBB5_37
; %bb.32:
	s_min_u32 s1, s34, 15
	s_delay_alu instid0(SALU_CYCLE_1)
	s_add_co_i32 s1, s1, 1
	s_cmp_eq_u32 s34, 2
	s_cbranch_scc1 .LBB5_38
; %bb.33:
	v_dual_mov_b32 v4, 0 :: v_dual_mov_b32 v5, 0
	v_mov_b32_e32 v7, v1
	s_and_b32 s0, s1, 28
	s_add_nc_u64 s[4:5], s[2:3], 0xc4
	s_mov_b32 s9, 0
	s_mov_b64 s[6:7], s[2:3]
.LBB5_34:                               ; =>This Inner Loop Header: Depth=1
	s_clause 0x1
	s_load_b256 s[12:19], s[6:7], 0x4
	s_load_b128 s[28:31], s[6:7], 0x24
	s_load_b256 s[20:27], s[4:5], 0x0
	s_add_co_i32 s9, s9, 4
	s_wait_xcnt 0x0
	s_add_nc_u64 s[6:7], s[6:7], 48
	s_cmp_lg_u32 s0, s9
	s_add_nc_u64 s[4:5], s[4:5], 32
	s_wait_kmcnt 0x0
	v_mul_hi_u32 v9, s13, v7
	s_delay_alu instid0(VALU_DEP_1) | instskip(NEXT) | instid1(VALU_DEP_1)
	v_add_nc_u32_e32 v9, v7, v9
	v_lshrrev_b32_e32 v9, s14, v9
	s_delay_alu instid0(VALU_DEP_1) | instskip(NEXT) | instid1(VALU_DEP_1)
	v_mul_hi_u32 v10, s16, v9
	v_add_nc_u32_e32 v10, v9, v10
	s_delay_alu instid0(VALU_DEP_1) | instskip(NEXT) | instid1(VALU_DEP_1)
	v_lshrrev_b32_e32 v10, s17, v10
	v_mul_hi_u32 v11, s19, v10
	s_delay_alu instid0(VALU_DEP_1) | instskip(SKIP_1) | instid1(VALU_DEP_1)
	v_add_nc_u32_e32 v11, v10, v11
	v_mul_lo_u32 v12, v9, s12
	v_sub_nc_u32_e32 v7, v7, v12
	v_mul_lo_u32 v12, v10, s15
	s_delay_alu instid0(VALU_DEP_4) | instskip(NEXT) | instid1(VALU_DEP_3)
	v_lshrrev_b32_e32 v11, s28, v11
	v_mad_u32 v5, v7, s21, v5
	v_mad_u32 v4, v7, s20, v4
	s_delay_alu instid0(VALU_DEP_4) | instskip(NEXT) | instid1(VALU_DEP_4)
	v_sub_nc_u32_e32 v7, v9, v12
	v_mul_hi_u32 v13, s30, v11
	v_mul_lo_u32 v9, v11, s18
	s_delay_alu instid0(VALU_DEP_3) | instskip(SKIP_1) | instid1(VALU_DEP_4)
	v_mad_u32 v5, v7, s23, v5
	v_mad_u32 v4, v7, s22, v4
	v_add_nc_u32_e32 v12, v11, v13
	s_delay_alu instid0(VALU_DEP_1) | instskip(NEXT) | instid1(VALU_DEP_1)
	v_dual_sub_nc_u32 v9, v10, v9 :: v_dual_lshrrev_b32 v7, s31, v12
	v_mad_u32 v5, v9, s25, v5
	s_delay_alu instid0(VALU_DEP_4) | instskip(NEXT) | instid1(VALU_DEP_3)
	v_mad_u32 v4, v9, s24, v4
	v_mul_lo_u32 v10, v7, s29
	s_delay_alu instid0(VALU_DEP_1) | instskip(NEXT) | instid1(VALU_DEP_1)
	v_sub_nc_u32_e32 v9, v11, v10
	v_mad_u32 v5, v9, s27, v5
	s_delay_alu instid0(VALU_DEP_4)
	v_mad_u32 v4, v9, s26, v4
	s_cbranch_scc1 .LBB5_34
; %bb.35:
	s_and_b32 s6, s1, 3
	s_mov_b32 s1, 0
	s_cmp_eq_u32 s6, 0
	s_cbranch_scc0 .LBB5_39
	s_branch .LBB5_41
.LBB5_36:
	s_mov_b32 s8, -1
                                        ; implicit-def: $vgpr5
	s_branch .LBB5_41
.LBB5_37:
	v_dual_mov_b32 v5, 0 :: v_dual_mov_b32 v4, 0
	s_branch .LBB5_41
.LBB5_38:
	v_mov_b64_e32 v[4:5], 0
	v_mov_b32_e32 v7, v1
	s_mov_b32 s0, 0
	s_and_b32 s6, s1, 3
	s_mov_b32 s1, 0
	s_cmp_eq_u32 s6, 0
	s_cbranch_scc1 .LBB5_41
.LBB5_39:
	s_lshl_b32 s4, s0, 3
	s_mov_b32 s5, s1
	s_mul_u64 s[10:11], s[0:1], 12
	s_add_nc_u64 s[4:5], s[2:3], s[4:5]
	s_delay_alu instid0(SALU_CYCLE_1)
	s_add_nc_u64 s[0:1], s[4:5], 0xc4
	s_add_nc_u64 s[4:5], s[2:3], s[10:11]
.LBB5_40:                               ; =>This Inner Loop Header: Depth=1
	s_load_b96 s[12:14], s[4:5], 0x4
	s_load_b64 s[10:11], s[0:1], 0x0
	s_add_co_i32 s6, s6, -1
	s_wait_xcnt 0x0
	s_add_nc_u64 s[4:5], s[4:5], 12
	s_cmp_lg_u32 s6, 0
	s_add_nc_u64 s[0:1], s[0:1], 8
	s_wait_kmcnt 0x0
	v_mul_hi_u32 v9, s13, v7
	s_delay_alu instid0(VALU_DEP_1) | instskip(NEXT) | instid1(VALU_DEP_1)
	v_add_nc_u32_e32 v9, v7, v9
	v_lshrrev_b32_e32 v9, s14, v9
	s_delay_alu instid0(VALU_DEP_1) | instskip(NEXT) | instid1(VALU_DEP_1)
	v_mul_lo_u32 v10, v9, s12
	v_sub_nc_u32_e32 v7, v7, v10
	s_delay_alu instid0(VALU_DEP_1)
	v_mad_u32 v5, v7, s11, v5
	v_mad_u32 v4, v7, s10, v4
	v_mov_b32_e32 v7, v9
	s_cbranch_scc1 .LBB5_40
.LBB5_41:
	s_and_not1_b32 vcc_lo, exec_lo, s8
	s_cbranch_vccnz .LBB5_44
; %bb.42:
	s_clause 0x1
	s_load_b96 s[4:6], s[2:3], 0x4
	s_load_b64 s[0:1], s[2:3], 0xc4
	s_cmp_lt_u32 s33, 2
	s_wait_kmcnt 0x0
	v_mul_hi_u32 v4, s5, v1
	s_delay_alu instid0(VALU_DEP_1) | instskip(NEXT) | instid1(VALU_DEP_1)
	v_add_nc_u32_e32 v4, v1, v4
	v_lshrrev_b32_e32 v7, s6, v4
	s_delay_alu instid0(VALU_DEP_1) | instskip(NEXT) | instid1(VALU_DEP_1)
	v_mul_lo_u32 v4, v7, s4
	v_sub_nc_u32_e32 v1, v1, v4
	s_delay_alu instid0(VALU_DEP_1)
	v_mul_lo_u32 v5, v1, s1
	v_mul_lo_u32 v4, v1, s0
	s_cbranch_scc1 .LBB5_44
; %bb.43:
	s_clause 0x1
	s_load_b96 s[4:6], s[2:3], 0x10
	s_load_b64 s[0:1], s[2:3], 0xcc
	s_wait_kmcnt 0x0
	v_mul_hi_u32 v1, s5, v7
	s_delay_alu instid0(VALU_DEP_1) | instskip(NEXT) | instid1(VALU_DEP_1)
	v_add_nc_u32_e32 v1, v7, v1
	v_lshrrev_b32_e32 v1, s6, v1
	s_delay_alu instid0(VALU_DEP_1) | instskip(NEXT) | instid1(VALU_DEP_1)
	v_mul_lo_u32 v1, v1, s4
	v_sub_nc_u32_e32 v1, v7, v1
	s_delay_alu instid0(VALU_DEP_1)
	v_mad_u32 v4, v1, s0, v4
	v_mad_u32 v5, v1, s1, v5
.LBB5_44:
	v_cmp_ne_u32_e32 vcc_lo, 1, v6
	v_add_nc_u32_e32 v7, 0x100, v0
	s_cbranch_vccnz .LBB5_50
; %bb.45:
	s_cmp_lg_u32 s33, 0
	s_mov_b32 s8, 0
	s_cbranch_scc0 .LBB5_51
; %bb.46:
	s_min_u32 s1, s34, 15
	s_delay_alu instid0(SALU_CYCLE_1)
	s_add_co_i32 s1, s1, 1
	s_cmp_eq_u32 s34, 2
	s_cbranch_scc1 .LBB5_52
; %bb.47:
	v_dual_mov_b32 v0, 0 :: v_dual_mov_b32 v1, 0
	v_mov_b32_e32 v9, v7
	s_and_b32 s0, s1, 28
	s_add_nc_u64 s[4:5], s[2:3], 0xc4
	s_mov_b32 s9, 0
	s_mov_b64 s[6:7], s[2:3]
.LBB5_48:                               ; =>This Inner Loop Header: Depth=1
	s_clause 0x1
	s_load_b256 s[12:19], s[6:7], 0x4
	s_load_b128 s[28:31], s[6:7], 0x24
	s_load_b256 s[20:27], s[4:5], 0x0
	s_add_co_i32 s9, s9, 4
	s_wait_xcnt 0x0
	s_add_nc_u64 s[6:7], s[6:7], 48
	s_cmp_lg_u32 s0, s9
	s_add_nc_u64 s[4:5], s[4:5], 32
	s_wait_kmcnt 0x0
	v_mul_hi_u32 v10, s13, v9
	s_delay_alu instid0(VALU_DEP_1) | instskip(NEXT) | instid1(VALU_DEP_1)
	v_add_nc_u32_e32 v10, v9, v10
	v_lshrrev_b32_e32 v10, s14, v10
	s_delay_alu instid0(VALU_DEP_1) | instskip(NEXT) | instid1(VALU_DEP_1)
	v_mul_hi_u32 v11, s16, v10
	v_add_nc_u32_e32 v11, v10, v11
	s_delay_alu instid0(VALU_DEP_1) | instskip(NEXT) | instid1(VALU_DEP_1)
	v_lshrrev_b32_e32 v11, s17, v11
	v_mul_hi_u32 v12, s19, v11
	s_delay_alu instid0(VALU_DEP_1) | instskip(SKIP_1) | instid1(VALU_DEP_1)
	v_add_nc_u32_e32 v12, v11, v12
	v_mul_lo_u32 v13, v10, s12
	v_sub_nc_u32_e32 v9, v9, v13
	v_mul_lo_u32 v13, v11, s15
	s_delay_alu instid0(VALU_DEP_4) | instskip(NEXT) | instid1(VALU_DEP_3)
	v_lshrrev_b32_e32 v12, s28, v12
	v_mad_u32 v1, v9, s21, v1
	v_mad_u32 v0, v9, s20, v0
	s_delay_alu instid0(VALU_DEP_4) | instskip(NEXT) | instid1(VALU_DEP_4)
	v_sub_nc_u32_e32 v9, v10, v13
	v_mul_hi_u32 v14, s30, v12
	v_mul_lo_u32 v10, v12, s18
	s_delay_alu instid0(VALU_DEP_3) | instskip(SKIP_1) | instid1(VALU_DEP_4)
	v_mad_u32 v1, v9, s23, v1
	v_mad_u32 v0, v9, s22, v0
	v_add_nc_u32_e32 v13, v12, v14
	s_delay_alu instid0(VALU_DEP_1) | instskip(NEXT) | instid1(VALU_DEP_1)
	v_dual_sub_nc_u32 v10, v11, v10 :: v_dual_lshrrev_b32 v9, s31, v13
	v_mad_u32 v1, v10, s25, v1
	s_delay_alu instid0(VALU_DEP_4) | instskip(NEXT) | instid1(VALU_DEP_3)
	v_mad_u32 v0, v10, s24, v0
	v_mul_lo_u32 v11, v9, s29
	s_delay_alu instid0(VALU_DEP_1) | instskip(NEXT) | instid1(VALU_DEP_1)
	v_sub_nc_u32_e32 v10, v12, v11
	v_mad_u32 v1, v10, s27, v1
	s_delay_alu instid0(VALU_DEP_4)
	v_mad_u32 v0, v10, s26, v0
	s_cbranch_scc1 .LBB5_48
; %bb.49:
	s_and_b32 s6, s1, 3
	s_mov_b32 s1, 0
	s_cmp_eq_u32 s6, 0
	s_cbranch_scc0 .LBB5_53
	s_branch .LBB5_55
.LBB5_50:
	s_mov_b32 s8, -1
                                        ; implicit-def: $vgpr1
	s_branch .LBB5_55
.LBB5_51:
	v_dual_mov_b32 v1, 0 :: v_dual_mov_b32 v0, 0
	s_branch .LBB5_55
.LBB5_52:
	v_mov_b64_e32 v[0:1], 0
	v_mov_b32_e32 v9, v7
	s_mov_b32 s0, 0
	s_and_b32 s6, s1, 3
	s_mov_b32 s1, 0
	s_cmp_eq_u32 s6, 0
	s_cbranch_scc1 .LBB5_55
.LBB5_53:
	s_lshl_b32 s4, s0, 3
	s_mov_b32 s5, s1
	s_mul_u64 s[10:11], s[0:1], 12
	s_add_nc_u64 s[4:5], s[2:3], s[4:5]
	s_delay_alu instid0(SALU_CYCLE_1)
	s_add_nc_u64 s[0:1], s[4:5], 0xc4
	s_add_nc_u64 s[4:5], s[2:3], s[10:11]
.LBB5_54:                               ; =>This Inner Loop Header: Depth=1
	s_load_b96 s[12:14], s[4:5], 0x4
	s_load_b64 s[10:11], s[0:1], 0x0
	s_add_co_i32 s6, s6, -1
	s_wait_xcnt 0x0
	s_add_nc_u64 s[4:5], s[4:5], 12
	s_cmp_lg_u32 s6, 0
	s_add_nc_u64 s[0:1], s[0:1], 8
	s_wait_kmcnt 0x0
	v_mul_hi_u32 v10, s13, v9
	s_delay_alu instid0(VALU_DEP_1) | instskip(NEXT) | instid1(VALU_DEP_1)
	v_add_nc_u32_e32 v10, v9, v10
	v_lshrrev_b32_e32 v10, s14, v10
	s_delay_alu instid0(VALU_DEP_1) | instskip(NEXT) | instid1(VALU_DEP_1)
	v_mul_lo_u32 v11, v10, s12
	v_sub_nc_u32_e32 v9, v9, v11
	s_delay_alu instid0(VALU_DEP_1)
	v_mad_u32 v1, v9, s11, v1
	v_mad_u32 v0, v9, s10, v0
	v_mov_b32_e32 v9, v10
	s_cbranch_scc1 .LBB5_54
.LBB5_55:
	s_and_not1_b32 vcc_lo, exec_lo, s8
	s_cbranch_vccnz .LBB5_58
; %bb.56:
	s_clause 0x1
	s_load_b96 s[4:6], s[2:3], 0x4
	s_load_b64 s[0:1], s[2:3], 0xc4
	s_cmp_lt_u32 s33, 2
	s_wait_kmcnt 0x0
	v_mul_hi_u32 v0, s5, v7
	s_delay_alu instid0(VALU_DEP_1) | instskip(NEXT) | instid1(VALU_DEP_1)
	v_add_nc_u32_e32 v0, v7, v0
	v_lshrrev_b32_e32 v9, s6, v0
	s_delay_alu instid0(VALU_DEP_1) | instskip(NEXT) | instid1(VALU_DEP_1)
	v_mul_lo_u32 v0, v9, s4
	v_sub_nc_u32_e32 v0, v7, v0
	s_delay_alu instid0(VALU_DEP_1)
	v_mul_lo_u32 v1, v0, s1
	v_mul_lo_u32 v0, v0, s0
	s_cbranch_scc1 .LBB5_58
; %bb.57:
	s_clause 0x1
	s_load_b96 s[4:6], s[2:3], 0x10
	s_load_b64 s[0:1], s[2:3], 0xcc
	s_wait_kmcnt 0x0
	v_mul_hi_u32 v7, s5, v9
	s_delay_alu instid0(VALU_DEP_1) | instskip(NEXT) | instid1(VALU_DEP_1)
	v_add_nc_u32_e32 v7, v9, v7
	v_lshrrev_b32_e32 v7, s6, v7
	s_delay_alu instid0(VALU_DEP_1) | instskip(NEXT) | instid1(VALU_DEP_1)
	v_mul_lo_u32 v7, v7, s4
	v_sub_nc_u32_e32 v7, v9, v7
	s_delay_alu instid0(VALU_DEP_1)
	v_mad_u32 v0, v7, s0, v0
	v_mad_u32 v1, v7, s1, v1
.LBB5_58:
	v_cmp_ne_u32_e32 vcc_lo, 1, v6
	s_cbranch_vccnz .LBB5_64
; %bb.59:
	s_cmp_lg_u32 s33, 0
	s_mov_b32 s8, 0
	s_cbranch_scc0 .LBB5_65
; %bb.60:
	s_min_u32 s1, s34, 15
	s_delay_alu instid0(SALU_CYCLE_1)
	s_add_co_i32 s1, s1, 1
	s_cmp_eq_u32 s34, 2
	s_cbranch_scc1 .LBB5_66
; %bb.61:
	v_dual_mov_b32 v6, 0 :: v_dual_mov_b32 v7, 0
	v_mov_b32_e32 v9, v8
	s_and_b32 s0, s1, 28
	s_add_nc_u64 s[4:5], s[2:3], 0xc4
	s_mov_b32 s9, 0
	s_mov_b64 s[6:7], s[2:3]
.LBB5_62:                               ; =>This Inner Loop Header: Depth=1
	s_clause 0x1
	s_load_b256 s[12:19], s[6:7], 0x4
	s_load_b128 s[28:31], s[6:7], 0x24
	s_load_b256 s[20:27], s[4:5], 0x0
	s_add_co_i32 s9, s9, 4
	s_wait_xcnt 0x0
	s_add_nc_u64 s[6:7], s[6:7], 48
	s_cmp_lg_u32 s0, s9
	s_add_nc_u64 s[4:5], s[4:5], 32
	s_wait_kmcnt 0x0
	v_mul_hi_u32 v10, s13, v9
	s_delay_alu instid0(VALU_DEP_1) | instskip(NEXT) | instid1(VALU_DEP_1)
	v_add_nc_u32_e32 v10, v9, v10
	v_lshrrev_b32_e32 v10, s14, v10
	s_delay_alu instid0(VALU_DEP_1) | instskip(NEXT) | instid1(VALU_DEP_1)
	v_mul_hi_u32 v11, s16, v10
	v_add_nc_u32_e32 v11, v10, v11
	s_delay_alu instid0(VALU_DEP_1) | instskip(NEXT) | instid1(VALU_DEP_1)
	v_lshrrev_b32_e32 v11, s17, v11
	v_mul_hi_u32 v12, s19, v11
	s_delay_alu instid0(VALU_DEP_1) | instskip(SKIP_1) | instid1(VALU_DEP_1)
	v_add_nc_u32_e32 v12, v11, v12
	v_mul_lo_u32 v13, v10, s12
	v_sub_nc_u32_e32 v9, v9, v13
	v_mul_lo_u32 v13, v11, s15
	s_delay_alu instid0(VALU_DEP_4) | instskip(NEXT) | instid1(VALU_DEP_3)
	v_lshrrev_b32_e32 v12, s28, v12
	v_mad_u32 v7, v9, s21, v7
	v_mad_u32 v6, v9, s20, v6
	s_delay_alu instid0(VALU_DEP_4) | instskip(NEXT) | instid1(VALU_DEP_4)
	v_sub_nc_u32_e32 v9, v10, v13
	v_mul_hi_u32 v14, s30, v12
	v_mul_lo_u32 v10, v12, s18
	s_delay_alu instid0(VALU_DEP_3) | instskip(SKIP_1) | instid1(VALU_DEP_4)
	v_mad_u32 v7, v9, s23, v7
	v_mad_u32 v6, v9, s22, v6
	v_add_nc_u32_e32 v13, v12, v14
	s_delay_alu instid0(VALU_DEP_1) | instskip(NEXT) | instid1(VALU_DEP_1)
	v_dual_sub_nc_u32 v10, v11, v10 :: v_dual_lshrrev_b32 v9, s31, v13
	v_mad_u32 v7, v10, s25, v7
	s_delay_alu instid0(VALU_DEP_4) | instskip(NEXT) | instid1(VALU_DEP_3)
	v_mad_u32 v6, v10, s24, v6
	v_mul_lo_u32 v11, v9, s29
	s_delay_alu instid0(VALU_DEP_1) | instskip(NEXT) | instid1(VALU_DEP_1)
	v_sub_nc_u32_e32 v10, v12, v11
	v_mad_u32 v7, v10, s27, v7
	s_delay_alu instid0(VALU_DEP_4)
	v_mad_u32 v6, v10, s26, v6
	s_cbranch_scc1 .LBB5_62
; %bb.63:
	s_and_b32 s6, s1, 3
	s_mov_b32 s1, 0
	s_cmp_eq_u32 s6, 0
	s_cbranch_scc0 .LBB5_67
	s_branch .LBB5_69
.LBB5_64:
	s_mov_b32 s8, -1
                                        ; implicit-def: $vgpr7
	s_branch .LBB5_69
.LBB5_65:
	v_dual_mov_b32 v7, 0 :: v_dual_mov_b32 v6, 0
	s_branch .LBB5_69
.LBB5_66:
	v_mov_b64_e32 v[6:7], 0
	v_mov_b32_e32 v9, v8
	s_mov_b32 s0, 0
	s_and_b32 s6, s1, 3
	s_mov_b32 s1, 0
	s_cmp_eq_u32 s6, 0
	s_cbranch_scc1 .LBB5_69
.LBB5_67:
	s_lshl_b32 s4, s0, 3
	s_mov_b32 s5, s1
	s_mul_u64 s[10:11], s[0:1], 12
	s_add_nc_u64 s[4:5], s[2:3], s[4:5]
	s_delay_alu instid0(SALU_CYCLE_1)
	s_add_nc_u64 s[0:1], s[4:5], 0xc4
	s_add_nc_u64 s[4:5], s[2:3], s[10:11]
.LBB5_68:                               ; =>This Inner Loop Header: Depth=1
	s_load_b96 s[12:14], s[4:5], 0x4
	s_load_b64 s[10:11], s[0:1], 0x0
	s_add_co_i32 s6, s6, -1
	s_wait_xcnt 0x0
	s_add_nc_u64 s[4:5], s[4:5], 12
	s_cmp_lg_u32 s6, 0
	s_add_nc_u64 s[0:1], s[0:1], 8
	s_wait_kmcnt 0x0
	v_mul_hi_u32 v10, s13, v9
	s_delay_alu instid0(VALU_DEP_1) | instskip(NEXT) | instid1(VALU_DEP_1)
	v_add_nc_u32_e32 v10, v9, v10
	v_lshrrev_b32_e32 v10, s14, v10
	s_delay_alu instid0(VALU_DEP_1) | instskip(NEXT) | instid1(VALU_DEP_1)
	v_mul_lo_u32 v11, v10, s12
	v_sub_nc_u32_e32 v9, v9, v11
	s_delay_alu instid0(VALU_DEP_1)
	v_mad_u32 v7, v9, s11, v7
	v_mad_u32 v6, v9, s10, v6
	v_mov_b32_e32 v9, v10
	s_cbranch_scc1 .LBB5_68
.LBB5_69:
	s_and_not1_b32 vcc_lo, exec_lo, s8
	s_cbranch_vccnz .LBB5_72
; %bb.70:
	s_clause 0x1
	s_load_b96 s[4:6], s[2:3], 0x4
	s_load_b64 s[0:1], s[2:3], 0xc4
	s_cmp_lt_u32 s33, 2
	s_wait_kmcnt 0x0
	v_mul_hi_u32 v6, s5, v8
	s_delay_alu instid0(VALU_DEP_1) | instskip(NEXT) | instid1(VALU_DEP_1)
	v_add_nc_u32_e32 v6, v8, v6
	v_lshrrev_b32_e32 v9, s6, v6
	s_delay_alu instid0(VALU_DEP_1) | instskip(NEXT) | instid1(VALU_DEP_1)
	v_mul_lo_u32 v6, v9, s4
	v_sub_nc_u32_e32 v6, v8, v6
	s_delay_alu instid0(VALU_DEP_1)
	v_mul_lo_u32 v7, v6, s1
	v_mul_lo_u32 v6, v6, s0
	s_cbranch_scc1 .LBB5_72
; %bb.71:
	s_clause 0x1
	s_load_b96 s[4:6], s[2:3], 0x10
	s_load_b64 s[0:1], s[2:3], 0xcc
	s_wait_kmcnt 0x0
	v_mul_hi_u32 v8, s5, v9
	s_delay_alu instid0(VALU_DEP_1) | instskip(NEXT) | instid1(VALU_DEP_1)
	v_add_nc_u32_e32 v8, v9, v8
	v_lshrrev_b32_e32 v8, s6, v8
	s_delay_alu instid0(VALU_DEP_1) | instskip(NEXT) | instid1(VALU_DEP_1)
	v_mul_lo_u32 v8, v8, s4
	v_sub_nc_u32_e32 v8, v9, v8
	s_delay_alu instid0(VALU_DEP_1)
	v_mad_u32 v6, v8, s0, v6
	v_mad_u32 v7, v8, s1, v7
.LBB5_72:
	s_load_b256 s[4:11], s[2:3], 0x148
	s_wait_xcnt 0x0
	s_mov_b32 s2, exec_lo
	s_wait_kmcnt 0x0
	global_load_b64 v[8:9], v3, s[6:7]
	s_wait_loadcnt 0x0
	v_mul_f64_e32 v[10:11], s[8:9], v[8:9]
	s_wait_xcnt 0x0
	s_delay_alu instid0(VALU_DEP_1)
	v_cmpx_nlt_f64_e32 s[10:11], v[10:11]
	s_cbranch_execz .LBB5_74
; %bb.73:
	v_mul_f64_e32 v[8:9], 0x3ff71547652b82fe, v[10:11]
	s_mov_b64 s[0:1], 0x3e5ade156a5dcb37
	v_cmp_nlt_f64_e32 vcc_lo, 0x40900000, v[10:11]
	s_delay_alu instid0(VALU_DEP_2) | instskip(NEXT) | instid1(VALU_DEP_1)
	v_rndne_f64_e32 v[8:9], v[8:9]
	v_fmamk_f64 v[12:13], v[8:9], 0xbfe62e42fefa39ef, v[10:11]
	v_cvt_i32_f64_e32 v3, v[8:9]
	s_delay_alu instid0(VALU_DEP_2) | instskip(NEXT) | instid1(VALU_DEP_1)
	v_fmamk_f64 v[12:13], v[8:9], 0xbc7abc9e3b39803f, v[12:13]
	v_fmaak_f64 v[14:15], s[0:1], v[12:13], 0x3e928af3fca7ab0c
	v_cmp_ngt_f64_e64 s0, 0xc090cc00, v[10:11]
	s_delay_alu instid0(VALU_DEP_2) | instskip(NEXT) | instid1(VALU_DEP_1)
	v_fmaak_f64 v[14:15], v[12:13], v[14:15], 0x3ec71dee623fde64
	v_fmaak_f64 v[14:15], v[12:13], v[14:15], 0x3efa01997c89e6b0
	s_delay_alu instid0(VALU_DEP_1) | instskip(NEXT) | instid1(VALU_DEP_1)
	v_fmaak_f64 v[14:15], v[12:13], v[14:15], 0x3f2a01a014761f6e
	v_fmaak_f64 v[14:15], v[12:13], v[14:15], 0x3f56c16c1852b7b0
	s_delay_alu instid0(VALU_DEP_1) | instskip(NEXT) | instid1(VALU_DEP_1)
	;; [unrolled: 3-line block ×4, first 2 shown]
	v_fma_f64 v[14:15], v[12:13], v[14:15], 1.0
	v_fma_f64 v[8:9], v[12:13], v[14:15], 1.0
	s_delay_alu instid0(VALU_DEP_1) | instskip(NEXT) | instid1(VALU_DEP_1)
	v_ldexp_f64 v[8:9], v[8:9], v3
	v_cndmask_b32_e32 v3, 0x7ff00000, v9, vcc_lo
	s_and_b32 vcc_lo, s0, vcc_lo
	s_delay_alu instid0(VALU_DEP_1) | instid1(SALU_CYCLE_1)
	v_dual_cndmask_b32 v8, 0, v8, vcc_lo :: v_dual_cndmask_b32 v9, 0, v3, s0
	s_mov_b64 s[0:1], 0x3fe5555555555555
	s_delay_alu instid0(VALU_DEP_1) | instskip(NEXT) | instid1(VALU_DEP_1)
	v_add_f64_e32 v[10:11], 1.0, v[8:9]
	v_frexp_mant_f64_e32 v[12:13], v[10:11]
	v_frexp_exp_i32_f64_e32 v3, v[10:11]
	s_delay_alu instid0(VALU_DEP_2) | instskip(SKIP_1) | instid1(VALU_DEP_2)
	v_cmp_gt_f64_e32 vcc_lo, s[0:1], v[12:13]
	s_mov_b64 s[0:1], 0x3fc3ab76bf559e2b
	v_subrev_co_ci_u32_e64 v3, null, 0, v3, vcc_lo
	v_cmp_nge_f64_e32 vcc_lo, -1.0, v[8:9]
	s_delay_alu instid0(VALU_DEP_2) | instskip(SKIP_1) | instid1(VALU_DEP_1)
	v_sub_nc_u32_e32 v18, 0, v3
	v_add_f64_e32 v[14:15], -1.0, v[10:11]
	v_add_f64_e64 v[12:13], v[14:15], -v[10:11]
	s_delay_alu instid0(VALU_DEP_3) | instskip(SKIP_1) | instid1(VALU_DEP_3)
	v_ldexp_f64 v[10:11], v[10:11], v18
	v_add_f64_e64 v[14:15], v[8:9], -v[14:15]
	v_add_f64_e32 v[12:13], 1.0, v[12:13]
	s_delay_alu instid0(VALU_DEP_3) | instskip(SKIP_1) | instid1(VALU_DEP_3)
	v_add_f64_e32 v[16:17], 1.0, v[10:11]
	v_add_f64_e32 v[22:23], -1.0, v[10:11]
	v_add_f64_e32 v[12:13], v[14:15], v[12:13]
	s_delay_alu instid0(VALU_DEP_3) | instskip(NEXT) | instid1(VALU_DEP_3)
	v_add_f64_e32 v[14:15], -1.0, v[16:17]
	v_add_f64_e32 v[24:25], 1.0, v[22:23]
	s_delay_alu instid0(VALU_DEP_3) | instskip(NEXT) | instid1(VALU_DEP_3)
	v_ldexp_f64 v[12:13], v[12:13], v18
	v_add_f64_e64 v[14:15], v[10:11], -v[14:15]
	s_delay_alu instid0(VALU_DEP_3) | instskip(NEXT) | instid1(VALU_DEP_2)
	v_add_f64_e64 v[10:11], v[10:11], -v[24:25]
	v_add_f64_e32 v[14:15], v[12:13], v[14:15]
	s_delay_alu instid0(VALU_DEP_2) | instskip(NEXT) | instid1(VALU_DEP_2)
	v_add_f64_e32 v[10:11], v[12:13], v[10:11]
	v_add_f64_e32 v[18:19], v[16:17], v[14:15]
	s_delay_alu instid0(VALU_DEP_2) | instskip(NEXT) | instid1(VALU_DEP_2)
	v_add_f64_e32 v[24:25], v[22:23], v[10:11]
	v_rcp_f64_e32 v[20:21], v[18:19]
	v_add_f64_e64 v[16:17], v[18:19], -v[16:17]
	s_delay_alu instid0(VALU_DEP_2) | instskip(NEXT) | instid1(VALU_DEP_2)
	v_add_f64_e64 v[22:23], v[24:25], -v[22:23]
	v_add_f64_e64 v[14:15], v[14:15], -v[16:17]
	s_delay_alu instid0(VALU_DEP_2) | instskip(NEXT) | instid1(TRANS32_DEP_1)
	v_add_f64_e64 v[10:11], v[10:11], -v[22:23]
	v_fma_f64 v[26:27], -v[18:19], v[20:21], 1.0
	s_delay_alu instid0(VALU_DEP_1) | instskip(NEXT) | instid1(VALU_DEP_1)
	v_fmac_f64_e32 v[20:21], v[26:27], v[20:21]
	v_fma_f64 v[12:13], -v[18:19], v[20:21], 1.0
	s_delay_alu instid0(VALU_DEP_1) | instskip(NEXT) | instid1(VALU_DEP_1)
	v_fmac_f64_e32 v[20:21], v[12:13], v[20:21]
	v_mul_f64_e32 v[12:13], v[24:25], v[20:21]
	s_delay_alu instid0(VALU_DEP_1) | instskip(NEXT) | instid1(VALU_DEP_1)
	v_mul_f64_e32 v[26:27], v[18:19], v[12:13]
	v_fma_f64 v[16:17], v[12:13], v[18:19], -v[26:27]
	s_delay_alu instid0(VALU_DEP_1) | instskip(NEXT) | instid1(VALU_DEP_1)
	v_fmac_f64_e32 v[16:17], v[12:13], v[14:15]
	v_add_f64_e32 v[28:29], v[26:27], v[16:17]
	s_delay_alu instid0(VALU_DEP_1) | instskip(SKIP_1) | instid1(VALU_DEP_2)
	v_add_f64_e64 v[30:31], v[24:25], -v[28:29]
	v_add_f64_e64 v[22:23], v[28:29], -v[26:27]
	;; [unrolled: 1-line block ×3, first 2 shown]
	s_delay_alu instid0(VALU_DEP_2) | instskip(NEXT) | instid1(VALU_DEP_2)
	v_add_f64_e64 v[16:17], v[22:23], -v[16:17]
	v_add_f64_e64 v[24:25], v[24:25], -v[28:29]
	s_delay_alu instid0(VALU_DEP_1) | instskip(NEXT) | instid1(VALU_DEP_1)
	v_add_f64_e32 v[10:11], v[10:11], v[24:25]
	v_add_f64_e32 v[10:11], v[16:17], v[10:11]
	s_delay_alu instid0(VALU_DEP_1) | instskip(NEXT) | instid1(VALU_DEP_1)
	v_add_f64_e32 v[16:17], v[30:31], v[10:11]
	v_mul_f64_e32 v[22:23], v[20:21], v[16:17]
	v_add_f64_e64 v[28:29], v[30:31], -v[16:17]
	s_delay_alu instid0(VALU_DEP_2) | instskip(NEXT) | instid1(VALU_DEP_2)
	v_mul_f64_e32 v[24:25], v[18:19], v[22:23]
	v_add_f64_e32 v[10:11], v[10:11], v[28:29]
	s_delay_alu instid0(VALU_DEP_2) | instskip(NEXT) | instid1(VALU_DEP_1)
	v_fma_f64 v[18:19], v[22:23], v[18:19], -v[24:25]
	v_fmac_f64_e32 v[18:19], v[22:23], v[14:15]
	s_delay_alu instid0(VALU_DEP_1) | instskip(NEXT) | instid1(VALU_DEP_1)
	v_add_f64_e32 v[14:15], v[24:25], v[18:19]
	v_add_f64_e64 v[26:27], v[16:17], -v[14:15]
	v_add_f64_e64 v[24:25], v[14:15], -v[24:25]
	s_delay_alu instid0(VALU_DEP_2) | instskip(NEXT) | instid1(VALU_DEP_1)
	v_add_f64_e64 v[16:17], v[16:17], -v[26:27]
	v_add_f64_e64 v[14:15], v[16:17], -v[14:15]
	s_delay_alu instid0(VALU_DEP_3) | instskip(NEXT) | instid1(VALU_DEP_2)
	v_add_f64_e64 v[16:17], v[24:25], -v[18:19]
	v_add_f64_e32 v[10:11], v[10:11], v[14:15]
	v_add_f64_e32 v[14:15], v[12:13], v[22:23]
	s_delay_alu instid0(VALU_DEP_2) | instskip(NEXT) | instid1(VALU_DEP_2)
	v_add_f64_e32 v[10:11], v[16:17], v[10:11]
	v_add_f64_e64 v[12:13], v[14:15], -v[12:13]
	s_delay_alu instid0(VALU_DEP_2) | instskip(NEXT) | instid1(VALU_DEP_2)
	v_add_f64_e32 v[10:11], v[26:27], v[10:11]
	v_add_f64_e64 v[12:13], v[22:23], -v[12:13]
	s_delay_alu instid0(VALU_DEP_2) | instskip(NEXT) | instid1(VALU_DEP_1)
	v_mul_f64_e32 v[10:11], v[20:21], v[10:11]
	v_add_f64_e32 v[10:11], v[12:13], v[10:11]
	s_delay_alu instid0(VALU_DEP_1) | instskip(NEXT) | instid1(VALU_DEP_1)
	v_add_f64_e32 v[12:13], v[14:15], v[10:11]
	v_mul_f64_e32 v[16:17], v[12:13], v[12:13]
	s_delay_alu instid0(VALU_DEP_1) | instskip(SKIP_2) | instid1(VALU_DEP_2)
	v_fmaak_f64 v[18:19], s[0:1], v[16:17], 0x3fc385386b47b09a
	v_mul_f64_e32 v[20:21], v[12:13], v[16:17]
	s_mov_b64 s[0:1], 0x3fe62e42fefa39ef
	v_fmaak_f64 v[18:19], v[16:17], v[18:19], 0x3fc7474dd7f4df2e
	s_delay_alu instid0(VALU_DEP_1) | instskip(NEXT) | instid1(VALU_DEP_1)
	v_fmaak_f64 v[18:19], v[16:17], v[18:19], 0x3fcc71c016291751
	v_fmaak_f64 v[18:19], v[16:17], v[18:19], 0x3fd249249b27acf1
	s_delay_alu instid0(VALU_DEP_1) | instskip(NEXT) | instid1(VALU_DEP_1)
	v_fmaak_f64 v[18:19], v[16:17], v[18:19], 0x3fd99999998ef7b6
	v_fmaak_f64 v[16:17], v[16:17], v[18:19], 0x3fe5555555555780
	v_ldexp_f64 v[18:19], v[12:13], 1
	v_add_f64_e64 v[12:13], v[12:13], -v[14:15]
	s_delay_alu instid0(VALU_DEP_3) | instskip(SKIP_1) | instid1(VALU_DEP_3)
	v_mul_f64_e32 v[16:17], v[20:21], v[16:17]
	v_cvt_f64_i32_e32 v[20:21], v3
	v_add_f64_e64 v[10:11], v[10:11], -v[12:13]
	s_delay_alu instid0(VALU_DEP_3) | instskip(NEXT) | instid1(VALU_DEP_2)
	v_add_f64_e32 v[14:15], v[18:19], v[16:17]
	v_ldexp_f64 v[10:11], v[10:11], 1
	s_delay_alu instid0(VALU_DEP_2) | instskip(SKIP_1) | instid1(VALU_DEP_2)
	v_add_f64_e64 v[12:13], v[14:15], -v[18:19]
	v_mul_f64_e32 v[18:19], 0x3fe62e42fefa39ef, v[20:21]
	v_add_f64_e64 v[12:13], v[16:17], -v[12:13]
	s_delay_alu instid0(VALU_DEP_2) | instskip(SKIP_2) | instid1(VALU_DEP_4)
	v_fma_f64 v[16:17], v[20:21], s[0:1], -v[18:19]
	v_cmp_neq_f64_e64 s0, 0x7ff00000, v[8:9]
	v_cmp_ngt_f64_e64 s1, -1.0, v[8:9]
	v_add_f64_e32 v[10:11], v[10:11], v[12:13]
	s_delay_alu instid0(VALU_DEP_4) | instskip(SKIP_1) | instid1(VALU_DEP_1)
	v_fmamk_f64 v[12:13], v[20:21], 0x3c7abc9e3b39803f, v[16:17]
	s_and_b32 vcc_lo, vcc_lo, s0
	v_add_f64_e32 v[16:17], v[18:19], v[12:13]
	s_delay_alu instid0(VALU_DEP_3) | instskip(NEXT) | instid1(VALU_DEP_2)
	v_add_f64_e32 v[20:21], v[14:15], v[10:11]
	v_add_f64_e64 v[18:19], v[16:17], -v[18:19]
	s_delay_alu instid0(VALU_DEP_2) | instskip(SKIP_1) | instid1(VALU_DEP_3)
	v_add_f64_e32 v[22:23], v[16:17], v[20:21]
	v_add_f64_e64 v[14:15], v[20:21], -v[14:15]
	v_add_f64_e64 v[12:13], v[12:13], -v[18:19]
	s_delay_alu instid0(VALU_DEP_3) | instskip(NEXT) | instid1(VALU_DEP_3)
	v_add_f64_e64 v[24:25], v[22:23], -v[16:17]
	v_add_f64_e64 v[10:11], v[10:11], -v[14:15]
	s_delay_alu instid0(VALU_DEP_2) | instskip(SKIP_1) | instid1(VALU_DEP_3)
	v_add_f64_e64 v[26:27], v[22:23], -v[24:25]
	v_add_f64_e64 v[14:15], v[20:21], -v[24:25]
	v_add_f64_e32 v[18:19], v[12:13], v[10:11]
	s_delay_alu instid0(VALU_DEP_3) | instskip(NEXT) | instid1(VALU_DEP_1)
	v_add_f64_e64 v[16:17], v[16:17], -v[26:27]
	v_add_f64_e32 v[14:15], v[14:15], v[16:17]
	s_delay_alu instid0(VALU_DEP_3) | instskip(NEXT) | instid1(VALU_DEP_2)
	v_add_f64_e64 v[16:17], v[18:19], -v[12:13]
	v_add_f64_e32 v[14:15], v[18:19], v[14:15]
	s_delay_alu instid0(VALU_DEP_2) | instskip(SKIP_1) | instid1(VALU_DEP_3)
	v_add_f64_e64 v[18:19], v[18:19], -v[16:17]
	v_add_f64_e64 v[10:11], v[10:11], -v[16:17]
	v_add_f64_e32 v[20:21], v[22:23], v[14:15]
	s_delay_alu instid0(VALU_DEP_3) | instskip(NEXT) | instid1(VALU_DEP_2)
	v_add_f64_e64 v[12:13], v[12:13], -v[18:19]
	v_add_f64_e64 v[16:17], v[20:21], -v[22:23]
	s_delay_alu instid0(VALU_DEP_2) | instskip(NEXT) | instid1(VALU_DEP_2)
	v_add_f64_e32 v[10:11], v[10:11], v[12:13]
	v_add_f64_e64 v[12:13], v[14:15], -v[16:17]
	s_delay_alu instid0(VALU_DEP_1) | instskip(NEXT) | instid1(VALU_DEP_1)
	v_add_f64_e32 v[10:11], v[10:11], v[12:13]
	v_add_f64_e32 v[10:11], v[20:21], v[10:11]
	s_delay_alu instid0(VALU_DEP_1) | instskip(SKIP_1) | instid1(VALU_DEP_3)
	v_cndmask_b32_e32 v10, 0, v10, vcc_lo
	v_cmp_neq_f64_e32 vcc_lo, -1.0, v[8:9]
	v_cndmask_b32_e64 v3, 0x7ff00000, v11, s0
	s_delay_alu instid0(VALU_DEP_1) | instskip(NEXT) | instid1(VALU_DEP_1)
	v_cndmask_b32_e64 v3, 0x7ff80000, v3, s1
	v_cndmask_b32_e32 v11, 0xfff00000, v3, vcc_lo
	s_delay_alu instid0(VALU_DEP_1) | instskip(NEXT) | instid1(VALU_DEP_1)
	v_div_scale_f64 v[8:9], null, s[8:9], s[8:9], v[10:11]
	v_rcp_f64_e32 v[12:13], v[8:9]
	v_nop
	s_delay_alu instid0(TRANS32_DEP_1) | instskip(NEXT) | instid1(VALU_DEP_1)
	v_fma_f64 v[14:15], -v[8:9], v[12:13], 1.0
	v_fmac_f64_e32 v[12:13], v[12:13], v[14:15]
	s_delay_alu instid0(VALU_DEP_1) | instskip(NEXT) | instid1(VALU_DEP_1)
	v_fma_f64 v[14:15], -v[8:9], v[12:13], 1.0
	v_fmac_f64_e32 v[12:13], v[12:13], v[14:15]
	v_div_scale_f64 v[14:15], vcc_lo, v[10:11], s[8:9], v[10:11]
	s_delay_alu instid0(VALU_DEP_1) | instskip(NEXT) | instid1(VALU_DEP_1)
	v_mul_f64_e32 v[16:17], v[14:15], v[12:13]
	v_fma_f64 v[8:9], -v[8:9], v[16:17], v[14:15]
	s_delay_alu instid0(VALU_DEP_1) | instskip(NEXT) | instid1(VALU_DEP_1)
	v_div_fmas_f64 v[8:9], v[8:9], v[12:13], v[16:17]
	v_div_fixup_f64 v[8:9], v[8:9], s[8:9], v[10:11]
.LBB5_74:
	s_or_b32 exec_lo, exec_lo, s2
	global_load_b64 v[10:11], v5, s[6:7]
	s_mov_b32 s2, exec_lo
	s_wait_loadcnt 0x0
	v_mul_f64_e32 v[12:13], s[8:9], v[10:11]
	s_wait_xcnt 0x0
	s_delay_alu instid0(VALU_DEP_1)
	v_cmpx_nlt_f64_e32 s[10:11], v[12:13]
	s_cbranch_execz .LBB5_76
; %bb.75:
	v_mul_f64_e32 v[10:11], 0x3ff71547652b82fe, v[12:13]
	s_mov_b64 s[0:1], 0x3e5ade156a5dcb37
	v_cmp_nlt_f64_e32 vcc_lo, 0x40900000, v[12:13]
	s_delay_alu instid0(VALU_DEP_2) | instskip(NEXT) | instid1(VALU_DEP_1)
	v_rndne_f64_e32 v[10:11], v[10:11]
	v_fmamk_f64 v[14:15], v[10:11], 0xbfe62e42fefa39ef, v[12:13]
	v_cvt_i32_f64_e32 v3, v[10:11]
	s_delay_alu instid0(VALU_DEP_2) | instskip(NEXT) | instid1(VALU_DEP_1)
	v_fmamk_f64 v[14:15], v[10:11], 0xbc7abc9e3b39803f, v[14:15]
	v_fmaak_f64 v[16:17], s[0:1], v[14:15], 0x3e928af3fca7ab0c
	v_cmp_ngt_f64_e64 s0, 0xc090cc00, v[12:13]
	s_delay_alu instid0(VALU_DEP_2) | instskip(NEXT) | instid1(VALU_DEP_1)
	v_fmaak_f64 v[16:17], v[14:15], v[16:17], 0x3ec71dee623fde64
	v_fmaak_f64 v[16:17], v[14:15], v[16:17], 0x3efa01997c89e6b0
	s_delay_alu instid0(VALU_DEP_1) | instskip(NEXT) | instid1(VALU_DEP_1)
	v_fmaak_f64 v[16:17], v[14:15], v[16:17], 0x3f2a01a014761f6e
	v_fmaak_f64 v[16:17], v[14:15], v[16:17], 0x3f56c16c1852b7b0
	s_delay_alu instid0(VALU_DEP_1) | instskip(NEXT) | instid1(VALU_DEP_1)
	;; [unrolled: 3-line block ×4, first 2 shown]
	v_fma_f64 v[16:17], v[14:15], v[16:17], 1.0
	v_fma_f64 v[10:11], v[14:15], v[16:17], 1.0
	s_delay_alu instid0(VALU_DEP_1) | instskip(NEXT) | instid1(VALU_DEP_1)
	v_ldexp_f64 v[10:11], v[10:11], v3
	v_cndmask_b32_e32 v3, 0x7ff00000, v11, vcc_lo
	s_and_b32 vcc_lo, s0, vcc_lo
	s_delay_alu instid0(VALU_DEP_1) | instid1(SALU_CYCLE_1)
	v_dual_cndmask_b32 v10, 0, v10, vcc_lo :: v_dual_cndmask_b32 v11, 0, v3, s0
	s_mov_b64 s[0:1], 0x3fe5555555555555
	s_delay_alu instid0(VALU_DEP_1) | instskip(NEXT) | instid1(VALU_DEP_1)
	v_add_f64_e32 v[12:13], 1.0, v[10:11]
	v_frexp_mant_f64_e32 v[14:15], v[12:13]
	v_frexp_exp_i32_f64_e32 v3, v[12:13]
	s_delay_alu instid0(VALU_DEP_2) | instskip(SKIP_1) | instid1(VALU_DEP_2)
	v_cmp_gt_f64_e32 vcc_lo, s[0:1], v[14:15]
	s_mov_b64 s[0:1], 0x3fc3ab76bf559e2b
	v_subrev_co_ci_u32_e64 v3, null, 0, v3, vcc_lo
	v_add_f64_e32 v[16:17], -1.0, v[12:13]
	v_cmp_nge_f64_e32 vcc_lo, -1.0, v[10:11]
	s_delay_alu instid0(VALU_DEP_2) | instskip(NEXT) | instid1(VALU_DEP_1)
	v_dual_add_f64 v[14:15], v[16:17], -v[12:13] :: v_dual_sub_nc_u32 v5, 0, v3
	v_ldexp_f64 v[12:13], v[12:13], v5
	v_add_f64_e64 v[16:17], v[10:11], -v[16:17]
	s_delay_alu instid0(VALU_DEP_3) | instskip(NEXT) | instid1(VALU_DEP_3)
	v_add_f64_e32 v[14:15], 1.0, v[14:15]
	v_add_f64_e32 v[18:19], 1.0, v[12:13]
	v_add_f64_e32 v[24:25], -1.0, v[12:13]
	s_delay_alu instid0(VALU_DEP_3) | instskip(NEXT) | instid1(VALU_DEP_3)
	v_add_f64_e32 v[14:15], v[16:17], v[14:15]
	v_add_f64_e32 v[16:17], -1.0, v[18:19]
	s_delay_alu instid0(VALU_DEP_3) | instskip(NEXT) | instid1(VALU_DEP_3)
	v_add_f64_e32 v[26:27], 1.0, v[24:25]
	v_ldexp_f64 v[14:15], v[14:15], v5
	s_delay_alu instid0(VALU_DEP_3) | instskip(NEXT) | instid1(VALU_DEP_3)
	v_add_f64_e64 v[16:17], v[12:13], -v[16:17]
	v_add_f64_e64 v[12:13], v[12:13], -v[26:27]
	s_delay_alu instid0(VALU_DEP_2) | instskip(NEXT) | instid1(VALU_DEP_2)
	v_add_f64_e32 v[16:17], v[14:15], v[16:17]
	v_add_f64_e32 v[12:13], v[14:15], v[12:13]
	s_delay_alu instid0(VALU_DEP_2) | instskip(NEXT) | instid1(VALU_DEP_2)
	v_add_f64_e32 v[20:21], v[18:19], v[16:17]
	v_add_f64_e32 v[26:27], v[24:25], v[12:13]
	s_delay_alu instid0(VALU_DEP_2) | instskip(SKIP_1) | instid1(VALU_DEP_2)
	v_rcp_f64_e32 v[22:23], v[20:21]
	v_add_f64_e64 v[18:19], v[20:21], -v[18:19]
	v_add_f64_e64 v[24:25], v[26:27], -v[24:25]
	s_delay_alu instid0(VALU_DEP_2) | instskip(NEXT) | instid1(VALU_DEP_2)
	v_add_f64_e64 v[16:17], v[16:17], -v[18:19]
	v_add_f64_e64 v[12:13], v[12:13], -v[24:25]
	s_delay_alu instid0(TRANS32_DEP_1) | instskip(NEXT) | instid1(VALU_DEP_1)
	v_fma_f64 v[28:29], -v[20:21], v[22:23], 1.0
	v_fmac_f64_e32 v[22:23], v[28:29], v[22:23]
	s_delay_alu instid0(VALU_DEP_1) | instskip(NEXT) | instid1(VALU_DEP_1)
	v_fma_f64 v[14:15], -v[20:21], v[22:23], 1.0
	v_fmac_f64_e32 v[22:23], v[14:15], v[22:23]
	s_delay_alu instid0(VALU_DEP_1) | instskip(NEXT) | instid1(VALU_DEP_1)
	v_mul_f64_e32 v[14:15], v[26:27], v[22:23]
	v_mul_f64_e32 v[28:29], v[20:21], v[14:15]
	s_delay_alu instid0(VALU_DEP_1) | instskip(NEXT) | instid1(VALU_DEP_1)
	v_fma_f64 v[18:19], v[14:15], v[20:21], -v[28:29]
	v_fmac_f64_e32 v[18:19], v[14:15], v[16:17]
	s_delay_alu instid0(VALU_DEP_1) | instskip(NEXT) | instid1(VALU_DEP_1)
	v_add_f64_e32 v[30:31], v[28:29], v[18:19]
	v_add_f64_e64 v[32:33], v[26:27], -v[30:31]
	v_add_f64_e64 v[24:25], v[30:31], -v[28:29]
	s_delay_alu instid0(VALU_DEP_2) | instskip(NEXT) | instid1(VALU_DEP_2)
	v_add_f64_e64 v[26:27], v[26:27], -v[32:33]
	v_add_f64_e64 v[18:19], v[24:25], -v[18:19]
	s_delay_alu instid0(VALU_DEP_2) | instskip(NEXT) | instid1(VALU_DEP_1)
	v_add_f64_e64 v[26:27], v[26:27], -v[30:31]
	v_add_f64_e32 v[12:13], v[12:13], v[26:27]
	s_delay_alu instid0(VALU_DEP_1) | instskip(NEXT) | instid1(VALU_DEP_1)
	v_add_f64_e32 v[12:13], v[18:19], v[12:13]
	v_add_f64_e32 v[18:19], v[32:33], v[12:13]
	s_delay_alu instid0(VALU_DEP_1) | instskip(SKIP_1) | instid1(VALU_DEP_2)
	v_mul_f64_e32 v[24:25], v[22:23], v[18:19]
	v_add_f64_e64 v[30:31], v[32:33], -v[18:19]
	v_mul_f64_e32 v[26:27], v[20:21], v[24:25]
	s_delay_alu instid0(VALU_DEP_2) | instskip(NEXT) | instid1(VALU_DEP_2)
	v_add_f64_e32 v[12:13], v[12:13], v[30:31]
	v_fma_f64 v[20:21], v[24:25], v[20:21], -v[26:27]
	s_delay_alu instid0(VALU_DEP_1) | instskip(NEXT) | instid1(VALU_DEP_1)
	v_fmac_f64_e32 v[20:21], v[24:25], v[16:17]
	v_add_f64_e32 v[16:17], v[26:27], v[20:21]
	s_delay_alu instid0(VALU_DEP_1) | instskip(SKIP_1) | instid1(VALU_DEP_2)
	v_add_f64_e64 v[28:29], v[18:19], -v[16:17]
	v_add_f64_e64 v[26:27], v[16:17], -v[26:27]
	;; [unrolled: 1-line block ×3, first 2 shown]
	s_delay_alu instid0(VALU_DEP_1) | instskip(NEXT) | instid1(VALU_DEP_3)
	v_add_f64_e64 v[16:17], v[18:19], -v[16:17]
	v_add_f64_e64 v[18:19], v[26:27], -v[20:21]
	s_delay_alu instid0(VALU_DEP_2) | instskip(SKIP_1) | instid1(VALU_DEP_2)
	v_add_f64_e32 v[12:13], v[12:13], v[16:17]
	v_add_f64_e32 v[16:17], v[14:15], v[24:25]
	;; [unrolled: 1-line block ×3, first 2 shown]
	s_delay_alu instid0(VALU_DEP_2) | instskip(NEXT) | instid1(VALU_DEP_2)
	v_add_f64_e64 v[14:15], v[16:17], -v[14:15]
	v_add_f64_e32 v[12:13], v[28:29], v[12:13]
	s_delay_alu instid0(VALU_DEP_2) | instskip(NEXT) | instid1(VALU_DEP_2)
	v_add_f64_e64 v[14:15], v[24:25], -v[14:15]
	v_mul_f64_e32 v[12:13], v[22:23], v[12:13]
	s_delay_alu instid0(VALU_DEP_1) | instskip(NEXT) | instid1(VALU_DEP_1)
	v_add_f64_e32 v[12:13], v[14:15], v[12:13]
	v_add_f64_e32 v[14:15], v[16:17], v[12:13]
	s_delay_alu instid0(VALU_DEP_1) | instskip(NEXT) | instid1(VALU_DEP_1)
	v_mul_f64_e32 v[18:19], v[14:15], v[14:15]
	v_fmaak_f64 v[20:21], s[0:1], v[18:19], 0x3fc385386b47b09a
	v_mul_f64_e32 v[22:23], v[14:15], v[18:19]
	s_mov_b64 s[0:1], 0x3fe62e42fefa39ef
	s_delay_alu instid0(VALU_DEP_2) | instskip(NEXT) | instid1(VALU_DEP_1)
	v_fmaak_f64 v[20:21], v[18:19], v[20:21], 0x3fc7474dd7f4df2e
	v_fmaak_f64 v[20:21], v[18:19], v[20:21], 0x3fcc71c016291751
	s_delay_alu instid0(VALU_DEP_1) | instskip(NEXT) | instid1(VALU_DEP_1)
	v_fmaak_f64 v[20:21], v[18:19], v[20:21], 0x3fd249249b27acf1
	v_fmaak_f64 v[20:21], v[18:19], v[20:21], 0x3fd99999998ef7b6
	s_delay_alu instid0(VALU_DEP_1) | instskip(SKIP_2) | instid1(VALU_DEP_3)
	v_fmaak_f64 v[18:19], v[18:19], v[20:21], 0x3fe5555555555780
	v_ldexp_f64 v[20:21], v[14:15], 1
	v_add_f64_e64 v[14:15], v[14:15], -v[16:17]
	v_mul_f64_e32 v[18:19], v[22:23], v[18:19]
	v_cvt_f64_i32_e32 v[22:23], v3
	s_delay_alu instid0(VALU_DEP_3) | instskip(NEXT) | instid1(VALU_DEP_3)
	v_add_f64_e64 v[12:13], v[12:13], -v[14:15]
	v_add_f64_e32 v[16:17], v[20:21], v[18:19]
	s_delay_alu instid0(VALU_DEP_2) | instskip(NEXT) | instid1(VALU_DEP_2)
	v_ldexp_f64 v[12:13], v[12:13], 1
	v_add_f64_e64 v[14:15], v[16:17], -v[20:21]
	v_mul_f64_e32 v[20:21], 0x3fe62e42fefa39ef, v[22:23]
	s_delay_alu instid0(VALU_DEP_2) | instskip(NEXT) | instid1(VALU_DEP_2)
	v_add_f64_e64 v[14:15], v[18:19], -v[14:15]
	v_fma_f64 v[18:19], v[22:23], s[0:1], -v[20:21]
	v_cmp_neq_f64_e64 s0, 0x7ff00000, v[10:11]
	v_cmp_ngt_f64_e64 s1, -1.0, v[10:11]
	s_delay_alu instid0(VALU_DEP_4) | instskip(NEXT) | instid1(VALU_DEP_4)
	v_add_f64_e32 v[12:13], v[12:13], v[14:15]
	v_fmamk_f64 v[14:15], v[22:23], 0x3c7abc9e3b39803f, v[18:19]
	s_and_b32 vcc_lo, vcc_lo, s0
	s_delay_alu instid0(VALU_DEP_1) | instskip(NEXT) | instid1(VALU_DEP_3)
	v_add_f64_e32 v[18:19], v[20:21], v[14:15]
	v_add_f64_e32 v[22:23], v[16:17], v[12:13]
	s_delay_alu instid0(VALU_DEP_2) | instskip(NEXT) | instid1(VALU_DEP_2)
	v_add_f64_e64 v[20:21], v[18:19], -v[20:21]
	v_add_f64_e32 v[24:25], v[18:19], v[22:23]
	v_add_f64_e64 v[16:17], v[22:23], -v[16:17]
	s_delay_alu instid0(VALU_DEP_3) | instskip(NEXT) | instid1(VALU_DEP_3)
	v_add_f64_e64 v[14:15], v[14:15], -v[20:21]
	v_add_f64_e64 v[26:27], v[24:25], -v[18:19]
	s_delay_alu instid0(VALU_DEP_3) | instskip(NEXT) | instid1(VALU_DEP_2)
	v_add_f64_e64 v[12:13], v[12:13], -v[16:17]
	v_add_f64_e64 v[28:29], v[24:25], -v[26:27]
	;; [unrolled: 1-line block ×3, first 2 shown]
	s_delay_alu instid0(VALU_DEP_3) | instskip(NEXT) | instid1(VALU_DEP_3)
	v_add_f64_e32 v[20:21], v[14:15], v[12:13]
	v_add_f64_e64 v[18:19], v[18:19], -v[28:29]
	s_delay_alu instid0(VALU_DEP_1) | instskip(NEXT) | instid1(VALU_DEP_3)
	v_add_f64_e32 v[16:17], v[16:17], v[18:19]
	v_add_f64_e64 v[18:19], v[20:21], -v[14:15]
	s_delay_alu instid0(VALU_DEP_2) | instskip(NEXT) | instid1(VALU_DEP_2)
	v_add_f64_e32 v[16:17], v[20:21], v[16:17]
	v_add_f64_e64 v[20:21], v[20:21], -v[18:19]
	v_add_f64_e64 v[12:13], v[12:13], -v[18:19]
	s_delay_alu instid0(VALU_DEP_3) | instskip(NEXT) | instid1(VALU_DEP_3)
	v_add_f64_e32 v[22:23], v[24:25], v[16:17]
	v_add_f64_e64 v[14:15], v[14:15], -v[20:21]
	s_delay_alu instid0(VALU_DEP_2) | instskip(NEXT) | instid1(VALU_DEP_2)
	v_add_f64_e64 v[18:19], v[22:23], -v[24:25]
	v_add_f64_e32 v[12:13], v[12:13], v[14:15]
	s_delay_alu instid0(VALU_DEP_2) | instskip(NEXT) | instid1(VALU_DEP_1)
	v_add_f64_e64 v[14:15], v[16:17], -v[18:19]
	v_add_f64_e32 v[12:13], v[12:13], v[14:15]
	s_delay_alu instid0(VALU_DEP_1) | instskip(NEXT) | instid1(VALU_DEP_1)
	v_add_f64_e32 v[12:13], v[22:23], v[12:13]
	v_cndmask_b32_e32 v12, 0, v12, vcc_lo
	v_cmp_neq_f64_e32 vcc_lo, -1.0, v[10:11]
	s_delay_alu instid0(VALU_DEP_3) | instskip(NEXT) | instid1(VALU_DEP_1)
	v_cndmask_b32_e64 v3, 0x7ff00000, v13, s0
	v_cndmask_b32_e64 v3, 0x7ff80000, v3, s1
	s_delay_alu instid0(VALU_DEP_1) | instskip(NEXT) | instid1(VALU_DEP_1)
	v_cndmask_b32_e32 v13, 0xfff00000, v3, vcc_lo
	v_div_scale_f64 v[10:11], null, s[8:9], s[8:9], v[12:13]
	s_delay_alu instid0(VALU_DEP_1) | instskip(SKIP_1) | instid1(TRANS32_DEP_1)
	v_rcp_f64_e32 v[14:15], v[10:11]
	v_nop
	v_fma_f64 v[16:17], -v[10:11], v[14:15], 1.0
	s_delay_alu instid0(VALU_DEP_1) | instskip(NEXT) | instid1(VALU_DEP_1)
	v_fmac_f64_e32 v[14:15], v[14:15], v[16:17]
	v_fma_f64 v[16:17], -v[10:11], v[14:15], 1.0
	s_delay_alu instid0(VALU_DEP_1) | instskip(SKIP_1) | instid1(VALU_DEP_1)
	v_fmac_f64_e32 v[14:15], v[14:15], v[16:17]
	v_div_scale_f64 v[16:17], vcc_lo, v[12:13], s[8:9], v[12:13]
	v_mul_f64_e32 v[18:19], v[16:17], v[14:15]
	s_delay_alu instid0(VALU_DEP_1) | instskip(NEXT) | instid1(VALU_DEP_1)
	v_fma_f64 v[10:11], -v[10:11], v[18:19], v[16:17]
	v_div_fmas_f64 v[10:11], v[10:11], v[14:15], v[18:19]
	s_delay_alu instid0(VALU_DEP_1)
	v_div_fixup_f64 v[10:11], v[10:11], s[8:9], v[12:13]
.LBB5_76:
	s_or_b32 exec_lo, exec_lo, s2
	global_load_b64 v[12:13], v1, s[6:7]
	s_mov_b32 s2, exec_lo
	s_wait_loadcnt 0x0
	v_mul_f64_e32 v[14:15], s[8:9], v[12:13]
	s_wait_xcnt 0x0
	s_delay_alu instid0(VALU_DEP_1)
	v_cmpx_nlt_f64_e32 s[10:11], v[14:15]
	s_cbranch_execz .LBB5_78
; %bb.77:
	v_mul_f64_e32 v[12:13], 0x3ff71547652b82fe, v[14:15]
	s_mov_b64 s[0:1], 0x3e5ade156a5dcb37
	v_cmp_nlt_f64_e32 vcc_lo, 0x40900000, v[14:15]
	s_delay_alu instid0(VALU_DEP_2) | instskip(NEXT) | instid1(VALU_DEP_1)
	v_rndne_f64_e32 v[12:13], v[12:13]
	v_fmamk_f64 v[16:17], v[12:13], 0xbfe62e42fefa39ef, v[14:15]
	v_cvt_i32_f64_e32 v1, v[12:13]
	s_delay_alu instid0(VALU_DEP_2) | instskip(NEXT) | instid1(VALU_DEP_1)
	v_fmamk_f64 v[16:17], v[12:13], 0xbc7abc9e3b39803f, v[16:17]
	v_fmaak_f64 v[18:19], s[0:1], v[16:17], 0x3e928af3fca7ab0c
	v_cmp_ngt_f64_e64 s0, 0xc090cc00, v[14:15]
	s_delay_alu instid0(VALU_DEP_2) | instskip(NEXT) | instid1(VALU_DEP_1)
	v_fmaak_f64 v[18:19], v[16:17], v[18:19], 0x3ec71dee623fde64
	v_fmaak_f64 v[18:19], v[16:17], v[18:19], 0x3efa01997c89e6b0
	s_delay_alu instid0(VALU_DEP_1) | instskip(NEXT) | instid1(VALU_DEP_1)
	v_fmaak_f64 v[18:19], v[16:17], v[18:19], 0x3f2a01a014761f6e
	v_fmaak_f64 v[18:19], v[16:17], v[18:19], 0x3f56c16c1852b7b0
	s_delay_alu instid0(VALU_DEP_1) | instskip(NEXT) | instid1(VALU_DEP_1)
	;; [unrolled: 3-line block ×4, first 2 shown]
	v_fma_f64 v[18:19], v[16:17], v[18:19], 1.0
	v_fma_f64 v[12:13], v[16:17], v[18:19], 1.0
	s_delay_alu instid0(VALU_DEP_1) | instskip(NEXT) | instid1(VALU_DEP_1)
	v_ldexp_f64 v[12:13], v[12:13], v1
	v_cndmask_b32_e32 v1, 0x7ff00000, v13, vcc_lo
	s_and_b32 vcc_lo, s0, vcc_lo
	s_delay_alu instid0(VALU_DEP_1) | instid1(SALU_CYCLE_1)
	v_dual_cndmask_b32 v12, 0, v12, vcc_lo :: v_dual_cndmask_b32 v13, 0, v1, s0
	s_mov_b64 s[0:1], 0x3fe5555555555555
	s_delay_alu instid0(VALU_DEP_1) | instskip(NEXT) | instid1(VALU_DEP_1)
	v_add_f64_e32 v[14:15], 1.0, v[12:13]
	v_frexp_mant_f64_e32 v[16:17], v[14:15]
	v_frexp_exp_i32_f64_e32 v1, v[14:15]
	s_delay_alu instid0(VALU_DEP_2) | instskip(SKIP_1) | instid1(VALU_DEP_2)
	v_cmp_gt_f64_e32 vcc_lo, s[0:1], v[16:17]
	s_mov_b64 s[0:1], 0x3fc3ab76bf559e2b
	v_subrev_co_ci_u32_e64 v1, null, 0, v1, vcc_lo
	v_add_f64_e32 v[18:19], -1.0, v[14:15]
	v_cmp_nge_f64_e32 vcc_lo, -1.0, v[12:13]
	s_delay_alu instid0(VALU_DEP_2) | instskip(NEXT) | instid1(VALU_DEP_1)
	v_dual_add_f64 v[16:17], v[18:19], -v[14:15] :: v_dual_sub_nc_u32 v3, 0, v1
	v_ldexp_f64 v[14:15], v[14:15], v3
	v_add_f64_e64 v[18:19], v[12:13], -v[18:19]
	s_delay_alu instid0(VALU_DEP_3) | instskip(NEXT) | instid1(VALU_DEP_3)
	v_add_f64_e32 v[16:17], 1.0, v[16:17]
	v_add_f64_e32 v[20:21], 1.0, v[14:15]
	v_add_f64_e32 v[26:27], -1.0, v[14:15]
	s_delay_alu instid0(VALU_DEP_3) | instskip(NEXT) | instid1(VALU_DEP_3)
	v_add_f64_e32 v[16:17], v[18:19], v[16:17]
	v_add_f64_e32 v[18:19], -1.0, v[20:21]
	s_delay_alu instid0(VALU_DEP_3) | instskip(NEXT) | instid1(VALU_DEP_3)
	v_add_f64_e32 v[28:29], 1.0, v[26:27]
	v_ldexp_f64 v[16:17], v[16:17], v3
	s_delay_alu instid0(VALU_DEP_3) | instskip(NEXT) | instid1(VALU_DEP_3)
	v_add_f64_e64 v[18:19], v[14:15], -v[18:19]
	v_add_f64_e64 v[14:15], v[14:15], -v[28:29]
	s_delay_alu instid0(VALU_DEP_2) | instskip(NEXT) | instid1(VALU_DEP_2)
	v_add_f64_e32 v[18:19], v[16:17], v[18:19]
	v_add_f64_e32 v[14:15], v[16:17], v[14:15]
	s_delay_alu instid0(VALU_DEP_2) | instskip(NEXT) | instid1(VALU_DEP_2)
	v_add_f64_e32 v[22:23], v[20:21], v[18:19]
	v_add_f64_e32 v[28:29], v[26:27], v[14:15]
	s_delay_alu instid0(VALU_DEP_2) | instskip(SKIP_1) | instid1(VALU_DEP_2)
	v_rcp_f64_e32 v[24:25], v[22:23]
	v_add_f64_e64 v[20:21], v[22:23], -v[20:21]
	v_add_f64_e64 v[26:27], v[28:29], -v[26:27]
	s_delay_alu instid0(VALU_DEP_2) | instskip(NEXT) | instid1(VALU_DEP_2)
	v_add_f64_e64 v[18:19], v[18:19], -v[20:21]
	v_add_f64_e64 v[14:15], v[14:15], -v[26:27]
	s_delay_alu instid0(TRANS32_DEP_1) | instskip(NEXT) | instid1(VALU_DEP_1)
	v_fma_f64 v[30:31], -v[22:23], v[24:25], 1.0
	v_fmac_f64_e32 v[24:25], v[30:31], v[24:25]
	s_delay_alu instid0(VALU_DEP_1) | instskip(NEXT) | instid1(VALU_DEP_1)
	v_fma_f64 v[16:17], -v[22:23], v[24:25], 1.0
	v_fmac_f64_e32 v[24:25], v[16:17], v[24:25]
	s_delay_alu instid0(VALU_DEP_1) | instskip(NEXT) | instid1(VALU_DEP_1)
	v_mul_f64_e32 v[16:17], v[28:29], v[24:25]
	v_mul_f64_e32 v[30:31], v[22:23], v[16:17]
	s_delay_alu instid0(VALU_DEP_1) | instskip(NEXT) | instid1(VALU_DEP_1)
	v_fma_f64 v[20:21], v[16:17], v[22:23], -v[30:31]
	v_fmac_f64_e32 v[20:21], v[16:17], v[18:19]
	s_delay_alu instid0(VALU_DEP_1) | instskip(NEXT) | instid1(VALU_DEP_1)
	v_add_f64_e32 v[32:33], v[30:31], v[20:21]
	v_add_f64_e64 v[34:35], v[28:29], -v[32:33]
	v_add_f64_e64 v[26:27], v[32:33], -v[30:31]
	s_delay_alu instid0(VALU_DEP_2) | instskip(NEXT) | instid1(VALU_DEP_2)
	v_add_f64_e64 v[28:29], v[28:29], -v[34:35]
	v_add_f64_e64 v[20:21], v[26:27], -v[20:21]
	s_delay_alu instid0(VALU_DEP_2) | instskip(NEXT) | instid1(VALU_DEP_1)
	v_add_f64_e64 v[28:29], v[28:29], -v[32:33]
	v_add_f64_e32 v[14:15], v[14:15], v[28:29]
	s_delay_alu instid0(VALU_DEP_1) | instskip(NEXT) | instid1(VALU_DEP_1)
	v_add_f64_e32 v[14:15], v[20:21], v[14:15]
	v_add_f64_e32 v[20:21], v[34:35], v[14:15]
	s_delay_alu instid0(VALU_DEP_1) | instskip(SKIP_1) | instid1(VALU_DEP_2)
	v_mul_f64_e32 v[26:27], v[24:25], v[20:21]
	v_add_f64_e64 v[32:33], v[34:35], -v[20:21]
	v_mul_f64_e32 v[28:29], v[22:23], v[26:27]
	s_delay_alu instid0(VALU_DEP_2) | instskip(NEXT) | instid1(VALU_DEP_2)
	v_add_f64_e32 v[14:15], v[14:15], v[32:33]
	v_fma_f64 v[22:23], v[26:27], v[22:23], -v[28:29]
	s_delay_alu instid0(VALU_DEP_1) | instskip(NEXT) | instid1(VALU_DEP_1)
	v_fmac_f64_e32 v[22:23], v[26:27], v[18:19]
	v_add_f64_e32 v[18:19], v[28:29], v[22:23]
	s_delay_alu instid0(VALU_DEP_1) | instskip(SKIP_1) | instid1(VALU_DEP_2)
	v_add_f64_e64 v[30:31], v[20:21], -v[18:19]
	v_add_f64_e64 v[28:29], v[18:19], -v[28:29]
	;; [unrolled: 1-line block ×3, first 2 shown]
	s_delay_alu instid0(VALU_DEP_1) | instskip(NEXT) | instid1(VALU_DEP_3)
	v_add_f64_e64 v[18:19], v[20:21], -v[18:19]
	v_add_f64_e64 v[20:21], v[28:29], -v[22:23]
	s_delay_alu instid0(VALU_DEP_2) | instskip(SKIP_1) | instid1(VALU_DEP_2)
	v_add_f64_e32 v[14:15], v[14:15], v[18:19]
	v_add_f64_e32 v[18:19], v[16:17], v[26:27]
	;; [unrolled: 1-line block ×3, first 2 shown]
	s_delay_alu instid0(VALU_DEP_2) | instskip(NEXT) | instid1(VALU_DEP_2)
	v_add_f64_e64 v[16:17], v[18:19], -v[16:17]
	v_add_f64_e32 v[14:15], v[30:31], v[14:15]
	s_delay_alu instid0(VALU_DEP_2) | instskip(NEXT) | instid1(VALU_DEP_2)
	v_add_f64_e64 v[16:17], v[26:27], -v[16:17]
	v_mul_f64_e32 v[14:15], v[24:25], v[14:15]
	s_delay_alu instid0(VALU_DEP_1) | instskip(NEXT) | instid1(VALU_DEP_1)
	v_add_f64_e32 v[14:15], v[16:17], v[14:15]
	v_add_f64_e32 v[16:17], v[18:19], v[14:15]
	s_delay_alu instid0(VALU_DEP_1) | instskip(NEXT) | instid1(VALU_DEP_1)
	v_mul_f64_e32 v[20:21], v[16:17], v[16:17]
	v_fmaak_f64 v[22:23], s[0:1], v[20:21], 0x3fc385386b47b09a
	v_mul_f64_e32 v[24:25], v[16:17], v[20:21]
	s_mov_b64 s[0:1], 0x3fe62e42fefa39ef
	s_delay_alu instid0(VALU_DEP_2) | instskip(NEXT) | instid1(VALU_DEP_1)
	v_fmaak_f64 v[22:23], v[20:21], v[22:23], 0x3fc7474dd7f4df2e
	v_fmaak_f64 v[22:23], v[20:21], v[22:23], 0x3fcc71c016291751
	s_delay_alu instid0(VALU_DEP_1) | instskip(NEXT) | instid1(VALU_DEP_1)
	v_fmaak_f64 v[22:23], v[20:21], v[22:23], 0x3fd249249b27acf1
	v_fmaak_f64 v[22:23], v[20:21], v[22:23], 0x3fd99999998ef7b6
	s_delay_alu instid0(VALU_DEP_1) | instskip(SKIP_2) | instid1(VALU_DEP_3)
	v_fmaak_f64 v[20:21], v[20:21], v[22:23], 0x3fe5555555555780
	v_ldexp_f64 v[22:23], v[16:17], 1
	v_add_f64_e64 v[16:17], v[16:17], -v[18:19]
	v_mul_f64_e32 v[20:21], v[24:25], v[20:21]
	v_cvt_f64_i32_e32 v[24:25], v1
	s_delay_alu instid0(VALU_DEP_3) | instskip(NEXT) | instid1(VALU_DEP_3)
	v_add_f64_e64 v[14:15], v[14:15], -v[16:17]
	v_add_f64_e32 v[18:19], v[22:23], v[20:21]
	s_delay_alu instid0(VALU_DEP_2) | instskip(NEXT) | instid1(VALU_DEP_2)
	v_ldexp_f64 v[14:15], v[14:15], 1
	v_add_f64_e64 v[16:17], v[18:19], -v[22:23]
	v_mul_f64_e32 v[22:23], 0x3fe62e42fefa39ef, v[24:25]
	s_delay_alu instid0(VALU_DEP_2) | instskip(NEXT) | instid1(VALU_DEP_2)
	v_add_f64_e64 v[16:17], v[20:21], -v[16:17]
	v_fma_f64 v[20:21], v[24:25], s[0:1], -v[22:23]
	v_cmp_neq_f64_e64 s0, 0x7ff00000, v[12:13]
	v_cmp_ngt_f64_e64 s1, -1.0, v[12:13]
	s_delay_alu instid0(VALU_DEP_4) | instskip(NEXT) | instid1(VALU_DEP_4)
	v_add_f64_e32 v[14:15], v[14:15], v[16:17]
	v_fmamk_f64 v[16:17], v[24:25], 0x3c7abc9e3b39803f, v[20:21]
	s_and_b32 vcc_lo, vcc_lo, s0
	s_delay_alu instid0(VALU_DEP_1) | instskip(NEXT) | instid1(VALU_DEP_3)
	v_add_f64_e32 v[20:21], v[22:23], v[16:17]
	v_add_f64_e32 v[24:25], v[18:19], v[14:15]
	s_delay_alu instid0(VALU_DEP_2) | instskip(NEXT) | instid1(VALU_DEP_2)
	v_add_f64_e64 v[22:23], v[20:21], -v[22:23]
	v_add_f64_e32 v[26:27], v[20:21], v[24:25]
	v_add_f64_e64 v[18:19], v[24:25], -v[18:19]
	s_delay_alu instid0(VALU_DEP_3) | instskip(NEXT) | instid1(VALU_DEP_3)
	v_add_f64_e64 v[16:17], v[16:17], -v[22:23]
	v_add_f64_e64 v[28:29], v[26:27], -v[20:21]
	s_delay_alu instid0(VALU_DEP_3) | instskip(NEXT) | instid1(VALU_DEP_2)
	v_add_f64_e64 v[14:15], v[14:15], -v[18:19]
	v_add_f64_e64 v[30:31], v[26:27], -v[28:29]
	;; [unrolled: 1-line block ×3, first 2 shown]
	s_delay_alu instid0(VALU_DEP_3) | instskip(NEXT) | instid1(VALU_DEP_3)
	v_add_f64_e32 v[22:23], v[16:17], v[14:15]
	v_add_f64_e64 v[20:21], v[20:21], -v[30:31]
	s_delay_alu instid0(VALU_DEP_1) | instskip(NEXT) | instid1(VALU_DEP_3)
	v_add_f64_e32 v[18:19], v[18:19], v[20:21]
	v_add_f64_e64 v[20:21], v[22:23], -v[16:17]
	s_delay_alu instid0(VALU_DEP_2) | instskip(NEXT) | instid1(VALU_DEP_2)
	v_add_f64_e32 v[18:19], v[22:23], v[18:19]
	v_add_f64_e64 v[22:23], v[22:23], -v[20:21]
	v_add_f64_e64 v[14:15], v[14:15], -v[20:21]
	s_delay_alu instid0(VALU_DEP_3) | instskip(NEXT) | instid1(VALU_DEP_3)
	v_add_f64_e32 v[24:25], v[26:27], v[18:19]
	v_add_f64_e64 v[16:17], v[16:17], -v[22:23]
	s_delay_alu instid0(VALU_DEP_2) | instskip(NEXT) | instid1(VALU_DEP_2)
	v_add_f64_e64 v[20:21], v[24:25], -v[26:27]
	v_add_f64_e32 v[14:15], v[14:15], v[16:17]
	s_delay_alu instid0(VALU_DEP_2) | instskip(NEXT) | instid1(VALU_DEP_1)
	v_add_f64_e64 v[16:17], v[18:19], -v[20:21]
	v_add_f64_e32 v[14:15], v[14:15], v[16:17]
	s_delay_alu instid0(VALU_DEP_1) | instskip(NEXT) | instid1(VALU_DEP_1)
	v_add_f64_e32 v[14:15], v[24:25], v[14:15]
	v_cndmask_b32_e32 v14, 0, v14, vcc_lo
	v_cmp_neq_f64_e32 vcc_lo, -1.0, v[12:13]
	s_delay_alu instid0(VALU_DEP_3) | instskip(NEXT) | instid1(VALU_DEP_1)
	v_cndmask_b32_e64 v1, 0x7ff00000, v15, s0
	v_cndmask_b32_e64 v1, 0x7ff80000, v1, s1
	s_delay_alu instid0(VALU_DEP_1) | instskip(NEXT) | instid1(VALU_DEP_1)
	v_cndmask_b32_e32 v15, 0xfff00000, v1, vcc_lo
	v_div_scale_f64 v[12:13], null, s[8:9], s[8:9], v[14:15]
	s_delay_alu instid0(VALU_DEP_1) | instskip(SKIP_1) | instid1(TRANS32_DEP_1)
	v_rcp_f64_e32 v[16:17], v[12:13]
	v_nop
	v_fma_f64 v[18:19], -v[12:13], v[16:17], 1.0
	s_delay_alu instid0(VALU_DEP_1) | instskip(NEXT) | instid1(VALU_DEP_1)
	v_fmac_f64_e32 v[16:17], v[16:17], v[18:19]
	v_fma_f64 v[18:19], -v[12:13], v[16:17], 1.0
	s_delay_alu instid0(VALU_DEP_1) | instskip(SKIP_1) | instid1(VALU_DEP_1)
	v_fmac_f64_e32 v[16:17], v[16:17], v[18:19]
	v_div_scale_f64 v[18:19], vcc_lo, v[14:15], s[8:9], v[14:15]
	v_mul_f64_e32 v[20:21], v[18:19], v[16:17]
	s_delay_alu instid0(VALU_DEP_1) | instskip(NEXT) | instid1(VALU_DEP_1)
	v_fma_f64 v[12:13], -v[12:13], v[20:21], v[18:19]
	v_div_fmas_f64 v[12:13], v[12:13], v[16:17], v[20:21]
	s_delay_alu instid0(VALU_DEP_1)
	v_div_fixup_f64 v[12:13], v[12:13], s[8:9], v[14:15]
.LBB5_78:
	s_or_b32 exec_lo, exec_lo, s2
	global_load_b64 v[16:17], v7, s[6:7]
	s_mov_b32 s2, exec_lo
	s_wait_loadcnt 0x0
	v_mul_f64_e32 v[14:15], s[8:9], v[16:17]
	s_wait_xcnt 0x0
	s_delay_alu instid0(VALU_DEP_1)
	v_cmpx_nlt_f64_e32 s[10:11], v[14:15]
	s_cbranch_execz .LBB5_80
; %bb.79:
	v_mul_f64_e32 v[16:17], 0x3ff71547652b82fe, v[14:15]
	s_mov_b64 s[0:1], 0x3e5ade156a5dcb37
	v_cmp_nlt_f64_e32 vcc_lo, 0x40900000, v[14:15]
	s_delay_alu instid0(VALU_DEP_2) | instskip(NEXT) | instid1(VALU_DEP_1)
	v_rndne_f64_e32 v[16:17], v[16:17]
	v_fmamk_f64 v[18:19], v[16:17], 0xbfe62e42fefa39ef, v[14:15]
	v_cvt_i32_f64_e32 v1, v[16:17]
	s_delay_alu instid0(VALU_DEP_2) | instskip(NEXT) | instid1(VALU_DEP_1)
	v_fmamk_f64 v[18:19], v[16:17], 0xbc7abc9e3b39803f, v[18:19]
	v_fmaak_f64 v[20:21], s[0:1], v[18:19], 0x3e928af3fca7ab0c
	v_cmp_ngt_f64_e64 s0, 0xc090cc00, v[14:15]
	s_delay_alu instid0(VALU_DEP_2) | instskip(NEXT) | instid1(VALU_DEP_1)
	v_fmaak_f64 v[20:21], v[18:19], v[20:21], 0x3ec71dee623fde64
	v_fmaak_f64 v[20:21], v[18:19], v[20:21], 0x3efa01997c89e6b0
	s_delay_alu instid0(VALU_DEP_1) | instskip(NEXT) | instid1(VALU_DEP_1)
	v_fmaak_f64 v[20:21], v[18:19], v[20:21], 0x3f2a01a014761f6e
	v_fmaak_f64 v[20:21], v[18:19], v[20:21], 0x3f56c16c1852b7b0
	s_delay_alu instid0(VALU_DEP_1) | instskip(NEXT) | instid1(VALU_DEP_1)
	;; [unrolled: 3-line block ×4, first 2 shown]
	v_fma_f64 v[20:21], v[18:19], v[20:21], 1.0
	v_fma_f64 v[16:17], v[18:19], v[20:21], 1.0
	s_delay_alu instid0(VALU_DEP_1) | instskip(NEXT) | instid1(VALU_DEP_1)
	v_ldexp_f64 v[16:17], v[16:17], v1
	v_cndmask_b32_e32 v1, 0x7ff00000, v17, vcc_lo
	s_and_b32 vcc_lo, s0, vcc_lo
	s_delay_alu instid0(VALU_DEP_1) | instid1(SALU_CYCLE_1)
	v_dual_cndmask_b32 v14, 0, v16, vcc_lo :: v_dual_cndmask_b32 v15, 0, v1, s0
	s_mov_b64 s[0:1], 0x3fe5555555555555
	s_delay_alu instid0(VALU_DEP_1) | instskip(NEXT) | instid1(VALU_DEP_1)
	v_add_f64_e32 v[16:17], 1.0, v[14:15]
	v_frexp_mant_f64_e32 v[18:19], v[16:17]
	v_frexp_exp_i32_f64_e32 v1, v[16:17]
	s_delay_alu instid0(VALU_DEP_2) | instskip(SKIP_1) | instid1(VALU_DEP_2)
	v_cmp_gt_f64_e32 vcc_lo, s[0:1], v[18:19]
	s_mov_b64 s[0:1], 0x3fc3ab76bf559e2b
	v_subrev_co_ci_u32_e64 v1, null, 0, v1, vcc_lo
	v_cmp_nge_f64_e32 vcc_lo, -1.0, v[14:15]
	s_delay_alu instid0(VALU_DEP_2) | instskip(SKIP_1) | instid1(VALU_DEP_1)
	v_sub_nc_u32_e32 v3, 0, v1
	v_add_f64_e32 v[20:21], -1.0, v[16:17]
	v_add_f64_e64 v[18:19], v[20:21], -v[16:17]
	s_delay_alu instid0(VALU_DEP_3) | instskip(SKIP_1) | instid1(VALU_DEP_3)
	v_ldexp_f64 v[16:17], v[16:17], v3
	v_add_f64_e64 v[20:21], v[14:15], -v[20:21]
	v_add_f64_e32 v[18:19], 1.0, v[18:19]
	s_delay_alu instid0(VALU_DEP_3) | instskip(SKIP_1) | instid1(VALU_DEP_3)
	v_add_f64_e32 v[22:23], 1.0, v[16:17]
	v_add_f64_e32 v[28:29], -1.0, v[16:17]
	v_add_f64_e32 v[18:19], v[20:21], v[18:19]
	s_delay_alu instid0(VALU_DEP_3) | instskip(NEXT) | instid1(VALU_DEP_3)
	v_add_f64_e32 v[20:21], -1.0, v[22:23]
	v_add_f64_e32 v[30:31], 1.0, v[28:29]
	s_delay_alu instid0(VALU_DEP_3) | instskip(NEXT) | instid1(VALU_DEP_3)
	v_ldexp_f64 v[18:19], v[18:19], v3
	v_add_f64_e64 v[20:21], v[16:17], -v[20:21]
	s_delay_alu instid0(VALU_DEP_3) | instskip(NEXT) | instid1(VALU_DEP_2)
	v_add_f64_e64 v[16:17], v[16:17], -v[30:31]
	v_add_f64_e32 v[20:21], v[18:19], v[20:21]
	s_delay_alu instid0(VALU_DEP_2) | instskip(NEXT) | instid1(VALU_DEP_2)
	v_add_f64_e32 v[16:17], v[18:19], v[16:17]
	v_add_f64_e32 v[24:25], v[22:23], v[20:21]
	s_delay_alu instid0(VALU_DEP_2) | instskip(NEXT) | instid1(VALU_DEP_2)
	v_add_f64_e32 v[30:31], v[28:29], v[16:17]
	v_rcp_f64_e32 v[26:27], v[24:25]
	v_add_f64_e64 v[22:23], v[24:25], -v[22:23]
	s_delay_alu instid0(VALU_DEP_2) | instskip(NEXT) | instid1(VALU_DEP_2)
	v_add_f64_e64 v[28:29], v[30:31], -v[28:29]
	v_add_f64_e64 v[20:21], v[20:21], -v[22:23]
	s_delay_alu instid0(VALU_DEP_2) | instskip(NEXT) | instid1(TRANS32_DEP_1)
	v_add_f64_e64 v[16:17], v[16:17], -v[28:29]
	v_fma_f64 v[32:33], -v[24:25], v[26:27], 1.0
	s_delay_alu instid0(VALU_DEP_1) | instskip(NEXT) | instid1(VALU_DEP_1)
	v_fmac_f64_e32 v[26:27], v[32:33], v[26:27]
	v_fma_f64 v[18:19], -v[24:25], v[26:27], 1.0
	s_delay_alu instid0(VALU_DEP_1) | instskip(NEXT) | instid1(VALU_DEP_1)
	v_fmac_f64_e32 v[26:27], v[18:19], v[26:27]
	v_mul_f64_e32 v[18:19], v[30:31], v[26:27]
	s_delay_alu instid0(VALU_DEP_1) | instskip(NEXT) | instid1(VALU_DEP_1)
	v_mul_f64_e32 v[32:33], v[24:25], v[18:19]
	v_fma_f64 v[22:23], v[18:19], v[24:25], -v[32:33]
	s_delay_alu instid0(VALU_DEP_1) | instskip(NEXT) | instid1(VALU_DEP_1)
	v_fmac_f64_e32 v[22:23], v[18:19], v[20:21]
	v_add_f64_e32 v[34:35], v[32:33], v[22:23]
	s_delay_alu instid0(VALU_DEP_1) | instskip(SKIP_1) | instid1(VALU_DEP_2)
	v_add_f64_e64 v[36:37], v[30:31], -v[34:35]
	v_add_f64_e64 v[28:29], v[34:35], -v[32:33]
	;; [unrolled: 1-line block ×3, first 2 shown]
	s_delay_alu instid0(VALU_DEP_2) | instskip(NEXT) | instid1(VALU_DEP_2)
	v_add_f64_e64 v[22:23], v[28:29], -v[22:23]
	v_add_f64_e64 v[30:31], v[30:31], -v[34:35]
	s_delay_alu instid0(VALU_DEP_1) | instskip(NEXT) | instid1(VALU_DEP_1)
	v_add_f64_e32 v[16:17], v[16:17], v[30:31]
	v_add_f64_e32 v[16:17], v[22:23], v[16:17]
	s_delay_alu instid0(VALU_DEP_1) | instskip(NEXT) | instid1(VALU_DEP_1)
	v_add_f64_e32 v[22:23], v[36:37], v[16:17]
	v_mul_f64_e32 v[28:29], v[26:27], v[22:23]
	v_add_f64_e64 v[34:35], v[36:37], -v[22:23]
	s_delay_alu instid0(VALU_DEP_2) | instskip(NEXT) | instid1(VALU_DEP_2)
	v_mul_f64_e32 v[30:31], v[24:25], v[28:29]
	v_add_f64_e32 v[16:17], v[16:17], v[34:35]
	s_delay_alu instid0(VALU_DEP_2) | instskip(NEXT) | instid1(VALU_DEP_1)
	v_fma_f64 v[24:25], v[28:29], v[24:25], -v[30:31]
	v_fmac_f64_e32 v[24:25], v[28:29], v[20:21]
	s_delay_alu instid0(VALU_DEP_1) | instskip(NEXT) | instid1(VALU_DEP_1)
	v_add_f64_e32 v[20:21], v[30:31], v[24:25]
	v_add_f64_e64 v[32:33], v[22:23], -v[20:21]
	v_add_f64_e64 v[30:31], v[20:21], -v[30:31]
	s_delay_alu instid0(VALU_DEP_2) | instskip(NEXT) | instid1(VALU_DEP_1)
	v_add_f64_e64 v[22:23], v[22:23], -v[32:33]
	v_add_f64_e64 v[20:21], v[22:23], -v[20:21]
	s_delay_alu instid0(VALU_DEP_3) | instskip(NEXT) | instid1(VALU_DEP_2)
	v_add_f64_e64 v[22:23], v[30:31], -v[24:25]
	v_add_f64_e32 v[16:17], v[16:17], v[20:21]
	v_add_f64_e32 v[20:21], v[18:19], v[28:29]
	s_delay_alu instid0(VALU_DEP_2) | instskip(NEXT) | instid1(VALU_DEP_2)
	v_add_f64_e32 v[16:17], v[22:23], v[16:17]
	v_add_f64_e64 v[18:19], v[20:21], -v[18:19]
	s_delay_alu instid0(VALU_DEP_2) | instskip(NEXT) | instid1(VALU_DEP_2)
	v_add_f64_e32 v[16:17], v[32:33], v[16:17]
	v_add_f64_e64 v[18:19], v[28:29], -v[18:19]
	s_delay_alu instid0(VALU_DEP_2) | instskip(NEXT) | instid1(VALU_DEP_1)
	v_mul_f64_e32 v[16:17], v[26:27], v[16:17]
	v_add_f64_e32 v[16:17], v[18:19], v[16:17]
	s_delay_alu instid0(VALU_DEP_1) | instskip(NEXT) | instid1(VALU_DEP_1)
	v_add_f64_e32 v[18:19], v[20:21], v[16:17]
	v_mul_f64_e32 v[22:23], v[18:19], v[18:19]
	s_delay_alu instid0(VALU_DEP_1) | instskip(SKIP_2) | instid1(VALU_DEP_2)
	v_fmaak_f64 v[24:25], s[0:1], v[22:23], 0x3fc385386b47b09a
	v_mul_f64_e32 v[26:27], v[18:19], v[22:23]
	s_mov_b64 s[0:1], 0x3fe62e42fefa39ef
	v_fmaak_f64 v[24:25], v[22:23], v[24:25], 0x3fc7474dd7f4df2e
	s_delay_alu instid0(VALU_DEP_1) | instskip(NEXT) | instid1(VALU_DEP_1)
	v_fmaak_f64 v[24:25], v[22:23], v[24:25], 0x3fcc71c016291751
	v_fmaak_f64 v[24:25], v[22:23], v[24:25], 0x3fd249249b27acf1
	s_delay_alu instid0(VALU_DEP_1) | instskip(NEXT) | instid1(VALU_DEP_1)
	v_fmaak_f64 v[24:25], v[22:23], v[24:25], 0x3fd99999998ef7b6
	v_fmaak_f64 v[22:23], v[22:23], v[24:25], 0x3fe5555555555780
	v_ldexp_f64 v[24:25], v[18:19], 1
	v_add_f64_e64 v[18:19], v[18:19], -v[20:21]
	s_delay_alu instid0(VALU_DEP_3) | instskip(SKIP_1) | instid1(VALU_DEP_3)
	v_mul_f64_e32 v[22:23], v[26:27], v[22:23]
	v_cvt_f64_i32_e32 v[26:27], v1
	v_add_f64_e64 v[16:17], v[16:17], -v[18:19]
	s_delay_alu instid0(VALU_DEP_3) | instskip(NEXT) | instid1(VALU_DEP_2)
	v_add_f64_e32 v[20:21], v[24:25], v[22:23]
	v_ldexp_f64 v[16:17], v[16:17], 1
	s_delay_alu instid0(VALU_DEP_2) | instskip(SKIP_1) | instid1(VALU_DEP_2)
	v_add_f64_e64 v[18:19], v[20:21], -v[24:25]
	v_mul_f64_e32 v[24:25], 0x3fe62e42fefa39ef, v[26:27]
	v_add_f64_e64 v[18:19], v[22:23], -v[18:19]
	s_delay_alu instid0(VALU_DEP_2) | instskip(SKIP_2) | instid1(VALU_DEP_4)
	v_fma_f64 v[22:23], v[26:27], s[0:1], -v[24:25]
	v_cmp_neq_f64_e64 s0, 0x7ff00000, v[14:15]
	v_cmp_ngt_f64_e64 s1, -1.0, v[14:15]
	v_add_f64_e32 v[16:17], v[16:17], v[18:19]
	s_delay_alu instid0(VALU_DEP_4) | instskip(SKIP_1) | instid1(VALU_DEP_1)
	v_fmamk_f64 v[18:19], v[26:27], 0x3c7abc9e3b39803f, v[22:23]
	s_and_b32 vcc_lo, vcc_lo, s0
	v_add_f64_e32 v[22:23], v[24:25], v[18:19]
	s_delay_alu instid0(VALU_DEP_3) | instskip(NEXT) | instid1(VALU_DEP_2)
	v_add_f64_e32 v[26:27], v[20:21], v[16:17]
	v_add_f64_e64 v[24:25], v[22:23], -v[24:25]
	s_delay_alu instid0(VALU_DEP_2) | instskip(SKIP_1) | instid1(VALU_DEP_3)
	v_add_f64_e32 v[28:29], v[22:23], v[26:27]
	v_add_f64_e64 v[20:21], v[26:27], -v[20:21]
	v_add_f64_e64 v[18:19], v[18:19], -v[24:25]
	s_delay_alu instid0(VALU_DEP_3) | instskip(NEXT) | instid1(VALU_DEP_3)
	v_add_f64_e64 v[30:31], v[28:29], -v[22:23]
	v_add_f64_e64 v[16:17], v[16:17], -v[20:21]
	s_delay_alu instid0(VALU_DEP_2) | instskip(SKIP_1) | instid1(VALU_DEP_3)
	v_add_f64_e64 v[32:33], v[28:29], -v[30:31]
	v_add_f64_e64 v[20:21], v[26:27], -v[30:31]
	v_add_f64_e32 v[24:25], v[18:19], v[16:17]
	s_delay_alu instid0(VALU_DEP_3) | instskip(NEXT) | instid1(VALU_DEP_1)
	v_add_f64_e64 v[22:23], v[22:23], -v[32:33]
	v_add_f64_e32 v[20:21], v[20:21], v[22:23]
	s_delay_alu instid0(VALU_DEP_3) | instskip(NEXT) | instid1(VALU_DEP_2)
	v_add_f64_e64 v[22:23], v[24:25], -v[18:19]
	v_add_f64_e32 v[20:21], v[24:25], v[20:21]
	s_delay_alu instid0(VALU_DEP_2) | instskip(SKIP_1) | instid1(VALU_DEP_3)
	v_add_f64_e64 v[24:25], v[24:25], -v[22:23]
	v_add_f64_e64 v[16:17], v[16:17], -v[22:23]
	v_add_f64_e32 v[26:27], v[28:29], v[20:21]
	s_delay_alu instid0(VALU_DEP_3) | instskip(NEXT) | instid1(VALU_DEP_2)
	v_add_f64_e64 v[18:19], v[18:19], -v[24:25]
	v_add_f64_e64 v[22:23], v[26:27], -v[28:29]
	s_delay_alu instid0(VALU_DEP_2) | instskip(NEXT) | instid1(VALU_DEP_2)
	v_add_f64_e32 v[16:17], v[16:17], v[18:19]
	v_add_f64_e64 v[18:19], v[20:21], -v[22:23]
	s_delay_alu instid0(VALU_DEP_1) | instskip(NEXT) | instid1(VALU_DEP_1)
	v_add_f64_e32 v[16:17], v[16:17], v[18:19]
	v_add_f64_e32 v[16:17], v[26:27], v[16:17]
	s_delay_alu instid0(VALU_DEP_1) | instskip(SKIP_1) | instid1(VALU_DEP_3)
	v_cndmask_b32_e32 v16, 0, v16, vcc_lo
	v_cmp_neq_f64_e32 vcc_lo, -1.0, v[14:15]
	v_cndmask_b32_e64 v1, 0x7ff00000, v17, s0
	s_delay_alu instid0(VALU_DEP_1) | instskip(NEXT) | instid1(VALU_DEP_1)
	v_cndmask_b32_e64 v1, 0x7ff80000, v1, s1
	v_cndmask_b32_e32 v17, 0xfff00000, v1, vcc_lo
	s_delay_alu instid0(VALU_DEP_1) | instskip(NEXT) | instid1(VALU_DEP_1)
	v_div_scale_f64 v[14:15], null, s[8:9], s[8:9], v[16:17]
	v_rcp_f64_e32 v[18:19], v[14:15]
	v_nop
	s_delay_alu instid0(TRANS32_DEP_1) | instskip(NEXT) | instid1(VALU_DEP_1)
	v_fma_f64 v[20:21], -v[14:15], v[18:19], 1.0
	v_fmac_f64_e32 v[18:19], v[18:19], v[20:21]
	s_delay_alu instid0(VALU_DEP_1) | instskip(NEXT) | instid1(VALU_DEP_1)
	v_fma_f64 v[20:21], -v[14:15], v[18:19], 1.0
	v_fmac_f64_e32 v[18:19], v[18:19], v[20:21]
	v_div_scale_f64 v[20:21], vcc_lo, v[16:17], s[8:9], v[16:17]
	s_delay_alu instid0(VALU_DEP_1) | instskip(NEXT) | instid1(VALU_DEP_1)
	v_mul_f64_e32 v[22:23], v[20:21], v[18:19]
	v_fma_f64 v[14:15], -v[14:15], v[22:23], v[20:21]
	s_delay_alu instid0(VALU_DEP_1) | instskip(NEXT) | instid1(VALU_DEP_1)
	v_div_fmas_f64 v[14:15], v[14:15], v[18:19], v[22:23]
	v_div_fixup_f64 v[16:17], v[14:15], s[8:9], v[16:17]
.LBB5_80:
	s_or_b32 exec_lo, exec_lo, s2
	s_clause 0x3
	global_store_b64 v2, v[8:9], s[4:5]
	global_store_b64 v4, v[10:11], s[4:5]
	;; [unrolled: 1-line block ×4, first 2 shown]
	s_endpgm
.LBB5_81:
	v_dual_mov_b32 v3, 0 :: v_dual_mov_b32 v2, 0
	s_branch .LBB5_87
.LBB5_82:
	v_dual_mov_b32 v3, 0 :: v_dual_mov_b32 v2, 0
	s_branch .LBB5_105
.LBB5_83:
	v_mov_b64_e32 v[2:3], 0
	v_mov_b32_e32 v1, v0
	s_mov_b32 s0, 0
.LBB5_84:
	s_and_b32 s20, s1, 3
	s_mov_b32 s1, 0
	s_cmp_eq_u32 s20, 0
	s_cbranch_scc1 .LBB5_87
; %bb.85:
	s_lshl_b32 s28, s0, 3
	s_mov_b32 s29, s1
	s_mul_u64 s[30:31], s[0:1], 12
	s_add_nc_u64 s[28:29], s[2:3], s[28:29]
	s_delay_alu instid0(SALU_CYCLE_1)
	s_add_nc_u64 s[0:1], s[28:29], 0xc4
	s_add_nc_u64 s[28:29], s[2:3], s[30:31]
.LBB5_86:                               ; =>This Inner Loop Header: Depth=1
	s_load_b96 s[44:46], s[28:29], 0x4
	s_load_b64 s[30:31], s[0:1], 0x0
	s_add_co_i32 s20, s20, -1
	s_wait_xcnt 0x0
	s_add_nc_u64 s[28:29], s[28:29], 12
	s_cmp_lg_u32 s20, 0
	s_add_nc_u64 s[0:1], s[0:1], 8
	s_wait_kmcnt 0x0
	v_mul_hi_u32 v4, s45, v1
	s_delay_alu instid0(VALU_DEP_1) | instskip(NEXT) | instid1(VALU_DEP_1)
	v_add_nc_u32_e32 v4, v1, v4
	v_lshrrev_b32_e32 v4, s46, v4
	s_delay_alu instid0(VALU_DEP_1) | instskip(NEXT) | instid1(VALU_DEP_1)
	v_mul_lo_u32 v5, v4, s44
	v_sub_nc_u32_e32 v1, v1, v5
	s_delay_alu instid0(VALU_DEP_1)
	v_mad_u32 v3, v1, s31, v3
	v_mad_u32 v2, v1, s30, v2
	v_mov_b32_e32 v1, v4
	s_cbranch_scc1 .LBB5_86
.LBB5_87:
	s_cbranch_execnz .LBB5_90
.LBB5_88:
	v_mov_b32_e32 v1, 0
	s_and_not1_b32 vcc_lo, exec_lo, s37
	s_delay_alu instid0(VALU_DEP_1) | instskip(NEXT) | instid1(VALU_DEP_1)
	v_mul_u64_e32 v[2:3], s[22:23], v[0:1]
	v_add_nc_u32_e32 v2, v0, v3
	s_delay_alu instid0(VALU_DEP_1) | instskip(NEXT) | instid1(VALU_DEP_1)
	v_lshrrev_b32_e32 v4, s14, v2
	v_mul_lo_u32 v2, v4, s12
	s_delay_alu instid0(VALU_DEP_1) | instskip(NEXT) | instid1(VALU_DEP_1)
	v_sub_nc_u32_e32 v2, v0, v2
	v_mul_lo_u32 v3, v2, s17
	v_mul_lo_u32 v2, v2, s16
	s_cbranch_vccnz .LBB5_90
; %bb.89:
	v_mov_b32_e32 v5, v1
	s_delay_alu instid0(VALU_DEP_1) | instskip(NEXT) | instid1(VALU_DEP_1)
	v_mul_u64_e32 v[6:7], s[24:25], v[4:5]
	v_add_nc_u32_e32 v1, v4, v7
	s_delay_alu instid0(VALU_DEP_1) | instskip(NEXT) | instid1(VALU_DEP_1)
	v_lshrrev_b32_e32 v1, s21, v1
	v_mul_lo_u32 v1, v1, s15
	s_delay_alu instid0(VALU_DEP_1) | instskip(NEXT) | instid1(VALU_DEP_1)
	v_sub_nc_u32_e32 v1, v4, v1
	v_mad_u32 v2, v1, s18, v2
	v_mad_u32 v3, v1, s19, v3
.LBB5_90:
	global_load_b64 v[6:7], v3, s[6:7]
	s_mov_b32 s20, exec_lo
	s_wait_loadcnt 0x0
	v_mul_f64_e32 v[4:5], s[8:9], v[6:7]
	s_delay_alu instid0(VALU_DEP_1)
	v_cmpx_nlt_f64_e32 s[10:11], v[4:5]
	s_cbranch_execz .LBB5_92
; %bb.91:
	v_mul_f64_e32 v[6:7], 0x3ff71547652b82fe, v[4:5]
	s_mov_b64 s[0:1], 0x3e5ade156a5dcb37
	v_cmp_nlt_f64_e32 vcc_lo, 0x40900000, v[4:5]
	s_delay_alu instid0(VALU_DEP_2) | instskip(NEXT) | instid1(VALU_DEP_1)
	v_rndne_f64_e32 v[6:7], v[6:7]
	v_fmamk_f64 v[8:9], v[6:7], 0xbfe62e42fefa39ef, v[4:5]
	v_cvt_i32_f64_e32 v1, v[6:7]
	s_delay_alu instid0(VALU_DEP_2) | instskip(NEXT) | instid1(VALU_DEP_1)
	v_fmamk_f64 v[8:9], v[6:7], 0xbc7abc9e3b39803f, v[8:9]
	v_fmaak_f64 v[10:11], s[0:1], v[8:9], 0x3e928af3fca7ab0c
	v_cmp_ngt_f64_e64 s0, 0xc090cc00, v[4:5]
	s_delay_alu instid0(VALU_DEP_2) | instskip(NEXT) | instid1(VALU_DEP_1)
	v_fmaak_f64 v[10:11], v[8:9], v[10:11], 0x3ec71dee623fde64
	v_fmaak_f64 v[10:11], v[8:9], v[10:11], 0x3efa01997c89e6b0
	s_delay_alu instid0(VALU_DEP_1) | instskip(NEXT) | instid1(VALU_DEP_1)
	v_fmaak_f64 v[10:11], v[8:9], v[10:11], 0x3f2a01a014761f6e
	v_fmaak_f64 v[10:11], v[8:9], v[10:11], 0x3f56c16c1852b7b0
	s_delay_alu instid0(VALU_DEP_1) | instskip(NEXT) | instid1(VALU_DEP_1)
	;; [unrolled: 3-line block ×4, first 2 shown]
	v_fma_f64 v[10:11], v[8:9], v[10:11], 1.0
	v_fma_f64 v[6:7], v[8:9], v[10:11], 1.0
	s_delay_alu instid0(VALU_DEP_1) | instskip(NEXT) | instid1(VALU_DEP_1)
	v_ldexp_f64 v[6:7], v[6:7], v1
	v_cndmask_b32_e32 v1, 0x7ff00000, v7, vcc_lo
	s_and_b32 vcc_lo, s0, vcc_lo
	s_delay_alu instid0(VALU_DEP_1) | instid1(SALU_CYCLE_1)
	v_dual_cndmask_b32 v4, 0, v6, vcc_lo :: v_dual_cndmask_b32 v5, 0, v1, s0
	s_mov_b64 s[0:1], 0x3fe5555555555555
	s_delay_alu instid0(VALU_DEP_1) | instskip(NEXT) | instid1(VALU_DEP_1)
	v_add_f64_e32 v[6:7], 1.0, v[4:5]
	v_frexp_mant_f64_e32 v[8:9], v[6:7]
	v_frexp_exp_i32_f64_e32 v1, v[6:7]
	s_delay_alu instid0(VALU_DEP_2) | instskip(SKIP_1) | instid1(VALU_DEP_2)
	v_cmp_gt_f64_e32 vcc_lo, s[0:1], v[8:9]
	s_mov_b64 s[0:1], 0x3fc3ab76bf559e2b
	v_subrev_co_ci_u32_e64 v1, null, 0, v1, vcc_lo
	v_add_f64_e32 v[10:11], -1.0, v[6:7]
	v_cmp_nge_f64_e32 vcc_lo, -1.0, v[4:5]
	s_delay_alu instid0(VALU_DEP_2) | instskip(NEXT) | instid1(VALU_DEP_1)
	v_dual_add_f64 v[8:9], v[10:11], -v[6:7] :: v_dual_sub_nc_u32 v3, 0, v1
	v_ldexp_f64 v[6:7], v[6:7], v3
	v_add_f64_e64 v[10:11], v[4:5], -v[10:11]
	s_delay_alu instid0(VALU_DEP_3) | instskip(NEXT) | instid1(VALU_DEP_3)
	v_add_f64_e32 v[8:9], 1.0, v[8:9]
	v_add_f64_e32 v[12:13], 1.0, v[6:7]
	v_add_f64_e32 v[18:19], -1.0, v[6:7]
	s_delay_alu instid0(VALU_DEP_3) | instskip(NEXT) | instid1(VALU_DEP_3)
	v_add_f64_e32 v[8:9], v[10:11], v[8:9]
	v_add_f64_e32 v[10:11], -1.0, v[12:13]
	s_delay_alu instid0(VALU_DEP_3) | instskip(NEXT) | instid1(VALU_DEP_3)
	v_add_f64_e32 v[20:21], 1.0, v[18:19]
	v_ldexp_f64 v[8:9], v[8:9], v3
	s_delay_alu instid0(VALU_DEP_3) | instskip(NEXT) | instid1(VALU_DEP_3)
	v_add_f64_e64 v[10:11], v[6:7], -v[10:11]
	v_add_f64_e64 v[6:7], v[6:7], -v[20:21]
	s_delay_alu instid0(VALU_DEP_2) | instskip(NEXT) | instid1(VALU_DEP_2)
	v_add_f64_e32 v[10:11], v[8:9], v[10:11]
	v_add_f64_e32 v[6:7], v[8:9], v[6:7]
	s_delay_alu instid0(VALU_DEP_2) | instskip(NEXT) | instid1(VALU_DEP_2)
	v_add_f64_e32 v[14:15], v[12:13], v[10:11]
	v_add_f64_e32 v[20:21], v[18:19], v[6:7]
	s_delay_alu instid0(VALU_DEP_2) | instskip(SKIP_1) | instid1(VALU_DEP_2)
	v_rcp_f64_e32 v[16:17], v[14:15]
	v_add_f64_e64 v[12:13], v[14:15], -v[12:13]
	v_add_f64_e64 v[18:19], v[20:21], -v[18:19]
	s_delay_alu instid0(VALU_DEP_2) | instskip(NEXT) | instid1(VALU_DEP_2)
	v_add_f64_e64 v[10:11], v[10:11], -v[12:13]
	v_add_f64_e64 v[6:7], v[6:7], -v[18:19]
	s_delay_alu instid0(TRANS32_DEP_1) | instskip(NEXT) | instid1(VALU_DEP_1)
	v_fma_f64 v[22:23], -v[14:15], v[16:17], 1.0
	v_fmac_f64_e32 v[16:17], v[22:23], v[16:17]
	s_delay_alu instid0(VALU_DEP_1) | instskip(NEXT) | instid1(VALU_DEP_1)
	v_fma_f64 v[8:9], -v[14:15], v[16:17], 1.0
	v_fmac_f64_e32 v[16:17], v[8:9], v[16:17]
	s_delay_alu instid0(VALU_DEP_1) | instskip(NEXT) | instid1(VALU_DEP_1)
	v_mul_f64_e32 v[8:9], v[20:21], v[16:17]
	v_mul_f64_e32 v[22:23], v[14:15], v[8:9]
	s_delay_alu instid0(VALU_DEP_1) | instskip(NEXT) | instid1(VALU_DEP_1)
	v_fma_f64 v[12:13], v[8:9], v[14:15], -v[22:23]
	v_fmac_f64_e32 v[12:13], v[8:9], v[10:11]
	s_delay_alu instid0(VALU_DEP_1) | instskip(NEXT) | instid1(VALU_DEP_1)
	v_add_f64_e32 v[24:25], v[22:23], v[12:13]
	v_add_f64_e64 v[26:27], v[20:21], -v[24:25]
	v_add_f64_e64 v[18:19], v[24:25], -v[22:23]
	s_delay_alu instid0(VALU_DEP_2) | instskip(NEXT) | instid1(VALU_DEP_2)
	v_add_f64_e64 v[20:21], v[20:21], -v[26:27]
	v_add_f64_e64 v[12:13], v[18:19], -v[12:13]
	s_delay_alu instid0(VALU_DEP_2) | instskip(NEXT) | instid1(VALU_DEP_1)
	v_add_f64_e64 v[20:21], v[20:21], -v[24:25]
	v_add_f64_e32 v[6:7], v[6:7], v[20:21]
	s_delay_alu instid0(VALU_DEP_1) | instskip(NEXT) | instid1(VALU_DEP_1)
	v_add_f64_e32 v[6:7], v[12:13], v[6:7]
	v_add_f64_e32 v[12:13], v[26:27], v[6:7]
	s_delay_alu instid0(VALU_DEP_1) | instskip(SKIP_1) | instid1(VALU_DEP_2)
	v_mul_f64_e32 v[18:19], v[16:17], v[12:13]
	v_add_f64_e64 v[24:25], v[26:27], -v[12:13]
	v_mul_f64_e32 v[20:21], v[14:15], v[18:19]
	s_delay_alu instid0(VALU_DEP_2) | instskip(NEXT) | instid1(VALU_DEP_2)
	v_add_f64_e32 v[6:7], v[6:7], v[24:25]
	v_fma_f64 v[14:15], v[18:19], v[14:15], -v[20:21]
	s_delay_alu instid0(VALU_DEP_1) | instskip(NEXT) | instid1(VALU_DEP_1)
	v_fmac_f64_e32 v[14:15], v[18:19], v[10:11]
	v_add_f64_e32 v[10:11], v[20:21], v[14:15]
	s_delay_alu instid0(VALU_DEP_1) | instskip(SKIP_1) | instid1(VALU_DEP_2)
	v_add_f64_e64 v[22:23], v[12:13], -v[10:11]
	v_add_f64_e64 v[20:21], v[10:11], -v[20:21]
	;; [unrolled: 1-line block ×3, first 2 shown]
	s_delay_alu instid0(VALU_DEP_1) | instskip(NEXT) | instid1(VALU_DEP_3)
	v_add_f64_e64 v[10:11], v[12:13], -v[10:11]
	v_add_f64_e64 v[12:13], v[20:21], -v[14:15]
	s_delay_alu instid0(VALU_DEP_2) | instskip(SKIP_1) | instid1(VALU_DEP_2)
	v_add_f64_e32 v[6:7], v[6:7], v[10:11]
	v_add_f64_e32 v[10:11], v[8:9], v[18:19]
	;; [unrolled: 1-line block ×3, first 2 shown]
	s_delay_alu instid0(VALU_DEP_2) | instskip(NEXT) | instid1(VALU_DEP_2)
	v_add_f64_e64 v[8:9], v[10:11], -v[8:9]
	v_add_f64_e32 v[6:7], v[22:23], v[6:7]
	s_delay_alu instid0(VALU_DEP_2) | instskip(NEXT) | instid1(VALU_DEP_2)
	v_add_f64_e64 v[8:9], v[18:19], -v[8:9]
	v_mul_f64_e32 v[6:7], v[16:17], v[6:7]
	s_delay_alu instid0(VALU_DEP_1) | instskip(NEXT) | instid1(VALU_DEP_1)
	v_add_f64_e32 v[6:7], v[8:9], v[6:7]
	v_add_f64_e32 v[8:9], v[10:11], v[6:7]
	s_delay_alu instid0(VALU_DEP_1) | instskip(NEXT) | instid1(VALU_DEP_1)
	v_mul_f64_e32 v[12:13], v[8:9], v[8:9]
	v_fmaak_f64 v[14:15], s[0:1], v[12:13], 0x3fc385386b47b09a
	v_mul_f64_e32 v[16:17], v[8:9], v[12:13]
	s_mov_b64 s[0:1], 0x3fe62e42fefa39ef
	s_delay_alu instid0(VALU_DEP_2) | instskip(NEXT) | instid1(VALU_DEP_1)
	v_fmaak_f64 v[14:15], v[12:13], v[14:15], 0x3fc7474dd7f4df2e
	v_fmaak_f64 v[14:15], v[12:13], v[14:15], 0x3fcc71c016291751
	s_delay_alu instid0(VALU_DEP_1) | instskip(NEXT) | instid1(VALU_DEP_1)
	v_fmaak_f64 v[14:15], v[12:13], v[14:15], 0x3fd249249b27acf1
	v_fmaak_f64 v[14:15], v[12:13], v[14:15], 0x3fd99999998ef7b6
	s_delay_alu instid0(VALU_DEP_1) | instskip(SKIP_2) | instid1(VALU_DEP_3)
	v_fmaak_f64 v[12:13], v[12:13], v[14:15], 0x3fe5555555555780
	v_ldexp_f64 v[14:15], v[8:9], 1
	v_add_f64_e64 v[8:9], v[8:9], -v[10:11]
	v_mul_f64_e32 v[12:13], v[16:17], v[12:13]
	v_cvt_f64_i32_e32 v[16:17], v1
	s_delay_alu instid0(VALU_DEP_3) | instskip(NEXT) | instid1(VALU_DEP_3)
	v_add_f64_e64 v[6:7], v[6:7], -v[8:9]
	v_add_f64_e32 v[10:11], v[14:15], v[12:13]
	s_delay_alu instid0(VALU_DEP_2) | instskip(NEXT) | instid1(VALU_DEP_2)
	v_ldexp_f64 v[6:7], v[6:7], 1
	v_add_f64_e64 v[8:9], v[10:11], -v[14:15]
	v_mul_f64_e32 v[14:15], 0x3fe62e42fefa39ef, v[16:17]
	s_delay_alu instid0(VALU_DEP_2) | instskip(NEXT) | instid1(VALU_DEP_2)
	v_add_f64_e64 v[8:9], v[12:13], -v[8:9]
	v_fma_f64 v[12:13], v[16:17], s[0:1], -v[14:15]
	v_cmp_neq_f64_e64 s0, 0x7ff00000, v[4:5]
	v_cmp_ngt_f64_e64 s1, -1.0, v[4:5]
	s_delay_alu instid0(VALU_DEP_4) | instskip(NEXT) | instid1(VALU_DEP_4)
	v_add_f64_e32 v[6:7], v[6:7], v[8:9]
	v_fmamk_f64 v[8:9], v[16:17], 0x3c7abc9e3b39803f, v[12:13]
	s_and_b32 vcc_lo, vcc_lo, s0
	s_delay_alu instid0(VALU_DEP_1) | instskip(NEXT) | instid1(VALU_DEP_3)
	v_add_f64_e32 v[12:13], v[14:15], v[8:9]
	v_add_f64_e32 v[16:17], v[10:11], v[6:7]
	s_delay_alu instid0(VALU_DEP_2) | instskip(NEXT) | instid1(VALU_DEP_2)
	v_add_f64_e64 v[14:15], v[12:13], -v[14:15]
	v_add_f64_e32 v[18:19], v[12:13], v[16:17]
	v_add_f64_e64 v[10:11], v[16:17], -v[10:11]
	s_delay_alu instid0(VALU_DEP_3) | instskip(NEXT) | instid1(VALU_DEP_3)
	v_add_f64_e64 v[8:9], v[8:9], -v[14:15]
	v_add_f64_e64 v[20:21], v[18:19], -v[12:13]
	s_delay_alu instid0(VALU_DEP_3) | instskip(NEXT) | instid1(VALU_DEP_2)
	v_add_f64_e64 v[6:7], v[6:7], -v[10:11]
	v_add_f64_e64 v[22:23], v[18:19], -v[20:21]
	;; [unrolled: 1-line block ×3, first 2 shown]
	s_delay_alu instid0(VALU_DEP_3) | instskip(NEXT) | instid1(VALU_DEP_3)
	v_add_f64_e32 v[14:15], v[8:9], v[6:7]
	v_add_f64_e64 v[12:13], v[12:13], -v[22:23]
	s_delay_alu instid0(VALU_DEP_1) | instskip(NEXT) | instid1(VALU_DEP_3)
	v_add_f64_e32 v[10:11], v[10:11], v[12:13]
	v_add_f64_e64 v[12:13], v[14:15], -v[8:9]
	s_delay_alu instid0(VALU_DEP_2) | instskip(NEXT) | instid1(VALU_DEP_2)
	v_add_f64_e32 v[10:11], v[14:15], v[10:11]
	v_add_f64_e64 v[14:15], v[14:15], -v[12:13]
	v_add_f64_e64 v[6:7], v[6:7], -v[12:13]
	s_delay_alu instid0(VALU_DEP_3) | instskip(NEXT) | instid1(VALU_DEP_3)
	v_add_f64_e32 v[16:17], v[18:19], v[10:11]
	v_add_f64_e64 v[8:9], v[8:9], -v[14:15]
	s_delay_alu instid0(VALU_DEP_2) | instskip(NEXT) | instid1(VALU_DEP_2)
	v_add_f64_e64 v[12:13], v[16:17], -v[18:19]
	v_add_f64_e32 v[6:7], v[6:7], v[8:9]
	s_delay_alu instid0(VALU_DEP_2) | instskip(NEXT) | instid1(VALU_DEP_1)
	v_add_f64_e64 v[8:9], v[10:11], -v[12:13]
	v_add_f64_e32 v[6:7], v[6:7], v[8:9]
	s_delay_alu instid0(VALU_DEP_1) | instskip(NEXT) | instid1(VALU_DEP_1)
	v_add_f64_e32 v[6:7], v[16:17], v[6:7]
	v_cndmask_b32_e32 v6, 0, v6, vcc_lo
	v_cmp_neq_f64_e32 vcc_lo, -1.0, v[4:5]
	s_delay_alu instid0(VALU_DEP_3) | instskip(NEXT) | instid1(VALU_DEP_1)
	v_cndmask_b32_e64 v1, 0x7ff00000, v7, s0
	v_cndmask_b32_e64 v1, 0x7ff80000, v1, s1
	s_delay_alu instid0(VALU_DEP_1) | instskip(NEXT) | instid1(VALU_DEP_1)
	v_cndmask_b32_e32 v7, 0xfff00000, v1, vcc_lo
	v_div_scale_f64 v[4:5], null, s[8:9], s[8:9], v[6:7]
	s_delay_alu instid0(VALU_DEP_1) | instskip(SKIP_1) | instid1(TRANS32_DEP_1)
	v_rcp_f64_e32 v[8:9], v[4:5]
	v_nop
	v_fma_f64 v[10:11], -v[4:5], v[8:9], 1.0
	s_delay_alu instid0(VALU_DEP_1) | instskip(NEXT) | instid1(VALU_DEP_1)
	v_fmac_f64_e32 v[8:9], v[8:9], v[10:11]
	v_fma_f64 v[10:11], -v[4:5], v[8:9], 1.0
	s_delay_alu instid0(VALU_DEP_1) | instskip(SKIP_1) | instid1(VALU_DEP_1)
	v_fmac_f64_e32 v[8:9], v[8:9], v[10:11]
	v_div_scale_f64 v[10:11], vcc_lo, v[6:7], s[8:9], v[6:7]
	v_mul_f64_e32 v[12:13], v[10:11], v[8:9]
	s_delay_alu instid0(VALU_DEP_1) | instskip(NEXT) | instid1(VALU_DEP_1)
	v_fma_f64 v[4:5], -v[4:5], v[12:13], v[10:11]
	v_div_fmas_f64 v[4:5], v[4:5], v[8:9], v[12:13]
	s_delay_alu instid0(VALU_DEP_1)
	v_div_fixup_f64 v[6:7], v[4:5], s[8:9], v[6:7]
.LBB5_92:
	s_or_b32 exec_lo, exec_lo, s20
	v_add_nc_u32_e32 v0, 0x80, v0
	global_store_b64 v2, v[6:7], s[4:5]
	s_wait_xcnt 0x0
	s_or_b32 exec_lo, exec_lo, s13
	s_delay_alu instid0(SALU_CYCLE_1)
	s_mov_b32 s13, exec_lo
	v_cmpx_gt_i32_e64 s38, v0
	s_cbranch_execnz .LBB5_15
.LBB5_93:
	s_or_b32 exec_lo, exec_lo, s13
	s_delay_alu instid0(SALU_CYCLE_1)
	s_mov_b32 s13, exec_lo
	v_cmpx_gt_i32_e64 s38, v0
	s_cbranch_execz .LBB5_111
.LBB5_94:
	s_and_not1_b32 vcc_lo, exec_lo, s35
	s_cbranch_vccnz .LBB5_99
; %bb.95:
	s_and_not1_b32 vcc_lo, exec_lo, s40
	s_cbranch_vccnz .LBB5_100
; %bb.96:
	s_add_co_i32 s1, s39, 1
	s_cmp_eq_u32 s34, 2
	s_cbranch_scc1 .LBB5_114
; %bb.97:
	v_dual_mov_b32 v2, 0 :: v_dual_mov_b32 v3, 0
	v_mov_b32_e32 v1, v0
	s_and_b32 s0, s1, 28
	s_mov_b32 s20, 0
	s_mov_b64 s[28:29], s[2:3]
	s_mov_b64 s[30:31], s[26:27]
.LBB5_98:                               ; =>This Inner Loop Header: Depth=1
	s_clause 0x1
	s_load_b256 s[44:51], s[28:29], 0x4
	s_load_b128 s[60:63], s[28:29], 0x24
	s_load_b256 s[52:59], s[30:31], 0x0
	s_add_co_i32 s20, s20, 4
	s_wait_xcnt 0x0
	s_add_nc_u64 s[28:29], s[28:29], 48
	s_cmp_eq_u32 s0, s20
	s_add_nc_u64 s[30:31], s[30:31], 32
	s_wait_kmcnt 0x0
	v_mul_hi_u32 v4, s45, v1
	s_delay_alu instid0(VALU_DEP_1) | instskip(NEXT) | instid1(VALU_DEP_1)
	v_add_nc_u32_e32 v4, v1, v4
	v_lshrrev_b32_e32 v4, s46, v4
	s_delay_alu instid0(VALU_DEP_1) | instskip(NEXT) | instid1(VALU_DEP_1)
	v_mul_hi_u32 v5, s48, v4
	v_add_nc_u32_e32 v5, v4, v5
	s_delay_alu instid0(VALU_DEP_1) | instskip(NEXT) | instid1(VALU_DEP_1)
	v_lshrrev_b32_e32 v5, s49, v5
	v_mul_hi_u32 v6, s51, v5
	s_delay_alu instid0(VALU_DEP_1) | instskip(SKIP_1) | instid1(VALU_DEP_1)
	v_add_nc_u32_e32 v6, v5, v6
	v_mul_lo_u32 v7, v4, s44
	v_sub_nc_u32_e32 v1, v1, v7
	v_mul_lo_u32 v7, v5, s47
	s_delay_alu instid0(VALU_DEP_4) | instskip(NEXT) | instid1(VALU_DEP_3)
	v_lshrrev_b32_e32 v6, s60, v6
	v_mad_u32 v3, v1, s53, v3
	v_mad_u32 v1, v1, s52, v2
	s_delay_alu instid0(VALU_DEP_4) | instskip(NEXT) | instid1(VALU_DEP_4)
	v_sub_nc_u32_e32 v2, v4, v7
	v_mul_hi_u32 v8, s62, v6
	v_mul_lo_u32 v4, v6, s50
	s_delay_alu instid0(VALU_DEP_3) | instskip(SKIP_1) | instid1(VALU_DEP_4)
	v_mad_u32 v3, v2, s55, v3
	v_mad_u32 v2, v2, s54, v1
	v_add_nc_u32_e32 v7, v6, v8
	s_delay_alu instid0(VALU_DEP_1) | instskip(NEXT) | instid1(VALU_DEP_1)
	v_dual_sub_nc_u32 v4, v5, v4 :: v_dual_lshrrev_b32 v1, s63, v7
	v_mad_u32 v3, v4, s57, v3
	s_delay_alu instid0(VALU_DEP_4) | instskip(NEXT) | instid1(VALU_DEP_3)
	v_mad_u32 v2, v4, s56, v2
	v_mul_lo_u32 v5, v1, s61
	s_delay_alu instid0(VALU_DEP_1) | instskip(NEXT) | instid1(VALU_DEP_1)
	v_sub_nc_u32_e32 v4, v6, v5
	v_mad_u32 v3, v4, s59, v3
	s_delay_alu instid0(VALU_DEP_4)
	v_mad_u32 v2, v4, s58, v2
	s_cbranch_scc0 .LBB5_98
	s_branch .LBB5_115
.LBB5_99:
                                        ; implicit-def: $vgpr3
	s_branch .LBB5_119
.LBB5_100:
	v_dual_mov_b32 v3, 0 :: v_dual_mov_b32 v2, 0
	s_branch .LBB5_118
.LBB5_101:
	v_mov_b64_e32 v[2:3], 0
	v_mov_b32_e32 v1, v0
	s_mov_b32 s0, 0
.LBB5_102:
	s_and_b32 s20, s1, 3
	s_mov_b32 s1, 0
	s_cmp_eq_u32 s20, 0
	s_cbranch_scc1 .LBB5_105
; %bb.103:
	s_lshl_b32 s28, s0, 3
	s_mov_b32 s29, s1
	s_mul_u64 s[30:31], s[0:1], 12
	s_add_nc_u64 s[28:29], s[2:3], s[28:29]
	s_delay_alu instid0(SALU_CYCLE_1)
	s_add_nc_u64 s[0:1], s[28:29], 0xc4
	s_add_nc_u64 s[28:29], s[2:3], s[30:31]
.LBB5_104:                              ; =>This Inner Loop Header: Depth=1
	s_load_b96 s[44:46], s[28:29], 0x4
	s_load_b64 s[30:31], s[0:1], 0x0
	s_add_co_i32 s20, s20, -1
	s_wait_xcnt 0x0
	s_add_nc_u64 s[28:29], s[28:29], 12
	s_cmp_lg_u32 s20, 0
	s_add_nc_u64 s[0:1], s[0:1], 8
	s_wait_kmcnt 0x0
	v_mul_hi_u32 v4, s45, v1
	s_delay_alu instid0(VALU_DEP_1) | instskip(NEXT) | instid1(VALU_DEP_1)
	v_add_nc_u32_e32 v4, v1, v4
	v_lshrrev_b32_e32 v4, s46, v4
	s_delay_alu instid0(VALU_DEP_1) | instskip(NEXT) | instid1(VALU_DEP_1)
	v_mul_lo_u32 v5, v4, s44
	v_sub_nc_u32_e32 v1, v1, v5
	s_delay_alu instid0(VALU_DEP_1)
	v_mad_u32 v3, v1, s31, v3
	v_mad_u32 v2, v1, s30, v2
	v_mov_b32_e32 v1, v4
	s_cbranch_scc1 .LBB5_104
.LBB5_105:
	s_cbranch_execnz .LBB5_108
.LBB5_106:
	v_mov_b32_e32 v1, 0
	s_and_not1_b32 vcc_lo, exec_lo, s37
	s_delay_alu instid0(VALU_DEP_1) | instskip(NEXT) | instid1(VALU_DEP_1)
	v_mul_u64_e32 v[2:3], s[22:23], v[0:1]
	v_add_nc_u32_e32 v2, v0, v3
	s_delay_alu instid0(VALU_DEP_1) | instskip(NEXT) | instid1(VALU_DEP_1)
	v_lshrrev_b32_e32 v4, s14, v2
	v_mul_lo_u32 v2, v4, s12
	s_delay_alu instid0(VALU_DEP_1) | instskip(NEXT) | instid1(VALU_DEP_1)
	v_sub_nc_u32_e32 v2, v0, v2
	v_mul_lo_u32 v3, v2, s17
	v_mul_lo_u32 v2, v2, s16
	s_cbranch_vccnz .LBB5_108
; %bb.107:
	v_mov_b32_e32 v5, v1
	s_delay_alu instid0(VALU_DEP_1) | instskip(NEXT) | instid1(VALU_DEP_1)
	v_mul_u64_e32 v[6:7], s[24:25], v[4:5]
	v_add_nc_u32_e32 v1, v4, v7
	s_delay_alu instid0(VALU_DEP_1) | instskip(NEXT) | instid1(VALU_DEP_1)
	v_lshrrev_b32_e32 v1, s21, v1
	v_mul_lo_u32 v1, v1, s15
	s_delay_alu instid0(VALU_DEP_1) | instskip(NEXT) | instid1(VALU_DEP_1)
	v_sub_nc_u32_e32 v1, v4, v1
	v_mad_u32 v2, v1, s18, v2
	v_mad_u32 v3, v1, s19, v3
.LBB5_108:
	global_load_b64 v[6:7], v3, s[6:7]
	s_mov_b32 s20, exec_lo
	s_wait_loadcnt 0x0
	v_mul_f64_e32 v[4:5], s[8:9], v[6:7]
	s_wait_xcnt 0x0
	s_delay_alu instid0(VALU_DEP_1)
	v_cmpx_nlt_f64_e32 s[10:11], v[4:5]
	s_cbranch_execz .LBB5_110
; %bb.109:
	v_mul_f64_e32 v[6:7], 0x3ff71547652b82fe, v[4:5]
	s_mov_b64 s[0:1], 0x3e5ade156a5dcb37
	v_cmp_nlt_f64_e32 vcc_lo, 0x40900000, v[4:5]
	s_delay_alu instid0(VALU_DEP_2) | instskip(NEXT) | instid1(VALU_DEP_1)
	v_rndne_f64_e32 v[6:7], v[6:7]
	v_fmamk_f64 v[8:9], v[6:7], 0xbfe62e42fefa39ef, v[4:5]
	v_cvt_i32_f64_e32 v1, v[6:7]
	s_delay_alu instid0(VALU_DEP_2) | instskip(NEXT) | instid1(VALU_DEP_1)
	v_fmamk_f64 v[8:9], v[6:7], 0xbc7abc9e3b39803f, v[8:9]
	v_fmaak_f64 v[10:11], s[0:1], v[8:9], 0x3e928af3fca7ab0c
	v_cmp_ngt_f64_e64 s0, 0xc090cc00, v[4:5]
	s_delay_alu instid0(VALU_DEP_2) | instskip(NEXT) | instid1(VALU_DEP_1)
	v_fmaak_f64 v[10:11], v[8:9], v[10:11], 0x3ec71dee623fde64
	v_fmaak_f64 v[10:11], v[8:9], v[10:11], 0x3efa01997c89e6b0
	s_delay_alu instid0(VALU_DEP_1) | instskip(NEXT) | instid1(VALU_DEP_1)
	v_fmaak_f64 v[10:11], v[8:9], v[10:11], 0x3f2a01a014761f6e
	v_fmaak_f64 v[10:11], v[8:9], v[10:11], 0x3f56c16c1852b7b0
	s_delay_alu instid0(VALU_DEP_1) | instskip(NEXT) | instid1(VALU_DEP_1)
	;; [unrolled: 3-line block ×4, first 2 shown]
	v_fma_f64 v[10:11], v[8:9], v[10:11], 1.0
	v_fma_f64 v[6:7], v[8:9], v[10:11], 1.0
	s_delay_alu instid0(VALU_DEP_1) | instskip(NEXT) | instid1(VALU_DEP_1)
	v_ldexp_f64 v[6:7], v[6:7], v1
	v_cndmask_b32_e32 v1, 0x7ff00000, v7, vcc_lo
	s_and_b32 vcc_lo, s0, vcc_lo
	s_delay_alu instid0(VALU_DEP_1) | instid1(SALU_CYCLE_1)
	v_dual_cndmask_b32 v4, 0, v6, vcc_lo :: v_dual_cndmask_b32 v5, 0, v1, s0
	s_mov_b64 s[0:1], 0x3fe5555555555555
	s_delay_alu instid0(VALU_DEP_1) | instskip(NEXT) | instid1(VALU_DEP_1)
	v_add_f64_e32 v[6:7], 1.0, v[4:5]
	v_frexp_mant_f64_e32 v[8:9], v[6:7]
	v_frexp_exp_i32_f64_e32 v1, v[6:7]
	s_delay_alu instid0(VALU_DEP_2) | instskip(SKIP_1) | instid1(VALU_DEP_2)
	v_cmp_gt_f64_e32 vcc_lo, s[0:1], v[8:9]
	s_mov_b64 s[0:1], 0x3fc3ab76bf559e2b
	v_subrev_co_ci_u32_e64 v1, null, 0, v1, vcc_lo
	v_add_f64_e32 v[10:11], -1.0, v[6:7]
	v_cmp_nge_f64_e32 vcc_lo, -1.0, v[4:5]
	s_delay_alu instid0(VALU_DEP_2) | instskip(NEXT) | instid1(VALU_DEP_1)
	v_dual_add_f64 v[8:9], v[10:11], -v[6:7] :: v_dual_sub_nc_u32 v3, 0, v1
	v_ldexp_f64 v[6:7], v[6:7], v3
	v_add_f64_e64 v[10:11], v[4:5], -v[10:11]
	s_delay_alu instid0(VALU_DEP_3) | instskip(NEXT) | instid1(VALU_DEP_3)
	v_add_f64_e32 v[8:9], 1.0, v[8:9]
	v_add_f64_e32 v[12:13], 1.0, v[6:7]
	v_add_f64_e32 v[18:19], -1.0, v[6:7]
	s_delay_alu instid0(VALU_DEP_3) | instskip(NEXT) | instid1(VALU_DEP_3)
	v_add_f64_e32 v[8:9], v[10:11], v[8:9]
	v_add_f64_e32 v[10:11], -1.0, v[12:13]
	s_delay_alu instid0(VALU_DEP_3) | instskip(NEXT) | instid1(VALU_DEP_3)
	v_add_f64_e32 v[20:21], 1.0, v[18:19]
	v_ldexp_f64 v[8:9], v[8:9], v3
	s_delay_alu instid0(VALU_DEP_3) | instskip(NEXT) | instid1(VALU_DEP_3)
	v_add_f64_e64 v[10:11], v[6:7], -v[10:11]
	v_add_f64_e64 v[6:7], v[6:7], -v[20:21]
	s_delay_alu instid0(VALU_DEP_2) | instskip(NEXT) | instid1(VALU_DEP_2)
	v_add_f64_e32 v[10:11], v[8:9], v[10:11]
	v_add_f64_e32 v[6:7], v[8:9], v[6:7]
	s_delay_alu instid0(VALU_DEP_2) | instskip(NEXT) | instid1(VALU_DEP_2)
	v_add_f64_e32 v[14:15], v[12:13], v[10:11]
	v_add_f64_e32 v[20:21], v[18:19], v[6:7]
	s_delay_alu instid0(VALU_DEP_2) | instskip(SKIP_1) | instid1(VALU_DEP_2)
	v_rcp_f64_e32 v[16:17], v[14:15]
	v_add_f64_e64 v[12:13], v[14:15], -v[12:13]
	v_add_f64_e64 v[18:19], v[20:21], -v[18:19]
	s_delay_alu instid0(VALU_DEP_2) | instskip(NEXT) | instid1(VALU_DEP_2)
	v_add_f64_e64 v[10:11], v[10:11], -v[12:13]
	v_add_f64_e64 v[6:7], v[6:7], -v[18:19]
	s_delay_alu instid0(TRANS32_DEP_1) | instskip(NEXT) | instid1(VALU_DEP_1)
	v_fma_f64 v[22:23], -v[14:15], v[16:17], 1.0
	v_fmac_f64_e32 v[16:17], v[22:23], v[16:17]
	s_delay_alu instid0(VALU_DEP_1) | instskip(NEXT) | instid1(VALU_DEP_1)
	v_fma_f64 v[8:9], -v[14:15], v[16:17], 1.0
	v_fmac_f64_e32 v[16:17], v[8:9], v[16:17]
	s_delay_alu instid0(VALU_DEP_1) | instskip(NEXT) | instid1(VALU_DEP_1)
	v_mul_f64_e32 v[8:9], v[20:21], v[16:17]
	v_mul_f64_e32 v[22:23], v[14:15], v[8:9]
	s_delay_alu instid0(VALU_DEP_1) | instskip(NEXT) | instid1(VALU_DEP_1)
	v_fma_f64 v[12:13], v[8:9], v[14:15], -v[22:23]
	v_fmac_f64_e32 v[12:13], v[8:9], v[10:11]
	s_delay_alu instid0(VALU_DEP_1) | instskip(NEXT) | instid1(VALU_DEP_1)
	v_add_f64_e32 v[24:25], v[22:23], v[12:13]
	v_add_f64_e64 v[26:27], v[20:21], -v[24:25]
	v_add_f64_e64 v[18:19], v[24:25], -v[22:23]
	s_delay_alu instid0(VALU_DEP_2) | instskip(NEXT) | instid1(VALU_DEP_2)
	v_add_f64_e64 v[20:21], v[20:21], -v[26:27]
	v_add_f64_e64 v[12:13], v[18:19], -v[12:13]
	s_delay_alu instid0(VALU_DEP_2) | instskip(NEXT) | instid1(VALU_DEP_1)
	v_add_f64_e64 v[20:21], v[20:21], -v[24:25]
	v_add_f64_e32 v[6:7], v[6:7], v[20:21]
	s_delay_alu instid0(VALU_DEP_1) | instskip(NEXT) | instid1(VALU_DEP_1)
	v_add_f64_e32 v[6:7], v[12:13], v[6:7]
	v_add_f64_e32 v[12:13], v[26:27], v[6:7]
	s_delay_alu instid0(VALU_DEP_1) | instskip(SKIP_1) | instid1(VALU_DEP_2)
	v_mul_f64_e32 v[18:19], v[16:17], v[12:13]
	v_add_f64_e64 v[24:25], v[26:27], -v[12:13]
	v_mul_f64_e32 v[20:21], v[14:15], v[18:19]
	s_delay_alu instid0(VALU_DEP_2) | instskip(NEXT) | instid1(VALU_DEP_2)
	v_add_f64_e32 v[6:7], v[6:7], v[24:25]
	v_fma_f64 v[14:15], v[18:19], v[14:15], -v[20:21]
	s_delay_alu instid0(VALU_DEP_1) | instskip(NEXT) | instid1(VALU_DEP_1)
	v_fmac_f64_e32 v[14:15], v[18:19], v[10:11]
	v_add_f64_e32 v[10:11], v[20:21], v[14:15]
	s_delay_alu instid0(VALU_DEP_1) | instskip(SKIP_1) | instid1(VALU_DEP_2)
	v_add_f64_e64 v[22:23], v[12:13], -v[10:11]
	v_add_f64_e64 v[20:21], v[10:11], -v[20:21]
	;; [unrolled: 1-line block ×3, first 2 shown]
	s_delay_alu instid0(VALU_DEP_1) | instskip(NEXT) | instid1(VALU_DEP_3)
	v_add_f64_e64 v[10:11], v[12:13], -v[10:11]
	v_add_f64_e64 v[12:13], v[20:21], -v[14:15]
	s_delay_alu instid0(VALU_DEP_2) | instskip(SKIP_1) | instid1(VALU_DEP_2)
	v_add_f64_e32 v[6:7], v[6:7], v[10:11]
	v_add_f64_e32 v[10:11], v[8:9], v[18:19]
	;; [unrolled: 1-line block ×3, first 2 shown]
	s_delay_alu instid0(VALU_DEP_2) | instskip(NEXT) | instid1(VALU_DEP_2)
	v_add_f64_e64 v[8:9], v[10:11], -v[8:9]
	v_add_f64_e32 v[6:7], v[22:23], v[6:7]
	s_delay_alu instid0(VALU_DEP_2) | instskip(NEXT) | instid1(VALU_DEP_2)
	v_add_f64_e64 v[8:9], v[18:19], -v[8:9]
	v_mul_f64_e32 v[6:7], v[16:17], v[6:7]
	s_delay_alu instid0(VALU_DEP_1) | instskip(NEXT) | instid1(VALU_DEP_1)
	v_add_f64_e32 v[6:7], v[8:9], v[6:7]
	v_add_f64_e32 v[8:9], v[10:11], v[6:7]
	s_delay_alu instid0(VALU_DEP_1) | instskip(NEXT) | instid1(VALU_DEP_1)
	v_mul_f64_e32 v[12:13], v[8:9], v[8:9]
	v_fmaak_f64 v[14:15], s[0:1], v[12:13], 0x3fc385386b47b09a
	v_mul_f64_e32 v[16:17], v[8:9], v[12:13]
	s_mov_b64 s[0:1], 0x3fe62e42fefa39ef
	s_delay_alu instid0(VALU_DEP_2) | instskip(NEXT) | instid1(VALU_DEP_1)
	v_fmaak_f64 v[14:15], v[12:13], v[14:15], 0x3fc7474dd7f4df2e
	v_fmaak_f64 v[14:15], v[12:13], v[14:15], 0x3fcc71c016291751
	s_delay_alu instid0(VALU_DEP_1) | instskip(NEXT) | instid1(VALU_DEP_1)
	v_fmaak_f64 v[14:15], v[12:13], v[14:15], 0x3fd249249b27acf1
	v_fmaak_f64 v[14:15], v[12:13], v[14:15], 0x3fd99999998ef7b6
	s_delay_alu instid0(VALU_DEP_1) | instskip(SKIP_2) | instid1(VALU_DEP_3)
	v_fmaak_f64 v[12:13], v[12:13], v[14:15], 0x3fe5555555555780
	v_ldexp_f64 v[14:15], v[8:9], 1
	v_add_f64_e64 v[8:9], v[8:9], -v[10:11]
	v_mul_f64_e32 v[12:13], v[16:17], v[12:13]
	v_cvt_f64_i32_e32 v[16:17], v1
	s_delay_alu instid0(VALU_DEP_3) | instskip(NEXT) | instid1(VALU_DEP_3)
	v_add_f64_e64 v[6:7], v[6:7], -v[8:9]
	v_add_f64_e32 v[10:11], v[14:15], v[12:13]
	s_delay_alu instid0(VALU_DEP_2) | instskip(NEXT) | instid1(VALU_DEP_2)
	v_ldexp_f64 v[6:7], v[6:7], 1
	v_add_f64_e64 v[8:9], v[10:11], -v[14:15]
	v_mul_f64_e32 v[14:15], 0x3fe62e42fefa39ef, v[16:17]
	s_delay_alu instid0(VALU_DEP_2) | instskip(NEXT) | instid1(VALU_DEP_2)
	v_add_f64_e64 v[8:9], v[12:13], -v[8:9]
	v_fma_f64 v[12:13], v[16:17], s[0:1], -v[14:15]
	v_cmp_neq_f64_e64 s0, 0x7ff00000, v[4:5]
	v_cmp_ngt_f64_e64 s1, -1.0, v[4:5]
	s_delay_alu instid0(VALU_DEP_4) | instskip(NEXT) | instid1(VALU_DEP_4)
	v_add_f64_e32 v[6:7], v[6:7], v[8:9]
	v_fmamk_f64 v[8:9], v[16:17], 0x3c7abc9e3b39803f, v[12:13]
	s_and_b32 vcc_lo, vcc_lo, s0
	s_delay_alu instid0(VALU_DEP_1) | instskip(NEXT) | instid1(VALU_DEP_3)
	v_add_f64_e32 v[12:13], v[14:15], v[8:9]
	v_add_f64_e32 v[16:17], v[10:11], v[6:7]
	s_delay_alu instid0(VALU_DEP_2) | instskip(NEXT) | instid1(VALU_DEP_2)
	v_add_f64_e64 v[14:15], v[12:13], -v[14:15]
	v_add_f64_e32 v[18:19], v[12:13], v[16:17]
	v_add_f64_e64 v[10:11], v[16:17], -v[10:11]
	s_delay_alu instid0(VALU_DEP_3) | instskip(NEXT) | instid1(VALU_DEP_3)
	v_add_f64_e64 v[8:9], v[8:9], -v[14:15]
	v_add_f64_e64 v[20:21], v[18:19], -v[12:13]
	s_delay_alu instid0(VALU_DEP_3) | instskip(NEXT) | instid1(VALU_DEP_2)
	v_add_f64_e64 v[6:7], v[6:7], -v[10:11]
	v_add_f64_e64 v[22:23], v[18:19], -v[20:21]
	;; [unrolled: 1-line block ×3, first 2 shown]
	s_delay_alu instid0(VALU_DEP_3) | instskip(NEXT) | instid1(VALU_DEP_3)
	v_add_f64_e32 v[14:15], v[8:9], v[6:7]
	v_add_f64_e64 v[12:13], v[12:13], -v[22:23]
	s_delay_alu instid0(VALU_DEP_1) | instskip(NEXT) | instid1(VALU_DEP_3)
	v_add_f64_e32 v[10:11], v[10:11], v[12:13]
	v_add_f64_e64 v[12:13], v[14:15], -v[8:9]
	s_delay_alu instid0(VALU_DEP_2) | instskip(NEXT) | instid1(VALU_DEP_2)
	v_add_f64_e32 v[10:11], v[14:15], v[10:11]
	v_add_f64_e64 v[14:15], v[14:15], -v[12:13]
	v_add_f64_e64 v[6:7], v[6:7], -v[12:13]
	s_delay_alu instid0(VALU_DEP_3) | instskip(NEXT) | instid1(VALU_DEP_3)
	v_add_f64_e32 v[16:17], v[18:19], v[10:11]
	v_add_f64_e64 v[8:9], v[8:9], -v[14:15]
	s_delay_alu instid0(VALU_DEP_2) | instskip(NEXT) | instid1(VALU_DEP_2)
	v_add_f64_e64 v[12:13], v[16:17], -v[18:19]
	v_add_f64_e32 v[6:7], v[6:7], v[8:9]
	s_delay_alu instid0(VALU_DEP_2) | instskip(NEXT) | instid1(VALU_DEP_1)
	v_add_f64_e64 v[8:9], v[10:11], -v[12:13]
	v_add_f64_e32 v[6:7], v[6:7], v[8:9]
	s_delay_alu instid0(VALU_DEP_1) | instskip(NEXT) | instid1(VALU_DEP_1)
	v_add_f64_e32 v[6:7], v[16:17], v[6:7]
	v_cndmask_b32_e32 v6, 0, v6, vcc_lo
	v_cmp_neq_f64_e32 vcc_lo, -1.0, v[4:5]
	s_delay_alu instid0(VALU_DEP_3) | instskip(NEXT) | instid1(VALU_DEP_1)
	v_cndmask_b32_e64 v1, 0x7ff00000, v7, s0
	v_cndmask_b32_e64 v1, 0x7ff80000, v1, s1
	s_delay_alu instid0(VALU_DEP_1) | instskip(NEXT) | instid1(VALU_DEP_1)
	v_cndmask_b32_e32 v7, 0xfff00000, v1, vcc_lo
	v_div_scale_f64 v[4:5], null, s[8:9], s[8:9], v[6:7]
	s_delay_alu instid0(VALU_DEP_1) | instskip(SKIP_1) | instid1(TRANS32_DEP_1)
	v_rcp_f64_e32 v[8:9], v[4:5]
	v_nop
	v_fma_f64 v[10:11], -v[4:5], v[8:9], 1.0
	s_delay_alu instid0(VALU_DEP_1) | instskip(NEXT) | instid1(VALU_DEP_1)
	v_fmac_f64_e32 v[8:9], v[8:9], v[10:11]
	v_fma_f64 v[10:11], -v[4:5], v[8:9], 1.0
	s_delay_alu instid0(VALU_DEP_1) | instskip(SKIP_1) | instid1(VALU_DEP_1)
	v_fmac_f64_e32 v[8:9], v[8:9], v[10:11]
	v_div_scale_f64 v[10:11], vcc_lo, v[6:7], s[8:9], v[6:7]
	v_mul_f64_e32 v[12:13], v[10:11], v[8:9]
	s_delay_alu instid0(VALU_DEP_1) | instskip(NEXT) | instid1(VALU_DEP_1)
	v_fma_f64 v[4:5], -v[4:5], v[12:13], v[10:11]
	v_div_fmas_f64 v[4:5], v[4:5], v[8:9], v[12:13]
	s_delay_alu instid0(VALU_DEP_1)
	v_div_fixup_f64 v[6:7], v[4:5], s[8:9], v[6:7]
.LBB5_110:
	s_or_b32 exec_lo, exec_lo, s20
	v_add_nc_u32_e32 v0, 0x80, v0
	global_store_b64 v2, v[6:7], s[4:5]
	s_wait_xcnt 0x0
	s_or_b32 exec_lo, exec_lo, s13
	s_delay_alu instid0(SALU_CYCLE_1)
	s_mov_b32 s13, exec_lo
	v_cmpx_gt_i32_e64 s38, v0
	s_cbranch_execnz .LBB5_94
.LBB5_111:
	s_or_b32 exec_lo, exec_lo, s13
	s_delay_alu instid0(SALU_CYCLE_1)
	s_mov_b32 s13, exec_lo
	v_cmpx_gt_i32_e64 s38, v0
	s_cbranch_execnz .LBB5_124
.LBB5_112:
	s_or_b32 exec_lo, exec_lo, s13
                                        ; implicit-def: $vgpr8
                                        ; implicit-def: $vgpr0
	s_and_not1_saveexec_b32 s0, s36
	s_cbranch_execnz .LBB5_8
.LBB5_113:
	s_endpgm
.LBB5_114:
	v_mov_b64_e32 v[2:3], 0
	v_mov_b32_e32 v1, v0
	s_mov_b32 s0, 0
.LBB5_115:
	s_and_b32 s20, s1, 3
	s_mov_b32 s1, 0
	s_cmp_eq_u32 s20, 0
	s_cbranch_scc1 .LBB5_118
; %bb.116:
	s_lshl_b32 s28, s0, 3
	s_mov_b32 s29, s1
	s_mul_u64 s[30:31], s[0:1], 12
	s_add_nc_u64 s[28:29], s[2:3], s[28:29]
	s_delay_alu instid0(SALU_CYCLE_1)
	s_add_nc_u64 s[0:1], s[28:29], 0xc4
	s_add_nc_u64 s[28:29], s[2:3], s[30:31]
.LBB5_117:                              ; =>This Inner Loop Header: Depth=1
	s_load_b96 s[44:46], s[28:29], 0x4
	s_load_b64 s[30:31], s[0:1], 0x0
	s_add_co_i32 s20, s20, -1
	s_wait_xcnt 0x0
	s_add_nc_u64 s[28:29], s[28:29], 12
	s_cmp_lg_u32 s20, 0
	s_add_nc_u64 s[0:1], s[0:1], 8
	s_wait_kmcnt 0x0
	v_mul_hi_u32 v4, s45, v1
	s_delay_alu instid0(VALU_DEP_1) | instskip(NEXT) | instid1(VALU_DEP_1)
	v_add_nc_u32_e32 v4, v1, v4
	v_lshrrev_b32_e32 v4, s46, v4
	s_delay_alu instid0(VALU_DEP_1) | instskip(NEXT) | instid1(VALU_DEP_1)
	v_mul_lo_u32 v5, v4, s44
	v_sub_nc_u32_e32 v1, v1, v5
	s_delay_alu instid0(VALU_DEP_1)
	v_mad_u32 v3, v1, s31, v3
	v_mad_u32 v2, v1, s30, v2
	v_mov_b32_e32 v1, v4
	s_cbranch_scc1 .LBB5_117
.LBB5_118:
	s_cbranch_execnz .LBB5_121
.LBB5_119:
	v_mov_b32_e32 v1, 0
	s_and_not1_b32 vcc_lo, exec_lo, s37
	s_delay_alu instid0(VALU_DEP_1) | instskip(NEXT) | instid1(VALU_DEP_1)
	v_mul_u64_e32 v[2:3], s[22:23], v[0:1]
	v_add_nc_u32_e32 v2, v0, v3
	s_delay_alu instid0(VALU_DEP_1) | instskip(NEXT) | instid1(VALU_DEP_1)
	v_lshrrev_b32_e32 v4, s14, v2
	v_mul_lo_u32 v2, v4, s12
	s_delay_alu instid0(VALU_DEP_1) | instskip(NEXT) | instid1(VALU_DEP_1)
	v_sub_nc_u32_e32 v2, v0, v2
	v_mul_lo_u32 v3, v2, s17
	v_mul_lo_u32 v2, v2, s16
	s_cbranch_vccnz .LBB5_121
; %bb.120:
	v_mov_b32_e32 v5, v1
	s_delay_alu instid0(VALU_DEP_1) | instskip(NEXT) | instid1(VALU_DEP_1)
	v_mul_u64_e32 v[6:7], s[24:25], v[4:5]
	v_add_nc_u32_e32 v1, v4, v7
	s_delay_alu instid0(VALU_DEP_1) | instskip(NEXT) | instid1(VALU_DEP_1)
	v_lshrrev_b32_e32 v1, s21, v1
	v_mul_lo_u32 v1, v1, s15
	s_delay_alu instid0(VALU_DEP_1) | instskip(NEXT) | instid1(VALU_DEP_1)
	v_sub_nc_u32_e32 v1, v4, v1
	v_mad_u32 v2, v1, s18, v2
	v_mad_u32 v3, v1, s19, v3
.LBB5_121:
	global_load_b64 v[6:7], v3, s[6:7]
	s_mov_b32 s20, exec_lo
	s_wait_loadcnt 0x0
	v_mul_f64_e32 v[4:5], s[8:9], v[6:7]
	s_wait_xcnt 0x0
	s_delay_alu instid0(VALU_DEP_1)
	v_cmpx_nlt_f64_e32 s[10:11], v[4:5]
	s_cbranch_execz .LBB5_123
; %bb.122:
	v_mul_f64_e32 v[6:7], 0x3ff71547652b82fe, v[4:5]
	s_mov_b64 s[0:1], 0x3e5ade156a5dcb37
	v_cmp_nlt_f64_e32 vcc_lo, 0x40900000, v[4:5]
	s_delay_alu instid0(VALU_DEP_2) | instskip(NEXT) | instid1(VALU_DEP_1)
	v_rndne_f64_e32 v[6:7], v[6:7]
	v_fmamk_f64 v[8:9], v[6:7], 0xbfe62e42fefa39ef, v[4:5]
	v_cvt_i32_f64_e32 v1, v[6:7]
	s_delay_alu instid0(VALU_DEP_2) | instskip(NEXT) | instid1(VALU_DEP_1)
	v_fmamk_f64 v[8:9], v[6:7], 0xbc7abc9e3b39803f, v[8:9]
	v_fmaak_f64 v[10:11], s[0:1], v[8:9], 0x3e928af3fca7ab0c
	v_cmp_ngt_f64_e64 s0, 0xc090cc00, v[4:5]
	s_delay_alu instid0(VALU_DEP_2) | instskip(NEXT) | instid1(VALU_DEP_1)
	v_fmaak_f64 v[10:11], v[8:9], v[10:11], 0x3ec71dee623fde64
	v_fmaak_f64 v[10:11], v[8:9], v[10:11], 0x3efa01997c89e6b0
	s_delay_alu instid0(VALU_DEP_1) | instskip(NEXT) | instid1(VALU_DEP_1)
	v_fmaak_f64 v[10:11], v[8:9], v[10:11], 0x3f2a01a014761f6e
	v_fmaak_f64 v[10:11], v[8:9], v[10:11], 0x3f56c16c1852b7b0
	s_delay_alu instid0(VALU_DEP_1) | instskip(NEXT) | instid1(VALU_DEP_1)
	;; [unrolled: 3-line block ×4, first 2 shown]
	v_fma_f64 v[10:11], v[8:9], v[10:11], 1.0
	v_fma_f64 v[6:7], v[8:9], v[10:11], 1.0
	s_delay_alu instid0(VALU_DEP_1) | instskip(NEXT) | instid1(VALU_DEP_1)
	v_ldexp_f64 v[6:7], v[6:7], v1
	v_cndmask_b32_e32 v1, 0x7ff00000, v7, vcc_lo
	s_and_b32 vcc_lo, s0, vcc_lo
	s_delay_alu instid0(VALU_DEP_1) | instid1(SALU_CYCLE_1)
	v_dual_cndmask_b32 v4, 0, v6, vcc_lo :: v_dual_cndmask_b32 v5, 0, v1, s0
	s_mov_b64 s[0:1], 0x3fe5555555555555
	s_delay_alu instid0(VALU_DEP_1) | instskip(NEXT) | instid1(VALU_DEP_1)
	v_add_f64_e32 v[6:7], 1.0, v[4:5]
	v_frexp_mant_f64_e32 v[8:9], v[6:7]
	v_frexp_exp_i32_f64_e32 v1, v[6:7]
	s_delay_alu instid0(VALU_DEP_2) | instskip(SKIP_1) | instid1(VALU_DEP_2)
	v_cmp_gt_f64_e32 vcc_lo, s[0:1], v[8:9]
	s_mov_b64 s[0:1], 0x3fc3ab76bf559e2b
	v_subrev_co_ci_u32_e64 v1, null, 0, v1, vcc_lo
	v_add_f64_e32 v[10:11], -1.0, v[6:7]
	v_cmp_nge_f64_e32 vcc_lo, -1.0, v[4:5]
	s_delay_alu instid0(VALU_DEP_2) | instskip(NEXT) | instid1(VALU_DEP_1)
	v_dual_add_f64 v[8:9], v[10:11], -v[6:7] :: v_dual_sub_nc_u32 v3, 0, v1
	v_ldexp_f64 v[6:7], v[6:7], v3
	v_add_f64_e64 v[10:11], v[4:5], -v[10:11]
	s_delay_alu instid0(VALU_DEP_3) | instskip(NEXT) | instid1(VALU_DEP_3)
	v_add_f64_e32 v[8:9], 1.0, v[8:9]
	v_add_f64_e32 v[12:13], 1.0, v[6:7]
	v_add_f64_e32 v[18:19], -1.0, v[6:7]
	s_delay_alu instid0(VALU_DEP_3) | instskip(NEXT) | instid1(VALU_DEP_3)
	v_add_f64_e32 v[8:9], v[10:11], v[8:9]
	v_add_f64_e32 v[10:11], -1.0, v[12:13]
	s_delay_alu instid0(VALU_DEP_3) | instskip(NEXT) | instid1(VALU_DEP_3)
	v_add_f64_e32 v[20:21], 1.0, v[18:19]
	v_ldexp_f64 v[8:9], v[8:9], v3
	s_delay_alu instid0(VALU_DEP_3) | instskip(NEXT) | instid1(VALU_DEP_3)
	v_add_f64_e64 v[10:11], v[6:7], -v[10:11]
	v_add_f64_e64 v[6:7], v[6:7], -v[20:21]
	s_delay_alu instid0(VALU_DEP_2) | instskip(NEXT) | instid1(VALU_DEP_2)
	v_add_f64_e32 v[10:11], v[8:9], v[10:11]
	v_add_f64_e32 v[6:7], v[8:9], v[6:7]
	s_delay_alu instid0(VALU_DEP_2) | instskip(NEXT) | instid1(VALU_DEP_2)
	v_add_f64_e32 v[14:15], v[12:13], v[10:11]
	v_add_f64_e32 v[20:21], v[18:19], v[6:7]
	s_delay_alu instid0(VALU_DEP_2) | instskip(SKIP_1) | instid1(VALU_DEP_2)
	v_rcp_f64_e32 v[16:17], v[14:15]
	v_add_f64_e64 v[12:13], v[14:15], -v[12:13]
	v_add_f64_e64 v[18:19], v[20:21], -v[18:19]
	s_delay_alu instid0(VALU_DEP_2) | instskip(NEXT) | instid1(VALU_DEP_2)
	v_add_f64_e64 v[10:11], v[10:11], -v[12:13]
	v_add_f64_e64 v[6:7], v[6:7], -v[18:19]
	s_delay_alu instid0(TRANS32_DEP_1) | instskip(NEXT) | instid1(VALU_DEP_1)
	v_fma_f64 v[22:23], -v[14:15], v[16:17], 1.0
	v_fmac_f64_e32 v[16:17], v[22:23], v[16:17]
	s_delay_alu instid0(VALU_DEP_1) | instskip(NEXT) | instid1(VALU_DEP_1)
	v_fma_f64 v[8:9], -v[14:15], v[16:17], 1.0
	v_fmac_f64_e32 v[16:17], v[8:9], v[16:17]
	s_delay_alu instid0(VALU_DEP_1) | instskip(NEXT) | instid1(VALU_DEP_1)
	v_mul_f64_e32 v[8:9], v[20:21], v[16:17]
	v_mul_f64_e32 v[22:23], v[14:15], v[8:9]
	s_delay_alu instid0(VALU_DEP_1) | instskip(NEXT) | instid1(VALU_DEP_1)
	v_fma_f64 v[12:13], v[8:9], v[14:15], -v[22:23]
	v_fmac_f64_e32 v[12:13], v[8:9], v[10:11]
	s_delay_alu instid0(VALU_DEP_1) | instskip(NEXT) | instid1(VALU_DEP_1)
	v_add_f64_e32 v[24:25], v[22:23], v[12:13]
	v_add_f64_e64 v[26:27], v[20:21], -v[24:25]
	v_add_f64_e64 v[18:19], v[24:25], -v[22:23]
	s_delay_alu instid0(VALU_DEP_2) | instskip(NEXT) | instid1(VALU_DEP_2)
	v_add_f64_e64 v[20:21], v[20:21], -v[26:27]
	v_add_f64_e64 v[12:13], v[18:19], -v[12:13]
	s_delay_alu instid0(VALU_DEP_2) | instskip(NEXT) | instid1(VALU_DEP_1)
	v_add_f64_e64 v[20:21], v[20:21], -v[24:25]
	v_add_f64_e32 v[6:7], v[6:7], v[20:21]
	s_delay_alu instid0(VALU_DEP_1) | instskip(NEXT) | instid1(VALU_DEP_1)
	v_add_f64_e32 v[6:7], v[12:13], v[6:7]
	v_add_f64_e32 v[12:13], v[26:27], v[6:7]
	s_delay_alu instid0(VALU_DEP_1) | instskip(SKIP_1) | instid1(VALU_DEP_2)
	v_mul_f64_e32 v[18:19], v[16:17], v[12:13]
	v_add_f64_e64 v[24:25], v[26:27], -v[12:13]
	v_mul_f64_e32 v[20:21], v[14:15], v[18:19]
	s_delay_alu instid0(VALU_DEP_2) | instskip(NEXT) | instid1(VALU_DEP_2)
	v_add_f64_e32 v[6:7], v[6:7], v[24:25]
	v_fma_f64 v[14:15], v[18:19], v[14:15], -v[20:21]
	s_delay_alu instid0(VALU_DEP_1) | instskip(NEXT) | instid1(VALU_DEP_1)
	v_fmac_f64_e32 v[14:15], v[18:19], v[10:11]
	v_add_f64_e32 v[10:11], v[20:21], v[14:15]
	s_delay_alu instid0(VALU_DEP_1) | instskip(SKIP_1) | instid1(VALU_DEP_2)
	v_add_f64_e64 v[22:23], v[12:13], -v[10:11]
	v_add_f64_e64 v[20:21], v[10:11], -v[20:21]
	v_add_f64_e64 v[12:13], v[12:13], -v[22:23]
	s_delay_alu instid0(VALU_DEP_1) | instskip(NEXT) | instid1(VALU_DEP_3)
	v_add_f64_e64 v[10:11], v[12:13], -v[10:11]
	v_add_f64_e64 v[12:13], v[20:21], -v[14:15]
	s_delay_alu instid0(VALU_DEP_2) | instskip(SKIP_1) | instid1(VALU_DEP_2)
	v_add_f64_e32 v[6:7], v[6:7], v[10:11]
	v_add_f64_e32 v[10:11], v[8:9], v[18:19]
	;; [unrolled: 1-line block ×3, first 2 shown]
	s_delay_alu instid0(VALU_DEP_2) | instskip(NEXT) | instid1(VALU_DEP_2)
	v_add_f64_e64 v[8:9], v[10:11], -v[8:9]
	v_add_f64_e32 v[6:7], v[22:23], v[6:7]
	s_delay_alu instid0(VALU_DEP_2) | instskip(NEXT) | instid1(VALU_DEP_2)
	v_add_f64_e64 v[8:9], v[18:19], -v[8:9]
	v_mul_f64_e32 v[6:7], v[16:17], v[6:7]
	s_delay_alu instid0(VALU_DEP_1) | instskip(NEXT) | instid1(VALU_DEP_1)
	v_add_f64_e32 v[6:7], v[8:9], v[6:7]
	v_add_f64_e32 v[8:9], v[10:11], v[6:7]
	s_delay_alu instid0(VALU_DEP_1) | instskip(NEXT) | instid1(VALU_DEP_1)
	v_mul_f64_e32 v[12:13], v[8:9], v[8:9]
	v_fmaak_f64 v[14:15], s[0:1], v[12:13], 0x3fc385386b47b09a
	v_mul_f64_e32 v[16:17], v[8:9], v[12:13]
	s_mov_b64 s[0:1], 0x3fe62e42fefa39ef
	s_delay_alu instid0(VALU_DEP_2) | instskip(NEXT) | instid1(VALU_DEP_1)
	v_fmaak_f64 v[14:15], v[12:13], v[14:15], 0x3fc7474dd7f4df2e
	v_fmaak_f64 v[14:15], v[12:13], v[14:15], 0x3fcc71c016291751
	s_delay_alu instid0(VALU_DEP_1) | instskip(NEXT) | instid1(VALU_DEP_1)
	v_fmaak_f64 v[14:15], v[12:13], v[14:15], 0x3fd249249b27acf1
	v_fmaak_f64 v[14:15], v[12:13], v[14:15], 0x3fd99999998ef7b6
	s_delay_alu instid0(VALU_DEP_1) | instskip(SKIP_2) | instid1(VALU_DEP_3)
	v_fmaak_f64 v[12:13], v[12:13], v[14:15], 0x3fe5555555555780
	v_ldexp_f64 v[14:15], v[8:9], 1
	v_add_f64_e64 v[8:9], v[8:9], -v[10:11]
	v_mul_f64_e32 v[12:13], v[16:17], v[12:13]
	v_cvt_f64_i32_e32 v[16:17], v1
	s_delay_alu instid0(VALU_DEP_3) | instskip(NEXT) | instid1(VALU_DEP_3)
	v_add_f64_e64 v[6:7], v[6:7], -v[8:9]
	v_add_f64_e32 v[10:11], v[14:15], v[12:13]
	s_delay_alu instid0(VALU_DEP_2) | instskip(NEXT) | instid1(VALU_DEP_2)
	v_ldexp_f64 v[6:7], v[6:7], 1
	v_add_f64_e64 v[8:9], v[10:11], -v[14:15]
	v_mul_f64_e32 v[14:15], 0x3fe62e42fefa39ef, v[16:17]
	s_delay_alu instid0(VALU_DEP_2) | instskip(NEXT) | instid1(VALU_DEP_2)
	v_add_f64_e64 v[8:9], v[12:13], -v[8:9]
	v_fma_f64 v[12:13], v[16:17], s[0:1], -v[14:15]
	v_cmp_neq_f64_e64 s0, 0x7ff00000, v[4:5]
	v_cmp_ngt_f64_e64 s1, -1.0, v[4:5]
	s_delay_alu instid0(VALU_DEP_4) | instskip(NEXT) | instid1(VALU_DEP_4)
	v_add_f64_e32 v[6:7], v[6:7], v[8:9]
	v_fmamk_f64 v[8:9], v[16:17], 0x3c7abc9e3b39803f, v[12:13]
	s_and_b32 vcc_lo, vcc_lo, s0
	s_delay_alu instid0(VALU_DEP_1) | instskip(NEXT) | instid1(VALU_DEP_3)
	v_add_f64_e32 v[12:13], v[14:15], v[8:9]
	v_add_f64_e32 v[16:17], v[10:11], v[6:7]
	s_delay_alu instid0(VALU_DEP_2) | instskip(NEXT) | instid1(VALU_DEP_2)
	v_add_f64_e64 v[14:15], v[12:13], -v[14:15]
	v_add_f64_e32 v[18:19], v[12:13], v[16:17]
	v_add_f64_e64 v[10:11], v[16:17], -v[10:11]
	s_delay_alu instid0(VALU_DEP_3) | instskip(NEXT) | instid1(VALU_DEP_3)
	v_add_f64_e64 v[8:9], v[8:9], -v[14:15]
	v_add_f64_e64 v[20:21], v[18:19], -v[12:13]
	s_delay_alu instid0(VALU_DEP_3) | instskip(NEXT) | instid1(VALU_DEP_2)
	v_add_f64_e64 v[6:7], v[6:7], -v[10:11]
	v_add_f64_e64 v[22:23], v[18:19], -v[20:21]
	;; [unrolled: 1-line block ×3, first 2 shown]
	s_delay_alu instid0(VALU_DEP_3) | instskip(NEXT) | instid1(VALU_DEP_3)
	v_add_f64_e32 v[14:15], v[8:9], v[6:7]
	v_add_f64_e64 v[12:13], v[12:13], -v[22:23]
	s_delay_alu instid0(VALU_DEP_1) | instskip(NEXT) | instid1(VALU_DEP_3)
	v_add_f64_e32 v[10:11], v[10:11], v[12:13]
	v_add_f64_e64 v[12:13], v[14:15], -v[8:9]
	s_delay_alu instid0(VALU_DEP_2) | instskip(NEXT) | instid1(VALU_DEP_2)
	v_add_f64_e32 v[10:11], v[14:15], v[10:11]
	v_add_f64_e64 v[14:15], v[14:15], -v[12:13]
	v_add_f64_e64 v[6:7], v[6:7], -v[12:13]
	s_delay_alu instid0(VALU_DEP_3) | instskip(NEXT) | instid1(VALU_DEP_3)
	v_add_f64_e32 v[16:17], v[18:19], v[10:11]
	v_add_f64_e64 v[8:9], v[8:9], -v[14:15]
	s_delay_alu instid0(VALU_DEP_2) | instskip(NEXT) | instid1(VALU_DEP_2)
	v_add_f64_e64 v[12:13], v[16:17], -v[18:19]
	v_add_f64_e32 v[6:7], v[6:7], v[8:9]
	s_delay_alu instid0(VALU_DEP_2) | instskip(NEXT) | instid1(VALU_DEP_1)
	v_add_f64_e64 v[8:9], v[10:11], -v[12:13]
	v_add_f64_e32 v[6:7], v[6:7], v[8:9]
	s_delay_alu instid0(VALU_DEP_1) | instskip(NEXT) | instid1(VALU_DEP_1)
	v_add_f64_e32 v[6:7], v[16:17], v[6:7]
	v_cndmask_b32_e32 v6, 0, v6, vcc_lo
	v_cmp_neq_f64_e32 vcc_lo, -1.0, v[4:5]
	s_delay_alu instid0(VALU_DEP_3) | instskip(NEXT) | instid1(VALU_DEP_1)
	v_cndmask_b32_e64 v1, 0x7ff00000, v7, s0
	v_cndmask_b32_e64 v1, 0x7ff80000, v1, s1
	s_delay_alu instid0(VALU_DEP_1) | instskip(NEXT) | instid1(VALU_DEP_1)
	v_cndmask_b32_e32 v7, 0xfff00000, v1, vcc_lo
	v_div_scale_f64 v[4:5], null, s[8:9], s[8:9], v[6:7]
	s_delay_alu instid0(VALU_DEP_1) | instskip(SKIP_1) | instid1(TRANS32_DEP_1)
	v_rcp_f64_e32 v[8:9], v[4:5]
	v_nop
	v_fma_f64 v[10:11], -v[4:5], v[8:9], 1.0
	s_delay_alu instid0(VALU_DEP_1) | instskip(NEXT) | instid1(VALU_DEP_1)
	v_fmac_f64_e32 v[8:9], v[8:9], v[10:11]
	v_fma_f64 v[10:11], -v[4:5], v[8:9], 1.0
	s_delay_alu instid0(VALU_DEP_1) | instskip(SKIP_1) | instid1(VALU_DEP_1)
	v_fmac_f64_e32 v[8:9], v[8:9], v[10:11]
	v_div_scale_f64 v[10:11], vcc_lo, v[6:7], s[8:9], v[6:7]
	v_mul_f64_e32 v[12:13], v[10:11], v[8:9]
	s_delay_alu instid0(VALU_DEP_1) | instskip(NEXT) | instid1(VALU_DEP_1)
	v_fma_f64 v[4:5], -v[4:5], v[12:13], v[10:11]
	v_div_fmas_f64 v[4:5], v[4:5], v[8:9], v[12:13]
	s_delay_alu instid0(VALU_DEP_1)
	v_div_fixup_f64 v[6:7], v[4:5], s[8:9], v[6:7]
.LBB5_123:
	s_or_b32 exec_lo, exec_lo, s20
	v_add_nc_u32_e32 v0, 0x80, v0
	global_store_b64 v2, v[6:7], s[4:5]
	s_wait_xcnt 0x0
	s_or_b32 exec_lo, exec_lo, s13
	s_delay_alu instid0(SALU_CYCLE_1)
	s_mov_b32 s13, exec_lo
	v_cmpx_gt_i32_e64 s38, v0
	s_cbranch_execz .LBB5_112
.LBB5_124:
	s_and_not1_b32 vcc_lo, exec_lo, s35
	s_cbranch_vccnz .LBB5_129
; %bb.125:
	s_and_not1_b32 vcc_lo, exec_lo, s40
	s_cbranch_vccnz .LBB5_130
; %bb.126:
	s_add_co_i32 s39, s39, 1
	s_cmp_eq_u32 s34, 2
	s_cbranch_scc1 .LBB5_131
; %bb.127:
	v_dual_mov_b32 v2, 0 :: v_dual_mov_b32 v3, 0
	v_mov_b32_e32 v1, v0
	s_and_b32 s0, s39, 28
	s_mov_b32 s1, 0
	s_mov_b64 s[28:29], s[2:3]
.LBB5_128:                              ; =>This Inner Loop Header: Depth=1
	s_clause 0x1
	s_load_b256 s[40:47], s[28:29], 0x4
	s_load_b128 s[56:59], s[28:29], 0x24
	s_load_b256 s[48:55], s[26:27], 0x0
	s_add_co_i32 s1, s1, 4
	s_wait_xcnt 0x0
	s_add_nc_u64 s[28:29], s[28:29], 48
	s_cmp_eq_u32 s0, s1
	s_add_nc_u64 s[26:27], s[26:27], 32
	s_wait_kmcnt 0x0
	v_mul_hi_u32 v4, s41, v1
	s_delay_alu instid0(VALU_DEP_1) | instskip(NEXT) | instid1(VALU_DEP_1)
	v_add_nc_u32_e32 v4, v1, v4
	v_lshrrev_b32_e32 v4, s42, v4
	s_delay_alu instid0(VALU_DEP_1) | instskip(NEXT) | instid1(VALU_DEP_1)
	v_mul_hi_u32 v5, s44, v4
	v_add_nc_u32_e32 v5, v4, v5
	s_delay_alu instid0(VALU_DEP_1) | instskip(NEXT) | instid1(VALU_DEP_1)
	v_lshrrev_b32_e32 v5, s45, v5
	v_mul_hi_u32 v6, s47, v5
	s_delay_alu instid0(VALU_DEP_1) | instskip(SKIP_1) | instid1(VALU_DEP_1)
	v_add_nc_u32_e32 v6, v5, v6
	v_mul_lo_u32 v7, v4, s40
	v_sub_nc_u32_e32 v1, v1, v7
	v_mul_lo_u32 v7, v5, s43
	s_delay_alu instid0(VALU_DEP_4) | instskip(NEXT) | instid1(VALU_DEP_3)
	v_lshrrev_b32_e32 v6, s56, v6
	v_mad_u32 v3, v1, s49, v3
	v_mad_u32 v1, v1, s48, v2
	s_delay_alu instid0(VALU_DEP_4) | instskip(NEXT) | instid1(VALU_DEP_4)
	v_sub_nc_u32_e32 v2, v4, v7
	v_mul_hi_u32 v8, s58, v6
	v_mul_lo_u32 v4, v6, s46
	s_delay_alu instid0(VALU_DEP_3) | instskip(SKIP_1) | instid1(VALU_DEP_4)
	v_mad_u32 v3, v2, s51, v3
	v_mad_u32 v2, v2, s50, v1
	v_add_nc_u32_e32 v7, v6, v8
	s_delay_alu instid0(VALU_DEP_1) | instskip(NEXT) | instid1(VALU_DEP_1)
	v_dual_sub_nc_u32 v4, v5, v4 :: v_dual_lshrrev_b32 v1, s59, v7
	v_mad_u32 v3, v4, s53, v3
	s_delay_alu instid0(VALU_DEP_4) | instskip(NEXT) | instid1(VALU_DEP_3)
	v_mad_u32 v2, v4, s52, v2
	v_mul_lo_u32 v5, v1, s57
	s_delay_alu instid0(VALU_DEP_1) | instskip(NEXT) | instid1(VALU_DEP_1)
	v_sub_nc_u32_e32 v4, v6, v5
	v_mad_u32 v3, v4, s55, v3
	s_delay_alu instid0(VALU_DEP_4)
	v_mad_u32 v2, v4, s54, v2
	s_cbranch_scc0 .LBB5_128
	s_branch .LBB5_132
.LBB5_129:
                                        ; implicit-def: $vgpr3
	s_branch .LBB5_136
.LBB5_130:
	v_dual_mov_b32 v3, 0 :: v_dual_mov_b32 v2, 0
	s_branch .LBB5_135
.LBB5_131:
	v_mov_b64_e32 v[2:3], 0
	v_mov_b32_e32 v1, v0
	s_mov_b32 s0, 0
.LBB5_132:
	s_and_b32 s20, s39, 3
	s_mov_b32 s1, 0
	s_cmp_eq_u32 s20, 0
	s_cbranch_scc1 .LBB5_135
; %bb.133:
	s_lshl_b32 s26, s0, 3
	s_mov_b32 s27, s1
	s_mul_u64 s[28:29], s[0:1], 12
	s_add_nc_u64 s[26:27], s[2:3], s[26:27]
	s_delay_alu instid0(SALU_CYCLE_1)
	s_add_nc_u64 s[0:1], s[26:27], 0xc4
	s_add_nc_u64 s[26:27], s[2:3], s[28:29]
.LBB5_134:                              ; =>This Inner Loop Header: Depth=1
	s_load_b96 s[28:30], s[26:27], 0x4
	s_add_co_i32 s20, s20, -1
	s_wait_xcnt 0x0
	s_add_nc_u64 s[26:27], s[26:27], 12
	s_cmp_lg_u32 s20, 0
	s_wait_kmcnt 0x0
	v_mul_hi_u32 v4, s29, v1
	s_delay_alu instid0(VALU_DEP_1) | instskip(NEXT) | instid1(VALU_DEP_1)
	v_add_nc_u32_e32 v4, v1, v4
	v_lshrrev_b32_e32 v4, s30, v4
	s_load_b64 s[30:31], s[0:1], 0x0
	s_wait_xcnt 0x0
	s_add_nc_u64 s[0:1], s[0:1], 8
	s_delay_alu instid0(VALU_DEP_1) | instskip(NEXT) | instid1(VALU_DEP_1)
	v_mul_lo_u32 v5, v4, s28
	v_sub_nc_u32_e32 v1, v1, v5
	s_wait_kmcnt 0x0
	s_delay_alu instid0(VALU_DEP_1)
	v_mad_u32 v3, v1, s31, v3
	v_mad_u32 v2, v1, s30, v2
	v_mov_b32_e32 v1, v4
	s_cbranch_scc1 .LBB5_134
.LBB5_135:
	s_cbranch_execnz .LBB5_138
.LBB5_136:
	v_mov_b32_e32 v1, 0
	s_and_not1_b32 vcc_lo, exec_lo, s37
	s_delay_alu instid0(VALU_DEP_1) | instskip(NEXT) | instid1(VALU_DEP_1)
	v_mul_u64_e32 v[2:3], s[22:23], v[0:1]
	v_add_nc_u32_e32 v2, v0, v3
	s_delay_alu instid0(VALU_DEP_1) | instskip(NEXT) | instid1(VALU_DEP_1)
	v_lshrrev_b32_e32 v4, s14, v2
	v_mul_lo_u32 v2, v4, s12
	s_delay_alu instid0(VALU_DEP_1) | instskip(NEXT) | instid1(VALU_DEP_1)
	v_sub_nc_u32_e32 v0, v0, v2
	v_mul_lo_u32 v3, v0, s17
	v_mul_lo_u32 v2, v0, s16
	s_cbranch_vccnz .LBB5_138
; %bb.137:
	v_mov_b32_e32 v5, v1
	s_delay_alu instid0(VALU_DEP_1) | instskip(NEXT) | instid1(VALU_DEP_1)
	v_mul_u64_e32 v[0:1], s[24:25], v[4:5]
	v_add_nc_u32_e32 v0, v4, v1
	s_delay_alu instid0(VALU_DEP_1) | instskip(NEXT) | instid1(VALU_DEP_1)
	v_lshrrev_b32_e32 v0, s21, v0
	v_mul_lo_u32 v0, v0, s15
	s_delay_alu instid0(VALU_DEP_1) | instskip(NEXT) | instid1(VALU_DEP_1)
	v_sub_nc_u32_e32 v0, v4, v0
	v_mad_u32 v2, v0, s18, v2
	v_mad_u32 v3, v0, s19, v3
.LBB5_138:
	global_load_b64 v[4:5], v3, s[6:7]
	s_wait_xcnt 0x0
	s_mov_b32 s6, exec_lo
	s_wait_loadcnt 0x0
	v_mul_f64_e32 v[0:1], s[8:9], v[4:5]
	s_delay_alu instid0(VALU_DEP_1)
	v_cmpx_nlt_f64_e32 s[10:11], v[0:1]
	s_cbranch_execz .LBB5_140
; %bb.139:
	v_mul_f64_e32 v[4:5], 0x3ff71547652b82fe, v[0:1]
	s_mov_b64 s[0:1], 0x3e5ade156a5dcb37
	v_cmp_nlt_f64_e32 vcc_lo, 0x40900000, v[0:1]
	s_delay_alu instid0(VALU_DEP_2) | instskip(NEXT) | instid1(VALU_DEP_1)
	v_rndne_f64_e32 v[4:5], v[4:5]
	v_fmamk_f64 v[6:7], v[4:5], 0xbfe62e42fefa39ef, v[0:1]
	v_cvt_i32_f64_e32 v3, v[4:5]
	s_delay_alu instid0(VALU_DEP_2) | instskip(NEXT) | instid1(VALU_DEP_1)
	v_fmamk_f64 v[6:7], v[4:5], 0xbc7abc9e3b39803f, v[6:7]
	v_fmaak_f64 v[8:9], s[0:1], v[6:7], 0x3e928af3fca7ab0c
	v_cmp_ngt_f64_e64 s0, 0xc090cc00, v[0:1]
	s_delay_alu instid0(VALU_DEP_2) | instskip(NEXT) | instid1(VALU_DEP_1)
	v_fmaak_f64 v[8:9], v[6:7], v[8:9], 0x3ec71dee623fde64
	v_fmaak_f64 v[8:9], v[6:7], v[8:9], 0x3efa01997c89e6b0
	s_delay_alu instid0(VALU_DEP_1) | instskip(NEXT) | instid1(VALU_DEP_1)
	v_fmaak_f64 v[8:9], v[6:7], v[8:9], 0x3f2a01a014761f6e
	v_fmaak_f64 v[8:9], v[6:7], v[8:9], 0x3f56c16c1852b7b0
	s_delay_alu instid0(VALU_DEP_1) | instskip(NEXT) | instid1(VALU_DEP_1)
	;; [unrolled: 3-line block ×4, first 2 shown]
	v_fma_f64 v[8:9], v[6:7], v[8:9], 1.0
	v_fma_f64 v[4:5], v[6:7], v[8:9], 1.0
	s_delay_alu instid0(VALU_DEP_1) | instskip(NEXT) | instid1(VALU_DEP_1)
	v_ldexp_f64 v[4:5], v[4:5], v3
	v_cndmask_b32_e32 v3, 0x7ff00000, v5, vcc_lo
	s_and_b32 vcc_lo, s0, vcc_lo
	s_delay_alu instid0(VALU_DEP_1) | instid1(SALU_CYCLE_1)
	v_dual_cndmask_b32 v0, 0, v4, vcc_lo :: v_dual_cndmask_b32 v1, 0, v3, s0
	s_mov_b64 s[0:1], 0x3fe5555555555555
	s_delay_alu instid0(VALU_DEP_1) | instskip(NEXT) | instid1(VALU_DEP_1)
	v_add_f64_e32 v[4:5], 1.0, v[0:1]
	v_frexp_mant_f64_e32 v[6:7], v[4:5]
	v_frexp_exp_i32_f64_e32 v3, v[4:5]
	s_delay_alu instid0(VALU_DEP_2) | instskip(SKIP_1) | instid1(VALU_DEP_2)
	v_cmp_gt_f64_e32 vcc_lo, s[0:1], v[6:7]
	s_mov_b64 s[0:1], 0x3fc3ab76bf559e2b
	v_subrev_co_ci_u32_e64 v3, null, 0, v3, vcc_lo
	v_cmp_nge_f64_e32 vcc_lo, -1.0, v[0:1]
	s_delay_alu instid0(VALU_DEP_2) | instskip(NEXT) | instid1(VALU_DEP_1)
	v_dual_add_f64 v[8:9], -1.0, v[4:5] :: v_dual_sub_nc_u32 v12, 0, v3
	v_add_f64_e64 v[6:7], v[8:9], -v[4:5]
	s_delay_alu instid0(VALU_DEP_2) | instskip(SKIP_1) | instid1(VALU_DEP_3)
	v_ldexp_f64 v[4:5], v[4:5], v12
	v_add_f64_e64 v[8:9], v[0:1], -v[8:9]
	v_add_f64_e32 v[6:7], 1.0, v[6:7]
	s_delay_alu instid0(VALU_DEP_3) | instskip(SKIP_1) | instid1(VALU_DEP_3)
	v_add_f64_e32 v[10:11], 1.0, v[4:5]
	v_add_f64_e32 v[16:17], -1.0, v[4:5]
	v_add_f64_e32 v[6:7], v[8:9], v[6:7]
	s_delay_alu instid0(VALU_DEP_3) | instskip(NEXT) | instid1(VALU_DEP_3)
	v_add_f64_e32 v[8:9], -1.0, v[10:11]
	v_add_f64_e32 v[18:19], 1.0, v[16:17]
	s_delay_alu instid0(VALU_DEP_3) | instskip(NEXT) | instid1(VALU_DEP_3)
	v_ldexp_f64 v[6:7], v[6:7], v12
	v_add_f64_e64 v[8:9], v[4:5], -v[8:9]
	s_delay_alu instid0(VALU_DEP_3) | instskip(NEXT) | instid1(VALU_DEP_2)
	v_add_f64_e64 v[4:5], v[4:5], -v[18:19]
	v_add_f64_e32 v[8:9], v[6:7], v[8:9]
	s_delay_alu instid0(VALU_DEP_2) | instskip(NEXT) | instid1(VALU_DEP_2)
	v_add_f64_e32 v[4:5], v[6:7], v[4:5]
	v_add_f64_e32 v[12:13], v[10:11], v[8:9]
	s_delay_alu instid0(VALU_DEP_2) | instskip(NEXT) | instid1(VALU_DEP_2)
	v_add_f64_e32 v[18:19], v[16:17], v[4:5]
	v_rcp_f64_e32 v[14:15], v[12:13]
	v_add_f64_e64 v[10:11], v[12:13], -v[10:11]
	s_delay_alu instid0(VALU_DEP_2) | instskip(NEXT) | instid1(VALU_DEP_2)
	v_add_f64_e64 v[16:17], v[18:19], -v[16:17]
	v_add_f64_e64 v[8:9], v[8:9], -v[10:11]
	s_delay_alu instid0(VALU_DEP_2) | instskip(NEXT) | instid1(TRANS32_DEP_1)
	v_add_f64_e64 v[4:5], v[4:5], -v[16:17]
	v_fma_f64 v[20:21], -v[12:13], v[14:15], 1.0
	s_delay_alu instid0(VALU_DEP_1) | instskip(NEXT) | instid1(VALU_DEP_1)
	v_fmac_f64_e32 v[14:15], v[20:21], v[14:15]
	v_fma_f64 v[6:7], -v[12:13], v[14:15], 1.0
	s_delay_alu instid0(VALU_DEP_1) | instskip(NEXT) | instid1(VALU_DEP_1)
	v_fmac_f64_e32 v[14:15], v[6:7], v[14:15]
	v_mul_f64_e32 v[6:7], v[18:19], v[14:15]
	s_delay_alu instid0(VALU_DEP_1) | instskip(NEXT) | instid1(VALU_DEP_1)
	v_mul_f64_e32 v[20:21], v[12:13], v[6:7]
	v_fma_f64 v[10:11], v[6:7], v[12:13], -v[20:21]
	s_delay_alu instid0(VALU_DEP_1) | instskip(NEXT) | instid1(VALU_DEP_1)
	v_fmac_f64_e32 v[10:11], v[6:7], v[8:9]
	v_add_f64_e32 v[22:23], v[20:21], v[10:11]
	s_delay_alu instid0(VALU_DEP_1) | instskip(SKIP_1) | instid1(VALU_DEP_2)
	v_add_f64_e64 v[24:25], v[18:19], -v[22:23]
	v_add_f64_e64 v[16:17], v[22:23], -v[20:21]
	;; [unrolled: 1-line block ×3, first 2 shown]
	s_delay_alu instid0(VALU_DEP_2) | instskip(NEXT) | instid1(VALU_DEP_2)
	v_add_f64_e64 v[10:11], v[16:17], -v[10:11]
	v_add_f64_e64 v[18:19], v[18:19], -v[22:23]
	s_delay_alu instid0(VALU_DEP_1) | instskip(NEXT) | instid1(VALU_DEP_1)
	v_add_f64_e32 v[4:5], v[4:5], v[18:19]
	v_add_f64_e32 v[4:5], v[10:11], v[4:5]
	s_delay_alu instid0(VALU_DEP_1) | instskip(NEXT) | instid1(VALU_DEP_1)
	v_add_f64_e32 v[10:11], v[24:25], v[4:5]
	v_mul_f64_e32 v[16:17], v[14:15], v[10:11]
	v_add_f64_e64 v[22:23], v[24:25], -v[10:11]
	s_delay_alu instid0(VALU_DEP_2) | instskip(NEXT) | instid1(VALU_DEP_2)
	v_mul_f64_e32 v[18:19], v[12:13], v[16:17]
	v_add_f64_e32 v[4:5], v[4:5], v[22:23]
	s_delay_alu instid0(VALU_DEP_2) | instskip(NEXT) | instid1(VALU_DEP_1)
	v_fma_f64 v[12:13], v[16:17], v[12:13], -v[18:19]
	v_fmac_f64_e32 v[12:13], v[16:17], v[8:9]
	s_delay_alu instid0(VALU_DEP_1) | instskip(NEXT) | instid1(VALU_DEP_1)
	v_add_f64_e32 v[8:9], v[18:19], v[12:13]
	v_add_f64_e64 v[20:21], v[10:11], -v[8:9]
	v_add_f64_e64 v[18:19], v[8:9], -v[18:19]
	s_delay_alu instid0(VALU_DEP_2) | instskip(NEXT) | instid1(VALU_DEP_1)
	v_add_f64_e64 v[10:11], v[10:11], -v[20:21]
	v_add_f64_e64 v[8:9], v[10:11], -v[8:9]
	s_delay_alu instid0(VALU_DEP_3) | instskip(NEXT) | instid1(VALU_DEP_2)
	v_add_f64_e64 v[10:11], v[18:19], -v[12:13]
	v_add_f64_e32 v[4:5], v[4:5], v[8:9]
	v_add_f64_e32 v[8:9], v[6:7], v[16:17]
	s_delay_alu instid0(VALU_DEP_2) | instskip(NEXT) | instid1(VALU_DEP_2)
	v_add_f64_e32 v[4:5], v[10:11], v[4:5]
	v_add_f64_e64 v[6:7], v[8:9], -v[6:7]
	s_delay_alu instid0(VALU_DEP_2) | instskip(NEXT) | instid1(VALU_DEP_2)
	v_add_f64_e32 v[4:5], v[20:21], v[4:5]
	v_add_f64_e64 v[6:7], v[16:17], -v[6:7]
	s_delay_alu instid0(VALU_DEP_2) | instskip(NEXT) | instid1(VALU_DEP_1)
	v_mul_f64_e32 v[4:5], v[14:15], v[4:5]
	v_add_f64_e32 v[4:5], v[6:7], v[4:5]
	s_delay_alu instid0(VALU_DEP_1) | instskip(NEXT) | instid1(VALU_DEP_1)
	v_add_f64_e32 v[6:7], v[8:9], v[4:5]
	v_mul_f64_e32 v[10:11], v[6:7], v[6:7]
	s_delay_alu instid0(VALU_DEP_1) | instskip(SKIP_2) | instid1(VALU_DEP_2)
	v_fmaak_f64 v[12:13], s[0:1], v[10:11], 0x3fc385386b47b09a
	v_mul_f64_e32 v[14:15], v[6:7], v[10:11]
	s_mov_b64 s[0:1], 0x3fe62e42fefa39ef
	v_fmaak_f64 v[12:13], v[10:11], v[12:13], 0x3fc7474dd7f4df2e
	s_delay_alu instid0(VALU_DEP_1) | instskip(NEXT) | instid1(VALU_DEP_1)
	v_fmaak_f64 v[12:13], v[10:11], v[12:13], 0x3fcc71c016291751
	v_fmaak_f64 v[12:13], v[10:11], v[12:13], 0x3fd249249b27acf1
	s_delay_alu instid0(VALU_DEP_1) | instskip(NEXT) | instid1(VALU_DEP_1)
	v_fmaak_f64 v[12:13], v[10:11], v[12:13], 0x3fd99999998ef7b6
	v_fmaak_f64 v[10:11], v[10:11], v[12:13], 0x3fe5555555555780
	v_ldexp_f64 v[12:13], v[6:7], 1
	v_add_f64_e64 v[6:7], v[6:7], -v[8:9]
	s_delay_alu instid0(VALU_DEP_3) | instskip(SKIP_1) | instid1(VALU_DEP_3)
	v_mul_f64_e32 v[10:11], v[14:15], v[10:11]
	v_cvt_f64_i32_e32 v[14:15], v3
	v_add_f64_e64 v[4:5], v[4:5], -v[6:7]
	s_delay_alu instid0(VALU_DEP_3) | instskip(NEXT) | instid1(VALU_DEP_2)
	v_add_f64_e32 v[8:9], v[12:13], v[10:11]
	v_ldexp_f64 v[4:5], v[4:5], 1
	s_delay_alu instid0(VALU_DEP_2) | instskip(SKIP_1) | instid1(VALU_DEP_2)
	v_add_f64_e64 v[6:7], v[8:9], -v[12:13]
	v_mul_f64_e32 v[12:13], 0x3fe62e42fefa39ef, v[14:15]
	v_add_f64_e64 v[6:7], v[10:11], -v[6:7]
	s_delay_alu instid0(VALU_DEP_2) | instskip(SKIP_2) | instid1(VALU_DEP_4)
	v_fma_f64 v[10:11], v[14:15], s[0:1], -v[12:13]
	v_cmp_neq_f64_e64 s0, 0x7ff00000, v[0:1]
	v_cmp_ngt_f64_e64 s1, -1.0, v[0:1]
	v_add_f64_e32 v[4:5], v[4:5], v[6:7]
	s_delay_alu instid0(VALU_DEP_4) | instskip(SKIP_1) | instid1(VALU_DEP_1)
	v_fmamk_f64 v[6:7], v[14:15], 0x3c7abc9e3b39803f, v[10:11]
	s_and_b32 vcc_lo, vcc_lo, s0
	v_add_f64_e32 v[10:11], v[12:13], v[6:7]
	s_delay_alu instid0(VALU_DEP_3) | instskip(NEXT) | instid1(VALU_DEP_2)
	v_add_f64_e32 v[14:15], v[8:9], v[4:5]
	v_add_f64_e64 v[12:13], v[10:11], -v[12:13]
	s_delay_alu instid0(VALU_DEP_2) | instskip(SKIP_1) | instid1(VALU_DEP_3)
	v_add_f64_e32 v[16:17], v[10:11], v[14:15]
	v_add_f64_e64 v[8:9], v[14:15], -v[8:9]
	v_add_f64_e64 v[6:7], v[6:7], -v[12:13]
	s_delay_alu instid0(VALU_DEP_3) | instskip(NEXT) | instid1(VALU_DEP_3)
	v_add_f64_e64 v[18:19], v[16:17], -v[10:11]
	v_add_f64_e64 v[4:5], v[4:5], -v[8:9]
	s_delay_alu instid0(VALU_DEP_2) | instskip(SKIP_1) | instid1(VALU_DEP_3)
	v_add_f64_e64 v[20:21], v[16:17], -v[18:19]
	v_add_f64_e64 v[8:9], v[14:15], -v[18:19]
	v_add_f64_e32 v[12:13], v[6:7], v[4:5]
	s_delay_alu instid0(VALU_DEP_3) | instskip(NEXT) | instid1(VALU_DEP_1)
	v_add_f64_e64 v[10:11], v[10:11], -v[20:21]
	v_add_f64_e32 v[8:9], v[8:9], v[10:11]
	s_delay_alu instid0(VALU_DEP_3) | instskip(NEXT) | instid1(VALU_DEP_2)
	v_add_f64_e64 v[10:11], v[12:13], -v[6:7]
	v_add_f64_e32 v[8:9], v[12:13], v[8:9]
	s_delay_alu instid0(VALU_DEP_2) | instskip(SKIP_1) | instid1(VALU_DEP_3)
	v_add_f64_e64 v[12:13], v[12:13], -v[10:11]
	v_add_f64_e64 v[4:5], v[4:5], -v[10:11]
	v_add_f64_e32 v[14:15], v[16:17], v[8:9]
	s_delay_alu instid0(VALU_DEP_3) | instskip(NEXT) | instid1(VALU_DEP_2)
	v_add_f64_e64 v[6:7], v[6:7], -v[12:13]
	v_add_f64_e64 v[10:11], v[14:15], -v[16:17]
	s_delay_alu instid0(VALU_DEP_2) | instskip(NEXT) | instid1(VALU_DEP_2)
	v_add_f64_e32 v[4:5], v[4:5], v[6:7]
	v_add_f64_e64 v[6:7], v[8:9], -v[10:11]
	s_delay_alu instid0(VALU_DEP_1) | instskip(NEXT) | instid1(VALU_DEP_1)
	v_add_f64_e32 v[4:5], v[4:5], v[6:7]
	v_add_f64_e32 v[4:5], v[14:15], v[4:5]
	s_delay_alu instid0(VALU_DEP_1) | instskip(SKIP_1) | instid1(VALU_DEP_3)
	v_cndmask_b32_e32 v4, 0, v4, vcc_lo
	v_cmp_neq_f64_e32 vcc_lo, -1.0, v[0:1]
	v_cndmask_b32_e64 v3, 0x7ff00000, v5, s0
	s_delay_alu instid0(VALU_DEP_1) | instskip(NEXT) | instid1(VALU_DEP_1)
	v_cndmask_b32_e64 v3, 0x7ff80000, v3, s1
	v_cndmask_b32_e32 v5, 0xfff00000, v3, vcc_lo
	s_delay_alu instid0(VALU_DEP_1) | instskip(NEXT) | instid1(VALU_DEP_1)
	v_div_scale_f64 v[0:1], null, s[8:9], s[8:9], v[4:5]
	v_rcp_f64_e32 v[6:7], v[0:1]
	v_nop
	s_delay_alu instid0(TRANS32_DEP_1) | instskip(NEXT) | instid1(VALU_DEP_1)
	v_fma_f64 v[8:9], -v[0:1], v[6:7], 1.0
	v_fmac_f64_e32 v[6:7], v[6:7], v[8:9]
	s_delay_alu instid0(VALU_DEP_1) | instskip(NEXT) | instid1(VALU_DEP_1)
	v_fma_f64 v[8:9], -v[0:1], v[6:7], 1.0
	v_fmac_f64_e32 v[6:7], v[6:7], v[8:9]
	v_div_scale_f64 v[8:9], vcc_lo, v[4:5], s[8:9], v[4:5]
	s_delay_alu instid0(VALU_DEP_1) | instskip(NEXT) | instid1(VALU_DEP_1)
	v_mul_f64_e32 v[10:11], v[8:9], v[6:7]
	v_fma_f64 v[0:1], -v[0:1], v[10:11], v[8:9]
	s_delay_alu instid0(VALU_DEP_1) | instskip(NEXT) | instid1(VALU_DEP_1)
	v_div_fmas_f64 v[0:1], v[0:1], v[6:7], v[10:11]
	v_div_fixup_f64 v[4:5], v[0:1], s[8:9], v[4:5]
.LBB5_140:
	s_or_b32 exec_lo, exec_lo, s6
	global_store_b64 v2, v[4:5], s[4:5]
	s_wait_xcnt 0x0
	s_or_b32 exec_lo, exec_lo, s13
                                        ; implicit-def: $vgpr8
                                        ; implicit-def: $vgpr0
	s_and_not1_saveexec_b32 s0, s36
	s_cbranch_execz .LBB5_113
	s_branch .LBB5_8
	.section	.rodata,"a",@progbits
	.p2align	6, 0x0
	.amdhsa_kernel _ZN2at6native32elementwise_kernel_manual_unrollILi128ELi4EZNS0_22gpu_kernel_impl_nocastIZZZNS0_12_GLOBAL__N_115softplus_kernelERNS_18TensorIteratorBaseERKN3c106ScalarES9_ENKUlvE_clEvENKUlvE_clEvEUldE_EEvS5_RKT_EUlibE_EEviT1_
		.amdhsa_group_segment_fixed_size 0
		.amdhsa_private_segment_fixed_size 0
		.amdhsa_kernarg_size 368
		.amdhsa_user_sgpr_count 2
		.amdhsa_user_sgpr_dispatch_ptr 0
		.amdhsa_user_sgpr_queue_ptr 0
		.amdhsa_user_sgpr_kernarg_segment_ptr 1
		.amdhsa_user_sgpr_dispatch_id 0
		.amdhsa_user_sgpr_kernarg_preload_length 0
		.amdhsa_user_sgpr_kernarg_preload_offset 0
		.amdhsa_user_sgpr_private_segment_size 0
		.amdhsa_wavefront_size32 1
		.amdhsa_uses_dynamic_stack 0
		.amdhsa_enable_private_segment 0
		.amdhsa_system_sgpr_workgroup_id_x 1
		.amdhsa_system_sgpr_workgroup_id_y 0
		.amdhsa_system_sgpr_workgroup_id_z 0
		.amdhsa_system_sgpr_workgroup_info 0
		.amdhsa_system_vgpr_workitem_id 0
		.amdhsa_next_free_vgpr 38
		.amdhsa_next_free_sgpr 64
		.amdhsa_named_barrier_count 0
		.amdhsa_reserve_vcc 1
		.amdhsa_float_round_mode_32 0
		.amdhsa_float_round_mode_16_64 0
		.amdhsa_float_denorm_mode_32 3
		.amdhsa_float_denorm_mode_16_64 3
		.amdhsa_fp16_overflow 0
		.amdhsa_memory_ordered 1
		.amdhsa_forward_progress 1
		.amdhsa_inst_pref_size 136
		.amdhsa_round_robin_scheduling 0
		.amdhsa_exception_fp_ieee_invalid_op 0
		.amdhsa_exception_fp_denorm_src 0
		.amdhsa_exception_fp_ieee_div_zero 0
		.amdhsa_exception_fp_ieee_overflow 0
		.amdhsa_exception_fp_ieee_underflow 0
		.amdhsa_exception_fp_ieee_inexact 0
		.amdhsa_exception_int_div_zero 0
	.end_amdhsa_kernel
	.section	.text._ZN2at6native32elementwise_kernel_manual_unrollILi128ELi4EZNS0_22gpu_kernel_impl_nocastIZZZNS0_12_GLOBAL__N_115softplus_kernelERNS_18TensorIteratorBaseERKN3c106ScalarES9_ENKUlvE_clEvENKUlvE_clEvEUldE_EEvS5_RKT_EUlibE_EEviT1_,"axG",@progbits,_ZN2at6native32elementwise_kernel_manual_unrollILi128ELi4EZNS0_22gpu_kernel_impl_nocastIZZZNS0_12_GLOBAL__N_115softplus_kernelERNS_18TensorIteratorBaseERKN3c106ScalarES9_ENKUlvE_clEvENKUlvE_clEvEUldE_EEvS5_RKT_EUlibE_EEviT1_,comdat
.Lfunc_end5:
	.size	_ZN2at6native32elementwise_kernel_manual_unrollILi128ELi4EZNS0_22gpu_kernel_impl_nocastIZZZNS0_12_GLOBAL__N_115softplus_kernelERNS_18TensorIteratorBaseERKN3c106ScalarES9_ENKUlvE_clEvENKUlvE_clEvEUldE_EEvS5_RKT_EUlibE_EEviT1_, .Lfunc_end5-_ZN2at6native32elementwise_kernel_manual_unrollILi128ELi4EZNS0_22gpu_kernel_impl_nocastIZZZNS0_12_GLOBAL__N_115softplus_kernelERNS_18TensorIteratorBaseERKN3c106ScalarES9_ENKUlvE_clEvENKUlvE_clEvEUldE_EEvS5_RKT_EUlibE_EEviT1_
                                        ; -- End function
	.set _ZN2at6native32elementwise_kernel_manual_unrollILi128ELi4EZNS0_22gpu_kernel_impl_nocastIZZZNS0_12_GLOBAL__N_115softplus_kernelERNS_18TensorIteratorBaseERKN3c106ScalarES9_ENKUlvE_clEvENKUlvE_clEvEUldE_EEvS5_RKT_EUlibE_EEviT1_.num_vgpr, 38
	.set _ZN2at6native32elementwise_kernel_manual_unrollILi128ELi4EZNS0_22gpu_kernel_impl_nocastIZZZNS0_12_GLOBAL__N_115softplus_kernelERNS_18TensorIteratorBaseERKN3c106ScalarES9_ENKUlvE_clEvENKUlvE_clEvEUldE_EEvS5_RKT_EUlibE_EEviT1_.num_agpr, 0
	.set _ZN2at6native32elementwise_kernel_manual_unrollILi128ELi4EZNS0_22gpu_kernel_impl_nocastIZZZNS0_12_GLOBAL__N_115softplus_kernelERNS_18TensorIteratorBaseERKN3c106ScalarES9_ENKUlvE_clEvENKUlvE_clEvEUldE_EEvS5_RKT_EUlibE_EEviT1_.numbered_sgpr, 64
	.set _ZN2at6native32elementwise_kernel_manual_unrollILi128ELi4EZNS0_22gpu_kernel_impl_nocastIZZZNS0_12_GLOBAL__N_115softplus_kernelERNS_18TensorIteratorBaseERKN3c106ScalarES9_ENKUlvE_clEvENKUlvE_clEvEUldE_EEvS5_RKT_EUlibE_EEviT1_.num_named_barrier, 0
	.set _ZN2at6native32elementwise_kernel_manual_unrollILi128ELi4EZNS0_22gpu_kernel_impl_nocastIZZZNS0_12_GLOBAL__N_115softplus_kernelERNS_18TensorIteratorBaseERKN3c106ScalarES9_ENKUlvE_clEvENKUlvE_clEvEUldE_EEvS5_RKT_EUlibE_EEviT1_.private_seg_size, 0
	.set _ZN2at6native32elementwise_kernel_manual_unrollILi128ELi4EZNS0_22gpu_kernel_impl_nocastIZZZNS0_12_GLOBAL__N_115softplus_kernelERNS_18TensorIteratorBaseERKN3c106ScalarES9_ENKUlvE_clEvENKUlvE_clEvEUldE_EEvS5_RKT_EUlibE_EEviT1_.uses_vcc, 1
	.set _ZN2at6native32elementwise_kernel_manual_unrollILi128ELi4EZNS0_22gpu_kernel_impl_nocastIZZZNS0_12_GLOBAL__N_115softplus_kernelERNS_18TensorIteratorBaseERKN3c106ScalarES9_ENKUlvE_clEvENKUlvE_clEvEUldE_EEvS5_RKT_EUlibE_EEviT1_.uses_flat_scratch, 0
	.set _ZN2at6native32elementwise_kernel_manual_unrollILi128ELi4EZNS0_22gpu_kernel_impl_nocastIZZZNS0_12_GLOBAL__N_115softplus_kernelERNS_18TensorIteratorBaseERKN3c106ScalarES9_ENKUlvE_clEvENKUlvE_clEvEUldE_EEvS5_RKT_EUlibE_EEviT1_.has_dyn_sized_stack, 0
	.set _ZN2at6native32elementwise_kernel_manual_unrollILi128ELi4EZNS0_22gpu_kernel_impl_nocastIZZZNS0_12_GLOBAL__N_115softplus_kernelERNS_18TensorIteratorBaseERKN3c106ScalarES9_ENKUlvE_clEvENKUlvE_clEvEUldE_EEvS5_RKT_EUlibE_EEviT1_.has_recursion, 0
	.set _ZN2at6native32elementwise_kernel_manual_unrollILi128ELi4EZNS0_22gpu_kernel_impl_nocastIZZZNS0_12_GLOBAL__N_115softplus_kernelERNS_18TensorIteratorBaseERKN3c106ScalarES9_ENKUlvE_clEvENKUlvE_clEvEUldE_EEvS5_RKT_EUlibE_EEviT1_.has_indirect_call, 0
	.section	.AMDGPU.csdata,"",@progbits
; Kernel info:
; codeLenInByte = 17392
; TotalNumSgprs: 66
; NumVgprs: 38
; ScratchSize: 0
; MemoryBound: 0
; FloatMode: 240
; IeeeMode: 1
; LDSByteSize: 0 bytes/workgroup (compile time only)
; SGPRBlocks: 0
; VGPRBlocks: 2
; NumSGPRsForWavesPerEU: 66
; NumVGPRsForWavesPerEU: 38
; NamedBarCnt: 0
; Occupancy: 16
; WaveLimiterHint : 1
; COMPUTE_PGM_RSRC2:SCRATCH_EN: 0
; COMPUTE_PGM_RSRC2:USER_SGPR: 2
; COMPUTE_PGM_RSRC2:TRAP_HANDLER: 0
; COMPUTE_PGM_RSRC2:TGID_X_EN: 1
; COMPUTE_PGM_RSRC2:TGID_Y_EN: 0
; COMPUTE_PGM_RSRC2:TGID_Z_EN: 0
; COMPUTE_PGM_RSRC2:TIDIG_COMP_CNT: 0
	.section	.text._ZN2at6native32elementwise_kernel_manual_unrollILi128ELi4EZNS0_15gpu_kernel_implIZZZNS0_12_GLOBAL__N_115softplus_kernelERNS_18TensorIteratorBaseERKN3c106ScalarES9_ENKUlvE_clEvENKUlvE_clEvEUldE_EEvS5_RKT_EUlibE_EEviT1_,"axG",@progbits,_ZN2at6native32elementwise_kernel_manual_unrollILi128ELi4EZNS0_15gpu_kernel_implIZZZNS0_12_GLOBAL__N_115softplus_kernelERNS_18TensorIteratorBaseERKN3c106ScalarES9_ENKUlvE_clEvENKUlvE_clEvEUldE_EEvS5_RKT_EUlibE_EEviT1_,comdat
	.globl	_ZN2at6native32elementwise_kernel_manual_unrollILi128ELi4EZNS0_15gpu_kernel_implIZZZNS0_12_GLOBAL__N_115softplus_kernelERNS_18TensorIteratorBaseERKN3c106ScalarES9_ENKUlvE_clEvENKUlvE_clEvEUldE_EEvS5_RKT_EUlibE_EEviT1_ ; -- Begin function _ZN2at6native32elementwise_kernel_manual_unrollILi128ELi4EZNS0_15gpu_kernel_implIZZZNS0_12_GLOBAL__N_115softplus_kernelERNS_18TensorIteratorBaseERKN3c106ScalarES9_ENKUlvE_clEvENKUlvE_clEvEUldE_EEvS5_RKT_EUlibE_EEviT1_
	.p2align	8
	.type	_ZN2at6native32elementwise_kernel_manual_unrollILi128ELi4EZNS0_15gpu_kernel_implIZZZNS0_12_GLOBAL__N_115softplus_kernelERNS_18TensorIteratorBaseERKN3c106ScalarES9_ENKUlvE_clEvENKUlvE_clEvEUldE_EEvS5_RKT_EUlibE_EEviT1_,@function
_ZN2at6native32elementwise_kernel_manual_unrollILi128ELi4EZNS0_15gpu_kernel_implIZZZNS0_12_GLOBAL__N_115softplus_kernelERNS_18TensorIteratorBaseERKN3c106ScalarES9_ENKUlvE_clEvENKUlvE_clEvEUldE_EEvS5_RKT_EUlibE_EEviT1_: ; @_ZN2at6native32elementwise_kernel_manual_unrollILi128ELi4EZNS0_15gpu_kernel_implIZZZNS0_12_GLOBAL__N_115softplus_kernelERNS_18TensorIteratorBaseERKN3c106ScalarES9_ENKUlvE_clEvENKUlvE_clEvEUldE_EEvS5_RKT_EUlibE_EEviT1_
; %bb.0:
	s_load_b32 s12, s[0:1], 0x30
	s_bfe_u32 s2, ttmp6, 0x4000c
	s_clause 0x1
	s_load_b32 s17, s[0:1], 0x0
	s_load_b128 s[4:7], s[0:1], 0x8
	s_add_co_i32 s14, s2, 1
	s_clause 0x1
	s_load_b64 s[2:3], s[0:1], 0x18
	s_load_b128 s[8:11], s[0:1], 0x20
	s_and_b32 s13, ttmp6, 15
	s_wait_xcnt 0x0
	s_mul_i32 s0, ttmp9, s14
	s_getreg_b32 s15, hwreg(HW_REG_IB_STS2, 6, 4)
	s_add_co_i32 s13, s13, s0
	s_mov_b32 s16, 0
	s_wait_kmcnt 0x0
	s_bfe_u32 s14, s12, 0x80008
	s_cmp_eq_u32 s15, 0
	s_cselect_b32 s0, ttmp9, s13
	s_mov_b32 s13, 0
	v_lshl_or_b32 v12, s0, 9, v0
	s_mov_b32 s0, exec_lo
	s_delay_alu instid0(VALU_DEP_1) | instskip(NEXT) | instid1(VALU_DEP_1)
	v_or_b32_e32 v0, 0x180, v12
	v_cmpx_le_i32_e64 s17, v0
	s_xor_b32 s15, exec_lo, s0
	s_cbranch_execz .LBB6_1039
; %bb.1:
	s_mov_b32 s1, -1
	s_mov_b32 s20, 0
	s_mov_b32 s18, 0
	s_mov_b32 s19, exec_lo
	v_cmpx_gt_i32_e64 s17, v12
	s_cbranch_execz .LBB6_254
; %bb.2:
	v_mul_lo_u32 v0, v12, s3
	s_and_b32 s0, 0xffff, s14
	s_delay_alu instid0(SALU_CYCLE_1) | instskip(NEXT) | instid1(VALU_DEP_1)
	s_cmp_lt_i32 s0, 11
	v_ashrrev_i32_e32 v1, 31, v0
	s_delay_alu instid0(VALU_DEP_1)
	v_add_nc_u64_e32 v[2:3], s[6:7], v[0:1]
	s_cbranch_scc1 .LBB6_9
; %bb.3:
	s_cmp_gt_i32 s0, 25
	s_cbranch_scc0 .LBB6_20
; %bb.4:
	s_cmp_gt_i32 s0, 28
	s_cbranch_scc0 .LBB6_23
	;; [unrolled: 3-line block ×4, first 2 shown]
; %bb.7:
	s_cmp_eq_u32 s0, 46
	s_cbranch_scc0 .LBB6_29
; %bb.8:
	global_load_b32 v0, v[2:3], off
	s_wait_loadcnt 0x0
	v_lshlrev_b32_e32 v0, 16, v0
	s_delay_alu instid0(VALU_DEP_1)
	v_cvt_f64_f32_e32 v[0:1], v0
	s_branch .LBB6_31
.LBB6_9:
	s_mov_b32 s1, 0
                                        ; implicit-def: $vgpr0_vgpr1
	s_cbranch_execnz .LBB6_204
.LBB6_10:
	s_and_not1_b32 vcc_lo, exec_lo, s1
	s_cbranch_vccnz .LBB6_251
.LBB6_11:
	s_wait_loadcnt 0x0
	s_delay_alu instid0(VALU_DEP_1) | instskip(SKIP_1) | instid1(VALU_DEP_1)
	v_mul_f64_e32 v[2:3], s[8:9], v[0:1]
	s_mov_b32 s16, exec_lo
	v_cmpx_nlt_f64_e32 s[10:11], v[2:3]
	s_cbranch_execz .LBB6_13
; %bb.12:
	v_mul_f64_e32 v[0:1], 0x3ff71547652b82fe, v[2:3]
	s_mov_b64 s[0:1], 0x3e5ade156a5dcb37
	v_cmp_nlt_f64_e32 vcc_lo, 0x40900000, v[2:3]
	s_delay_alu instid0(VALU_DEP_2) | instskip(NEXT) | instid1(VALU_DEP_1)
	v_rndne_f64_e32 v[0:1], v[0:1]
	v_fmamk_f64 v[4:5], v[0:1], 0xbfe62e42fefa39ef, v[2:3]
	v_cvt_i32_f64_e32 v8, v[0:1]
	s_delay_alu instid0(VALU_DEP_2) | instskip(NEXT) | instid1(VALU_DEP_1)
	v_fmamk_f64 v[4:5], v[0:1], 0xbc7abc9e3b39803f, v[4:5]
	v_fmaak_f64 v[6:7], s[0:1], v[4:5], 0x3e928af3fca7ab0c
	v_cmp_ngt_f64_e64 s0, 0xc090cc00, v[2:3]
	s_delay_alu instid0(VALU_DEP_2) | instskip(NEXT) | instid1(VALU_DEP_1)
	v_fmaak_f64 v[6:7], v[4:5], v[6:7], 0x3ec71dee623fde64
	v_fmaak_f64 v[6:7], v[4:5], v[6:7], 0x3efa01997c89e6b0
	s_delay_alu instid0(VALU_DEP_1) | instskip(NEXT) | instid1(VALU_DEP_1)
	v_fmaak_f64 v[6:7], v[4:5], v[6:7], 0x3f2a01a014761f6e
	v_fmaak_f64 v[6:7], v[4:5], v[6:7], 0x3f56c16c1852b7b0
	s_delay_alu instid0(VALU_DEP_1) | instskip(NEXT) | instid1(VALU_DEP_1)
	;; [unrolled: 3-line block ×4, first 2 shown]
	v_fma_f64 v[6:7], v[4:5], v[6:7], 1.0
	v_fma_f64 v[0:1], v[4:5], v[6:7], 1.0
	s_delay_alu instid0(VALU_DEP_1) | instskip(NEXT) | instid1(VALU_DEP_1)
	v_ldexp_f64 v[0:1], v[0:1], v8
	v_cndmask_b32_e32 v1, 0x7ff00000, v1, vcc_lo
	s_and_b32 vcc_lo, s0, vcc_lo
	s_delay_alu instid0(VALU_DEP_1) | instid1(SALU_CYCLE_1)
	v_dual_cndmask_b32 v0, 0, v0, vcc_lo :: v_dual_cndmask_b32 v1, 0, v1, s0
	s_mov_b64 s[0:1], 0x3fe5555555555555
	s_delay_alu instid0(VALU_DEP_1) | instskip(NEXT) | instid1(VALU_DEP_1)
	v_add_f64_e32 v[2:3], 1.0, v[0:1]
	v_frexp_mant_f64_e32 v[4:5], v[2:3]
	v_frexp_exp_i32_f64_e32 v8, v[2:3]
	s_delay_alu instid0(VALU_DEP_2) | instskip(SKIP_1) | instid1(VALU_DEP_2)
	v_cmp_gt_f64_e32 vcc_lo, s[0:1], v[4:5]
	s_mov_b64 s[0:1], 0x3fc3ab76bf559e2b
	v_subrev_co_ci_u32_e64 v13, null, 0, v8, vcc_lo
	v_add_f64_e32 v[6:7], -1.0, v[2:3]
	v_cmp_nge_f64_e32 vcc_lo, -1.0, v[0:1]
	s_delay_alu instid0(VALU_DEP_2) | instskip(NEXT) | instid1(VALU_DEP_1)
	v_dual_add_f64 v[4:5], v[6:7], -v[2:3] :: v_dual_sub_nc_u32 v10, 0, v13
	v_ldexp_f64 v[2:3], v[2:3], v10
	v_add_f64_e64 v[6:7], v[0:1], -v[6:7]
	s_delay_alu instid0(VALU_DEP_3) | instskip(NEXT) | instid1(VALU_DEP_3)
	v_add_f64_e32 v[4:5], 1.0, v[4:5]
	v_add_f64_e32 v[8:9], 1.0, v[2:3]
	v_add_f64_e32 v[16:17], -1.0, v[2:3]
	s_delay_alu instid0(VALU_DEP_3) | instskip(NEXT) | instid1(VALU_DEP_3)
	v_add_f64_e32 v[4:5], v[6:7], v[4:5]
	v_add_f64_e32 v[6:7], -1.0, v[8:9]
	s_delay_alu instid0(VALU_DEP_3) | instskip(NEXT) | instid1(VALU_DEP_3)
	v_add_f64_e32 v[18:19], 1.0, v[16:17]
	v_ldexp_f64 v[4:5], v[4:5], v10
	s_delay_alu instid0(VALU_DEP_3) | instskip(NEXT) | instid1(VALU_DEP_3)
	v_add_f64_e64 v[6:7], v[2:3], -v[6:7]
	v_add_f64_e64 v[2:3], v[2:3], -v[18:19]
	s_delay_alu instid0(VALU_DEP_2) | instskip(NEXT) | instid1(VALU_DEP_2)
	v_add_f64_e32 v[6:7], v[4:5], v[6:7]
	v_add_f64_e32 v[2:3], v[4:5], v[2:3]
	s_delay_alu instid0(VALU_DEP_2) | instskip(NEXT) | instid1(VALU_DEP_2)
	v_add_f64_e32 v[10:11], v[8:9], v[6:7]
	v_add_f64_e32 v[18:19], v[16:17], v[2:3]
	s_delay_alu instid0(VALU_DEP_2) | instskip(SKIP_1) | instid1(VALU_DEP_2)
	v_rcp_f64_e32 v[14:15], v[10:11]
	v_add_f64_e64 v[8:9], v[10:11], -v[8:9]
	v_add_f64_e64 v[16:17], v[18:19], -v[16:17]
	s_delay_alu instid0(VALU_DEP_2) | instskip(NEXT) | instid1(VALU_DEP_2)
	v_add_f64_e64 v[6:7], v[6:7], -v[8:9]
	v_add_f64_e64 v[2:3], v[2:3], -v[16:17]
	s_delay_alu instid0(TRANS32_DEP_1) | instskip(NEXT) | instid1(VALU_DEP_1)
	v_fma_f64 v[20:21], -v[10:11], v[14:15], 1.0
	v_fmac_f64_e32 v[14:15], v[20:21], v[14:15]
	s_delay_alu instid0(VALU_DEP_1) | instskip(NEXT) | instid1(VALU_DEP_1)
	v_fma_f64 v[4:5], -v[10:11], v[14:15], 1.0
	v_fmac_f64_e32 v[14:15], v[4:5], v[14:15]
	s_delay_alu instid0(VALU_DEP_1) | instskip(NEXT) | instid1(VALU_DEP_1)
	v_mul_f64_e32 v[4:5], v[18:19], v[14:15]
	v_mul_f64_e32 v[20:21], v[10:11], v[4:5]
	s_delay_alu instid0(VALU_DEP_1) | instskip(NEXT) | instid1(VALU_DEP_1)
	v_fma_f64 v[8:9], v[4:5], v[10:11], -v[20:21]
	v_fmac_f64_e32 v[8:9], v[4:5], v[6:7]
	s_delay_alu instid0(VALU_DEP_1) | instskip(NEXT) | instid1(VALU_DEP_1)
	v_add_f64_e32 v[22:23], v[20:21], v[8:9]
	v_add_f64_e64 v[24:25], v[18:19], -v[22:23]
	v_add_f64_e64 v[16:17], v[22:23], -v[20:21]
	s_delay_alu instid0(VALU_DEP_2) | instskip(NEXT) | instid1(VALU_DEP_2)
	v_add_f64_e64 v[18:19], v[18:19], -v[24:25]
	v_add_f64_e64 v[8:9], v[16:17], -v[8:9]
	s_delay_alu instid0(VALU_DEP_2) | instskip(NEXT) | instid1(VALU_DEP_1)
	v_add_f64_e64 v[18:19], v[18:19], -v[22:23]
	v_add_f64_e32 v[2:3], v[2:3], v[18:19]
	s_delay_alu instid0(VALU_DEP_1) | instskip(NEXT) | instid1(VALU_DEP_1)
	v_add_f64_e32 v[2:3], v[8:9], v[2:3]
	v_add_f64_e32 v[8:9], v[24:25], v[2:3]
	s_delay_alu instid0(VALU_DEP_1) | instskip(SKIP_1) | instid1(VALU_DEP_2)
	v_mul_f64_e32 v[16:17], v[14:15], v[8:9]
	v_add_f64_e64 v[22:23], v[24:25], -v[8:9]
	v_mul_f64_e32 v[18:19], v[10:11], v[16:17]
	s_delay_alu instid0(VALU_DEP_2) | instskip(NEXT) | instid1(VALU_DEP_2)
	v_add_f64_e32 v[2:3], v[2:3], v[22:23]
	v_fma_f64 v[10:11], v[16:17], v[10:11], -v[18:19]
	s_delay_alu instid0(VALU_DEP_1) | instskip(NEXT) | instid1(VALU_DEP_1)
	v_fmac_f64_e32 v[10:11], v[16:17], v[6:7]
	v_add_f64_e32 v[6:7], v[18:19], v[10:11]
	s_delay_alu instid0(VALU_DEP_1) | instskip(SKIP_1) | instid1(VALU_DEP_2)
	v_add_f64_e64 v[20:21], v[8:9], -v[6:7]
	v_add_f64_e64 v[18:19], v[6:7], -v[18:19]
	;; [unrolled: 1-line block ×3, first 2 shown]
	s_delay_alu instid0(VALU_DEP_1) | instskip(NEXT) | instid1(VALU_DEP_3)
	v_add_f64_e64 v[6:7], v[8:9], -v[6:7]
	v_add_f64_e64 v[8:9], v[18:19], -v[10:11]
	s_delay_alu instid0(VALU_DEP_2) | instskip(SKIP_1) | instid1(VALU_DEP_2)
	v_add_f64_e32 v[2:3], v[2:3], v[6:7]
	v_add_f64_e32 v[6:7], v[4:5], v[16:17]
	;; [unrolled: 1-line block ×3, first 2 shown]
	s_delay_alu instid0(VALU_DEP_2) | instskip(NEXT) | instid1(VALU_DEP_2)
	v_add_f64_e64 v[4:5], v[6:7], -v[4:5]
	v_add_f64_e32 v[2:3], v[20:21], v[2:3]
	s_delay_alu instid0(VALU_DEP_2) | instskip(NEXT) | instid1(VALU_DEP_2)
	v_add_f64_e64 v[4:5], v[16:17], -v[4:5]
	v_mul_f64_e32 v[2:3], v[14:15], v[2:3]
	s_delay_alu instid0(VALU_DEP_1) | instskip(NEXT) | instid1(VALU_DEP_1)
	v_add_f64_e32 v[2:3], v[4:5], v[2:3]
	v_add_f64_e32 v[4:5], v[6:7], v[2:3]
	s_delay_alu instid0(VALU_DEP_1) | instskip(NEXT) | instid1(VALU_DEP_1)
	v_mul_f64_e32 v[8:9], v[4:5], v[4:5]
	v_fmaak_f64 v[10:11], s[0:1], v[8:9], 0x3fc385386b47b09a
	v_mul_f64_e32 v[14:15], v[4:5], v[8:9]
	s_mov_b64 s[0:1], 0x3fe62e42fefa39ef
	s_delay_alu instid0(VALU_DEP_2) | instskip(NEXT) | instid1(VALU_DEP_1)
	v_fmaak_f64 v[10:11], v[8:9], v[10:11], 0x3fc7474dd7f4df2e
	v_fmaak_f64 v[10:11], v[8:9], v[10:11], 0x3fcc71c016291751
	s_delay_alu instid0(VALU_DEP_1) | instskip(NEXT) | instid1(VALU_DEP_1)
	v_fmaak_f64 v[10:11], v[8:9], v[10:11], 0x3fd249249b27acf1
	v_fmaak_f64 v[10:11], v[8:9], v[10:11], 0x3fd99999998ef7b6
	s_delay_alu instid0(VALU_DEP_1) | instskip(SKIP_2) | instid1(VALU_DEP_3)
	v_fmaak_f64 v[8:9], v[8:9], v[10:11], 0x3fe5555555555780
	v_ldexp_f64 v[10:11], v[4:5], 1
	v_add_f64_e64 v[4:5], v[4:5], -v[6:7]
	v_mul_f64_e32 v[8:9], v[14:15], v[8:9]
	v_cvt_f64_i32_e32 v[14:15], v13
	s_delay_alu instid0(VALU_DEP_3) | instskip(NEXT) | instid1(VALU_DEP_3)
	v_add_f64_e64 v[2:3], v[2:3], -v[4:5]
	v_add_f64_e32 v[6:7], v[10:11], v[8:9]
	s_delay_alu instid0(VALU_DEP_2) | instskip(NEXT) | instid1(VALU_DEP_2)
	v_ldexp_f64 v[2:3], v[2:3], 1
	v_add_f64_e64 v[4:5], v[6:7], -v[10:11]
	v_mul_f64_e32 v[10:11], 0x3fe62e42fefa39ef, v[14:15]
	s_delay_alu instid0(VALU_DEP_2) | instskip(NEXT) | instid1(VALU_DEP_2)
	v_add_f64_e64 v[4:5], v[8:9], -v[4:5]
	v_fma_f64 v[8:9], v[14:15], s[0:1], -v[10:11]
	v_cmp_neq_f64_e64 s0, 0x7ff00000, v[0:1]
	v_cmp_ngt_f64_e64 s1, -1.0, v[0:1]
	s_delay_alu instid0(VALU_DEP_4) | instskip(NEXT) | instid1(VALU_DEP_4)
	v_add_f64_e32 v[2:3], v[2:3], v[4:5]
	v_fmamk_f64 v[4:5], v[14:15], 0x3c7abc9e3b39803f, v[8:9]
	s_and_b32 vcc_lo, vcc_lo, s0
	s_delay_alu instid0(VALU_DEP_1) | instskip(NEXT) | instid1(VALU_DEP_3)
	v_add_f64_e32 v[8:9], v[10:11], v[4:5]
	v_add_f64_e32 v[14:15], v[6:7], v[2:3]
	s_delay_alu instid0(VALU_DEP_2) | instskip(NEXT) | instid1(VALU_DEP_2)
	v_add_f64_e64 v[10:11], v[8:9], -v[10:11]
	v_add_f64_e32 v[16:17], v[8:9], v[14:15]
	v_add_f64_e64 v[6:7], v[14:15], -v[6:7]
	s_delay_alu instid0(VALU_DEP_3) | instskip(NEXT) | instid1(VALU_DEP_3)
	v_add_f64_e64 v[4:5], v[4:5], -v[10:11]
	v_add_f64_e64 v[18:19], v[16:17], -v[8:9]
	s_delay_alu instid0(VALU_DEP_3) | instskip(NEXT) | instid1(VALU_DEP_2)
	v_add_f64_e64 v[2:3], v[2:3], -v[6:7]
	v_add_f64_e64 v[20:21], v[16:17], -v[18:19]
	;; [unrolled: 1-line block ×3, first 2 shown]
	s_delay_alu instid0(VALU_DEP_3) | instskip(NEXT) | instid1(VALU_DEP_3)
	v_add_f64_e32 v[10:11], v[4:5], v[2:3]
	v_add_f64_e64 v[8:9], v[8:9], -v[20:21]
	s_delay_alu instid0(VALU_DEP_1) | instskip(NEXT) | instid1(VALU_DEP_3)
	v_add_f64_e32 v[6:7], v[6:7], v[8:9]
	v_add_f64_e64 v[8:9], v[10:11], -v[4:5]
	s_delay_alu instid0(VALU_DEP_2) | instskip(NEXT) | instid1(VALU_DEP_2)
	v_add_f64_e32 v[6:7], v[10:11], v[6:7]
	v_add_f64_e64 v[10:11], v[10:11], -v[8:9]
	v_add_f64_e64 v[2:3], v[2:3], -v[8:9]
	s_delay_alu instid0(VALU_DEP_3) | instskip(NEXT) | instid1(VALU_DEP_3)
	v_add_f64_e32 v[14:15], v[16:17], v[6:7]
	v_add_f64_e64 v[4:5], v[4:5], -v[10:11]
	s_delay_alu instid0(VALU_DEP_2) | instskip(NEXT) | instid1(VALU_DEP_2)
	v_add_f64_e64 v[8:9], v[14:15], -v[16:17]
	v_add_f64_e32 v[2:3], v[2:3], v[4:5]
	s_delay_alu instid0(VALU_DEP_2) | instskip(NEXT) | instid1(VALU_DEP_1)
	v_add_f64_e64 v[4:5], v[6:7], -v[8:9]
	v_add_f64_e32 v[2:3], v[2:3], v[4:5]
	s_delay_alu instid0(VALU_DEP_1) | instskip(NEXT) | instid1(VALU_DEP_1)
	v_add_f64_e32 v[2:3], v[14:15], v[2:3]
	v_cndmask_b32_e32 v2, 0, v2, vcc_lo
	v_cmp_neq_f64_e32 vcc_lo, -1.0, v[0:1]
	s_delay_alu instid0(VALU_DEP_3) | instskip(NEXT) | instid1(VALU_DEP_1)
	v_cndmask_b32_e64 v3, 0x7ff00000, v3, s0
	v_cndmask_b32_e64 v3, 0x7ff80000, v3, s1
	s_delay_alu instid0(VALU_DEP_1) | instskip(NEXT) | instid1(VALU_DEP_1)
	v_cndmask_b32_e32 v3, 0xfff00000, v3, vcc_lo
	v_div_scale_f64 v[0:1], null, s[8:9], s[8:9], v[2:3]
	s_delay_alu instid0(VALU_DEP_1) | instskip(SKIP_1) | instid1(TRANS32_DEP_1)
	v_rcp_f64_e32 v[4:5], v[0:1]
	v_nop
	v_fma_f64 v[6:7], -v[0:1], v[4:5], 1.0
	s_delay_alu instid0(VALU_DEP_1) | instskip(NEXT) | instid1(VALU_DEP_1)
	v_fmac_f64_e32 v[4:5], v[4:5], v[6:7]
	v_fma_f64 v[6:7], -v[0:1], v[4:5], 1.0
	s_delay_alu instid0(VALU_DEP_1) | instskip(SKIP_1) | instid1(VALU_DEP_1)
	v_fmac_f64_e32 v[4:5], v[4:5], v[6:7]
	v_div_scale_f64 v[6:7], vcc_lo, v[2:3], s[8:9], v[2:3]
	v_mul_f64_e32 v[8:9], v[6:7], v[4:5]
	s_delay_alu instid0(VALU_DEP_1) | instskip(NEXT) | instid1(VALU_DEP_1)
	v_fma_f64 v[0:1], -v[0:1], v[8:9], v[6:7]
	v_div_fmas_f64 v[0:1], v[0:1], v[4:5], v[8:9]
	s_delay_alu instid0(VALU_DEP_1)
	v_div_fixup_f64 v[0:1], v[0:1], s[8:9], v[2:3]
.LBB6_13:
	s_or_b32 exec_lo, exec_lo, s16
	v_mul_lo_u32 v2, v12, s2
	s_and_b32 s1, s12, 0xff
	s_delay_alu instid0(SALU_CYCLE_1) | instskip(NEXT) | instid1(VALU_DEP_1)
	s_cmp_lt_i32 s1, 11
	v_ashrrev_i32_e32 v3, 31, v2
	s_delay_alu instid0(VALU_DEP_1)
	v_add_nc_u64_e32 v[4:5], s[4:5], v[2:3]
	s_cbranch_scc1 .LBB6_21
; %bb.14:
	s_and_b32 s16, 0xffff, s1
	s_delay_alu instid0(SALU_CYCLE_1)
	s_cmp_gt_i32 s16, 25
	s_cbranch_scc0 .LBB6_24
; %bb.15:
	s_cmp_gt_i32 s16, 28
	s_cbranch_scc0 .LBB6_26
; %bb.16:
	;; [unrolled: 3-line block ×4, first 2 shown]
	s_mov_b32 s22, 0
	s_mov_b32 s0, -1
	s_cmp_eq_u32 s16, 46
	s_mov_b32 s21, 0
	s_cbranch_scc0 .LBB6_35
; %bb.19:
	s_delay_alu instid0(VALU_DEP_4) | instskip(SKIP_2) | instid1(VALU_DEP_1)
	v_cvt_f32_f64_e32 v2, v[0:1]
	s_mov_b32 s21, -1
	s_mov_b32 s0, 0
	v_bfe_u32 v3, v2, 16, 1
	v_cmp_o_f32_e32 vcc_lo, v2, v2
	s_delay_alu instid0(VALU_DEP_2) | instskip(NEXT) | instid1(VALU_DEP_1)
	v_add3_u32 v3, v2, v3, 0x7fff
	v_lshrrev_b32_e32 v3, 16, v3
	s_delay_alu instid0(VALU_DEP_1)
	v_cndmask_b32_e32 v2, 0x7fc0, v3, vcc_lo
	global_store_b32 v[4:5], v2, off
	s_branch .LBB6_35
.LBB6_20:
	s_mov_b32 s1, 0
                                        ; implicit-def: $vgpr0_vgpr1
	s_cbranch_execnz .LBB6_169
	s_branch .LBB6_203
.LBB6_21:
	s_mov_b32 s0, 0
	s_mov_b32 s21, 0
	s_cbranch_execnz .LBB6_104
.LBB6_22:
	s_and_not1_b32 vcc_lo, exec_lo, s21
	s_cbranch_vccnz .LBB6_252
	s_branch .LBB6_142
.LBB6_23:
	s_mov_b32 s16, -1
	s_mov_b32 s1, 0
                                        ; implicit-def: $vgpr0_vgpr1
	s_branch .LBB6_150
.LBB6_24:
	s_mov_b32 s22, -1
	s_mov_b32 s0, 0
	s_mov_b32 s21, 0
	s_branch .LBB6_62
.LBB6_25:
	s_mov_b32 s16, -1
	s_mov_b32 s1, 0
                                        ; implicit-def: $vgpr0_vgpr1
	s_branch .LBB6_145
.LBB6_26:
	s_mov_b32 s22, -1
	s_mov_b32 s0, 0
	s_mov_b32 s21, 0
	s_branch .LBB6_45
.LBB6_27:
	s_mov_b32 s16, -1
	s_branch .LBB6_30
.LBB6_28:
	s_mov_b32 s22, -1
	s_mov_b32 s0, 0
	s_mov_b32 s21, 0
	s_branch .LBB6_41
.LBB6_29:
	s_mov_b32 s18, -1
.LBB6_30:
	s_mov_b32 s1, 0
                                        ; implicit-def: $vgpr0_vgpr1
.LBB6_31:
	s_and_b32 vcc_lo, exec_lo, s16
	s_cbranch_vccz .LBB6_144
; %bb.32:
	s_cmp_eq_u32 s0, 44
	s_cbranch_scc0 .LBB6_143
; %bb.33:
	global_load_u8 v4, v[2:3], off
	s_mov_b32 s18, 0
	s_mov_b32 s1, -1
	s_wait_loadcnt 0x0
	v_cmp_ne_u32_e32 vcc_lo, 0xff, v4
	v_lshlrev_b32_e32 v0, 23, v4
	s_delay_alu instid0(VALU_DEP_1) | instskip(NEXT) | instid1(VALU_DEP_1)
	v_cvt_f64_f32_e32 v[0:1], v0
	v_cndmask_b32_e32 v0, 0x20000000, v0, vcc_lo
	s_delay_alu instid0(VALU_DEP_2) | instskip(SKIP_1) | instid1(VALU_DEP_2)
	v_cndmask_b32_e32 v1, 0x7ff80000, v1, vcc_lo
	v_cmp_ne_u32_e32 vcc_lo, 0, v4
	v_cndmask_b32_e32 v1, 0x38000000, v1, vcc_lo
	s_delay_alu instid0(VALU_DEP_4)
	v_cndmask_b32_e32 v0, 0, v0, vcc_lo
	s_branch .LBB6_144
.LBB6_34:
	s_mov_b32 s22, -1
	s_mov_b32 s0, 0
	s_mov_b32 s21, 0
.LBB6_35:
	s_and_b32 vcc_lo, exec_lo, s22
	s_cbranch_vccz .LBB6_40
; %bb.36:
	s_cmp_eq_u32 s16, 44
	s_mov_b32 s0, -1
	s_cbranch_scc0 .LBB6_40
; %bb.37:
	s_wait_xcnt 0x0
	s_delay_alu instid0(VALU_DEP_4) | instskip(SKIP_2) | instid1(VALU_DEP_2)
	v_cvt_f32_f64_e32 v2, v[0:1]
	v_mov_b32_e32 v3, 0xff
	s_mov_b32 s21, exec_lo
	v_bfe_u32 v6, v2, 23, 8
	s_delay_alu instid0(VALU_DEP_1)
	v_cmpx_ne_u32_e32 0xff, v6
	s_cbranch_execz .LBB6_39
; %bb.38:
	v_and_b32_e32 v3, 0x400000, v2
	v_and_or_b32 v6, 0x3fffff, v2, v6
	v_lshrrev_b32_e32 v2, 23, v2
	s_delay_alu instid0(VALU_DEP_3) | instskip(NEXT) | instid1(VALU_DEP_3)
	v_cmp_ne_u32_e32 vcc_lo, 0, v3
	v_cmp_ne_u32_e64 s0, 0, v6
	s_and_b32 s0, vcc_lo, s0
	s_delay_alu instid0(SALU_CYCLE_1) | instskip(NEXT) | instid1(VALU_DEP_1)
	v_cndmask_b32_e64 v3, 0, 1, s0
	v_add_nc_u32_e32 v3, v2, v3
.LBB6_39:
	s_or_b32 exec_lo, exec_lo, s21
	s_mov_b32 s21, -1
	s_mov_b32 s0, 0
	global_store_b8 v[4:5], v3, off
.LBB6_40:
	s_mov_b32 s22, 0
.LBB6_41:
	s_delay_alu instid0(SALU_CYCLE_1)
	s_and_b32 vcc_lo, exec_lo, s22
	s_cbranch_vccz .LBB6_44
; %bb.42:
	s_cmp_eq_u32 s16, 29
	s_mov_b32 s0, -1
	s_cbranch_scc0 .LBB6_44
; %bb.43:
	s_wait_xcnt 0x0
	s_delay_alu instid0(VALU_DEP_4) | instskip(SKIP_3) | instid1(VALU_DEP_1)
	v_trunc_f64_e32 v[2:3], v[0:1]
	s_mov_b32 s21, -1
	s_mov_b32 s0, 0
	s_mov_b32 s22, 0
	v_ldexp_f64 v[6:7], v[2:3], 0xffffffe0
	s_delay_alu instid0(VALU_DEP_1) | instskip(NEXT) | instid1(VALU_DEP_1)
	v_floor_f64_e32 v[6:7], v[6:7]
	v_fmamk_f64 v[2:3], v[6:7], 0xc1f00000, v[2:3]
	v_cvt_u32_f64_e32 v7, v[6:7]
	s_delay_alu instid0(VALU_DEP_2)
	v_cvt_u32_f64_e32 v6, v[2:3]
	global_store_b64 v[4:5], v[6:7], off
	s_branch .LBB6_45
.LBB6_44:
	s_mov_b32 s22, 0
.LBB6_45:
	s_delay_alu instid0(SALU_CYCLE_1)
	s_and_b32 vcc_lo, exec_lo, s22
	s_cbranch_vccz .LBB6_61
; %bb.46:
	s_cmp_lt_i32 s16, 27
	s_mov_b32 s21, -1
	s_cbranch_scc1 .LBB6_52
; %bb.47:
	s_wait_xcnt 0x0
	s_delay_alu instid0(VALU_DEP_4)
	v_cvt_u32_f64_e32 v2, v[0:1]
	s_cmp_gt_i32 s16, 27
	s_cbranch_scc0 .LBB6_49
; %bb.48:
	s_mov_b32 s21, 0
	global_store_b32 v[4:5], v2, off
.LBB6_49:
	s_and_not1_b32 vcc_lo, exec_lo, s21
	s_cbranch_vccnz .LBB6_51
; %bb.50:
	global_store_b16 v[4:5], v2, off
.LBB6_51:
	s_mov_b32 s21, 0
.LBB6_52:
	s_delay_alu instid0(SALU_CYCLE_1)
	s_and_not1_b32 vcc_lo, exec_lo, s21
	s_cbranch_vccnz .LBB6_60
; %bb.53:
	s_wait_xcnt 0x0
	s_delay_alu instid0(VALU_DEP_4) | instskip(SKIP_2) | instid1(VALU_DEP_2)
	v_cvt_f32_f64_e32 v2, v[0:1]
	v_mov_b32_e32 v6, 0x80
	s_mov_b32 s21, exec_lo
	v_and_b32_e32 v3, 0x7fffffff, v2
	s_delay_alu instid0(VALU_DEP_1)
	v_cmpx_gt_u32_e32 0x43800000, v3
	s_cbranch_execz .LBB6_59
; %bb.54:
	v_cmp_lt_u32_e32 vcc_lo, 0x3bffffff, v3
	s_mov_b32 s22, 0
                                        ; implicit-def: $vgpr3
	s_and_saveexec_b32 s23, vcc_lo
	s_delay_alu instid0(SALU_CYCLE_1)
	s_xor_b32 s23, exec_lo, s23
	s_cbranch_execz .LBB6_283
; %bb.55:
	v_bfe_u32 v3, v2, 20, 1
	s_mov_b32 s22, exec_lo
	s_delay_alu instid0(VALU_DEP_1) | instskip(NEXT) | instid1(VALU_DEP_1)
	v_add3_u32 v3, v2, v3, 0x487ffff
	v_lshrrev_b32_e32 v3, 20, v3
	s_and_not1_saveexec_b32 s23, s23
	s_cbranch_execnz .LBB6_284
.LBB6_56:
	s_or_b32 exec_lo, exec_lo, s23
	v_mov_b32_e32 v6, 0
	s_and_saveexec_b32 s23, s22
.LBB6_57:
	v_lshrrev_b32_e32 v2, 24, v2
	s_delay_alu instid0(VALU_DEP_1)
	v_and_or_b32 v6, 0x80, v2, v3
.LBB6_58:
	s_or_b32 exec_lo, exec_lo, s23
.LBB6_59:
	s_delay_alu instid0(SALU_CYCLE_1)
	s_or_b32 exec_lo, exec_lo, s21
	global_store_b8 v[4:5], v6, off
.LBB6_60:
	s_mov_b32 s21, -1
.LBB6_61:
	s_mov_b32 s22, 0
.LBB6_62:
	s_delay_alu instid0(SALU_CYCLE_1)
	s_and_b32 vcc_lo, exec_lo, s22
	s_cbranch_vccz .LBB6_103
; %bb.63:
	s_cmp_gt_i32 s16, 22
	s_mov_b32 s22, -1
	s_cbranch_scc0 .LBB6_95
; %bb.64:
	s_cmp_lt_i32 s16, 24
	s_mov_b32 s21, -1
	s_cbranch_scc1 .LBB6_84
; %bb.65:
	s_cmp_gt_i32 s16, 24
	s_cbranch_scc0 .LBB6_73
; %bb.66:
	s_wait_xcnt 0x0
	s_delay_alu instid0(VALU_DEP_4) | instskip(SKIP_2) | instid1(VALU_DEP_2)
	v_cvt_f32_f64_e32 v2, v[0:1]
	v_mov_b32_e32 v6, 0x80
	s_mov_b32 s21, exec_lo
	v_and_b32_e32 v3, 0x7fffffff, v2
	s_delay_alu instid0(VALU_DEP_1)
	v_cmpx_gt_u32_e32 0x47800000, v3
	s_cbranch_execz .LBB6_72
; %bb.67:
	v_cmp_lt_u32_e32 vcc_lo, 0x37ffffff, v3
	s_mov_b32 s22, 0
                                        ; implicit-def: $vgpr3
	s_and_saveexec_b32 s23, vcc_lo
	s_delay_alu instid0(SALU_CYCLE_1)
	s_xor_b32 s23, exec_lo, s23
	s_cbranch_execz .LBB6_287
; %bb.68:
	v_bfe_u32 v3, v2, 21, 1
	s_mov_b32 s22, exec_lo
	s_delay_alu instid0(VALU_DEP_1) | instskip(NEXT) | instid1(VALU_DEP_1)
	v_add3_u32 v3, v2, v3, 0x88fffff
	v_lshrrev_b32_e32 v3, 21, v3
	s_and_not1_saveexec_b32 s23, s23
	s_cbranch_execnz .LBB6_288
.LBB6_69:
	s_or_b32 exec_lo, exec_lo, s23
	v_mov_b32_e32 v6, 0
	s_and_saveexec_b32 s23, s22
.LBB6_70:
	v_lshrrev_b32_e32 v2, 24, v2
	s_delay_alu instid0(VALU_DEP_1)
	v_and_or_b32 v6, 0x80, v2, v3
.LBB6_71:
	s_or_b32 exec_lo, exec_lo, s23
.LBB6_72:
	s_delay_alu instid0(SALU_CYCLE_1)
	s_or_b32 exec_lo, exec_lo, s21
	s_mov_b32 s21, 0
	global_store_b8 v[4:5], v6, off
.LBB6_73:
	s_and_b32 vcc_lo, exec_lo, s21
	s_cbranch_vccz .LBB6_83
; %bb.74:
	s_wait_xcnt 0x0
	s_delay_alu instid0(VALU_DEP_4) | instskip(SKIP_1) | instid1(VALU_DEP_1)
	v_cvt_f32_f64_e32 v2, v[0:1]
	s_mov_b32 s21, exec_lo
                                        ; implicit-def: $vgpr3
	v_and_b32_e32 v6, 0x7fffffff, v2
	s_delay_alu instid0(VALU_DEP_1)
	v_cmpx_gt_u32_e32 0x43f00000, v6
	s_xor_b32 s21, exec_lo, s21
	s_cbranch_execz .LBB6_80
; %bb.75:
	s_mov_b32 s22, exec_lo
                                        ; implicit-def: $vgpr3
	v_cmpx_lt_u32_e32 0x3c7fffff, v6
	s_xor_b32 s22, exec_lo, s22
; %bb.76:
	v_bfe_u32 v3, v2, 20, 1
	s_delay_alu instid0(VALU_DEP_1) | instskip(NEXT) | instid1(VALU_DEP_1)
	v_add3_u32 v3, v2, v3, 0x407ffff
	v_and_b32_e32 v6, 0xff00000, v3
	v_lshrrev_b32_e32 v3, 20, v3
	s_delay_alu instid0(VALU_DEP_2) | instskip(NEXT) | instid1(VALU_DEP_2)
	v_cmp_ne_u32_e32 vcc_lo, 0x7f00000, v6
	v_cndmask_b32_e32 v3, 0x7e, v3, vcc_lo
; %bb.77:
	s_and_not1_saveexec_b32 s22, s22
; %bb.78:
	v_add_f32_e64 v3, 0x46800000, |v2|
; %bb.79:
	s_or_b32 exec_lo, exec_lo, s22
                                        ; implicit-def: $vgpr6
.LBB6_80:
	s_and_not1_saveexec_b32 s21, s21
; %bb.81:
	v_mov_b32_e32 v3, 0x7f
	v_cmp_lt_u32_e32 vcc_lo, 0x7f800000, v6
	s_delay_alu instid0(VALU_DEP_2)
	v_cndmask_b32_e32 v3, 0x7e, v3, vcc_lo
; %bb.82:
	s_or_b32 exec_lo, exec_lo, s21
	v_lshrrev_b32_e32 v2, 24, v2
	s_delay_alu instid0(VALU_DEP_1)
	v_and_or_b32 v2, 0x80, v2, v3
	global_store_b8 v[4:5], v2, off
.LBB6_83:
	s_mov_b32 s21, 0
.LBB6_84:
	s_delay_alu instid0(SALU_CYCLE_1)
	s_and_not1_b32 vcc_lo, exec_lo, s21
	s_cbranch_vccnz .LBB6_94
; %bb.85:
	s_wait_xcnt 0x0
	s_delay_alu instid0(VALU_DEP_4) | instskip(SKIP_1) | instid1(VALU_DEP_1)
	v_cvt_f32_f64_e32 v2, v[0:1]
	s_mov_b32 s21, exec_lo
                                        ; implicit-def: $vgpr3
	v_and_b32_e32 v6, 0x7fffffff, v2
	s_delay_alu instid0(VALU_DEP_1)
	v_cmpx_gt_u32_e32 0x47800000, v6
	s_xor_b32 s21, exec_lo, s21
	s_cbranch_execz .LBB6_91
; %bb.86:
	s_mov_b32 s22, exec_lo
                                        ; implicit-def: $vgpr3
	v_cmpx_lt_u32_e32 0x387fffff, v6
	s_xor_b32 s22, exec_lo, s22
; %bb.87:
	v_bfe_u32 v3, v2, 21, 1
	s_delay_alu instid0(VALU_DEP_1) | instskip(NEXT) | instid1(VALU_DEP_1)
	v_add3_u32 v3, v2, v3, 0x80fffff
	v_lshrrev_b32_e32 v3, 21, v3
; %bb.88:
	s_and_not1_saveexec_b32 s22, s22
; %bb.89:
	v_add_f32_e64 v3, 0x43000000, |v2|
; %bb.90:
	s_or_b32 exec_lo, exec_lo, s22
                                        ; implicit-def: $vgpr6
.LBB6_91:
	s_and_not1_saveexec_b32 s21, s21
; %bb.92:
	v_mov_b32_e32 v3, 0x7f
	v_cmp_lt_u32_e32 vcc_lo, 0x7f800000, v6
	s_delay_alu instid0(VALU_DEP_2)
	v_cndmask_b32_e32 v3, 0x7c, v3, vcc_lo
; %bb.93:
	s_or_b32 exec_lo, exec_lo, s21
	v_lshrrev_b32_e32 v2, 24, v2
	s_delay_alu instid0(VALU_DEP_1)
	v_and_or_b32 v2, 0x80, v2, v3
	global_store_b8 v[4:5], v2, off
.LBB6_94:
	s_mov_b32 s22, 0
	s_mov_b32 s21, -1
.LBB6_95:
	s_and_not1_b32 vcc_lo, exec_lo, s22
	s_cbranch_vccnz .LBB6_103
; %bb.96:
	s_cmp_gt_i32 s16, 14
	s_mov_b32 s22, -1
	s_cbranch_scc0 .LBB6_100
; %bb.97:
	s_cmp_eq_u32 s16, 15
	s_mov_b32 s0, -1
	s_cbranch_scc0 .LBB6_99
; %bb.98:
	s_wait_xcnt 0x0
	s_delay_alu instid0(VALU_DEP_4) | instskip(SKIP_2) | instid1(VALU_DEP_1)
	v_cvt_f32_f64_e32 v2, v[0:1]
	s_mov_b32 s21, -1
	s_mov_b32 s0, 0
	v_bfe_u32 v3, v2, 16, 1
	v_cmp_o_f32_e32 vcc_lo, v2, v2
	s_delay_alu instid0(VALU_DEP_2) | instskip(NEXT) | instid1(VALU_DEP_1)
	v_add3_u32 v3, v2, v3, 0x7fff
	v_lshrrev_b32_e32 v3, 16, v3
	s_delay_alu instid0(VALU_DEP_1)
	v_cndmask_b32_e32 v2, 0x7fc0, v3, vcc_lo
	global_store_b16 v[4:5], v2, off
.LBB6_99:
	s_mov_b32 s22, 0
.LBB6_100:
	s_delay_alu instid0(SALU_CYCLE_1)
	s_and_b32 vcc_lo, exec_lo, s22
	s_cbranch_vccz .LBB6_103
; %bb.101:
	s_cmp_eq_u32 s16, 11
	s_mov_b32 s0, -1
	s_cbranch_scc0 .LBB6_103
; %bb.102:
	s_delay_alu instid0(VALU_DEP_4)
	v_cmp_neq_f64_e32 vcc_lo, 0, v[0:1]
	s_mov_b32 s21, -1
	s_mov_b32 s0, 0
	s_wait_xcnt 0x0
	v_cndmask_b32_e64 v2, 0, 1, vcc_lo
	global_store_b8 v[4:5], v2, off
.LBB6_103:
	s_branch .LBB6_22
.LBB6_104:
	s_and_b32 s1, 0xffff, s1
	s_mov_b32 s16, -1
	s_cmp_lt_i32 s1, 5
	s_cbranch_scc1 .LBB6_125
; %bb.105:
	s_cmp_lt_i32 s1, 8
	s_cbranch_scc1 .LBB6_115
; %bb.106:
	;; [unrolled: 3-line block ×3, first 2 shown]
	s_cmp_gt_i32 s1, 9
	s_cbranch_scc0 .LBB6_109
; %bb.108:
	s_wait_xcnt 0x0
	v_mov_b32_e32 v2, 0
	s_mov_b32 s16, 0
	s_delay_alu instid0(VALU_DEP_1)
	v_mov_b32_e32 v3, v2
	global_store_b128 v[4:5], v[0:3], off
.LBB6_109:
	s_and_not1_b32 vcc_lo, exec_lo, s16
	s_cbranch_vccnz .LBB6_111
; %bb.110:
	s_wait_xcnt 0x0
	s_delay_alu instid0(VALU_DEP_4)
	v_cvt_f32_f64_e32 v2, v[0:1]
	v_mov_b32_e32 v3, 0
	global_store_b64 v[4:5], v[2:3], off
.LBB6_111:
	s_mov_b32 s16, 0
.LBB6_112:
	s_delay_alu instid0(SALU_CYCLE_1)
	s_and_not1_b32 vcc_lo, exec_lo, s16
	s_cbranch_vccnz .LBB6_114
; %bb.113:
	s_wait_xcnt 0x0
	s_delay_alu instid0(VALU_DEP_4) | instskip(SKIP_2) | instid1(VALU_DEP_3)
	v_and_or_b32 v2, 0x1ff, v1, v0
	v_lshrrev_b32_e32 v3, 8, v1
	v_bfe_u32 v6, v1, 20, 11
	v_cmp_ne_u32_e32 vcc_lo, 0, v2
	s_delay_alu instid0(VALU_DEP_2) | instskip(SKIP_1) | instid1(VALU_DEP_1)
	v_sub_nc_u32_e32 v7, 0x3f1, v6
	v_cndmask_b32_e64 v2, 0, 1, vcc_lo
	v_and_or_b32 v2, 0xffe, v3, v2
	s_delay_alu instid0(VALU_DEP_3) | instskip(NEXT) | instid1(VALU_DEP_2)
	v_med3_i32 v3, v7, 0, 13
	v_or_b32_e32 v7, 0x1000, v2
	s_delay_alu instid0(VALU_DEP_1) | instskip(NEXT) | instid1(VALU_DEP_1)
	v_lshrrev_b32_e32 v8, v3, v7
	v_lshlrev_b32_e32 v3, v3, v8
	s_delay_alu instid0(VALU_DEP_1) | instskip(SKIP_1) | instid1(VALU_DEP_1)
	v_cmp_ne_u32_e32 vcc_lo, v3, v7
	v_cndmask_b32_e64 v3, 0, 1, vcc_lo
	v_or_b32_e32 v3, v8, v3
	v_add_nc_u32_e32 v6, 0xfffffc10, v6
	s_delay_alu instid0(VALU_DEP_1) | instskip(SKIP_1) | instid1(VALU_DEP_2)
	v_lshl_or_b32 v7, v6, 12, v2
	v_cmp_gt_i32_e32 vcc_lo, 1, v6
	v_cndmask_b32_e32 v3, v7, v3, vcc_lo
	s_delay_alu instid0(VALU_DEP_1) | instskip(NEXT) | instid1(VALU_DEP_1)
	v_dual_lshrrev_b32 v3, 2, v3 :: v_dual_bitop2_b32 v7, 7, v3 bitop3:0x40
	v_cmp_lt_i32_e32 vcc_lo, 5, v7
	v_cndmask_b32_e64 v8, 0, 1, vcc_lo
	v_cmp_eq_u32_e32 vcc_lo, 3, v7
	v_cndmask_b32_e64 v7, 0, 1, vcc_lo
	v_cmp_ne_u32_e32 vcc_lo, 0, v2
	s_delay_alu instid0(VALU_DEP_2) | instskip(NEXT) | instid1(VALU_DEP_1)
	v_or_b32_e32 v7, v7, v8
	v_dual_mov_b32 v8, 0x7e00 :: v_dual_add_nc_u32 v3, v3, v7
	s_delay_alu instid0(VALU_DEP_1) | instskip(SKIP_2) | instid1(VALU_DEP_4)
	v_cndmask_b32_e32 v2, 0x7c00, v8, vcc_lo
	v_cmp_gt_i32_e32 vcc_lo, 31, v6
	v_lshrrev_b32_e32 v7, 16, v1
	v_cndmask_b32_e32 v3, 0x7c00, v3, vcc_lo
	v_cmp_eq_u32_e32 vcc_lo, 0x40f, v6
	s_delay_alu instid0(VALU_DEP_2) | instskip(NEXT) | instid1(VALU_DEP_4)
	v_cndmask_b32_e32 v2, v3, v2, vcc_lo
	v_and_b32_e32 v3, 0x8000, v7
	s_delay_alu instid0(VALU_DEP_1)
	v_bitop3_b32 v2, v3, 0xffff, v2 bitop3:0xc8
	global_store_b32 v[4:5], v2, off
.LBB6_114:
	s_mov_b32 s16, 0
.LBB6_115:
	s_delay_alu instid0(SALU_CYCLE_1)
	s_and_not1_b32 vcc_lo, exec_lo, s16
	s_cbranch_vccnz .LBB6_124
; %bb.116:
	s_cmp_lt_i32 s1, 6
	s_mov_b32 s16, -1
	s_cbranch_scc1 .LBB6_122
; %bb.117:
	s_cmp_gt_i32 s1, 6
	s_cbranch_scc0 .LBB6_119
; %bb.118:
	s_mov_b32 s16, 0
	global_store_b64 v[4:5], v[0:1], off
.LBB6_119:
	s_and_not1_b32 vcc_lo, exec_lo, s16
	s_cbranch_vccnz .LBB6_121
; %bb.120:
	s_wait_xcnt 0x0
	s_delay_alu instid0(VALU_DEP_4)
	v_cvt_f32_f64_e32 v2, v[0:1]
	global_store_b32 v[4:5], v2, off
.LBB6_121:
	s_mov_b32 s16, 0
.LBB6_122:
	s_delay_alu instid0(SALU_CYCLE_1)
	s_and_not1_b32 vcc_lo, exec_lo, s16
	s_cbranch_vccnz .LBB6_124
; %bb.123:
	s_wait_xcnt 0x0
	s_delay_alu instid0(VALU_DEP_4) | instskip(SKIP_2) | instid1(VALU_DEP_3)
	v_and_or_b32 v2, 0x1ff, v1, v0
	v_lshrrev_b32_e32 v3, 8, v1
	v_bfe_u32 v6, v1, 20, 11
	v_cmp_ne_u32_e32 vcc_lo, 0, v2
	s_delay_alu instid0(VALU_DEP_2) | instskip(SKIP_1) | instid1(VALU_DEP_1)
	v_sub_nc_u32_e32 v7, 0x3f1, v6
	v_cndmask_b32_e64 v2, 0, 1, vcc_lo
	v_and_or_b32 v2, 0xffe, v3, v2
	s_delay_alu instid0(VALU_DEP_3) | instskip(NEXT) | instid1(VALU_DEP_2)
	v_med3_i32 v3, v7, 0, 13
	v_or_b32_e32 v7, 0x1000, v2
	s_delay_alu instid0(VALU_DEP_1) | instskip(NEXT) | instid1(VALU_DEP_1)
	v_lshrrev_b32_e32 v8, v3, v7
	v_lshlrev_b32_e32 v3, v3, v8
	s_delay_alu instid0(VALU_DEP_1) | instskip(SKIP_1) | instid1(VALU_DEP_1)
	v_cmp_ne_u32_e32 vcc_lo, v3, v7
	v_cndmask_b32_e64 v3, 0, 1, vcc_lo
	v_or_b32_e32 v3, v8, v3
	v_add_nc_u32_e32 v6, 0xfffffc10, v6
	s_delay_alu instid0(VALU_DEP_1) | instskip(SKIP_1) | instid1(VALU_DEP_2)
	v_lshl_or_b32 v7, v6, 12, v2
	v_cmp_gt_i32_e32 vcc_lo, 1, v6
	v_cndmask_b32_e32 v3, v7, v3, vcc_lo
	s_delay_alu instid0(VALU_DEP_1) | instskip(NEXT) | instid1(VALU_DEP_1)
	v_dual_lshrrev_b32 v3, 2, v3 :: v_dual_bitop2_b32 v7, 7, v3 bitop3:0x40
	v_cmp_lt_i32_e32 vcc_lo, 5, v7
	v_cndmask_b32_e64 v8, 0, 1, vcc_lo
	v_cmp_eq_u32_e32 vcc_lo, 3, v7
	v_cndmask_b32_e64 v7, 0, 1, vcc_lo
	v_cmp_ne_u32_e32 vcc_lo, 0, v2
	s_delay_alu instid0(VALU_DEP_2) | instskip(NEXT) | instid1(VALU_DEP_1)
	v_or_b32_e32 v7, v7, v8
	v_dual_mov_b32 v8, 0x7e00 :: v_dual_add_nc_u32 v3, v3, v7
	s_delay_alu instid0(VALU_DEP_1) | instskip(SKIP_1) | instid1(VALU_DEP_3)
	v_cndmask_b32_e32 v2, 0x7c00, v8, vcc_lo
	v_cmp_gt_i32_e32 vcc_lo, 31, v6
	v_cndmask_b32_e32 v3, 0x7c00, v3, vcc_lo
	v_cmp_eq_u32_e32 vcc_lo, 0x40f, v6
	s_delay_alu instid0(VALU_DEP_2) | instskip(NEXT) | instid1(VALU_DEP_1)
	v_dual_cndmask_b32 v2, v3, v2 :: v_dual_lshrrev_b32 v3, 16, v1
	v_and_or_b32 v2, 0x8000, v3, v2
	global_store_b16 v[4:5], v2, off
.LBB6_124:
	s_mov_b32 s16, 0
.LBB6_125:
	s_delay_alu instid0(SALU_CYCLE_1)
	s_and_not1_b32 vcc_lo, exec_lo, s16
	s_cbranch_vccnz .LBB6_141
; %bb.126:
	s_cmp_lt_i32 s1, 2
	s_mov_b32 s16, -1
	s_cbranch_scc1 .LBB6_136
; %bb.127:
	s_cmp_lt_i32 s1, 3
	s_cbranch_scc1 .LBB6_133
; %bb.128:
	s_cmp_gt_i32 s1, 3
	s_cbranch_scc0 .LBB6_130
; %bb.129:
	s_wait_xcnt 0x0
	s_delay_alu instid0(VALU_DEP_4) | instskip(SKIP_1) | instid1(VALU_DEP_1)
	v_trunc_f64_e32 v[2:3], v[0:1]
	s_mov_b32 s16, 0
	v_ldexp_f64 v[6:7], v[2:3], 0xffffffe0
	s_delay_alu instid0(VALU_DEP_1) | instskip(NEXT) | instid1(VALU_DEP_1)
	v_floor_f64_e32 v[6:7], v[6:7]
	v_fmamk_f64 v[2:3], v[6:7], 0xc1f00000, v[2:3]
	v_cvt_i32_f64_e32 v7, v[6:7]
	s_delay_alu instid0(VALU_DEP_2)
	v_cvt_u32_f64_e32 v6, v[2:3]
	global_store_b64 v[4:5], v[6:7], off
.LBB6_130:
	s_and_not1_b32 vcc_lo, exec_lo, s16
	s_cbranch_vccnz .LBB6_132
; %bb.131:
	s_wait_xcnt 0x0
	s_delay_alu instid0(VALU_DEP_4)
	v_cvt_i32_f64_e32 v2, v[0:1]
	global_store_b32 v[4:5], v2, off
.LBB6_132:
	s_mov_b32 s16, 0
.LBB6_133:
	s_delay_alu instid0(SALU_CYCLE_1)
	s_and_not1_b32 vcc_lo, exec_lo, s16
	s_cbranch_vccnz .LBB6_135
; %bb.134:
	s_wait_xcnt 0x0
	s_delay_alu instid0(VALU_DEP_4)
	v_cvt_i32_f64_e32 v2, v[0:1]
	global_store_b16 v[4:5], v2, off
.LBB6_135:
	s_mov_b32 s16, 0
.LBB6_136:
	s_delay_alu instid0(SALU_CYCLE_1)
	s_and_not1_b32 vcc_lo, exec_lo, s16
	s_cbranch_vccnz .LBB6_141
; %bb.137:
	s_cmp_gt_i32 s1, 0
	s_mov_b32 s1, -1
	s_cbranch_scc0 .LBB6_139
; %bb.138:
	s_wait_xcnt 0x0
	s_delay_alu instid0(VALU_DEP_4)
	v_cvt_i32_f64_e32 v2, v[0:1]
	s_mov_b32 s1, 0
	global_store_b8 v[4:5], v2, off
.LBB6_139:
	s_and_not1_b32 vcc_lo, exec_lo, s1
	s_cbranch_vccnz .LBB6_141
; %bb.140:
	s_wait_xcnt 0x0
	s_delay_alu instid0(VALU_DEP_4) | instskip(NEXT) | instid1(VALU_DEP_1)
	v_trunc_f64_e32 v[0:1], v[0:1]
	v_ldexp_f64 v[2:3], v[0:1], 0xffffffe0
	s_delay_alu instid0(VALU_DEP_1) | instskip(NEXT) | instid1(VALU_DEP_1)
	v_floor_f64_e32 v[2:3], v[2:3]
	v_fmamk_f64 v[0:1], v[2:3], 0xc1f00000, v[0:1]
	s_delay_alu instid0(VALU_DEP_1)
	v_cvt_u32_f64_e32 v0, v[0:1]
	global_store_b8 v[4:5], v0, off
.LBB6_141:
.LBB6_142:
	v_add_nc_u32_e32 v12, 0x80, v12
	s_mov_b32 s1, -1
	s_branch .LBB6_253
.LBB6_143:
	s_mov_b32 s18, -1
                                        ; implicit-def: $vgpr0_vgpr1
.LBB6_144:
	s_mov_b32 s16, 0
.LBB6_145:
	s_delay_alu instid0(SALU_CYCLE_1)
	s_and_b32 vcc_lo, exec_lo, s16
	s_cbranch_vccz .LBB6_149
; %bb.146:
	s_cmp_eq_u32 s0, 29
	s_cbranch_scc0 .LBB6_148
; %bb.147:
	global_load_b64 v[0:1], v[2:3], off
	s_mov_b32 s1, -1
	s_mov_b32 s18, 0
	s_mov_b32 s16, 0
	s_wait_loadcnt 0x0
	v_cvt_f64_u32_e32 v[4:5], v1
	v_cvt_f64_u32_e32 v[0:1], v0
	s_delay_alu instid0(VALU_DEP_2) | instskip(NEXT) | instid1(VALU_DEP_1)
	v_ldexp_f64 v[4:5], v[4:5], 32
	v_add_f64_e32 v[0:1], v[4:5], v[0:1]
	s_branch .LBB6_150
.LBB6_148:
	s_mov_b32 s18, -1
                                        ; implicit-def: $vgpr0_vgpr1
.LBB6_149:
	s_mov_b32 s16, 0
.LBB6_150:
	s_delay_alu instid0(SALU_CYCLE_1)
	s_and_b32 vcc_lo, exec_lo, s16
	s_cbranch_vccz .LBB6_168
; %bb.151:
	s_cmp_lt_i32 s0, 27
	s_cbranch_scc1 .LBB6_154
; %bb.152:
	s_cmp_gt_i32 s0, 27
	s_cbranch_scc0 .LBB6_155
; %bb.153:
	global_load_b32 v0, v[2:3], off
	s_mov_b32 s1, 0
	s_wait_loadcnt 0x0
	v_cvt_f64_u32_e32 v[0:1], v0
	s_branch .LBB6_156
.LBB6_154:
	s_mov_b32 s1, -1
                                        ; implicit-def: $vgpr0_vgpr1
	s_branch .LBB6_159
.LBB6_155:
	s_mov_b32 s1, -1
                                        ; implicit-def: $vgpr0_vgpr1
.LBB6_156:
	s_delay_alu instid0(SALU_CYCLE_1)
	s_and_not1_b32 vcc_lo, exec_lo, s1
	s_cbranch_vccnz .LBB6_158
; %bb.157:
	global_load_u16 v0, v[2:3], off
	s_wait_loadcnt 0x0
	v_cvt_f64_u32_e32 v[0:1], v0
.LBB6_158:
	s_mov_b32 s1, 0
.LBB6_159:
	s_delay_alu instid0(SALU_CYCLE_1)
	s_and_not1_b32 vcc_lo, exec_lo, s1
	s_cbranch_vccnz .LBB6_167
; %bb.160:
	global_load_u8 v4, v[2:3], off
	s_mov_b32 s1, 0
	s_mov_b32 s16, exec_lo
	s_wait_loadcnt 0x0
	v_cmpx_lt_i16_e32 0x7f, v4
	s_xor_b32 s16, exec_lo, s16
	s_cbranch_execz .LBB6_180
; %bb.161:
	s_mov_b32 s1, -1
	s_mov_b32 s21, exec_lo
	v_cmpx_eq_u16_e32 0x80, v4
; %bb.162:
	s_xor_b32 s1, exec_lo, -1
; %bb.163:
	s_or_b32 exec_lo, exec_lo, s21
	s_delay_alu instid0(SALU_CYCLE_1)
	s_and_b32 s1, s1, exec_lo
	s_or_saveexec_b32 s16, s16
	v_mov_b64_e32 v[0:1], 0x7ff8000020000000
	s_xor_b32 exec_lo, exec_lo, s16
	s_cbranch_execnz .LBB6_181
.LBB6_164:
	s_or_b32 exec_lo, exec_lo, s16
	s_and_saveexec_b32 s16, s1
	s_cbranch_execz .LBB6_166
.LBB6_165:
	v_and_b32_e32 v0, 0xffff, v4
	s_delay_alu instid0(VALU_DEP_1) | instskip(SKIP_1) | instid1(VALU_DEP_2)
	v_and_b32_e32 v1, 7, v0
	v_bfe_u32 v7, v0, 3, 4
	v_clz_i32_u32_e32 v5, v1
	s_delay_alu instid0(VALU_DEP_2) | instskip(NEXT) | instid1(VALU_DEP_2)
	v_cmp_eq_u32_e32 vcc_lo, 0, v7
	v_min_u32_e32 v5, 32, v5
	s_delay_alu instid0(VALU_DEP_1) | instskip(NEXT) | instid1(VALU_DEP_1)
	v_subrev_nc_u32_e32 v6, 28, v5
	v_dual_lshlrev_b32 v0, v6, v0 :: v_dual_sub_nc_u32 v5, 29, v5
	s_delay_alu instid0(VALU_DEP_1) | instskip(NEXT) | instid1(VALU_DEP_2)
	v_and_b32_e32 v0, 7, v0
	v_dual_cndmask_b32 v5, v7, v5 :: v_dual_lshlrev_b32 v4, 24, v4
	s_delay_alu instid0(VALU_DEP_2) | instskip(NEXT) | instid1(VALU_DEP_2)
	v_cndmask_b32_e32 v0, v1, v0, vcc_lo
	v_and_b32_e32 v1, 0x80000000, v4
	s_delay_alu instid0(VALU_DEP_3) | instskip(NEXT) | instid1(VALU_DEP_3)
	v_lshl_add_u32 v4, v5, 23, 0x3b800000
	v_lshlrev_b32_e32 v0, 20, v0
	s_delay_alu instid0(VALU_DEP_1) | instskip(NEXT) | instid1(VALU_DEP_1)
	v_or3_b32 v0, v1, v4, v0
	v_cvt_f64_f32_e32 v[0:1], v0
.LBB6_166:
	s_or_b32 exec_lo, exec_lo, s16
.LBB6_167:
	s_mov_b32 s1, -1
.LBB6_168:
	s_branch .LBB6_203
.LBB6_169:
	s_cmp_gt_i32 s0, 22
	s_cbranch_scc0 .LBB6_179
; %bb.170:
	s_cmp_lt_i32 s0, 24
	s_cbranch_scc1 .LBB6_182
; %bb.171:
	s_cmp_gt_i32 s0, 24
	s_cbranch_scc0 .LBB6_183
; %bb.172:
	global_load_u8 v4, v[2:3], off
	s_mov_b32 s1, 0
	s_mov_b32 s16, exec_lo
	s_wait_loadcnt 0x0
	v_cmpx_lt_i16_e32 0x7f, v4
	s_xor_b32 s16, exec_lo, s16
	s_cbranch_execz .LBB6_195
; %bb.173:
	s_mov_b32 s1, -1
	s_mov_b32 s21, exec_lo
	v_cmpx_eq_u16_e32 0x80, v4
; %bb.174:
	s_xor_b32 s1, exec_lo, -1
; %bb.175:
	s_or_b32 exec_lo, exec_lo, s21
	s_delay_alu instid0(SALU_CYCLE_1)
	s_and_b32 s1, s1, exec_lo
	s_or_saveexec_b32 s16, s16
	v_mov_b64_e32 v[0:1], 0x7ff8000020000000
	s_xor_b32 exec_lo, exec_lo, s16
	s_cbranch_execnz .LBB6_196
.LBB6_176:
	s_or_b32 exec_lo, exec_lo, s16
	s_and_saveexec_b32 s16, s1
	s_cbranch_execz .LBB6_178
.LBB6_177:
	v_and_b32_e32 v0, 0xffff, v4
	s_delay_alu instid0(VALU_DEP_1) | instskip(SKIP_1) | instid1(VALU_DEP_2)
	v_and_b32_e32 v1, 3, v0
	v_bfe_u32 v7, v0, 2, 5
	v_clz_i32_u32_e32 v5, v1
	s_delay_alu instid0(VALU_DEP_2) | instskip(NEXT) | instid1(VALU_DEP_2)
	v_cmp_eq_u32_e32 vcc_lo, 0, v7
	v_min_u32_e32 v5, 32, v5
	s_delay_alu instid0(VALU_DEP_1) | instskip(NEXT) | instid1(VALU_DEP_1)
	v_subrev_nc_u32_e32 v6, 29, v5
	v_dual_lshlrev_b32 v0, v6, v0 :: v_dual_sub_nc_u32 v5, 30, v5
	s_delay_alu instid0(VALU_DEP_1) | instskip(NEXT) | instid1(VALU_DEP_2)
	v_and_b32_e32 v0, 3, v0
	v_dual_cndmask_b32 v5, v7, v5 :: v_dual_lshlrev_b32 v4, 24, v4
	s_delay_alu instid0(VALU_DEP_2) | instskip(NEXT) | instid1(VALU_DEP_2)
	v_cndmask_b32_e32 v0, v1, v0, vcc_lo
	v_and_b32_e32 v1, 0x80000000, v4
	s_delay_alu instid0(VALU_DEP_3) | instskip(NEXT) | instid1(VALU_DEP_3)
	v_lshl_add_u32 v4, v5, 23, 0x37800000
	v_lshlrev_b32_e32 v0, 21, v0
	s_delay_alu instid0(VALU_DEP_1) | instskip(NEXT) | instid1(VALU_DEP_1)
	v_or3_b32 v0, v1, v4, v0
	v_cvt_f64_f32_e32 v[0:1], v0
.LBB6_178:
	s_or_b32 exec_lo, exec_lo, s16
	s_mov_b32 s1, 0
	s_branch .LBB6_184
.LBB6_179:
	s_mov_b32 s16, -1
                                        ; implicit-def: $vgpr0_vgpr1
	s_branch .LBB6_190
.LBB6_180:
	s_or_saveexec_b32 s16, s16
	v_mov_b64_e32 v[0:1], 0x7ff8000020000000
	s_xor_b32 exec_lo, exec_lo, s16
	s_cbranch_execz .LBB6_164
.LBB6_181:
	v_cmp_ne_u16_e32 vcc_lo, 0, v4
	v_mov_b64_e32 v[0:1], 0
	s_and_not1_b32 s1, s1, exec_lo
	s_and_b32 s21, vcc_lo, exec_lo
	s_delay_alu instid0(SALU_CYCLE_1)
	s_or_b32 s1, s1, s21
	s_or_b32 exec_lo, exec_lo, s16
	s_and_saveexec_b32 s16, s1
	s_cbranch_execnz .LBB6_165
	s_branch .LBB6_166
.LBB6_182:
	s_mov_b32 s1, -1
                                        ; implicit-def: $vgpr0_vgpr1
	s_branch .LBB6_187
.LBB6_183:
	s_mov_b32 s1, -1
                                        ; implicit-def: $vgpr0_vgpr1
.LBB6_184:
	s_delay_alu instid0(SALU_CYCLE_1)
	s_and_b32 vcc_lo, exec_lo, s1
	s_cbranch_vccz .LBB6_186
; %bb.185:
	global_load_u8 v0, v[2:3], off
	s_wait_loadcnt 0x0
	v_lshlrev_b32_e32 v0, 24, v0
	s_delay_alu instid0(VALU_DEP_1) | instskip(NEXT) | instid1(VALU_DEP_1)
	v_and_b32_e32 v1, 0x7f000000, v0
	v_clz_i32_u32_e32 v4, v1
	v_cmp_ne_u32_e32 vcc_lo, 0, v1
	v_add_nc_u32_e32 v6, 0x1000000, v1
	s_delay_alu instid0(VALU_DEP_3) | instskip(NEXT) | instid1(VALU_DEP_1)
	v_min_u32_e32 v4, 32, v4
	v_sub_nc_u32_e64 v4, v4, 4 clamp
	s_delay_alu instid0(VALU_DEP_1) | instskip(NEXT) | instid1(VALU_DEP_1)
	v_dual_lshlrev_b32 v5, v4, v1 :: v_dual_lshlrev_b32 v4, 23, v4
	v_lshrrev_b32_e32 v5, 4, v5
	s_delay_alu instid0(VALU_DEP_1) | instskip(NEXT) | instid1(VALU_DEP_1)
	v_dual_sub_nc_u32 v4, v5, v4 :: v_dual_ashrrev_i32 v5, 8, v6
	v_add_nc_u32_e32 v4, 0x3c000000, v4
	s_delay_alu instid0(VALU_DEP_1) | instskip(NEXT) | instid1(VALU_DEP_1)
	v_and_or_b32 v4, 0x7f800000, v5, v4
	v_cndmask_b32_e32 v1, 0, v4, vcc_lo
	s_delay_alu instid0(VALU_DEP_1) | instskip(NEXT) | instid1(VALU_DEP_1)
	v_and_or_b32 v0, 0x80000000, v0, v1
	v_cvt_f64_f32_e32 v[0:1], v0
.LBB6_186:
	s_mov_b32 s1, 0
.LBB6_187:
	s_delay_alu instid0(SALU_CYCLE_1)
	s_and_not1_b32 vcc_lo, exec_lo, s1
	s_cbranch_vccnz .LBB6_189
; %bb.188:
	global_load_u8 v0, v[2:3], off
	s_wait_loadcnt 0x0
	v_lshlrev_b32_e32 v1, 25, v0
	v_lshlrev_b16 v0, 8, v0
	s_delay_alu instid0(VALU_DEP_1) | instskip(SKIP_1) | instid1(VALU_DEP_2)
	v_and_or_b32 v5, 0x7f00, v0, 0.5
	v_bfe_i32 v0, v0, 0, 16
	v_add_f32_e32 v5, -0.5, v5
	v_lshrrev_b32_e32 v4, 4, v1
	v_cmp_gt_u32_e32 vcc_lo, 0x8000000, v1
	s_delay_alu instid0(VALU_DEP_2) | instskip(NEXT) | instid1(VALU_DEP_1)
	v_or_b32_e32 v4, 0x70000000, v4
	v_mul_f32_e32 v4, 0x7800000, v4
	s_delay_alu instid0(VALU_DEP_1) | instskip(NEXT) | instid1(VALU_DEP_1)
	v_cndmask_b32_e32 v1, v4, v5, vcc_lo
	v_and_or_b32 v0, 0x80000000, v0, v1
	s_delay_alu instid0(VALU_DEP_1)
	v_cvt_f64_f32_e32 v[0:1], v0
.LBB6_189:
	s_mov_b32 s16, 0
	s_mov_b32 s1, -1
.LBB6_190:
	s_and_not1_b32 vcc_lo, exec_lo, s16
	s_cbranch_vccnz .LBB6_203
; %bb.191:
	s_cmp_gt_i32 s0, 14
	s_cbranch_scc0 .LBB6_194
; %bb.192:
	s_cmp_eq_u32 s0, 15
	s_cbranch_scc0 .LBB6_197
; %bb.193:
	global_load_u16 v0, v[2:3], off
	s_mov_b32 s1, -1
	s_mov_b32 s18, 0
	s_wait_loadcnt 0x0
	v_lshlrev_b32_e32 v0, 16, v0
	s_delay_alu instid0(VALU_DEP_1)
	v_cvt_f64_f32_e32 v[0:1], v0
	s_branch .LBB6_198
.LBB6_194:
	s_mov_b32 s16, -1
                                        ; implicit-def: $vgpr0_vgpr1
	s_branch .LBB6_199
.LBB6_195:
	s_or_saveexec_b32 s16, s16
	v_mov_b64_e32 v[0:1], 0x7ff8000020000000
	s_xor_b32 exec_lo, exec_lo, s16
	s_cbranch_execz .LBB6_176
.LBB6_196:
	v_cmp_ne_u16_e32 vcc_lo, 0, v4
	v_mov_b64_e32 v[0:1], 0
	s_and_not1_b32 s1, s1, exec_lo
	s_and_b32 s21, vcc_lo, exec_lo
	s_delay_alu instid0(SALU_CYCLE_1)
	s_or_b32 s1, s1, s21
	s_or_b32 exec_lo, exec_lo, s16
	s_and_saveexec_b32 s16, s1
	s_cbranch_execnz .LBB6_177
	s_branch .LBB6_178
.LBB6_197:
	s_mov_b32 s18, -1
                                        ; implicit-def: $vgpr0_vgpr1
.LBB6_198:
	s_mov_b32 s16, 0
.LBB6_199:
	s_delay_alu instid0(SALU_CYCLE_1)
	s_and_b32 vcc_lo, exec_lo, s16
	s_cbranch_vccz .LBB6_203
; %bb.200:
	s_cmp_eq_u32 s0, 11
	s_cbranch_scc0 .LBB6_202
; %bb.201:
	global_load_u8 v0, v[2:3], off
	s_mov_b32 s18, 0
	s_mov_b32 s1, -1
	s_wait_loadcnt 0x0
	v_cmp_ne_u16_e32 vcc_lo, 0, v0
	v_mov_b32_e32 v0, 0
	v_cndmask_b32_e64 v1, 0, 0x3ff00000, vcc_lo
	s_branch .LBB6_203
.LBB6_202:
	s_mov_b32 s18, -1
                                        ; implicit-def: $vgpr0_vgpr1
.LBB6_203:
	s_branch .LBB6_10
.LBB6_204:
	s_cmp_lt_i32 s0, 5
	s_cbranch_scc1 .LBB6_209
; %bb.205:
	s_cmp_lt_i32 s0, 8
	s_cbranch_scc1 .LBB6_210
; %bb.206:
	;; [unrolled: 3-line block ×3, first 2 shown]
	s_cmp_gt_i32 s0, 9
	s_cbranch_scc0 .LBB6_212
; %bb.208:
	global_load_b64 v[0:1], v[2:3], off
	s_mov_b32 s1, 0
	s_branch .LBB6_213
.LBB6_209:
                                        ; implicit-def: $vgpr0_vgpr1
	s_branch .LBB6_231
.LBB6_210:
	s_mov_b32 s1, -1
                                        ; implicit-def: $vgpr0_vgpr1
	s_branch .LBB6_219
.LBB6_211:
	s_mov_b32 s1, -1
                                        ; implicit-def: $vgpr0_vgpr1
	s_branch .LBB6_216
.LBB6_212:
	s_mov_b32 s1, -1
                                        ; implicit-def: $vgpr0_vgpr1
.LBB6_213:
	s_delay_alu instid0(SALU_CYCLE_1)
	s_and_not1_b32 vcc_lo, exec_lo, s1
	s_cbranch_vccnz .LBB6_215
; %bb.214:
	s_wait_loadcnt 0x0
	global_load_b32 v0, v[2:3], off
	s_wait_loadcnt 0x0
	v_cvt_f64_f32_e32 v[0:1], v0
.LBB6_215:
	s_mov_b32 s1, 0
.LBB6_216:
	s_delay_alu instid0(SALU_CYCLE_1)
	s_and_not1_b32 vcc_lo, exec_lo, s1
	s_cbranch_vccnz .LBB6_218
; %bb.217:
	s_wait_loadcnt 0x0
	global_load_b32 v0, v[2:3], off
	s_wait_loadcnt 0x0
	v_cvt_f32_f16_e32 v0, v0
	s_delay_alu instid0(VALU_DEP_1)
	v_cvt_f64_f32_e32 v[0:1], v0
.LBB6_218:
	s_mov_b32 s1, 0
.LBB6_219:
	s_delay_alu instid0(SALU_CYCLE_1)
	s_and_not1_b32 vcc_lo, exec_lo, s1
	s_cbranch_vccnz .LBB6_230
; %bb.220:
	s_cmp_lt_i32 s0, 6
	s_cbranch_scc1 .LBB6_223
; %bb.221:
	s_cmp_gt_i32 s0, 6
	s_cbranch_scc0 .LBB6_224
; %bb.222:
	s_wait_loadcnt 0x0
	global_load_b64 v[0:1], v[2:3], off
	s_mov_b32 s1, 0
	s_branch .LBB6_225
.LBB6_223:
	s_mov_b32 s1, -1
                                        ; implicit-def: $vgpr0_vgpr1
	s_branch .LBB6_228
.LBB6_224:
	s_mov_b32 s1, -1
                                        ; implicit-def: $vgpr0_vgpr1
.LBB6_225:
	s_delay_alu instid0(SALU_CYCLE_1)
	s_and_not1_b32 vcc_lo, exec_lo, s1
	s_cbranch_vccnz .LBB6_227
; %bb.226:
	s_wait_loadcnt 0x0
	global_load_b32 v0, v[2:3], off
	s_wait_loadcnt 0x0
	v_cvt_f64_f32_e32 v[0:1], v0
.LBB6_227:
	s_mov_b32 s1, 0
.LBB6_228:
	s_delay_alu instid0(SALU_CYCLE_1)
	s_and_not1_b32 vcc_lo, exec_lo, s1
	s_cbranch_vccnz .LBB6_230
; %bb.229:
	s_wait_loadcnt 0x0
	global_load_u16 v0, v[2:3], off
	s_wait_loadcnt 0x0
	v_cvt_f32_f16_e32 v0, v0
	s_delay_alu instid0(VALU_DEP_1)
	v_cvt_f64_f32_e32 v[0:1], v0
.LBB6_230:
	s_cbranch_execnz .LBB6_250
.LBB6_231:
	s_cmp_lt_i32 s0, 2
	s_cbranch_scc1 .LBB6_235
; %bb.232:
	s_cmp_lt_i32 s0, 3
	s_cbranch_scc1 .LBB6_236
; %bb.233:
	s_cmp_gt_i32 s0, 3
	s_cbranch_scc0 .LBB6_237
; %bb.234:
	s_wait_loadcnt 0x0
	global_load_b64 v[0:1], v[2:3], off
	s_mov_b32 s1, 0
	s_wait_loadcnt 0x0
	v_cvt_f64_i32_e32 v[4:5], v1
	v_cvt_f64_u32_e32 v[0:1], v0
	s_delay_alu instid0(VALU_DEP_2) | instskip(NEXT) | instid1(VALU_DEP_1)
	v_ldexp_f64 v[4:5], v[4:5], 32
	v_add_f64_e32 v[0:1], v[4:5], v[0:1]
	s_branch .LBB6_238
.LBB6_235:
	s_mov_b32 s1, -1
                                        ; implicit-def: $vgpr0_vgpr1
	s_branch .LBB6_244
.LBB6_236:
	s_mov_b32 s1, -1
                                        ; implicit-def: $vgpr0_vgpr1
	s_branch .LBB6_241
.LBB6_237:
	s_mov_b32 s1, -1
                                        ; implicit-def: $vgpr0_vgpr1
.LBB6_238:
	s_delay_alu instid0(SALU_CYCLE_1)
	s_and_not1_b32 vcc_lo, exec_lo, s1
	s_cbranch_vccnz .LBB6_240
; %bb.239:
	s_wait_loadcnt 0x0
	global_load_b32 v0, v[2:3], off
	s_wait_loadcnt 0x0
	v_cvt_f64_i32_e32 v[0:1], v0
.LBB6_240:
	s_mov_b32 s1, 0
.LBB6_241:
	s_delay_alu instid0(SALU_CYCLE_1)
	s_and_not1_b32 vcc_lo, exec_lo, s1
	s_cbranch_vccnz .LBB6_243
; %bb.242:
	s_wait_loadcnt 0x0
	global_load_i16 v0, v[2:3], off
	s_wait_loadcnt 0x0
	v_cvt_f64_i32_e32 v[0:1], v0
.LBB6_243:
	s_mov_b32 s1, 0
.LBB6_244:
	s_delay_alu instid0(SALU_CYCLE_1)
	s_and_not1_b32 vcc_lo, exec_lo, s1
	s_cbranch_vccnz .LBB6_250
; %bb.245:
	s_cmp_gt_i32 s0, 0
	s_mov_b32 s0, 0
	s_cbranch_scc0 .LBB6_247
; %bb.246:
	s_wait_loadcnt 0x0
	global_load_i8 v0, v[2:3], off
	s_wait_loadcnt 0x0
	v_cvt_f64_i32_e32 v[0:1], v0
	s_branch .LBB6_248
.LBB6_247:
	s_mov_b32 s0, -1
                                        ; implicit-def: $vgpr0_vgpr1
.LBB6_248:
	s_delay_alu instid0(SALU_CYCLE_1)
	s_and_not1_b32 vcc_lo, exec_lo, s0
	s_cbranch_vccnz .LBB6_250
; %bb.249:
	s_wait_loadcnt 0x0
	global_load_u8 v0, v[2:3], off
	s_wait_loadcnt 0x0
	v_cvt_f64_u32_e32 v[0:1], v0
.LBB6_250:
	s_branch .LBB6_11
.LBB6_251:
	s_mov_b32 s0, 0
.LBB6_252:
	s_mov_b32 s1, 0
                                        ; implicit-def: $vgpr12
.LBB6_253:
	s_and_b32 s16, s0, exec_lo
	s_and_b32 s18, s18, exec_lo
	s_or_not1_b32 s1, s1, exec_lo
.LBB6_254:
	s_wait_xcnt 0x0
	s_or_b32 exec_lo, exec_lo, s19
	s_mov_b32 s21, 0
	s_mov_b32 s0, 0
                                        ; implicit-def: $vgpr2_vgpr3
                                        ; implicit-def: $vgpr0_vgpr1
	s_and_saveexec_b32 s19, s1
	s_cbranch_execz .LBB6_263
; %bb.255:
	s_mov_b32 s0, -1
	s_mov_b32 s20, s18
	s_mov_b32 s21, s16
	s_mov_b32 s22, exec_lo
	v_cmpx_gt_i32_e64 s17, v12
	s_cbranch_execz .LBB6_519
; %bb.256:
	s_wait_loadcnt 0x0
	v_mul_lo_u32 v0, v12, s3
	s_and_b32 s0, 0xffff, s14
	s_delay_alu instid0(SALU_CYCLE_1) | instskip(NEXT) | instid1(VALU_DEP_1)
	s_cmp_lt_i32 s0, 11
	v_ashrrev_i32_e32 v1, 31, v0
	s_delay_alu instid0(VALU_DEP_1)
	v_add_nc_u64_e32 v[2:3], s[6:7], v[0:1]
	s_cbranch_scc1 .LBB6_266
; %bb.257:
	s_cmp_gt_i32 s0, 25
	s_cbranch_scc0 .LBB6_277
; %bb.258:
	s_cmp_gt_i32 s0, 28
	s_cbranch_scc0 .LBB6_279
	;; [unrolled: 3-line block ×4, first 2 shown]
; %bb.261:
	s_cmp_eq_u32 s0, 46
	s_mov_b32 s21, 0
	s_cbranch_scc0 .LBB6_289
; %bb.262:
	global_load_b32 v0, v[2:3], off
	s_mov_b32 s1, -1
	s_mov_b32 s20, 0
	s_wait_loadcnt 0x0
	v_lshlrev_b32_e32 v0, 16, v0
	s_delay_alu instid0(VALU_DEP_1)
	v_cvt_f64_f32_e32 v[0:1], v0
	s_branch .LBB6_291
.LBB6_263:
	s_or_b32 exec_lo, exec_lo, s19
	s_mov_b32 s17, 0
	s_and_saveexec_b32 s1, s18
	s_cbranch_execnz .LBB6_869
.LBB6_264:
	s_or_b32 exec_lo, exec_lo, s1
	s_and_saveexec_b32 s1, s20
	s_delay_alu instid0(SALU_CYCLE_1)
	s_xor_b32 s1, exec_lo, s1
	s_cbranch_execz .LBB6_870
.LBB6_265:
	s_wait_loadcnt 0x0
	global_load_u8 v0, v[2:3], off
	s_or_b32 s0, s0, exec_lo
	s_wait_loadcnt 0x0
	v_cmp_ne_u16_e32 vcc_lo, 0, v0
	v_mov_b32_e32 v0, 0
	v_cndmask_b32_e64 v1, 0, 0x3ff00000, vcc_lo
	s_wait_xcnt 0x0
	s_or_b32 exec_lo, exec_lo, s1
	s_and_saveexec_b32 s1, s21
	s_cbranch_execz .LBB6_916
	s_branch .LBB6_871
.LBB6_266:
	s_mov_b32 s1, 0
	s_mov_b32 s20, s18
                                        ; implicit-def: $vgpr0_vgpr1
	s_cbranch_execnz .LBB6_468
.LBB6_267:
	s_and_not1_b32 vcc_lo, exec_lo, s1
	s_cbranch_vccnz .LBB6_516
.LBB6_268:
	s_wait_loadcnt 0x0
	s_delay_alu instid0(VALU_DEP_1) | instskip(SKIP_1) | instid1(VALU_DEP_1)
	v_mul_f64_e32 v[2:3], s[8:9], v[0:1]
	s_mov_b32 s21, exec_lo
	v_cmpx_nlt_f64_e32 s[10:11], v[2:3]
	s_cbranch_execz .LBB6_270
; %bb.269:
	v_mul_f64_e32 v[0:1], 0x3ff71547652b82fe, v[2:3]
	s_mov_b64 s[0:1], 0x3e5ade156a5dcb37
	v_cmp_nlt_f64_e32 vcc_lo, 0x40900000, v[2:3]
	s_delay_alu instid0(VALU_DEP_2) | instskip(NEXT) | instid1(VALU_DEP_1)
	v_rndne_f64_e32 v[0:1], v[0:1]
	v_fmamk_f64 v[4:5], v[0:1], 0xbfe62e42fefa39ef, v[2:3]
	v_cvt_i32_f64_e32 v8, v[0:1]
	s_delay_alu instid0(VALU_DEP_2) | instskip(NEXT) | instid1(VALU_DEP_1)
	v_fmamk_f64 v[4:5], v[0:1], 0xbc7abc9e3b39803f, v[4:5]
	v_fmaak_f64 v[6:7], s[0:1], v[4:5], 0x3e928af3fca7ab0c
	v_cmp_ngt_f64_e64 s0, 0xc090cc00, v[2:3]
	s_delay_alu instid0(VALU_DEP_2) | instskip(NEXT) | instid1(VALU_DEP_1)
	v_fmaak_f64 v[6:7], v[4:5], v[6:7], 0x3ec71dee623fde64
	v_fmaak_f64 v[6:7], v[4:5], v[6:7], 0x3efa01997c89e6b0
	s_delay_alu instid0(VALU_DEP_1) | instskip(NEXT) | instid1(VALU_DEP_1)
	v_fmaak_f64 v[6:7], v[4:5], v[6:7], 0x3f2a01a014761f6e
	v_fmaak_f64 v[6:7], v[4:5], v[6:7], 0x3f56c16c1852b7b0
	s_delay_alu instid0(VALU_DEP_1) | instskip(NEXT) | instid1(VALU_DEP_1)
	;; [unrolled: 3-line block ×4, first 2 shown]
	v_fma_f64 v[6:7], v[4:5], v[6:7], 1.0
	v_fma_f64 v[0:1], v[4:5], v[6:7], 1.0
	s_delay_alu instid0(VALU_DEP_1) | instskip(NEXT) | instid1(VALU_DEP_1)
	v_ldexp_f64 v[0:1], v[0:1], v8
	v_cndmask_b32_e32 v1, 0x7ff00000, v1, vcc_lo
	s_and_b32 vcc_lo, s0, vcc_lo
	s_delay_alu instid0(VALU_DEP_1) | instid1(SALU_CYCLE_1)
	v_dual_cndmask_b32 v0, 0, v0, vcc_lo :: v_dual_cndmask_b32 v1, 0, v1, s0
	s_mov_b64 s[0:1], 0x3fe5555555555555
	s_delay_alu instid0(VALU_DEP_1) | instskip(NEXT) | instid1(VALU_DEP_1)
	v_add_f64_e32 v[2:3], 1.0, v[0:1]
	v_frexp_mant_f64_e32 v[4:5], v[2:3]
	v_frexp_exp_i32_f64_e32 v8, v[2:3]
	s_delay_alu instid0(VALU_DEP_2) | instskip(SKIP_1) | instid1(VALU_DEP_2)
	v_cmp_gt_f64_e32 vcc_lo, s[0:1], v[4:5]
	s_mov_b64 s[0:1], 0x3fc3ab76bf559e2b
	v_subrev_co_ci_u32_e64 v13, null, 0, v8, vcc_lo
	v_add_f64_e32 v[6:7], -1.0, v[2:3]
	v_cmp_nge_f64_e32 vcc_lo, -1.0, v[0:1]
	s_delay_alu instid0(VALU_DEP_2) | instskip(NEXT) | instid1(VALU_DEP_1)
	v_dual_add_f64 v[4:5], v[6:7], -v[2:3] :: v_dual_sub_nc_u32 v10, 0, v13
	v_ldexp_f64 v[2:3], v[2:3], v10
	v_add_f64_e64 v[6:7], v[0:1], -v[6:7]
	s_delay_alu instid0(VALU_DEP_3) | instskip(NEXT) | instid1(VALU_DEP_3)
	v_add_f64_e32 v[4:5], 1.0, v[4:5]
	v_add_f64_e32 v[8:9], 1.0, v[2:3]
	v_add_f64_e32 v[16:17], -1.0, v[2:3]
	s_delay_alu instid0(VALU_DEP_3) | instskip(NEXT) | instid1(VALU_DEP_3)
	v_add_f64_e32 v[4:5], v[6:7], v[4:5]
	v_add_f64_e32 v[6:7], -1.0, v[8:9]
	s_delay_alu instid0(VALU_DEP_3) | instskip(NEXT) | instid1(VALU_DEP_3)
	v_add_f64_e32 v[18:19], 1.0, v[16:17]
	v_ldexp_f64 v[4:5], v[4:5], v10
	s_delay_alu instid0(VALU_DEP_3) | instskip(NEXT) | instid1(VALU_DEP_3)
	v_add_f64_e64 v[6:7], v[2:3], -v[6:7]
	v_add_f64_e64 v[2:3], v[2:3], -v[18:19]
	s_delay_alu instid0(VALU_DEP_2) | instskip(NEXT) | instid1(VALU_DEP_2)
	v_add_f64_e32 v[6:7], v[4:5], v[6:7]
	v_add_f64_e32 v[2:3], v[4:5], v[2:3]
	s_delay_alu instid0(VALU_DEP_2) | instskip(NEXT) | instid1(VALU_DEP_2)
	v_add_f64_e32 v[10:11], v[8:9], v[6:7]
	v_add_f64_e32 v[18:19], v[16:17], v[2:3]
	s_delay_alu instid0(VALU_DEP_2) | instskip(SKIP_1) | instid1(VALU_DEP_2)
	v_rcp_f64_e32 v[14:15], v[10:11]
	v_add_f64_e64 v[8:9], v[10:11], -v[8:9]
	v_add_f64_e64 v[16:17], v[18:19], -v[16:17]
	s_delay_alu instid0(VALU_DEP_2) | instskip(NEXT) | instid1(VALU_DEP_2)
	v_add_f64_e64 v[6:7], v[6:7], -v[8:9]
	v_add_f64_e64 v[2:3], v[2:3], -v[16:17]
	s_delay_alu instid0(TRANS32_DEP_1) | instskip(NEXT) | instid1(VALU_DEP_1)
	v_fma_f64 v[20:21], -v[10:11], v[14:15], 1.0
	v_fmac_f64_e32 v[14:15], v[20:21], v[14:15]
	s_delay_alu instid0(VALU_DEP_1) | instskip(NEXT) | instid1(VALU_DEP_1)
	v_fma_f64 v[4:5], -v[10:11], v[14:15], 1.0
	v_fmac_f64_e32 v[14:15], v[4:5], v[14:15]
	s_delay_alu instid0(VALU_DEP_1) | instskip(NEXT) | instid1(VALU_DEP_1)
	v_mul_f64_e32 v[4:5], v[18:19], v[14:15]
	v_mul_f64_e32 v[20:21], v[10:11], v[4:5]
	s_delay_alu instid0(VALU_DEP_1) | instskip(NEXT) | instid1(VALU_DEP_1)
	v_fma_f64 v[8:9], v[4:5], v[10:11], -v[20:21]
	v_fmac_f64_e32 v[8:9], v[4:5], v[6:7]
	s_delay_alu instid0(VALU_DEP_1) | instskip(NEXT) | instid1(VALU_DEP_1)
	v_add_f64_e32 v[22:23], v[20:21], v[8:9]
	v_add_f64_e64 v[24:25], v[18:19], -v[22:23]
	v_add_f64_e64 v[16:17], v[22:23], -v[20:21]
	s_delay_alu instid0(VALU_DEP_2) | instskip(NEXT) | instid1(VALU_DEP_2)
	v_add_f64_e64 v[18:19], v[18:19], -v[24:25]
	v_add_f64_e64 v[8:9], v[16:17], -v[8:9]
	s_delay_alu instid0(VALU_DEP_2) | instskip(NEXT) | instid1(VALU_DEP_1)
	v_add_f64_e64 v[18:19], v[18:19], -v[22:23]
	v_add_f64_e32 v[2:3], v[2:3], v[18:19]
	s_delay_alu instid0(VALU_DEP_1) | instskip(NEXT) | instid1(VALU_DEP_1)
	v_add_f64_e32 v[2:3], v[8:9], v[2:3]
	v_add_f64_e32 v[8:9], v[24:25], v[2:3]
	s_delay_alu instid0(VALU_DEP_1) | instskip(SKIP_1) | instid1(VALU_DEP_2)
	v_mul_f64_e32 v[16:17], v[14:15], v[8:9]
	v_add_f64_e64 v[22:23], v[24:25], -v[8:9]
	v_mul_f64_e32 v[18:19], v[10:11], v[16:17]
	s_delay_alu instid0(VALU_DEP_2) | instskip(NEXT) | instid1(VALU_DEP_2)
	v_add_f64_e32 v[2:3], v[2:3], v[22:23]
	v_fma_f64 v[10:11], v[16:17], v[10:11], -v[18:19]
	s_delay_alu instid0(VALU_DEP_1) | instskip(NEXT) | instid1(VALU_DEP_1)
	v_fmac_f64_e32 v[10:11], v[16:17], v[6:7]
	v_add_f64_e32 v[6:7], v[18:19], v[10:11]
	s_delay_alu instid0(VALU_DEP_1) | instskip(SKIP_1) | instid1(VALU_DEP_2)
	v_add_f64_e64 v[20:21], v[8:9], -v[6:7]
	v_add_f64_e64 v[18:19], v[6:7], -v[18:19]
	;; [unrolled: 1-line block ×3, first 2 shown]
	s_delay_alu instid0(VALU_DEP_1) | instskip(NEXT) | instid1(VALU_DEP_3)
	v_add_f64_e64 v[6:7], v[8:9], -v[6:7]
	v_add_f64_e64 v[8:9], v[18:19], -v[10:11]
	s_delay_alu instid0(VALU_DEP_2) | instskip(SKIP_1) | instid1(VALU_DEP_2)
	v_add_f64_e32 v[2:3], v[2:3], v[6:7]
	v_add_f64_e32 v[6:7], v[4:5], v[16:17]
	;; [unrolled: 1-line block ×3, first 2 shown]
	s_delay_alu instid0(VALU_DEP_2) | instskip(NEXT) | instid1(VALU_DEP_2)
	v_add_f64_e64 v[4:5], v[6:7], -v[4:5]
	v_add_f64_e32 v[2:3], v[20:21], v[2:3]
	s_delay_alu instid0(VALU_DEP_2) | instskip(NEXT) | instid1(VALU_DEP_2)
	v_add_f64_e64 v[4:5], v[16:17], -v[4:5]
	v_mul_f64_e32 v[2:3], v[14:15], v[2:3]
	s_delay_alu instid0(VALU_DEP_1) | instskip(NEXT) | instid1(VALU_DEP_1)
	v_add_f64_e32 v[2:3], v[4:5], v[2:3]
	v_add_f64_e32 v[4:5], v[6:7], v[2:3]
	s_delay_alu instid0(VALU_DEP_1) | instskip(NEXT) | instid1(VALU_DEP_1)
	v_mul_f64_e32 v[8:9], v[4:5], v[4:5]
	v_fmaak_f64 v[10:11], s[0:1], v[8:9], 0x3fc385386b47b09a
	v_mul_f64_e32 v[14:15], v[4:5], v[8:9]
	s_mov_b64 s[0:1], 0x3fe62e42fefa39ef
	s_delay_alu instid0(VALU_DEP_2) | instskip(NEXT) | instid1(VALU_DEP_1)
	v_fmaak_f64 v[10:11], v[8:9], v[10:11], 0x3fc7474dd7f4df2e
	v_fmaak_f64 v[10:11], v[8:9], v[10:11], 0x3fcc71c016291751
	s_delay_alu instid0(VALU_DEP_1) | instskip(NEXT) | instid1(VALU_DEP_1)
	v_fmaak_f64 v[10:11], v[8:9], v[10:11], 0x3fd249249b27acf1
	v_fmaak_f64 v[10:11], v[8:9], v[10:11], 0x3fd99999998ef7b6
	s_delay_alu instid0(VALU_DEP_1) | instskip(SKIP_2) | instid1(VALU_DEP_3)
	v_fmaak_f64 v[8:9], v[8:9], v[10:11], 0x3fe5555555555780
	v_ldexp_f64 v[10:11], v[4:5], 1
	v_add_f64_e64 v[4:5], v[4:5], -v[6:7]
	v_mul_f64_e32 v[8:9], v[14:15], v[8:9]
	v_cvt_f64_i32_e32 v[14:15], v13
	s_delay_alu instid0(VALU_DEP_3) | instskip(NEXT) | instid1(VALU_DEP_3)
	v_add_f64_e64 v[2:3], v[2:3], -v[4:5]
	v_add_f64_e32 v[6:7], v[10:11], v[8:9]
	s_delay_alu instid0(VALU_DEP_2) | instskip(NEXT) | instid1(VALU_DEP_2)
	v_ldexp_f64 v[2:3], v[2:3], 1
	v_add_f64_e64 v[4:5], v[6:7], -v[10:11]
	v_mul_f64_e32 v[10:11], 0x3fe62e42fefa39ef, v[14:15]
	s_delay_alu instid0(VALU_DEP_2) | instskip(NEXT) | instid1(VALU_DEP_2)
	v_add_f64_e64 v[4:5], v[8:9], -v[4:5]
	v_fma_f64 v[8:9], v[14:15], s[0:1], -v[10:11]
	v_cmp_neq_f64_e64 s0, 0x7ff00000, v[0:1]
	v_cmp_ngt_f64_e64 s1, -1.0, v[0:1]
	s_delay_alu instid0(VALU_DEP_4) | instskip(NEXT) | instid1(VALU_DEP_4)
	v_add_f64_e32 v[2:3], v[2:3], v[4:5]
	v_fmamk_f64 v[4:5], v[14:15], 0x3c7abc9e3b39803f, v[8:9]
	s_and_b32 vcc_lo, vcc_lo, s0
	s_delay_alu instid0(VALU_DEP_1) | instskip(NEXT) | instid1(VALU_DEP_3)
	v_add_f64_e32 v[8:9], v[10:11], v[4:5]
	v_add_f64_e32 v[14:15], v[6:7], v[2:3]
	s_delay_alu instid0(VALU_DEP_2) | instskip(NEXT) | instid1(VALU_DEP_2)
	v_add_f64_e64 v[10:11], v[8:9], -v[10:11]
	v_add_f64_e32 v[16:17], v[8:9], v[14:15]
	v_add_f64_e64 v[6:7], v[14:15], -v[6:7]
	s_delay_alu instid0(VALU_DEP_3) | instskip(NEXT) | instid1(VALU_DEP_3)
	v_add_f64_e64 v[4:5], v[4:5], -v[10:11]
	v_add_f64_e64 v[18:19], v[16:17], -v[8:9]
	s_delay_alu instid0(VALU_DEP_3) | instskip(NEXT) | instid1(VALU_DEP_2)
	v_add_f64_e64 v[2:3], v[2:3], -v[6:7]
	v_add_f64_e64 v[20:21], v[16:17], -v[18:19]
	;; [unrolled: 1-line block ×3, first 2 shown]
	s_delay_alu instid0(VALU_DEP_3) | instskip(NEXT) | instid1(VALU_DEP_3)
	v_add_f64_e32 v[10:11], v[4:5], v[2:3]
	v_add_f64_e64 v[8:9], v[8:9], -v[20:21]
	s_delay_alu instid0(VALU_DEP_1) | instskip(NEXT) | instid1(VALU_DEP_3)
	v_add_f64_e32 v[6:7], v[6:7], v[8:9]
	v_add_f64_e64 v[8:9], v[10:11], -v[4:5]
	s_delay_alu instid0(VALU_DEP_2) | instskip(NEXT) | instid1(VALU_DEP_2)
	v_add_f64_e32 v[6:7], v[10:11], v[6:7]
	v_add_f64_e64 v[10:11], v[10:11], -v[8:9]
	v_add_f64_e64 v[2:3], v[2:3], -v[8:9]
	s_delay_alu instid0(VALU_DEP_3) | instskip(NEXT) | instid1(VALU_DEP_3)
	v_add_f64_e32 v[14:15], v[16:17], v[6:7]
	v_add_f64_e64 v[4:5], v[4:5], -v[10:11]
	s_delay_alu instid0(VALU_DEP_2) | instskip(NEXT) | instid1(VALU_DEP_2)
	v_add_f64_e64 v[8:9], v[14:15], -v[16:17]
	v_add_f64_e32 v[2:3], v[2:3], v[4:5]
	s_delay_alu instid0(VALU_DEP_2) | instskip(NEXT) | instid1(VALU_DEP_1)
	v_add_f64_e64 v[4:5], v[6:7], -v[8:9]
	v_add_f64_e32 v[2:3], v[2:3], v[4:5]
	s_delay_alu instid0(VALU_DEP_1) | instskip(NEXT) | instid1(VALU_DEP_1)
	v_add_f64_e32 v[2:3], v[14:15], v[2:3]
	v_cndmask_b32_e32 v2, 0, v2, vcc_lo
	v_cmp_neq_f64_e32 vcc_lo, -1.0, v[0:1]
	s_delay_alu instid0(VALU_DEP_3) | instskip(NEXT) | instid1(VALU_DEP_1)
	v_cndmask_b32_e64 v3, 0x7ff00000, v3, s0
	v_cndmask_b32_e64 v3, 0x7ff80000, v3, s1
	s_delay_alu instid0(VALU_DEP_1) | instskip(NEXT) | instid1(VALU_DEP_1)
	v_cndmask_b32_e32 v3, 0xfff00000, v3, vcc_lo
	v_div_scale_f64 v[0:1], null, s[8:9], s[8:9], v[2:3]
	s_delay_alu instid0(VALU_DEP_1) | instskip(SKIP_1) | instid1(TRANS32_DEP_1)
	v_rcp_f64_e32 v[4:5], v[0:1]
	v_nop
	v_fma_f64 v[6:7], -v[0:1], v[4:5], 1.0
	s_delay_alu instid0(VALU_DEP_1) | instskip(NEXT) | instid1(VALU_DEP_1)
	v_fmac_f64_e32 v[4:5], v[4:5], v[6:7]
	v_fma_f64 v[6:7], -v[0:1], v[4:5], 1.0
	s_delay_alu instid0(VALU_DEP_1) | instskip(SKIP_1) | instid1(VALU_DEP_1)
	v_fmac_f64_e32 v[4:5], v[4:5], v[6:7]
	v_div_scale_f64 v[6:7], vcc_lo, v[2:3], s[8:9], v[2:3]
	v_mul_f64_e32 v[8:9], v[6:7], v[4:5]
	s_delay_alu instid0(VALU_DEP_1) | instskip(NEXT) | instid1(VALU_DEP_1)
	v_fma_f64 v[0:1], -v[0:1], v[8:9], v[6:7]
	v_div_fmas_f64 v[0:1], v[0:1], v[4:5], v[8:9]
	s_delay_alu instid0(VALU_DEP_1)
	v_div_fixup_f64 v[0:1], v[0:1], s[8:9], v[2:3]
.LBB6_270:
	s_or_b32 exec_lo, exec_lo, s21
	v_mul_lo_u32 v2, v12, s2
	s_and_b32 s1, s12, 0xff
	s_delay_alu instid0(SALU_CYCLE_1) | instskip(NEXT) | instid1(VALU_DEP_1)
	s_cmp_lt_i32 s1, 11
	v_ashrrev_i32_e32 v3, 31, v2
	s_delay_alu instid0(VALU_DEP_1)
	v_add_nc_u64_e32 v[4:5], s[4:5], v[2:3]
	s_cbranch_scc1 .LBB6_278
; %bb.271:
	s_and_b32 s21, 0xffff, s1
	s_delay_alu instid0(SALU_CYCLE_1)
	s_cmp_gt_i32 s21, 25
	s_cbranch_scc0 .LBB6_280
; %bb.272:
	s_cmp_gt_i32 s21, 28
	s_cbranch_scc0 .LBB6_282
; %bb.273:
	;; [unrolled: 3-line block ×4, first 2 shown]
	s_mov_b32 s24, 0
	s_mov_b32 s0, -1
	s_cmp_eq_u32 s21, 46
	s_mov_b32 s23, 0
	s_cbranch_scc0 .LBB6_295
; %bb.276:
	s_delay_alu instid0(VALU_DEP_4) | instskip(SKIP_2) | instid1(VALU_DEP_1)
	v_cvt_f32_f64_e32 v2, v[0:1]
	s_mov_b32 s23, -1
	s_mov_b32 s0, 0
	v_bfe_u32 v3, v2, 16, 1
	v_cmp_o_f32_e32 vcc_lo, v2, v2
	s_delay_alu instid0(VALU_DEP_2) | instskip(NEXT) | instid1(VALU_DEP_1)
	v_add3_u32 v3, v2, v3, 0x7fff
	v_lshrrev_b32_e32 v3, 16, v3
	s_delay_alu instid0(VALU_DEP_1)
	v_cndmask_b32_e32 v2, 0x7fc0, v3, vcc_lo
	global_store_b32 v[4:5], v2, off
	s_branch .LBB6_295
.LBB6_277:
	s_mov_b32 s21, -1
	s_mov_b32 s1, 0
	s_mov_b32 s20, s18
                                        ; implicit-def: $vgpr0_vgpr1
	s_branch .LBB6_432
.LBB6_278:
	s_mov_b32 s21, -1
	s_mov_b32 s23, 0
	s_mov_b32 s0, s16
	s_branch .LBB6_364
.LBB6_279:
	s_mov_b32 s21, -1
	s_mov_b32 s1, 0
	s_mov_b32 s20, s18
                                        ; implicit-def: $vgpr0_vgpr1
	s_branch .LBB6_413
.LBB6_280:
	s_mov_b32 s24, -1
	s_mov_b32 s23, 0
	s_mov_b32 s0, s16
	s_branch .LBB6_322
.LBB6_281:
	s_mov_b32 s21, -1
	s_mov_b32 s1, 0
	s_mov_b32 s20, s18
                                        ; implicit-def: $vgpr0_vgpr1
	s_branch .LBB6_408
.LBB6_282:
	s_mov_b32 s24, -1
	s_mov_b32 s23, 0
	s_mov_b32 s0, s16
	s_branch .LBB6_305
.LBB6_283:
	s_and_not1_saveexec_b32 s23, s23
	s_cbranch_execz .LBB6_56
.LBB6_284:
	v_add_f32_e64 v3, 0x46000000, |v2|
	s_and_not1_b32 s22, s22, exec_lo
	s_delay_alu instid0(VALU_DEP_1) | instskip(NEXT) | instid1(VALU_DEP_1)
	v_and_b32_e32 v3, 0xff, v3
	v_cmp_ne_u32_e32 vcc_lo, 0, v3
	s_and_b32 s24, vcc_lo, exec_lo
	s_delay_alu instid0(SALU_CYCLE_1)
	s_or_b32 s22, s22, s24
	s_or_b32 exec_lo, exec_lo, s23
	v_mov_b32_e32 v6, 0
	s_and_saveexec_b32 s23, s22
	s_cbranch_execnz .LBB6_57
	s_branch .LBB6_58
.LBB6_285:
	s_mov_b32 s21, -1
	s_mov_b32 s1, 0
	s_mov_b32 s20, s18
	s_branch .LBB6_290
.LBB6_286:
	s_mov_b32 s24, -1
	s_mov_b32 s23, 0
	s_mov_b32 s0, s16
	s_branch .LBB6_301
.LBB6_287:
	s_and_not1_saveexec_b32 s23, s23
	s_cbranch_execz .LBB6_69
.LBB6_288:
	v_add_f32_e64 v3, 0x42800000, |v2|
	s_and_not1_b32 s22, s22, exec_lo
	s_delay_alu instid0(VALU_DEP_1) | instskip(NEXT) | instid1(VALU_DEP_1)
	v_and_b32_e32 v3, 0xff, v3
	v_cmp_ne_u32_e32 vcc_lo, 0, v3
	s_and_b32 s24, vcc_lo, exec_lo
	s_delay_alu instid0(SALU_CYCLE_1)
	s_or_b32 s22, s22, s24
	s_or_b32 exec_lo, exec_lo, s23
	v_mov_b32_e32 v6, 0
	s_and_saveexec_b32 s23, s22
	s_cbranch_execnz .LBB6_70
	s_branch .LBB6_71
.LBB6_289:
	s_mov_b32 s20, -1
	s_mov_b32 s1, 0
.LBB6_290:
                                        ; implicit-def: $vgpr0_vgpr1
.LBB6_291:
	s_and_b32 vcc_lo, exec_lo, s21
	s_cbranch_vccz .LBB6_407
; %bb.292:
	s_cmp_eq_u32 s0, 44
	s_cbranch_scc0 .LBB6_406
; %bb.293:
	global_load_u8 v4, v[2:3], off
	s_mov_b32 s20, 0
	s_mov_b32 s1, -1
	s_wait_loadcnt 0x0
	v_cmp_ne_u32_e32 vcc_lo, 0xff, v4
	v_lshlrev_b32_e32 v0, 23, v4
	s_delay_alu instid0(VALU_DEP_1) | instskip(NEXT) | instid1(VALU_DEP_1)
	v_cvt_f64_f32_e32 v[0:1], v0
	v_cndmask_b32_e32 v0, 0x20000000, v0, vcc_lo
	s_delay_alu instid0(VALU_DEP_2) | instskip(SKIP_1) | instid1(VALU_DEP_2)
	v_cndmask_b32_e32 v1, 0x7ff80000, v1, vcc_lo
	v_cmp_ne_u32_e32 vcc_lo, 0, v4
	v_cndmask_b32_e32 v1, 0x38000000, v1, vcc_lo
	s_delay_alu instid0(VALU_DEP_4)
	v_cndmask_b32_e32 v0, 0, v0, vcc_lo
	s_branch .LBB6_407
.LBB6_294:
	s_mov_b32 s24, -1
	s_mov_b32 s23, 0
	s_mov_b32 s0, s16
.LBB6_295:
	s_and_b32 vcc_lo, exec_lo, s24
	s_cbranch_vccz .LBB6_300
; %bb.296:
	s_cmp_eq_u32 s21, 44
	s_mov_b32 s0, -1
	s_cbranch_scc0 .LBB6_300
; %bb.297:
	s_wait_xcnt 0x0
	s_delay_alu instid0(VALU_DEP_4) | instskip(SKIP_2) | instid1(VALU_DEP_2)
	v_cvt_f32_f64_e32 v2, v[0:1]
	v_mov_b32_e32 v3, 0xff
	s_mov_b32 s23, exec_lo
	v_bfe_u32 v6, v2, 23, 8
	s_delay_alu instid0(VALU_DEP_1)
	v_cmpx_ne_u32_e32 0xff, v6
	s_cbranch_execz .LBB6_299
; %bb.298:
	v_and_b32_e32 v3, 0x400000, v2
	v_and_or_b32 v6, 0x3fffff, v2, v6
	v_lshrrev_b32_e32 v2, 23, v2
	s_delay_alu instid0(VALU_DEP_3) | instskip(NEXT) | instid1(VALU_DEP_3)
	v_cmp_ne_u32_e32 vcc_lo, 0, v3
	v_cmp_ne_u32_e64 s0, 0, v6
	s_and_b32 s0, vcc_lo, s0
	s_delay_alu instid0(SALU_CYCLE_1) | instskip(NEXT) | instid1(VALU_DEP_1)
	v_cndmask_b32_e64 v3, 0, 1, s0
	v_add_nc_u32_e32 v3, v2, v3
.LBB6_299:
	s_or_b32 exec_lo, exec_lo, s23
	s_mov_b32 s23, -1
	s_mov_b32 s0, 0
	global_store_b8 v[4:5], v3, off
.LBB6_300:
	s_mov_b32 s24, 0
.LBB6_301:
	s_delay_alu instid0(SALU_CYCLE_1)
	s_and_b32 vcc_lo, exec_lo, s24
	s_cbranch_vccz .LBB6_304
; %bb.302:
	s_cmp_eq_u32 s21, 29
	s_mov_b32 s0, -1
	s_cbranch_scc0 .LBB6_304
; %bb.303:
	s_wait_xcnt 0x0
	s_delay_alu instid0(VALU_DEP_4) | instskip(SKIP_3) | instid1(VALU_DEP_1)
	v_trunc_f64_e32 v[2:3], v[0:1]
	s_mov_b32 s23, -1
	s_mov_b32 s0, 0
	s_mov_b32 s24, 0
	v_ldexp_f64 v[6:7], v[2:3], 0xffffffe0
	s_delay_alu instid0(VALU_DEP_1) | instskip(NEXT) | instid1(VALU_DEP_1)
	v_floor_f64_e32 v[6:7], v[6:7]
	v_fmamk_f64 v[2:3], v[6:7], 0xc1f00000, v[2:3]
	v_cvt_u32_f64_e32 v7, v[6:7]
	s_delay_alu instid0(VALU_DEP_2)
	v_cvt_u32_f64_e32 v6, v[2:3]
	global_store_b64 v[4:5], v[6:7], off
	s_branch .LBB6_305
.LBB6_304:
	s_mov_b32 s24, 0
.LBB6_305:
	s_delay_alu instid0(SALU_CYCLE_1)
	s_and_b32 vcc_lo, exec_lo, s24
	s_cbranch_vccz .LBB6_321
; %bb.306:
	s_cmp_lt_i32 s21, 27
	s_mov_b32 s23, -1
	s_cbranch_scc1 .LBB6_312
; %bb.307:
	s_wait_xcnt 0x0
	s_delay_alu instid0(VALU_DEP_4)
	v_cvt_u32_f64_e32 v2, v[0:1]
	s_cmp_gt_i32 s21, 27
	s_cbranch_scc0 .LBB6_309
; %bb.308:
	s_mov_b32 s23, 0
	global_store_b32 v[4:5], v2, off
.LBB6_309:
	s_and_not1_b32 vcc_lo, exec_lo, s23
	s_cbranch_vccnz .LBB6_311
; %bb.310:
	global_store_b16 v[4:5], v2, off
.LBB6_311:
	s_mov_b32 s23, 0
.LBB6_312:
	s_delay_alu instid0(SALU_CYCLE_1)
	s_and_not1_b32 vcc_lo, exec_lo, s23
	s_cbranch_vccnz .LBB6_320
; %bb.313:
	s_wait_xcnt 0x0
	s_delay_alu instid0(VALU_DEP_4) | instskip(SKIP_2) | instid1(VALU_DEP_2)
	v_cvt_f32_f64_e32 v2, v[0:1]
	v_mov_b32_e32 v6, 0x80
	s_mov_b32 s23, exec_lo
	v_and_b32_e32 v3, 0x7fffffff, v2
	s_delay_alu instid0(VALU_DEP_1)
	v_cmpx_gt_u32_e32 0x43800000, v3
	s_cbranch_execz .LBB6_319
; %bb.314:
	v_cmp_lt_u32_e32 vcc_lo, 0x3bffffff, v3
	s_mov_b32 s24, 0
                                        ; implicit-def: $vgpr3
	s_and_saveexec_b32 s25, vcc_lo
	s_delay_alu instid0(SALU_CYCLE_1)
	s_xor_b32 s25, exec_lo, s25
	s_cbranch_execz .LBB6_532
; %bb.315:
	v_bfe_u32 v3, v2, 20, 1
	s_mov_b32 s24, exec_lo
	s_delay_alu instid0(VALU_DEP_1) | instskip(NEXT) | instid1(VALU_DEP_1)
	v_add3_u32 v3, v2, v3, 0x487ffff
	v_lshrrev_b32_e32 v3, 20, v3
	s_and_not1_saveexec_b32 s25, s25
	s_cbranch_execnz .LBB6_533
.LBB6_316:
	s_or_b32 exec_lo, exec_lo, s25
	v_mov_b32_e32 v6, 0
	s_and_saveexec_b32 s25, s24
.LBB6_317:
	v_lshrrev_b32_e32 v2, 24, v2
	s_delay_alu instid0(VALU_DEP_1)
	v_and_or_b32 v6, 0x80, v2, v3
.LBB6_318:
	s_or_b32 exec_lo, exec_lo, s25
.LBB6_319:
	s_delay_alu instid0(SALU_CYCLE_1)
	s_or_b32 exec_lo, exec_lo, s23
	global_store_b8 v[4:5], v6, off
.LBB6_320:
	s_mov_b32 s23, -1
.LBB6_321:
	s_mov_b32 s24, 0
.LBB6_322:
	s_delay_alu instid0(SALU_CYCLE_1)
	s_and_b32 vcc_lo, exec_lo, s24
	s_cbranch_vccz .LBB6_363
; %bb.323:
	s_cmp_gt_i32 s21, 22
	s_mov_b32 s24, -1
	s_cbranch_scc0 .LBB6_355
; %bb.324:
	s_cmp_lt_i32 s21, 24
	s_mov_b32 s23, -1
	s_cbranch_scc1 .LBB6_344
; %bb.325:
	s_cmp_gt_i32 s21, 24
	s_cbranch_scc0 .LBB6_333
; %bb.326:
	s_wait_xcnt 0x0
	s_delay_alu instid0(VALU_DEP_4) | instskip(SKIP_2) | instid1(VALU_DEP_2)
	v_cvt_f32_f64_e32 v2, v[0:1]
	v_mov_b32_e32 v6, 0x80
	s_mov_b32 s23, exec_lo
	v_and_b32_e32 v3, 0x7fffffff, v2
	s_delay_alu instid0(VALU_DEP_1)
	v_cmpx_gt_u32_e32 0x47800000, v3
	s_cbranch_execz .LBB6_332
; %bb.327:
	v_cmp_lt_u32_e32 vcc_lo, 0x37ffffff, v3
	s_mov_b32 s24, 0
                                        ; implicit-def: $vgpr3
	s_and_saveexec_b32 s25, vcc_lo
	s_delay_alu instid0(SALU_CYCLE_1)
	s_xor_b32 s25, exec_lo, s25
	s_cbranch_execz .LBB6_535
; %bb.328:
	v_bfe_u32 v3, v2, 21, 1
	s_mov_b32 s24, exec_lo
	s_delay_alu instid0(VALU_DEP_1) | instskip(NEXT) | instid1(VALU_DEP_1)
	v_add3_u32 v3, v2, v3, 0x88fffff
	v_lshrrev_b32_e32 v3, 21, v3
	s_and_not1_saveexec_b32 s25, s25
	s_cbranch_execnz .LBB6_536
.LBB6_329:
	s_or_b32 exec_lo, exec_lo, s25
	v_mov_b32_e32 v6, 0
	s_and_saveexec_b32 s25, s24
.LBB6_330:
	v_lshrrev_b32_e32 v2, 24, v2
	s_delay_alu instid0(VALU_DEP_1)
	v_and_or_b32 v6, 0x80, v2, v3
.LBB6_331:
	s_or_b32 exec_lo, exec_lo, s25
.LBB6_332:
	s_delay_alu instid0(SALU_CYCLE_1)
	s_or_b32 exec_lo, exec_lo, s23
	s_mov_b32 s23, 0
	global_store_b8 v[4:5], v6, off
.LBB6_333:
	s_and_b32 vcc_lo, exec_lo, s23
	s_cbranch_vccz .LBB6_343
; %bb.334:
	s_wait_xcnt 0x0
	s_delay_alu instid0(VALU_DEP_4) | instskip(SKIP_1) | instid1(VALU_DEP_1)
	v_cvt_f32_f64_e32 v2, v[0:1]
	s_mov_b32 s23, exec_lo
                                        ; implicit-def: $vgpr3
	v_and_b32_e32 v6, 0x7fffffff, v2
	s_delay_alu instid0(VALU_DEP_1)
	v_cmpx_gt_u32_e32 0x43f00000, v6
	s_xor_b32 s23, exec_lo, s23
	s_cbranch_execz .LBB6_340
; %bb.335:
	s_mov_b32 s24, exec_lo
                                        ; implicit-def: $vgpr3
	v_cmpx_lt_u32_e32 0x3c7fffff, v6
	s_xor_b32 s24, exec_lo, s24
; %bb.336:
	v_bfe_u32 v3, v2, 20, 1
	s_delay_alu instid0(VALU_DEP_1) | instskip(NEXT) | instid1(VALU_DEP_1)
	v_add3_u32 v3, v2, v3, 0x407ffff
	v_and_b32_e32 v6, 0xff00000, v3
	v_lshrrev_b32_e32 v3, 20, v3
	s_delay_alu instid0(VALU_DEP_2) | instskip(NEXT) | instid1(VALU_DEP_2)
	v_cmp_ne_u32_e32 vcc_lo, 0x7f00000, v6
	v_cndmask_b32_e32 v3, 0x7e, v3, vcc_lo
; %bb.337:
	s_and_not1_saveexec_b32 s24, s24
; %bb.338:
	v_add_f32_e64 v3, 0x46800000, |v2|
; %bb.339:
	s_or_b32 exec_lo, exec_lo, s24
                                        ; implicit-def: $vgpr6
.LBB6_340:
	s_and_not1_saveexec_b32 s23, s23
; %bb.341:
	v_mov_b32_e32 v3, 0x7f
	v_cmp_lt_u32_e32 vcc_lo, 0x7f800000, v6
	s_delay_alu instid0(VALU_DEP_2)
	v_cndmask_b32_e32 v3, 0x7e, v3, vcc_lo
; %bb.342:
	s_or_b32 exec_lo, exec_lo, s23
	v_lshrrev_b32_e32 v2, 24, v2
	s_delay_alu instid0(VALU_DEP_1)
	v_and_or_b32 v2, 0x80, v2, v3
	global_store_b8 v[4:5], v2, off
.LBB6_343:
	s_mov_b32 s23, 0
.LBB6_344:
	s_delay_alu instid0(SALU_CYCLE_1)
	s_and_not1_b32 vcc_lo, exec_lo, s23
	s_cbranch_vccnz .LBB6_354
; %bb.345:
	s_wait_xcnt 0x0
	s_delay_alu instid0(VALU_DEP_4) | instskip(SKIP_1) | instid1(VALU_DEP_1)
	v_cvt_f32_f64_e32 v2, v[0:1]
	s_mov_b32 s23, exec_lo
                                        ; implicit-def: $vgpr3
	v_and_b32_e32 v6, 0x7fffffff, v2
	s_delay_alu instid0(VALU_DEP_1)
	v_cmpx_gt_u32_e32 0x47800000, v6
	s_xor_b32 s23, exec_lo, s23
	s_cbranch_execz .LBB6_351
; %bb.346:
	s_mov_b32 s24, exec_lo
                                        ; implicit-def: $vgpr3
	v_cmpx_lt_u32_e32 0x387fffff, v6
	s_xor_b32 s24, exec_lo, s24
; %bb.347:
	v_bfe_u32 v3, v2, 21, 1
	s_delay_alu instid0(VALU_DEP_1) | instskip(NEXT) | instid1(VALU_DEP_1)
	v_add3_u32 v3, v2, v3, 0x80fffff
	v_lshrrev_b32_e32 v3, 21, v3
; %bb.348:
	s_and_not1_saveexec_b32 s24, s24
; %bb.349:
	v_add_f32_e64 v3, 0x43000000, |v2|
; %bb.350:
	s_or_b32 exec_lo, exec_lo, s24
                                        ; implicit-def: $vgpr6
.LBB6_351:
	s_and_not1_saveexec_b32 s23, s23
; %bb.352:
	v_mov_b32_e32 v3, 0x7f
	v_cmp_lt_u32_e32 vcc_lo, 0x7f800000, v6
	s_delay_alu instid0(VALU_DEP_2)
	v_cndmask_b32_e32 v3, 0x7c, v3, vcc_lo
; %bb.353:
	s_or_b32 exec_lo, exec_lo, s23
	v_lshrrev_b32_e32 v2, 24, v2
	s_delay_alu instid0(VALU_DEP_1)
	v_and_or_b32 v2, 0x80, v2, v3
	global_store_b8 v[4:5], v2, off
.LBB6_354:
	s_mov_b32 s24, 0
	s_mov_b32 s23, -1
.LBB6_355:
	s_and_not1_b32 vcc_lo, exec_lo, s24
	s_cbranch_vccnz .LBB6_363
; %bb.356:
	s_cmp_gt_i32 s21, 14
	s_mov_b32 s24, -1
	s_cbranch_scc0 .LBB6_360
; %bb.357:
	s_cmp_eq_u32 s21, 15
	s_mov_b32 s0, -1
	s_cbranch_scc0 .LBB6_359
; %bb.358:
	s_wait_xcnt 0x0
	s_delay_alu instid0(VALU_DEP_4) | instskip(SKIP_2) | instid1(VALU_DEP_1)
	v_cvt_f32_f64_e32 v2, v[0:1]
	s_mov_b32 s23, -1
	s_mov_b32 s0, 0
	v_bfe_u32 v3, v2, 16, 1
	v_cmp_o_f32_e32 vcc_lo, v2, v2
	s_delay_alu instid0(VALU_DEP_2) | instskip(NEXT) | instid1(VALU_DEP_1)
	v_add3_u32 v3, v2, v3, 0x7fff
	v_lshrrev_b32_e32 v3, 16, v3
	s_delay_alu instid0(VALU_DEP_1)
	v_cndmask_b32_e32 v2, 0x7fc0, v3, vcc_lo
	global_store_b16 v[4:5], v2, off
.LBB6_359:
	s_mov_b32 s24, 0
.LBB6_360:
	s_delay_alu instid0(SALU_CYCLE_1)
	s_and_b32 vcc_lo, exec_lo, s24
	s_cbranch_vccz .LBB6_363
; %bb.361:
	s_cmp_eq_u32 s21, 11
	s_mov_b32 s0, -1
	s_cbranch_scc0 .LBB6_363
; %bb.362:
	s_delay_alu instid0(VALU_DEP_4)
	v_cmp_neq_f64_e32 vcc_lo, 0, v[0:1]
	s_mov_b32 s23, -1
	s_mov_b32 s0, 0
	s_wait_xcnt 0x0
	v_cndmask_b32_e64 v2, 0, 1, vcc_lo
	global_store_b8 v[4:5], v2, off
.LBB6_363:
	s_mov_b32 s21, 0
.LBB6_364:
	s_delay_alu instid0(SALU_CYCLE_1)
	s_and_b32 vcc_lo, exec_lo, s21
	s_cbranch_vccz .LBB6_403
; %bb.365:
	s_and_b32 s1, 0xffff, s1
	s_mov_b32 s21, -1
	s_cmp_lt_i32 s1, 5
	s_cbranch_scc1 .LBB6_386
; %bb.366:
	s_cmp_lt_i32 s1, 8
	s_cbranch_scc1 .LBB6_376
; %bb.367:
	;; [unrolled: 3-line block ×3, first 2 shown]
	s_cmp_gt_i32 s1, 9
	s_cbranch_scc0 .LBB6_370
; %bb.369:
	s_wait_xcnt 0x0
	v_mov_b32_e32 v2, 0
	s_mov_b32 s21, 0
	s_delay_alu instid0(VALU_DEP_1)
	v_mov_b32_e32 v3, v2
	global_store_b128 v[4:5], v[0:3], off
.LBB6_370:
	s_and_not1_b32 vcc_lo, exec_lo, s21
	s_cbranch_vccnz .LBB6_372
; %bb.371:
	s_wait_xcnt 0x0
	s_delay_alu instid0(VALU_DEP_4)
	v_cvt_f32_f64_e32 v2, v[0:1]
	v_mov_b32_e32 v3, 0
	global_store_b64 v[4:5], v[2:3], off
.LBB6_372:
	s_mov_b32 s21, 0
.LBB6_373:
	s_delay_alu instid0(SALU_CYCLE_1)
	s_and_not1_b32 vcc_lo, exec_lo, s21
	s_cbranch_vccnz .LBB6_375
; %bb.374:
	s_wait_xcnt 0x0
	s_delay_alu instid0(VALU_DEP_4) | instskip(SKIP_2) | instid1(VALU_DEP_3)
	v_and_or_b32 v2, 0x1ff, v1, v0
	v_lshrrev_b32_e32 v3, 8, v1
	v_bfe_u32 v6, v1, 20, 11
	v_cmp_ne_u32_e32 vcc_lo, 0, v2
	s_delay_alu instid0(VALU_DEP_2) | instskip(SKIP_1) | instid1(VALU_DEP_1)
	v_sub_nc_u32_e32 v7, 0x3f1, v6
	v_cndmask_b32_e64 v2, 0, 1, vcc_lo
	v_and_or_b32 v2, 0xffe, v3, v2
	s_delay_alu instid0(VALU_DEP_3) | instskip(NEXT) | instid1(VALU_DEP_2)
	v_med3_i32 v3, v7, 0, 13
	v_or_b32_e32 v7, 0x1000, v2
	s_delay_alu instid0(VALU_DEP_1) | instskip(NEXT) | instid1(VALU_DEP_1)
	v_lshrrev_b32_e32 v8, v3, v7
	v_lshlrev_b32_e32 v3, v3, v8
	s_delay_alu instid0(VALU_DEP_1) | instskip(SKIP_1) | instid1(VALU_DEP_1)
	v_cmp_ne_u32_e32 vcc_lo, v3, v7
	v_cndmask_b32_e64 v3, 0, 1, vcc_lo
	v_or_b32_e32 v3, v8, v3
	v_add_nc_u32_e32 v6, 0xfffffc10, v6
	s_delay_alu instid0(VALU_DEP_1) | instskip(SKIP_1) | instid1(VALU_DEP_2)
	v_lshl_or_b32 v7, v6, 12, v2
	v_cmp_gt_i32_e32 vcc_lo, 1, v6
	v_cndmask_b32_e32 v3, v7, v3, vcc_lo
	s_delay_alu instid0(VALU_DEP_1) | instskip(NEXT) | instid1(VALU_DEP_1)
	v_dual_lshrrev_b32 v3, 2, v3 :: v_dual_bitop2_b32 v7, 7, v3 bitop3:0x40
	v_cmp_lt_i32_e32 vcc_lo, 5, v7
	v_cndmask_b32_e64 v8, 0, 1, vcc_lo
	v_cmp_eq_u32_e32 vcc_lo, 3, v7
	v_cndmask_b32_e64 v7, 0, 1, vcc_lo
	v_cmp_ne_u32_e32 vcc_lo, 0, v2
	s_delay_alu instid0(VALU_DEP_2) | instskip(NEXT) | instid1(VALU_DEP_1)
	v_or_b32_e32 v7, v7, v8
	v_dual_mov_b32 v8, 0x7e00 :: v_dual_add_nc_u32 v3, v3, v7
	s_delay_alu instid0(VALU_DEP_1) | instskip(SKIP_2) | instid1(VALU_DEP_4)
	v_cndmask_b32_e32 v2, 0x7c00, v8, vcc_lo
	v_cmp_gt_i32_e32 vcc_lo, 31, v6
	v_lshrrev_b32_e32 v7, 16, v1
	v_cndmask_b32_e32 v3, 0x7c00, v3, vcc_lo
	v_cmp_eq_u32_e32 vcc_lo, 0x40f, v6
	s_delay_alu instid0(VALU_DEP_2) | instskip(NEXT) | instid1(VALU_DEP_4)
	v_cndmask_b32_e32 v2, v3, v2, vcc_lo
	v_and_b32_e32 v3, 0x8000, v7
	s_delay_alu instid0(VALU_DEP_1)
	v_bitop3_b32 v2, v3, 0xffff, v2 bitop3:0xc8
	global_store_b32 v[4:5], v2, off
.LBB6_375:
	s_mov_b32 s21, 0
.LBB6_376:
	s_delay_alu instid0(SALU_CYCLE_1)
	s_and_not1_b32 vcc_lo, exec_lo, s21
	s_cbranch_vccnz .LBB6_385
; %bb.377:
	s_cmp_lt_i32 s1, 6
	s_mov_b32 s21, -1
	s_cbranch_scc1 .LBB6_383
; %bb.378:
	s_cmp_gt_i32 s1, 6
	s_cbranch_scc0 .LBB6_380
; %bb.379:
	s_mov_b32 s21, 0
	global_store_b64 v[4:5], v[0:1], off
.LBB6_380:
	s_and_not1_b32 vcc_lo, exec_lo, s21
	s_cbranch_vccnz .LBB6_382
; %bb.381:
	s_wait_xcnt 0x0
	s_delay_alu instid0(VALU_DEP_4)
	v_cvt_f32_f64_e32 v2, v[0:1]
	global_store_b32 v[4:5], v2, off
.LBB6_382:
	s_mov_b32 s21, 0
.LBB6_383:
	s_delay_alu instid0(SALU_CYCLE_1)
	s_and_not1_b32 vcc_lo, exec_lo, s21
	s_cbranch_vccnz .LBB6_385
; %bb.384:
	s_wait_xcnt 0x0
	s_delay_alu instid0(VALU_DEP_4) | instskip(SKIP_2) | instid1(VALU_DEP_3)
	v_and_or_b32 v2, 0x1ff, v1, v0
	v_lshrrev_b32_e32 v3, 8, v1
	v_bfe_u32 v6, v1, 20, 11
	v_cmp_ne_u32_e32 vcc_lo, 0, v2
	s_delay_alu instid0(VALU_DEP_2) | instskip(SKIP_1) | instid1(VALU_DEP_1)
	v_sub_nc_u32_e32 v7, 0x3f1, v6
	v_cndmask_b32_e64 v2, 0, 1, vcc_lo
	v_and_or_b32 v2, 0xffe, v3, v2
	s_delay_alu instid0(VALU_DEP_3) | instskip(NEXT) | instid1(VALU_DEP_2)
	v_med3_i32 v3, v7, 0, 13
	v_or_b32_e32 v7, 0x1000, v2
	s_delay_alu instid0(VALU_DEP_1) | instskip(NEXT) | instid1(VALU_DEP_1)
	v_lshrrev_b32_e32 v8, v3, v7
	v_lshlrev_b32_e32 v3, v3, v8
	s_delay_alu instid0(VALU_DEP_1) | instskip(SKIP_1) | instid1(VALU_DEP_1)
	v_cmp_ne_u32_e32 vcc_lo, v3, v7
	v_cndmask_b32_e64 v3, 0, 1, vcc_lo
	v_or_b32_e32 v3, v8, v3
	v_add_nc_u32_e32 v6, 0xfffffc10, v6
	s_delay_alu instid0(VALU_DEP_1) | instskip(SKIP_1) | instid1(VALU_DEP_2)
	v_lshl_or_b32 v7, v6, 12, v2
	v_cmp_gt_i32_e32 vcc_lo, 1, v6
	v_cndmask_b32_e32 v3, v7, v3, vcc_lo
	s_delay_alu instid0(VALU_DEP_1) | instskip(NEXT) | instid1(VALU_DEP_1)
	v_dual_lshrrev_b32 v3, 2, v3 :: v_dual_bitop2_b32 v7, 7, v3 bitop3:0x40
	v_cmp_lt_i32_e32 vcc_lo, 5, v7
	v_cndmask_b32_e64 v8, 0, 1, vcc_lo
	v_cmp_eq_u32_e32 vcc_lo, 3, v7
	v_cndmask_b32_e64 v7, 0, 1, vcc_lo
	v_cmp_ne_u32_e32 vcc_lo, 0, v2
	s_delay_alu instid0(VALU_DEP_2) | instskip(NEXT) | instid1(VALU_DEP_1)
	v_or_b32_e32 v7, v7, v8
	v_dual_mov_b32 v8, 0x7e00 :: v_dual_add_nc_u32 v3, v3, v7
	s_delay_alu instid0(VALU_DEP_1) | instskip(SKIP_1) | instid1(VALU_DEP_3)
	v_cndmask_b32_e32 v2, 0x7c00, v8, vcc_lo
	v_cmp_gt_i32_e32 vcc_lo, 31, v6
	v_cndmask_b32_e32 v3, 0x7c00, v3, vcc_lo
	v_cmp_eq_u32_e32 vcc_lo, 0x40f, v6
	s_delay_alu instid0(VALU_DEP_2) | instskip(NEXT) | instid1(VALU_DEP_1)
	v_dual_cndmask_b32 v2, v3, v2 :: v_dual_lshrrev_b32 v3, 16, v1
	v_and_or_b32 v2, 0x8000, v3, v2
	global_store_b16 v[4:5], v2, off
.LBB6_385:
	s_mov_b32 s21, 0
.LBB6_386:
	s_delay_alu instid0(SALU_CYCLE_1)
	s_and_not1_b32 vcc_lo, exec_lo, s21
	s_cbranch_vccnz .LBB6_402
; %bb.387:
	s_cmp_lt_i32 s1, 2
	s_mov_b32 s21, -1
	s_cbranch_scc1 .LBB6_397
; %bb.388:
	s_cmp_lt_i32 s1, 3
	s_cbranch_scc1 .LBB6_394
; %bb.389:
	s_cmp_gt_i32 s1, 3
	s_cbranch_scc0 .LBB6_391
; %bb.390:
	s_wait_xcnt 0x0
	s_delay_alu instid0(VALU_DEP_4) | instskip(SKIP_1) | instid1(VALU_DEP_1)
	v_trunc_f64_e32 v[2:3], v[0:1]
	s_mov_b32 s21, 0
	v_ldexp_f64 v[6:7], v[2:3], 0xffffffe0
	s_delay_alu instid0(VALU_DEP_1) | instskip(NEXT) | instid1(VALU_DEP_1)
	v_floor_f64_e32 v[6:7], v[6:7]
	v_fmamk_f64 v[2:3], v[6:7], 0xc1f00000, v[2:3]
	v_cvt_i32_f64_e32 v7, v[6:7]
	s_delay_alu instid0(VALU_DEP_2)
	v_cvt_u32_f64_e32 v6, v[2:3]
	global_store_b64 v[4:5], v[6:7], off
.LBB6_391:
	s_and_not1_b32 vcc_lo, exec_lo, s21
	s_cbranch_vccnz .LBB6_393
; %bb.392:
	s_wait_xcnt 0x0
	s_delay_alu instid0(VALU_DEP_4)
	v_cvt_i32_f64_e32 v2, v[0:1]
	global_store_b32 v[4:5], v2, off
.LBB6_393:
	s_mov_b32 s21, 0
.LBB6_394:
	s_delay_alu instid0(SALU_CYCLE_1)
	s_and_not1_b32 vcc_lo, exec_lo, s21
	s_cbranch_vccnz .LBB6_396
; %bb.395:
	s_wait_xcnt 0x0
	s_delay_alu instid0(VALU_DEP_4)
	v_cvt_i32_f64_e32 v2, v[0:1]
	global_store_b16 v[4:5], v2, off
.LBB6_396:
	s_mov_b32 s21, 0
.LBB6_397:
	s_delay_alu instid0(SALU_CYCLE_1)
	s_and_not1_b32 vcc_lo, exec_lo, s21
	s_cbranch_vccnz .LBB6_402
; %bb.398:
	s_cmp_gt_i32 s1, 0
	s_mov_b32 s1, -1
	s_cbranch_scc0 .LBB6_400
; %bb.399:
	s_wait_xcnt 0x0
	s_delay_alu instid0(VALU_DEP_4)
	v_cvt_i32_f64_e32 v2, v[0:1]
	s_mov_b32 s1, 0
	global_store_b8 v[4:5], v2, off
.LBB6_400:
	s_and_not1_b32 vcc_lo, exec_lo, s1
	s_cbranch_vccnz .LBB6_402
; %bb.401:
	s_wait_xcnt 0x0
	s_delay_alu instid0(VALU_DEP_4) | instskip(NEXT) | instid1(VALU_DEP_1)
	v_trunc_f64_e32 v[0:1], v[0:1]
	v_ldexp_f64 v[2:3], v[0:1], 0xffffffe0
	s_delay_alu instid0(VALU_DEP_1) | instskip(NEXT) | instid1(VALU_DEP_1)
	v_floor_f64_e32 v[2:3], v[2:3]
	v_fmamk_f64 v[0:1], v[2:3], 0xc1f00000, v[0:1]
	s_delay_alu instid0(VALU_DEP_1)
	v_cvt_u32_f64_e32 v0, v[0:1]
	global_store_b8 v[4:5], v0, off
.LBB6_402:
	s_mov_b32 s23, -1
.LBB6_403:
	s_delay_alu instid0(SALU_CYCLE_1)
	s_and_not1_b32 vcc_lo, exec_lo, s23
	s_cbranch_vccnz .LBB6_405
; %bb.404:
	v_add_nc_u32_e32 v12, 0x80, v12
	s_mov_b32 s1, -1
	s_branch .LBB6_518
.LBB6_405:
	s_mov_b32 s1, 0
	s_branch .LBB6_517
.LBB6_406:
	s_mov_b32 s20, -1
                                        ; implicit-def: $vgpr0_vgpr1
.LBB6_407:
	s_mov_b32 s21, 0
.LBB6_408:
	s_delay_alu instid0(SALU_CYCLE_1)
	s_and_b32 vcc_lo, exec_lo, s21
	s_cbranch_vccz .LBB6_412
; %bb.409:
	s_cmp_eq_u32 s0, 29
	s_cbranch_scc0 .LBB6_411
; %bb.410:
	global_load_b64 v[0:1], v[2:3], off
	s_mov_b32 s1, -1
	s_mov_b32 s20, 0
	s_mov_b32 s21, 0
	s_wait_loadcnt 0x0
	v_cvt_f64_u32_e32 v[4:5], v1
	v_cvt_f64_u32_e32 v[0:1], v0
	s_delay_alu instid0(VALU_DEP_2) | instskip(NEXT) | instid1(VALU_DEP_1)
	v_ldexp_f64 v[4:5], v[4:5], 32
	v_add_f64_e32 v[0:1], v[4:5], v[0:1]
	s_branch .LBB6_413
.LBB6_411:
	s_mov_b32 s20, -1
                                        ; implicit-def: $vgpr0_vgpr1
.LBB6_412:
	s_mov_b32 s21, 0
.LBB6_413:
	s_delay_alu instid0(SALU_CYCLE_1)
	s_and_b32 vcc_lo, exec_lo, s21
	s_cbranch_vccz .LBB6_431
; %bb.414:
	s_cmp_lt_i32 s0, 27
	s_cbranch_scc1 .LBB6_417
; %bb.415:
	s_cmp_gt_i32 s0, 27
	s_cbranch_scc0 .LBB6_418
; %bb.416:
	global_load_b32 v0, v[2:3], off
	s_mov_b32 s1, 0
	s_wait_loadcnt 0x0
	v_cvt_f64_u32_e32 v[0:1], v0
	s_branch .LBB6_419
.LBB6_417:
	s_mov_b32 s1, -1
                                        ; implicit-def: $vgpr0_vgpr1
	s_branch .LBB6_422
.LBB6_418:
	s_mov_b32 s1, -1
                                        ; implicit-def: $vgpr0_vgpr1
.LBB6_419:
	s_delay_alu instid0(SALU_CYCLE_1)
	s_and_not1_b32 vcc_lo, exec_lo, s1
	s_cbranch_vccnz .LBB6_421
; %bb.420:
	global_load_u16 v0, v[2:3], off
	s_wait_loadcnt 0x0
	v_cvt_f64_u32_e32 v[0:1], v0
.LBB6_421:
	s_mov_b32 s1, 0
.LBB6_422:
	s_delay_alu instid0(SALU_CYCLE_1)
	s_and_not1_b32 vcc_lo, exec_lo, s1
	s_cbranch_vccnz .LBB6_430
; %bb.423:
	global_load_u8 v4, v[2:3], off
	s_mov_b32 s1, 0
	s_mov_b32 s21, exec_lo
	s_wait_loadcnt 0x0
	v_cmpx_lt_i16_e32 0x7f, v4
	s_xor_b32 s21, exec_lo, s21
	s_cbranch_execz .LBB6_444
; %bb.424:
	s_mov_b32 s1, -1
	s_mov_b32 s23, exec_lo
	v_cmpx_eq_u16_e32 0x80, v4
; %bb.425:
	s_xor_b32 s1, exec_lo, -1
; %bb.426:
	s_or_b32 exec_lo, exec_lo, s23
	s_delay_alu instid0(SALU_CYCLE_1)
	s_and_b32 s1, s1, exec_lo
	s_or_saveexec_b32 s21, s21
	v_mov_b64_e32 v[0:1], 0x7ff8000020000000
	s_xor_b32 exec_lo, exec_lo, s21
	s_cbranch_execnz .LBB6_445
.LBB6_427:
	s_or_b32 exec_lo, exec_lo, s21
	s_and_saveexec_b32 s21, s1
	s_cbranch_execz .LBB6_429
.LBB6_428:
	v_and_b32_e32 v0, 0xffff, v4
	s_delay_alu instid0(VALU_DEP_1) | instskip(SKIP_1) | instid1(VALU_DEP_2)
	v_and_b32_e32 v1, 7, v0
	v_bfe_u32 v7, v0, 3, 4
	v_clz_i32_u32_e32 v5, v1
	s_delay_alu instid0(VALU_DEP_2) | instskip(NEXT) | instid1(VALU_DEP_2)
	v_cmp_eq_u32_e32 vcc_lo, 0, v7
	v_min_u32_e32 v5, 32, v5
	s_delay_alu instid0(VALU_DEP_1) | instskip(NEXT) | instid1(VALU_DEP_1)
	v_subrev_nc_u32_e32 v6, 28, v5
	v_dual_lshlrev_b32 v0, v6, v0 :: v_dual_sub_nc_u32 v5, 29, v5
	s_delay_alu instid0(VALU_DEP_1) | instskip(NEXT) | instid1(VALU_DEP_2)
	v_and_b32_e32 v0, 7, v0
	v_dual_cndmask_b32 v5, v7, v5 :: v_dual_lshlrev_b32 v4, 24, v4
	s_delay_alu instid0(VALU_DEP_2) | instskip(NEXT) | instid1(VALU_DEP_2)
	v_cndmask_b32_e32 v0, v1, v0, vcc_lo
	v_and_b32_e32 v1, 0x80000000, v4
	s_delay_alu instid0(VALU_DEP_3) | instskip(NEXT) | instid1(VALU_DEP_3)
	v_lshl_add_u32 v4, v5, 23, 0x3b800000
	v_lshlrev_b32_e32 v0, 20, v0
	s_delay_alu instid0(VALU_DEP_1) | instskip(NEXT) | instid1(VALU_DEP_1)
	v_or3_b32 v0, v1, v4, v0
	v_cvt_f64_f32_e32 v[0:1], v0
.LBB6_429:
	s_or_b32 exec_lo, exec_lo, s21
.LBB6_430:
	s_mov_b32 s1, -1
.LBB6_431:
	s_mov_b32 s21, 0
.LBB6_432:
	s_delay_alu instid0(SALU_CYCLE_1)
	s_and_b32 vcc_lo, exec_lo, s21
	s_cbranch_vccz .LBB6_467
; %bb.433:
	s_cmp_gt_i32 s0, 22
	s_cbranch_scc0 .LBB6_443
; %bb.434:
	s_cmp_lt_i32 s0, 24
	s_cbranch_scc1 .LBB6_446
; %bb.435:
	s_cmp_gt_i32 s0, 24
	s_cbranch_scc0 .LBB6_447
; %bb.436:
	global_load_u8 v4, v[2:3], off
	s_mov_b32 s1, 0
	s_mov_b32 s21, exec_lo
	s_wait_loadcnt 0x0
	v_cmpx_lt_i16_e32 0x7f, v4
	s_xor_b32 s21, exec_lo, s21
	s_cbranch_execz .LBB6_459
; %bb.437:
	s_mov_b32 s1, -1
	s_mov_b32 s23, exec_lo
	v_cmpx_eq_u16_e32 0x80, v4
; %bb.438:
	s_xor_b32 s1, exec_lo, -1
; %bb.439:
	s_or_b32 exec_lo, exec_lo, s23
	s_delay_alu instid0(SALU_CYCLE_1)
	s_and_b32 s1, s1, exec_lo
	s_or_saveexec_b32 s21, s21
	v_mov_b64_e32 v[0:1], 0x7ff8000020000000
	s_xor_b32 exec_lo, exec_lo, s21
	s_cbranch_execnz .LBB6_460
.LBB6_440:
	s_or_b32 exec_lo, exec_lo, s21
	s_and_saveexec_b32 s21, s1
	s_cbranch_execz .LBB6_442
.LBB6_441:
	v_and_b32_e32 v0, 0xffff, v4
	s_delay_alu instid0(VALU_DEP_1) | instskip(SKIP_1) | instid1(VALU_DEP_2)
	v_and_b32_e32 v1, 3, v0
	v_bfe_u32 v7, v0, 2, 5
	v_clz_i32_u32_e32 v5, v1
	s_delay_alu instid0(VALU_DEP_2) | instskip(NEXT) | instid1(VALU_DEP_2)
	v_cmp_eq_u32_e32 vcc_lo, 0, v7
	v_min_u32_e32 v5, 32, v5
	s_delay_alu instid0(VALU_DEP_1) | instskip(NEXT) | instid1(VALU_DEP_1)
	v_subrev_nc_u32_e32 v6, 29, v5
	v_dual_lshlrev_b32 v0, v6, v0 :: v_dual_sub_nc_u32 v5, 30, v5
	s_delay_alu instid0(VALU_DEP_1) | instskip(NEXT) | instid1(VALU_DEP_2)
	v_and_b32_e32 v0, 3, v0
	v_dual_cndmask_b32 v5, v7, v5 :: v_dual_lshlrev_b32 v4, 24, v4
	s_delay_alu instid0(VALU_DEP_2) | instskip(NEXT) | instid1(VALU_DEP_2)
	v_cndmask_b32_e32 v0, v1, v0, vcc_lo
	v_and_b32_e32 v1, 0x80000000, v4
	s_delay_alu instid0(VALU_DEP_3) | instskip(NEXT) | instid1(VALU_DEP_3)
	v_lshl_add_u32 v4, v5, 23, 0x37800000
	v_lshlrev_b32_e32 v0, 21, v0
	s_delay_alu instid0(VALU_DEP_1) | instskip(NEXT) | instid1(VALU_DEP_1)
	v_or3_b32 v0, v1, v4, v0
	v_cvt_f64_f32_e32 v[0:1], v0
.LBB6_442:
	s_or_b32 exec_lo, exec_lo, s21
	s_mov_b32 s1, 0
	s_branch .LBB6_448
.LBB6_443:
	s_mov_b32 s21, -1
                                        ; implicit-def: $vgpr0_vgpr1
	s_branch .LBB6_454
.LBB6_444:
	s_or_saveexec_b32 s21, s21
	v_mov_b64_e32 v[0:1], 0x7ff8000020000000
	s_xor_b32 exec_lo, exec_lo, s21
	s_cbranch_execz .LBB6_427
.LBB6_445:
	v_cmp_ne_u16_e32 vcc_lo, 0, v4
	v_mov_b64_e32 v[0:1], 0
	s_and_not1_b32 s1, s1, exec_lo
	s_and_b32 s23, vcc_lo, exec_lo
	s_delay_alu instid0(SALU_CYCLE_1)
	s_or_b32 s1, s1, s23
	s_or_b32 exec_lo, exec_lo, s21
	s_and_saveexec_b32 s21, s1
	s_cbranch_execnz .LBB6_428
	s_branch .LBB6_429
.LBB6_446:
	s_mov_b32 s1, -1
                                        ; implicit-def: $vgpr0_vgpr1
	s_branch .LBB6_451
.LBB6_447:
	s_mov_b32 s1, -1
                                        ; implicit-def: $vgpr0_vgpr1
.LBB6_448:
	s_delay_alu instid0(SALU_CYCLE_1)
	s_and_b32 vcc_lo, exec_lo, s1
	s_cbranch_vccz .LBB6_450
; %bb.449:
	global_load_u8 v0, v[2:3], off
	s_wait_loadcnt 0x0
	v_lshlrev_b32_e32 v0, 24, v0
	s_delay_alu instid0(VALU_DEP_1) | instskip(NEXT) | instid1(VALU_DEP_1)
	v_and_b32_e32 v1, 0x7f000000, v0
	v_clz_i32_u32_e32 v4, v1
	v_cmp_ne_u32_e32 vcc_lo, 0, v1
	v_add_nc_u32_e32 v6, 0x1000000, v1
	s_delay_alu instid0(VALU_DEP_3) | instskip(NEXT) | instid1(VALU_DEP_1)
	v_min_u32_e32 v4, 32, v4
	v_sub_nc_u32_e64 v4, v4, 4 clamp
	s_delay_alu instid0(VALU_DEP_1) | instskip(NEXT) | instid1(VALU_DEP_1)
	v_dual_lshlrev_b32 v5, v4, v1 :: v_dual_lshlrev_b32 v4, 23, v4
	v_lshrrev_b32_e32 v5, 4, v5
	s_delay_alu instid0(VALU_DEP_1) | instskip(NEXT) | instid1(VALU_DEP_1)
	v_dual_sub_nc_u32 v4, v5, v4 :: v_dual_ashrrev_i32 v5, 8, v6
	v_add_nc_u32_e32 v4, 0x3c000000, v4
	s_delay_alu instid0(VALU_DEP_1) | instskip(NEXT) | instid1(VALU_DEP_1)
	v_and_or_b32 v4, 0x7f800000, v5, v4
	v_cndmask_b32_e32 v1, 0, v4, vcc_lo
	s_delay_alu instid0(VALU_DEP_1) | instskip(NEXT) | instid1(VALU_DEP_1)
	v_and_or_b32 v0, 0x80000000, v0, v1
	v_cvt_f64_f32_e32 v[0:1], v0
.LBB6_450:
	s_mov_b32 s1, 0
.LBB6_451:
	s_delay_alu instid0(SALU_CYCLE_1)
	s_and_not1_b32 vcc_lo, exec_lo, s1
	s_cbranch_vccnz .LBB6_453
; %bb.452:
	global_load_u8 v0, v[2:3], off
	s_wait_loadcnt 0x0
	v_lshlrev_b32_e32 v1, 25, v0
	v_lshlrev_b16 v0, 8, v0
	s_delay_alu instid0(VALU_DEP_1) | instskip(SKIP_1) | instid1(VALU_DEP_2)
	v_and_or_b32 v5, 0x7f00, v0, 0.5
	v_bfe_i32 v0, v0, 0, 16
	v_add_f32_e32 v5, -0.5, v5
	v_lshrrev_b32_e32 v4, 4, v1
	v_cmp_gt_u32_e32 vcc_lo, 0x8000000, v1
	s_delay_alu instid0(VALU_DEP_2) | instskip(NEXT) | instid1(VALU_DEP_1)
	v_or_b32_e32 v4, 0x70000000, v4
	v_mul_f32_e32 v4, 0x7800000, v4
	s_delay_alu instid0(VALU_DEP_1) | instskip(NEXT) | instid1(VALU_DEP_1)
	v_cndmask_b32_e32 v1, v4, v5, vcc_lo
	v_and_or_b32 v0, 0x80000000, v0, v1
	s_delay_alu instid0(VALU_DEP_1)
	v_cvt_f64_f32_e32 v[0:1], v0
.LBB6_453:
	s_mov_b32 s21, 0
	s_mov_b32 s1, -1
.LBB6_454:
	s_and_not1_b32 vcc_lo, exec_lo, s21
	s_cbranch_vccnz .LBB6_467
; %bb.455:
	s_cmp_gt_i32 s0, 14
	s_cbranch_scc0 .LBB6_458
; %bb.456:
	s_cmp_eq_u32 s0, 15
	s_cbranch_scc0 .LBB6_461
; %bb.457:
	global_load_u16 v0, v[2:3], off
	s_mov_b32 s1, -1
	s_mov_b32 s20, 0
	s_wait_loadcnt 0x0
	v_lshlrev_b32_e32 v0, 16, v0
	s_delay_alu instid0(VALU_DEP_1)
	v_cvt_f64_f32_e32 v[0:1], v0
	s_branch .LBB6_462
.LBB6_458:
	s_mov_b32 s21, -1
                                        ; implicit-def: $vgpr0_vgpr1
	s_branch .LBB6_463
.LBB6_459:
	s_or_saveexec_b32 s21, s21
	v_mov_b64_e32 v[0:1], 0x7ff8000020000000
	s_xor_b32 exec_lo, exec_lo, s21
	s_cbranch_execz .LBB6_440
.LBB6_460:
	v_cmp_ne_u16_e32 vcc_lo, 0, v4
	v_mov_b64_e32 v[0:1], 0
	s_and_not1_b32 s1, s1, exec_lo
	s_and_b32 s23, vcc_lo, exec_lo
	s_delay_alu instid0(SALU_CYCLE_1)
	s_or_b32 s1, s1, s23
	s_or_b32 exec_lo, exec_lo, s21
	s_and_saveexec_b32 s21, s1
	s_cbranch_execnz .LBB6_441
	s_branch .LBB6_442
.LBB6_461:
	s_mov_b32 s20, -1
                                        ; implicit-def: $vgpr0_vgpr1
.LBB6_462:
	s_mov_b32 s21, 0
.LBB6_463:
	s_delay_alu instid0(SALU_CYCLE_1)
	s_and_b32 vcc_lo, exec_lo, s21
	s_cbranch_vccz .LBB6_467
; %bb.464:
	s_cmp_eq_u32 s0, 11
	s_cbranch_scc0 .LBB6_466
; %bb.465:
	global_load_u8 v0, v[2:3], off
	s_mov_b32 s20, 0
	s_mov_b32 s1, -1
	s_wait_loadcnt 0x0
	v_cmp_ne_u16_e32 vcc_lo, 0, v0
	v_mov_b32_e32 v0, 0
	v_cndmask_b32_e64 v1, 0, 0x3ff00000, vcc_lo
	s_branch .LBB6_467
.LBB6_466:
	s_mov_b32 s20, -1
                                        ; implicit-def: $vgpr0_vgpr1
.LBB6_467:
	s_branch .LBB6_267
.LBB6_468:
	s_cmp_lt_i32 s0, 5
	s_cbranch_scc1 .LBB6_473
; %bb.469:
	s_cmp_lt_i32 s0, 8
	s_cbranch_scc1 .LBB6_474
; %bb.470:
	;; [unrolled: 3-line block ×3, first 2 shown]
	s_cmp_gt_i32 s0, 9
	s_cbranch_scc0 .LBB6_476
; %bb.472:
	global_load_b64 v[0:1], v[2:3], off
	s_mov_b32 s1, 0
	s_branch .LBB6_477
.LBB6_473:
	s_mov_b32 s1, -1
                                        ; implicit-def: $vgpr0_vgpr1
	s_branch .LBB6_495
.LBB6_474:
	s_mov_b32 s1, -1
                                        ; implicit-def: $vgpr0_vgpr1
	s_branch .LBB6_483
.LBB6_475:
	s_mov_b32 s1, -1
                                        ; implicit-def: $vgpr0_vgpr1
	s_branch .LBB6_480
.LBB6_476:
	s_mov_b32 s1, -1
                                        ; implicit-def: $vgpr0_vgpr1
.LBB6_477:
	s_delay_alu instid0(SALU_CYCLE_1)
	s_and_not1_b32 vcc_lo, exec_lo, s1
	s_cbranch_vccnz .LBB6_479
; %bb.478:
	s_wait_loadcnt 0x0
	global_load_b32 v0, v[2:3], off
	s_wait_loadcnt 0x0
	v_cvt_f64_f32_e32 v[0:1], v0
.LBB6_479:
	s_mov_b32 s1, 0
.LBB6_480:
	s_delay_alu instid0(SALU_CYCLE_1)
	s_and_not1_b32 vcc_lo, exec_lo, s1
	s_cbranch_vccnz .LBB6_482
; %bb.481:
	s_wait_loadcnt 0x0
	global_load_b32 v0, v[2:3], off
	s_wait_loadcnt 0x0
	v_cvt_f32_f16_e32 v0, v0
	s_delay_alu instid0(VALU_DEP_1)
	v_cvt_f64_f32_e32 v[0:1], v0
.LBB6_482:
	s_mov_b32 s1, 0
.LBB6_483:
	s_delay_alu instid0(SALU_CYCLE_1)
	s_and_not1_b32 vcc_lo, exec_lo, s1
	s_cbranch_vccnz .LBB6_494
; %bb.484:
	s_cmp_lt_i32 s0, 6
	s_cbranch_scc1 .LBB6_487
; %bb.485:
	s_cmp_gt_i32 s0, 6
	s_cbranch_scc0 .LBB6_488
; %bb.486:
	s_wait_loadcnt 0x0
	global_load_b64 v[0:1], v[2:3], off
	s_mov_b32 s1, 0
	s_branch .LBB6_489
.LBB6_487:
	s_mov_b32 s1, -1
                                        ; implicit-def: $vgpr0_vgpr1
	s_branch .LBB6_492
.LBB6_488:
	s_mov_b32 s1, -1
                                        ; implicit-def: $vgpr0_vgpr1
.LBB6_489:
	s_delay_alu instid0(SALU_CYCLE_1)
	s_and_not1_b32 vcc_lo, exec_lo, s1
	s_cbranch_vccnz .LBB6_491
; %bb.490:
	s_wait_loadcnt 0x0
	global_load_b32 v0, v[2:3], off
	s_wait_loadcnt 0x0
	v_cvt_f64_f32_e32 v[0:1], v0
.LBB6_491:
	s_mov_b32 s1, 0
.LBB6_492:
	s_delay_alu instid0(SALU_CYCLE_1)
	s_and_not1_b32 vcc_lo, exec_lo, s1
	s_cbranch_vccnz .LBB6_494
; %bb.493:
	s_wait_loadcnt 0x0
	global_load_u16 v0, v[2:3], off
	s_wait_loadcnt 0x0
	v_cvt_f32_f16_e32 v0, v0
	s_delay_alu instid0(VALU_DEP_1)
	v_cvt_f64_f32_e32 v[0:1], v0
.LBB6_494:
	s_mov_b32 s1, 0
.LBB6_495:
	s_delay_alu instid0(SALU_CYCLE_1)
	s_and_not1_b32 vcc_lo, exec_lo, s1
	s_cbranch_vccnz .LBB6_515
; %bb.496:
	s_cmp_lt_i32 s0, 2
	s_cbranch_scc1 .LBB6_500
; %bb.497:
	s_cmp_lt_i32 s0, 3
	s_cbranch_scc1 .LBB6_501
; %bb.498:
	s_cmp_gt_i32 s0, 3
	s_cbranch_scc0 .LBB6_502
; %bb.499:
	s_wait_loadcnt 0x0
	global_load_b64 v[0:1], v[2:3], off
	s_mov_b32 s1, 0
	s_wait_loadcnt 0x0
	v_cvt_f64_i32_e32 v[4:5], v1
	v_cvt_f64_u32_e32 v[0:1], v0
	s_delay_alu instid0(VALU_DEP_2) | instskip(NEXT) | instid1(VALU_DEP_1)
	v_ldexp_f64 v[4:5], v[4:5], 32
	v_add_f64_e32 v[0:1], v[4:5], v[0:1]
	s_branch .LBB6_503
.LBB6_500:
	s_mov_b32 s1, -1
                                        ; implicit-def: $vgpr0_vgpr1
	s_branch .LBB6_509
.LBB6_501:
	s_mov_b32 s1, -1
                                        ; implicit-def: $vgpr0_vgpr1
	s_branch .LBB6_506
.LBB6_502:
	s_mov_b32 s1, -1
                                        ; implicit-def: $vgpr0_vgpr1
.LBB6_503:
	s_delay_alu instid0(SALU_CYCLE_1)
	s_and_not1_b32 vcc_lo, exec_lo, s1
	s_cbranch_vccnz .LBB6_505
; %bb.504:
	s_wait_loadcnt 0x0
	global_load_b32 v0, v[2:3], off
	s_wait_loadcnt 0x0
	v_cvt_f64_i32_e32 v[0:1], v0
.LBB6_505:
	s_mov_b32 s1, 0
.LBB6_506:
	s_delay_alu instid0(SALU_CYCLE_1)
	s_and_not1_b32 vcc_lo, exec_lo, s1
	s_cbranch_vccnz .LBB6_508
; %bb.507:
	s_wait_loadcnt 0x0
	global_load_i16 v0, v[2:3], off
	s_wait_loadcnt 0x0
	v_cvt_f64_i32_e32 v[0:1], v0
.LBB6_508:
	s_mov_b32 s1, 0
.LBB6_509:
	s_delay_alu instid0(SALU_CYCLE_1)
	s_and_not1_b32 vcc_lo, exec_lo, s1
	s_cbranch_vccnz .LBB6_515
; %bb.510:
	s_cmp_gt_i32 s0, 0
	s_mov_b32 s0, 0
	s_cbranch_scc0 .LBB6_512
; %bb.511:
	s_wait_loadcnt 0x0
	global_load_i8 v0, v[2:3], off
	s_wait_loadcnt 0x0
	v_cvt_f64_i32_e32 v[0:1], v0
	s_branch .LBB6_513
.LBB6_512:
	s_mov_b32 s0, -1
                                        ; implicit-def: $vgpr0_vgpr1
.LBB6_513:
	s_delay_alu instid0(SALU_CYCLE_1)
	s_and_not1_b32 vcc_lo, exec_lo, s0
	s_cbranch_vccnz .LBB6_515
; %bb.514:
	s_wait_loadcnt 0x0
	global_load_u8 v0, v[2:3], off
	s_wait_loadcnt 0x0
	v_cvt_f64_u32_e32 v[0:1], v0
.LBB6_515:
	s_branch .LBB6_268
.LBB6_516:
	s_mov_b32 s1, 0
	s_mov_b32 s0, s16
.LBB6_517:
                                        ; implicit-def: $vgpr12
.LBB6_518:
	s_and_not1_b32 s21, s16, exec_lo
	s_and_b32 s0, s0, exec_lo
	s_and_not1_b32 s23, s18, exec_lo
	s_and_b32 s20, s20, exec_lo
	s_or_b32 s21, s21, s0
	s_or_b32 s20, s23, s20
	s_or_not1_b32 s0, s1, exec_lo
.LBB6_519:
	s_wait_xcnt 0x0
	s_or_b32 exec_lo, exec_lo, s22
	s_mov_b32 s1, 0
	s_mov_b32 s23, 0
	;; [unrolled: 1-line block ×3, first 2 shown]
                                        ; implicit-def: $vgpr2_vgpr3
                                        ; implicit-def: $vgpr0_vgpr1
	s_and_saveexec_b32 s22, s0
	s_cbranch_execz .LBB6_868
; %bb.520:
	s_mov_b32 s24, -1
	s_mov_b32 s0, s20
	s_mov_b32 s1, s21
	s_mov_b32 s23, exec_lo
	v_cmpx_gt_i32_e64 s17, v12
	s_cbranch_execz .LBB6_782
; %bb.521:
	s_wait_loadcnt 0x0
	v_mul_lo_u32 v0, v12, s3
	s_and_b32 s0, 0xffff, s14
	s_delay_alu instid0(SALU_CYCLE_1) | instskip(NEXT) | instid1(VALU_DEP_1)
	s_cmp_lt_i32 s0, 11
	v_ashrrev_i32_e32 v1, 31, v0
	s_delay_alu instid0(VALU_DEP_1)
	v_add_nc_u64_e32 v[2:3], s[6:7], v[0:1]
	s_cbranch_scc1 .LBB6_528
; %bb.522:
	s_cmp_gt_i32 s0, 25
	s_cbranch_scc0 .LBB6_529
; %bb.523:
	s_cmp_gt_i32 s0, 28
	s_cbranch_scc0 .LBB6_530
	;; [unrolled: 3-line block ×4, first 2 shown]
; %bb.526:
	s_cmp_eq_u32 s0, 46
	s_mov_b32 s25, 0
	s_cbranch_scc0 .LBB6_537
; %bb.527:
	global_load_b32 v0, v[2:3], off
	s_mov_b32 s1, -1
	s_mov_b32 s24, 0
	s_wait_loadcnt 0x0
	v_lshlrev_b32_e32 v0, 16, v0
	s_delay_alu instid0(VALU_DEP_1)
	v_cvt_f64_f32_e32 v[0:1], v0
	s_branch .LBB6_539
.LBB6_528:
	s_mov_b32 s25, -1
	s_mov_b32 s1, 0
	s_mov_b32 s24, s20
                                        ; implicit-def: $vgpr0_vgpr1
	s_branch .LBB6_604
.LBB6_529:
	s_mov_b32 s25, -1
	s_mov_b32 s1, 0
	s_mov_b32 s24, s20
                                        ; implicit-def: $vgpr0_vgpr1
	s_branch .LBB6_568
.LBB6_530:
	s_mov_b32 s25, -1
	s_mov_b32 s1, 0
	s_mov_b32 s24, s20
                                        ; implicit-def: $vgpr0_vgpr1
	s_branch .LBB6_549
.LBB6_531:
	s_mov_b32 s25, -1
	s_mov_b32 s1, 0
	s_mov_b32 s24, s20
                                        ; implicit-def: $vgpr0_vgpr1
	s_branch .LBB6_544
.LBB6_532:
	s_and_not1_saveexec_b32 s25, s25
	s_cbranch_execz .LBB6_316
.LBB6_533:
	v_add_f32_e64 v3, 0x46000000, |v2|
	s_and_not1_b32 s24, s24, exec_lo
	s_delay_alu instid0(VALU_DEP_1) | instskip(NEXT) | instid1(VALU_DEP_1)
	v_and_b32_e32 v3, 0xff, v3
	v_cmp_ne_u32_e32 vcc_lo, 0, v3
	s_and_b32 s26, vcc_lo, exec_lo
	s_delay_alu instid0(SALU_CYCLE_1)
	s_or_b32 s24, s24, s26
	s_or_b32 exec_lo, exec_lo, s25
	v_mov_b32_e32 v6, 0
	s_and_saveexec_b32 s25, s24
	s_cbranch_execnz .LBB6_317
	s_branch .LBB6_318
.LBB6_534:
	s_mov_b32 s25, -1
	s_mov_b32 s1, 0
	s_mov_b32 s24, s20
	s_branch .LBB6_538
.LBB6_535:
	s_and_not1_saveexec_b32 s25, s25
	s_cbranch_execz .LBB6_329
.LBB6_536:
	v_add_f32_e64 v3, 0x42800000, |v2|
	s_and_not1_b32 s24, s24, exec_lo
	s_delay_alu instid0(VALU_DEP_1) | instskip(NEXT) | instid1(VALU_DEP_1)
	v_and_b32_e32 v3, 0xff, v3
	v_cmp_ne_u32_e32 vcc_lo, 0, v3
	s_and_b32 s26, vcc_lo, exec_lo
	s_delay_alu instid0(SALU_CYCLE_1)
	s_or_b32 s24, s24, s26
	s_or_b32 exec_lo, exec_lo, s25
	v_mov_b32_e32 v6, 0
	s_and_saveexec_b32 s25, s24
	s_cbranch_execnz .LBB6_330
	s_branch .LBB6_331
.LBB6_537:
	s_mov_b32 s1, 0
.LBB6_538:
                                        ; implicit-def: $vgpr0_vgpr1
.LBB6_539:
	s_and_b32 vcc_lo, exec_lo, s25
	s_cbranch_vccz .LBB6_543
; %bb.540:
	s_cmp_eq_u32 s0, 44
	s_cbranch_scc0 .LBB6_542
; %bb.541:
	global_load_u8 v4, v[2:3], off
	s_mov_b32 s24, 0
	s_mov_b32 s1, -1
	s_wait_loadcnt 0x0
	v_cmp_ne_u32_e32 vcc_lo, 0xff, v4
	v_lshlrev_b32_e32 v0, 23, v4
	s_delay_alu instid0(VALU_DEP_1) | instskip(NEXT) | instid1(VALU_DEP_1)
	v_cvt_f64_f32_e32 v[0:1], v0
	v_cndmask_b32_e32 v0, 0x20000000, v0, vcc_lo
	s_delay_alu instid0(VALU_DEP_2) | instskip(SKIP_1) | instid1(VALU_DEP_2)
	v_cndmask_b32_e32 v1, 0x7ff80000, v1, vcc_lo
	v_cmp_ne_u32_e32 vcc_lo, 0, v4
	v_cndmask_b32_e32 v1, 0x38000000, v1, vcc_lo
	s_delay_alu instid0(VALU_DEP_4)
	v_cndmask_b32_e32 v0, 0, v0, vcc_lo
	s_branch .LBB6_543
.LBB6_542:
	s_mov_b32 s24, -1
                                        ; implicit-def: $vgpr0_vgpr1
.LBB6_543:
	s_mov_b32 s25, 0
.LBB6_544:
	s_delay_alu instid0(SALU_CYCLE_1)
	s_and_b32 vcc_lo, exec_lo, s25
	s_cbranch_vccz .LBB6_548
; %bb.545:
	s_cmp_eq_u32 s0, 29
	s_cbranch_scc0 .LBB6_547
; %bb.546:
	global_load_b64 v[0:1], v[2:3], off
	s_mov_b32 s1, -1
	s_mov_b32 s24, 0
	s_mov_b32 s25, 0
	s_wait_loadcnt 0x0
	v_cvt_f64_u32_e32 v[4:5], v1
	v_cvt_f64_u32_e32 v[0:1], v0
	s_delay_alu instid0(VALU_DEP_2) | instskip(NEXT) | instid1(VALU_DEP_1)
	v_ldexp_f64 v[4:5], v[4:5], 32
	v_add_f64_e32 v[0:1], v[4:5], v[0:1]
	s_branch .LBB6_549
.LBB6_547:
	s_mov_b32 s24, -1
                                        ; implicit-def: $vgpr0_vgpr1
.LBB6_548:
	s_mov_b32 s25, 0
.LBB6_549:
	s_delay_alu instid0(SALU_CYCLE_1)
	s_and_b32 vcc_lo, exec_lo, s25
	s_cbranch_vccz .LBB6_567
; %bb.550:
	s_cmp_lt_i32 s0, 27
	s_cbranch_scc1 .LBB6_553
; %bb.551:
	s_cmp_gt_i32 s0, 27
	s_cbranch_scc0 .LBB6_554
; %bb.552:
	global_load_b32 v0, v[2:3], off
	s_mov_b32 s1, 0
	s_wait_loadcnt 0x0
	v_cvt_f64_u32_e32 v[0:1], v0
	s_branch .LBB6_555
.LBB6_553:
	s_mov_b32 s1, -1
                                        ; implicit-def: $vgpr0_vgpr1
	s_branch .LBB6_558
.LBB6_554:
	s_mov_b32 s1, -1
                                        ; implicit-def: $vgpr0_vgpr1
.LBB6_555:
	s_delay_alu instid0(SALU_CYCLE_1)
	s_and_not1_b32 vcc_lo, exec_lo, s1
	s_cbranch_vccnz .LBB6_557
; %bb.556:
	global_load_u16 v0, v[2:3], off
	s_wait_loadcnt 0x0
	v_cvt_f64_u32_e32 v[0:1], v0
.LBB6_557:
	s_mov_b32 s1, 0
.LBB6_558:
	s_delay_alu instid0(SALU_CYCLE_1)
	s_and_not1_b32 vcc_lo, exec_lo, s1
	s_cbranch_vccnz .LBB6_566
; %bb.559:
	global_load_u8 v4, v[2:3], off
	s_mov_b32 s1, 0
	s_mov_b32 s25, exec_lo
	s_wait_loadcnt 0x0
	v_cmpx_lt_i16_e32 0x7f, v4
	s_xor_b32 s25, exec_lo, s25
	s_cbranch_execz .LBB6_580
; %bb.560:
	s_mov_b32 s1, -1
	s_mov_b32 s26, exec_lo
	v_cmpx_eq_u16_e32 0x80, v4
; %bb.561:
	s_xor_b32 s1, exec_lo, -1
; %bb.562:
	s_or_b32 exec_lo, exec_lo, s26
	s_delay_alu instid0(SALU_CYCLE_1)
	s_and_b32 s1, s1, exec_lo
	s_or_saveexec_b32 s25, s25
	v_mov_b64_e32 v[0:1], 0x7ff8000020000000
	s_xor_b32 exec_lo, exec_lo, s25
	s_cbranch_execnz .LBB6_581
.LBB6_563:
	s_or_b32 exec_lo, exec_lo, s25
	s_and_saveexec_b32 s25, s1
	s_cbranch_execz .LBB6_565
.LBB6_564:
	v_and_b32_e32 v0, 0xffff, v4
	s_delay_alu instid0(VALU_DEP_1) | instskip(SKIP_1) | instid1(VALU_DEP_2)
	v_and_b32_e32 v1, 7, v0
	v_bfe_u32 v7, v0, 3, 4
	v_clz_i32_u32_e32 v5, v1
	s_delay_alu instid0(VALU_DEP_2) | instskip(NEXT) | instid1(VALU_DEP_2)
	v_cmp_eq_u32_e32 vcc_lo, 0, v7
	v_min_u32_e32 v5, 32, v5
	s_delay_alu instid0(VALU_DEP_1) | instskip(NEXT) | instid1(VALU_DEP_1)
	v_subrev_nc_u32_e32 v6, 28, v5
	v_dual_lshlrev_b32 v0, v6, v0 :: v_dual_sub_nc_u32 v5, 29, v5
	s_delay_alu instid0(VALU_DEP_1) | instskip(NEXT) | instid1(VALU_DEP_2)
	v_and_b32_e32 v0, 7, v0
	v_dual_cndmask_b32 v5, v7, v5 :: v_dual_lshlrev_b32 v4, 24, v4
	s_delay_alu instid0(VALU_DEP_2) | instskip(NEXT) | instid1(VALU_DEP_2)
	v_cndmask_b32_e32 v0, v1, v0, vcc_lo
	v_and_b32_e32 v1, 0x80000000, v4
	s_delay_alu instid0(VALU_DEP_3) | instskip(NEXT) | instid1(VALU_DEP_3)
	v_lshl_add_u32 v4, v5, 23, 0x3b800000
	v_lshlrev_b32_e32 v0, 20, v0
	s_delay_alu instid0(VALU_DEP_1) | instskip(NEXT) | instid1(VALU_DEP_1)
	v_or3_b32 v0, v1, v4, v0
	v_cvt_f64_f32_e32 v[0:1], v0
.LBB6_565:
	s_or_b32 exec_lo, exec_lo, s25
.LBB6_566:
	s_mov_b32 s1, -1
.LBB6_567:
	s_mov_b32 s25, 0
.LBB6_568:
	s_delay_alu instid0(SALU_CYCLE_1)
	s_and_b32 vcc_lo, exec_lo, s25
	s_cbranch_vccz .LBB6_603
; %bb.569:
	s_cmp_gt_i32 s0, 22
	s_cbranch_scc0 .LBB6_579
; %bb.570:
	s_cmp_lt_i32 s0, 24
	s_cbranch_scc1 .LBB6_582
; %bb.571:
	s_cmp_gt_i32 s0, 24
	s_cbranch_scc0 .LBB6_583
; %bb.572:
	global_load_u8 v4, v[2:3], off
	s_mov_b32 s1, 0
	s_mov_b32 s25, exec_lo
	s_wait_loadcnt 0x0
	v_cmpx_lt_i16_e32 0x7f, v4
	s_xor_b32 s25, exec_lo, s25
	s_cbranch_execz .LBB6_595
; %bb.573:
	s_mov_b32 s1, -1
	s_mov_b32 s26, exec_lo
	v_cmpx_eq_u16_e32 0x80, v4
; %bb.574:
	s_xor_b32 s1, exec_lo, -1
; %bb.575:
	s_or_b32 exec_lo, exec_lo, s26
	s_delay_alu instid0(SALU_CYCLE_1)
	s_and_b32 s1, s1, exec_lo
	s_or_saveexec_b32 s25, s25
	v_mov_b64_e32 v[0:1], 0x7ff8000020000000
	s_xor_b32 exec_lo, exec_lo, s25
	s_cbranch_execnz .LBB6_596
.LBB6_576:
	s_or_b32 exec_lo, exec_lo, s25
	s_and_saveexec_b32 s25, s1
	s_cbranch_execz .LBB6_578
.LBB6_577:
	v_and_b32_e32 v0, 0xffff, v4
	s_delay_alu instid0(VALU_DEP_1) | instskip(SKIP_1) | instid1(VALU_DEP_2)
	v_and_b32_e32 v1, 3, v0
	v_bfe_u32 v7, v0, 2, 5
	v_clz_i32_u32_e32 v5, v1
	s_delay_alu instid0(VALU_DEP_2) | instskip(NEXT) | instid1(VALU_DEP_2)
	v_cmp_eq_u32_e32 vcc_lo, 0, v7
	v_min_u32_e32 v5, 32, v5
	s_delay_alu instid0(VALU_DEP_1) | instskip(NEXT) | instid1(VALU_DEP_1)
	v_subrev_nc_u32_e32 v6, 29, v5
	v_dual_lshlrev_b32 v0, v6, v0 :: v_dual_sub_nc_u32 v5, 30, v5
	s_delay_alu instid0(VALU_DEP_1) | instskip(NEXT) | instid1(VALU_DEP_2)
	v_and_b32_e32 v0, 3, v0
	v_dual_cndmask_b32 v5, v7, v5 :: v_dual_lshlrev_b32 v4, 24, v4
	s_delay_alu instid0(VALU_DEP_2) | instskip(NEXT) | instid1(VALU_DEP_2)
	v_cndmask_b32_e32 v0, v1, v0, vcc_lo
	v_and_b32_e32 v1, 0x80000000, v4
	s_delay_alu instid0(VALU_DEP_3) | instskip(NEXT) | instid1(VALU_DEP_3)
	v_lshl_add_u32 v4, v5, 23, 0x37800000
	v_lshlrev_b32_e32 v0, 21, v0
	s_delay_alu instid0(VALU_DEP_1) | instskip(NEXT) | instid1(VALU_DEP_1)
	v_or3_b32 v0, v1, v4, v0
	v_cvt_f64_f32_e32 v[0:1], v0
.LBB6_578:
	s_or_b32 exec_lo, exec_lo, s25
	s_mov_b32 s1, 0
	s_branch .LBB6_584
.LBB6_579:
	s_mov_b32 s25, -1
                                        ; implicit-def: $vgpr0_vgpr1
	s_branch .LBB6_590
.LBB6_580:
	s_or_saveexec_b32 s25, s25
	v_mov_b64_e32 v[0:1], 0x7ff8000020000000
	s_xor_b32 exec_lo, exec_lo, s25
	s_cbranch_execz .LBB6_563
.LBB6_581:
	v_cmp_ne_u16_e32 vcc_lo, 0, v4
	v_mov_b64_e32 v[0:1], 0
	s_and_not1_b32 s1, s1, exec_lo
	s_and_b32 s26, vcc_lo, exec_lo
	s_delay_alu instid0(SALU_CYCLE_1)
	s_or_b32 s1, s1, s26
	s_or_b32 exec_lo, exec_lo, s25
	s_and_saveexec_b32 s25, s1
	s_cbranch_execnz .LBB6_564
	s_branch .LBB6_565
.LBB6_582:
	s_mov_b32 s1, -1
                                        ; implicit-def: $vgpr0_vgpr1
	s_branch .LBB6_587
.LBB6_583:
	s_mov_b32 s1, -1
                                        ; implicit-def: $vgpr0_vgpr1
.LBB6_584:
	s_delay_alu instid0(SALU_CYCLE_1)
	s_and_b32 vcc_lo, exec_lo, s1
	s_cbranch_vccz .LBB6_586
; %bb.585:
	global_load_u8 v0, v[2:3], off
	s_wait_loadcnt 0x0
	v_lshlrev_b32_e32 v0, 24, v0
	s_delay_alu instid0(VALU_DEP_1) | instskip(NEXT) | instid1(VALU_DEP_1)
	v_and_b32_e32 v1, 0x7f000000, v0
	v_clz_i32_u32_e32 v4, v1
	v_cmp_ne_u32_e32 vcc_lo, 0, v1
	v_add_nc_u32_e32 v6, 0x1000000, v1
	s_delay_alu instid0(VALU_DEP_3) | instskip(NEXT) | instid1(VALU_DEP_1)
	v_min_u32_e32 v4, 32, v4
	v_sub_nc_u32_e64 v4, v4, 4 clamp
	s_delay_alu instid0(VALU_DEP_1) | instskip(NEXT) | instid1(VALU_DEP_1)
	v_dual_lshlrev_b32 v5, v4, v1 :: v_dual_lshlrev_b32 v4, 23, v4
	v_lshrrev_b32_e32 v5, 4, v5
	s_delay_alu instid0(VALU_DEP_1) | instskip(NEXT) | instid1(VALU_DEP_1)
	v_dual_sub_nc_u32 v4, v5, v4 :: v_dual_ashrrev_i32 v5, 8, v6
	v_add_nc_u32_e32 v4, 0x3c000000, v4
	s_delay_alu instid0(VALU_DEP_1) | instskip(NEXT) | instid1(VALU_DEP_1)
	v_and_or_b32 v4, 0x7f800000, v5, v4
	v_cndmask_b32_e32 v1, 0, v4, vcc_lo
	s_delay_alu instid0(VALU_DEP_1) | instskip(NEXT) | instid1(VALU_DEP_1)
	v_and_or_b32 v0, 0x80000000, v0, v1
	v_cvt_f64_f32_e32 v[0:1], v0
.LBB6_586:
	s_mov_b32 s1, 0
.LBB6_587:
	s_delay_alu instid0(SALU_CYCLE_1)
	s_and_not1_b32 vcc_lo, exec_lo, s1
	s_cbranch_vccnz .LBB6_589
; %bb.588:
	global_load_u8 v0, v[2:3], off
	s_wait_loadcnt 0x0
	v_lshlrev_b32_e32 v1, 25, v0
	v_lshlrev_b16 v0, 8, v0
	s_delay_alu instid0(VALU_DEP_1) | instskip(SKIP_1) | instid1(VALU_DEP_2)
	v_and_or_b32 v5, 0x7f00, v0, 0.5
	v_bfe_i32 v0, v0, 0, 16
	v_add_f32_e32 v5, -0.5, v5
	v_lshrrev_b32_e32 v4, 4, v1
	v_cmp_gt_u32_e32 vcc_lo, 0x8000000, v1
	s_delay_alu instid0(VALU_DEP_2) | instskip(NEXT) | instid1(VALU_DEP_1)
	v_or_b32_e32 v4, 0x70000000, v4
	v_mul_f32_e32 v4, 0x7800000, v4
	s_delay_alu instid0(VALU_DEP_1) | instskip(NEXT) | instid1(VALU_DEP_1)
	v_cndmask_b32_e32 v1, v4, v5, vcc_lo
	v_and_or_b32 v0, 0x80000000, v0, v1
	s_delay_alu instid0(VALU_DEP_1)
	v_cvt_f64_f32_e32 v[0:1], v0
.LBB6_589:
	s_mov_b32 s25, 0
	s_mov_b32 s1, -1
.LBB6_590:
	s_and_not1_b32 vcc_lo, exec_lo, s25
	s_cbranch_vccnz .LBB6_603
; %bb.591:
	s_cmp_gt_i32 s0, 14
	s_cbranch_scc0 .LBB6_594
; %bb.592:
	s_cmp_eq_u32 s0, 15
	s_cbranch_scc0 .LBB6_597
; %bb.593:
	global_load_u16 v0, v[2:3], off
	s_mov_b32 s1, -1
	s_mov_b32 s24, 0
	s_wait_loadcnt 0x0
	v_lshlrev_b32_e32 v0, 16, v0
	s_delay_alu instid0(VALU_DEP_1)
	v_cvt_f64_f32_e32 v[0:1], v0
	s_branch .LBB6_598
.LBB6_594:
	s_mov_b32 s25, -1
                                        ; implicit-def: $vgpr0_vgpr1
	s_branch .LBB6_599
.LBB6_595:
	s_or_saveexec_b32 s25, s25
	v_mov_b64_e32 v[0:1], 0x7ff8000020000000
	s_xor_b32 exec_lo, exec_lo, s25
	s_cbranch_execz .LBB6_576
.LBB6_596:
	v_cmp_ne_u16_e32 vcc_lo, 0, v4
	v_mov_b64_e32 v[0:1], 0
	s_and_not1_b32 s1, s1, exec_lo
	s_and_b32 s26, vcc_lo, exec_lo
	s_delay_alu instid0(SALU_CYCLE_1)
	s_or_b32 s1, s1, s26
	s_or_b32 exec_lo, exec_lo, s25
	s_and_saveexec_b32 s25, s1
	s_cbranch_execnz .LBB6_577
	s_branch .LBB6_578
.LBB6_597:
	s_mov_b32 s24, -1
                                        ; implicit-def: $vgpr0_vgpr1
.LBB6_598:
	s_mov_b32 s25, 0
.LBB6_599:
	s_delay_alu instid0(SALU_CYCLE_1)
	s_and_b32 vcc_lo, exec_lo, s25
	s_cbranch_vccz .LBB6_603
; %bb.600:
	s_cmp_eq_u32 s0, 11
	s_cbranch_scc0 .LBB6_602
; %bb.601:
	global_load_u8 v0, v[2:3], off
	s_mov_b32 s24, 0
	s_mov_b32 s1, -1
	s_wait_loadcnt 0x0
	v_cmp_ne_u16_e32 vcc_lo, 0, v0
	v_mov_b32_e32 v0, 0
	v_cndmask_b32_e64 v1, 0, 0x3ff00000, vcc_lo
	s_branch .LBB6_603
.LBB6_602:
	s_mov_b32 s24, -1
                                        ; implicit-def: $vgpr0_vgpr1
.LBB6_603:
	s_mov_b32 s25, 0
.LBB6_604:
	s_delay_alu instid0(SALU_CYCLE_1)
	s_and_b32 vcc_lo, exec_lo, s25
	s_cbranch_vccz .LBB6_653
; %bb.605:
	s_cmp_lt_i32 s0, 5
	s_cbranch_scc1 .LBB6_610
; %bb.606:
	s_cmp_lt_i32 s0, 8
	s_cbranch_scc1 .LBB6_611
; %bb.607:
	s_cmp_lt_i32 s0, 9
	s_cbranch_scc1 .LBB6_612
; %bb.608:
	s_cmp_gt_i32 s0, 9
	s_cbranch_scc0 .LBB6_613
; %bb.609:
	global_load_b64 v[0:1], v[2:3], off
	s_mov_b32 s1, 0
	s_branch .LBB6_614
.LBB6_610:
	s_mov_b32 s1, -1
                                        ; implicit-def: $vgpr0_vgpr1
	s_branch .LBB6_632
.LBB6_611:
	s_mov_b32 s1, -1
                                        ; implicit-def: $vgpr0_vgpr1
	s_branch .LBB6_620
.LBB6_612:
	s_mov_b32 s1, -1
                                        ; implicit-def: $vgpr0_vgpr1
	s_branch .LBB6_617
.LBB6_613:
	s_mov_b32 s1, -1
                                        ; implicit-def: $vgpr0_vgpr1
.LBB6_614:
	s_delay_alu instid0(SALU_CYCLE_1)
	s_and_not1_b32 vcc_lo, exec_lo, s1
	s_cbranch_vccnz .LBB6_616
; %bb.615:
	s_wait_loadcnt 0x0
	global_load_b32 v0, v[2:3], off
	s_wait_loadcnt 0x0
	v_cvt_f64_f32_e32 v[0:1], v0
.LBB6_616:
	s_mov_b32 s1, 0
.LBB6_617:
	s_delay_alu instid0(SALU_CYCLE_1)
	s_and_not1_b32 vcc_lo, exec_lo, s1
	s_cbranch_vccnz .LBB6_619
; %bb.618:
	s_wait_loadcnt 0x0
	global_load_b32 v0, v[2:3], off
	s_wait_loadcnt 0x0
	v_cvt_f32_f16_e32 v0, v0
	s_delay_alu instid0(VALU_DEP_1)
	v_cvt_f64_f32_e32 v[0:1], v0
.LBB6_619:
	s_mov_b32 s1, 0
.LBB6_620:
	s_delay_alu instid0(SALU_CYCLE_1)
	s_and_not1_b32 vcc_lo, exec_lo, s1
	s_cbranch_vccnz .LBB6_631
; %bb.621:
	s_cmp_lt_i32 s0, 6
	s_cbranch_scc1 .LBB6_624
; %bb.622:
	s_cmp_gt_i32 s0, 6
	s_cbranch_scc0 .LBB6_625
; %bb.623:
	s_wait_loadcnt 0x0
	global_load_b64 v[0:1], v[2:3], off
	s_mov_b32 s1, 0
	s_branch .LBB6_626
.LBB6_624:
	s_mov_b32 s1, -1
                                        ; implicit-def: $vgpr0_vgpr1
	s_branch .LBB6_629
.LBB6_625:
	s_mov_b32 s1, -1
                                        ; implicit-def: $vgpr0_vgpr1
.LBB6_626:
	s_delay_alu instid0(SALU_CYCLE_1)
	s_and_not1_b32 vcc_lo, exec_lo, s1
	s_cbranch_vccnz .LBB6_628
; %bb.627:
	s_wait_loadcnt 0x0
	global_load_b32 v0, v[2:3], off
	s_wait_loadcnt 0x0
	v_cvt_f64_f32_e32 v[0:1], v0
.LBB6_628:
	s_mov_b32 s1, 0
.LBB6_629:
	s_delay_alu instid0(SALU_CYCLE_1)
	s_and_not1_b32 vcc_lo, exec_lo, s1
	s_cbranch_vccnz .LBB6_631
; %bb.630:
	s_wait_loadcnt 0x0
	global_load_u16 v0, v[2:3], off
	s_wait_loadcnt 0x0
	v_cvt_f32_f16_e32 v0, v0
	s_delay_alu instid0(VALU_DEP_1)
	v_cvt_f64_f32_e32 v[0:1], v0
.LBB6_631:
	s_mov_b32 s1, 0
.LBB6_632:
	s_delay_alu instid0(SALU_CYCLE_1)
	s_and_not1_b32 vcc_lo, exec_lo, s1
	s_cbranch_vccnz .LBB6_652
; %bb.633:
	s_cmp_lt_i32 s0, 2
	s_cbranch_scc1 .LBB6_637
; %bb.634:
	s_cmp_lt_i32 s0, 3
	s_cbranch_scc1 .LBB6_638
; %bb.635:
	s_cmp_gt_i32 s0, 3
	s_cbranch_scc0 .LBB6_639
; %bb.636:
	s_wait_loadcnt 0x0
	global_load_b64 v[0:1], v[2:3], off
	s_mov_b32 s1, 0
	s_wait_loadcnt 0x0
	v_cvt_f64_i32_e32 v[4:5], v1
	v_cvt_f64_u32_e32 v[0:1], v0
	s_delay_alu instid0(VALU_DEP_2) | instskip(NEXT) | instid1(VALU_DEP_1)
	v_ldexp_f64 v[4:5], v[4:5], 32
	v_add_f64_e32 v[0:1], v[4:5], v[0:1]
	s_branch .LBB6_640
.LBB6_637:
	s_mov_b32 s1, -1
                                        ; implicit-def: $vgpr0_vgpr1
	s_branch .LBB6_646
.LBB6_638:
	s_mov_b32 s1, -1
                                        ; implicit-def: $vgpr0_vgpr1
	s_branch .LBB6_643
.LBB6_639:
	s_mov_b32 s1, -1
                                        ; implicit-def: $vgpr0_vgpr1
.LBB6_640:
	s_delay_alu instid0(SALU_CYCLE_1)
	s_and_not1_b32 vcc_lo, exec_lo, s1
	s_cbranch_vccnz .LBB6_642
; %bb.641:
	s_wait_loadcnt 0x0
	global_load_b32 v0, v[2:3], off
	s_wait_loadcnt 0x0
	v_cvt_f64_i32_e32 v[0:1], v0
.LBB6_642:
	s_mov_b32 s1, 0
.LBB6_643:
	s_delay_alu instid0(SALU_CYCLE_1)
	s_and_not1_b32 vcc_lo, exec_lo, s1
	s_cbranch_vccnz .LBB6_645
; %bb.644:
	s_wait_loadcnt 0x0
	global_load_i16 v0, v[2:3], off
	s_wait_loadcnt 0x0
	v_cvt_f64_i32_e32 v[0:1], v0
.LBB6_645:
	s_mov_b32 s1, 0
.LBB6_646:
	s_delay_alu instid0(SALU_CYCLE_1)
	s_and_not1_b32 vcc_lo, exec_lo, s1
	s_cbranch_vccnz .LBB6_652
; %bb.647:
	s_cmp_gt_i32 s0, 0
	s_mov_b32 s0, 0
	s_cbranch_scc0 .LBB6_649
; %bb.648:
	s_wait_loadcnt 0x0
	global_load_i8 v0, v[2:3], off
	s_wait_loadcnt 0x0
	v_cvt_f64_i32_e32 v[0:1], v0
	s_branch .LBB6_650
.LBB6_649:
	s_mov_b32 s0, -1
                                        ; implicit-def: $vgpr0_vgpr1
.LBB6_650:
	s_delay_alu instid0(SALU_CYCLE_1)
	s_and_not1_b32 vcc_lo, exec_lo, s0
	s_cbranch_vccnz .LBB6_652
; %bb.651:
	s_wait_loadcnt 0x0
	global_load_u8 v0, v[2:3], off
	s_wait_loadcnt 0x0
	v_cvt_f64_u32_e32 v[0:1], v0
.LBB6_652:
	s_mov_b32 s1, -1
.LBB6_653:
	s_delay_alu instid0(SALU_CYCLE_1)
	s_and_not1_b32 vcc_lo, exec_lo, s1
	s_cbranch_vccnz .LBB6_663
; %bb.654:
	s_wait_loadcnt 0x0
	s_delay_alu instid0(VALU_DEP_1) | instskip(SKIP_1) | instid1(VALU_DEP_1)
	v_mul_f64_e32 v[2:3], s[8:9], v[0:1]
	s_mov_b32 s25, exec_lo
	v_cmpx_nlt_f64_e32 s[10:11], v[2:3]
	s_cbranch_execz .LBB6_656
; %bb.655:
	v_mul_f64_e32 v[0:1], 0x3ff71547652b82fe, v[2:3]
	s_mov_b64 s[0:1], 0x3e5ade156a5dcb37
	v_cmp_nlt_f64_e32 vcc_lo, 0x40900000, v[2:3]
	s_delay_alu instid0(VALU_DEP_2) | instskip(NEXT) | instid1(VALU_DEP_1)
	v_rndne_f64_e32 v[0:1], v[0:1]
	v_fmamk_f64 v[4:5], v[0:1], 0xbfe62e42fefa39ef, v[2:3]
	v_cvt_i32_f64_e32 v8, v[0:1]
	s_delay_alu instid0(VALU_DEP_2) | instskip(NEXT) | instid1(VALU_DEP_1)
	v_fmamk_f64 v[4:5], v[0:1], 0xbc7abc9e3b39803f, v[4:5]
	v_fmaak_f64 v[6:7], s[0:1], v[4:5], 0x3e928af3fca7ab0c
	v_cmp_ngt_f64_e64 s0, 0xc090cc00, v[2:3]
	s_delay_alu instid0(VALU_DEP_2) | instskip(NEXT) | instid1(VALU_DEP_1)
	v_fmaak_f64 v[6:7], v[4:5], v[6:7], 0x3ec71dee623fde64
	v_fmaak_f64 v[6:7], v[4:5], v[6:7], 0x3efa01997c89e6b0
	s_delay_alu instid0(VALU_DEP_1) | instskip(NEXT) | instid1(VALU_DEP_1)
	v_fmaak_f64 v[6:7], v[4:5], v[6:7], 0x3f2a01a014761f6e
	v_fmaak_f64 v[6:7], v[4:5], v[6:7], 0x3f56c16c1852b7b0
	s_delay_alu instid0(VALU_DEP_1) | instskip(NEXT) | instid1(VALU_DEP_1)
	;; [unrolled: 3-line block ×4, first 2 shown]
	v_fma_f64 v[6:7], v[4:5], v[6:7], 1.0
	v_fma_f64 v[0:1], v[4:5], v[6:7], 1.0
	s_delay_alu instid0(VALU_DEP_1) | instskip(NEXT) | instid1(VALU_DEP_1)
	v_ldexp_f64 v[0:1], v[0:1], v8
	v_cndmask_b32_e32 v1, 0x7ff00000, v1, vcc_lo
	s_and_b32 vcc_lo, s0, vcc_lo
	s_delay_alu instid0(VALU_DEP_1) | instid1(SALU_CYCLE_1)
	v_dual_cndmask_b32 v0, 0, v0, vcc_lo :: v_dual_cndmask_b32 v1, 0, v1, s0
	s_mov_b64 s[0:1], 0x3fe5555555555555
	s_delay_alu instid0(VALU_DEP_1) | instskip(NEXT) | instid1(VALU_DEP_1)
	v_add_f64_e32 v[2:3], 1.0, v[0:1]
	v_frexp_mant_f64_e32 v[4:5], v[2:3]
	v_frexp_exp_i32_f64_e32 v8, v[2:3]
	s_delay_alu instid0(VALU_DEP_2) | instskip(SKIP_1) | instid1(VALU_DEP_2)
	v_cmp_gt_f64_e32 vcc_lo, s[0:1], v[4:5]
	s_mov_b64 s[0:1], 0x3fc3ab76bf559e2b
	v_subrev_co_ci_u32_e64 v13, null, 0, v8, vcc_lo
	v_add_f64_e32 v[6:7], -1.0, v[2:3]
	v_cmp_nge_f64_e32 vcc_lo, -1.0, v[0:1]
	s_delay_alu instid0(VALU_DEP_2) | instskip(NEXT) | instid1(VALU_DEP_1)
	v_dual_add_f64 v[4:5], v[6:7], -v[2:3] :: v_dual_sub_nc_u32 v10, 0, v13
	v_ldexp_f64 v[2:3], v[2:3], v10
	v_add_f64_e64 v[6:7], v[0:1], -v[6:7]
	s_delay_alu instid0(VALU_DEP_3) | instskip(NEXT) | instid1(VALU_DEP_3)
	v_add_f64_e32 v[4:5], 1.0, v[4:5]
	v_add_f64_e32 v[8:9], 1.0, v[2:3]
	v_add_f64_e32 v[16:17], -1.0, v[2:3]
	s_delay_alu instid0(VALU_DEP_3) | instskip(NEXT) | instid1(VALU_DEP_3)
	v_add_f64_e32 v[4:5], v[6:7], v[4:5]
	v_add_f64_e32 v[6:7], -1.0, v[8:9]
	s_delay_alu instid0(VALU_DEP_3) | instskip(NEXT) | instid1(VALU_DEP_3)
	v_add_f64_e32 v[18:19], 1.0, v[16:17]
	v_ldexp_f64 v[4:5], v[4:5], v10
	s_delay_alu instid0(VALU_DEP_3) | instskip(NEXT) | instid1(VALU_DEP_3)
	v_add_f64_e64 v[6:7], v[2:3], -v[6:7]
	v_add_f64_e64 v[2:3], v[2:3], -v[18:19]
	s_delay_alu instid0(VALU_DEP_2) | instskip(NEXT) | instid1(VALU_DEP_2)
	v_add_f64_e32 v[6:7], v[4:5], v[6:7]
	v_add_f64_e32 v[2:3], v[4:5], v[2:3]
	s_delay_alu instid0(VALU_DEP_2) | instskip(NEXT) | instid1(VALU_DEP_2)
	v_add_f64_e32 v[10:11], v[8:9], v[6:7]
	v_add_f64_e32 v[18:19], v[16:17], v[2:3]
	s_delay_alu instid0(VALU_DEP_2) | instskip(SKIP_1) | instid1(VALU_DEP_2)
	v_rcp_f64_e32 v[14:15], v[10:11]
	v_add_f64_e64 v[8:9], v[10:11], -v[8:9]
	v_add_f64_e64 v[16:17], v[18:19], -v[16:17]
	s_delay_alu instid0(VALU_DEP_2) | instskip(NEXT) | instid1(VALU_DEP_2)
	v_add_f64_e64 v[6:7], v[6:7], -v[8:9]
	v_add_f64_e64 v[2:3], v[2:3], -v[16:17]
	s_delay_alu instid0(TRANS32_DEP_1) | instskip(NEXT) | instid1(VALU_DEP_1)
	v_fma_f64 v[20:21], -v[10:11], v[14:15], 1.0
	v_fmac_f64_e32 v[14:15], v[20:21], v[14:15]
	s_delay_alu instid0(VALU_DEP_1) | instskip(NEXT) | instid1(VALU_DEP_1)
	v_fma_f64 v[4:5], -v[10:11], v[14:15], 1.0
	v_fmac_f64_e32 v[14:15], v[4:5], v[14:15]
	s_delay_alu instid0(VALU_DEP_1) | instskip(NEXT) | instid1(VALU_DEP_1)
	v_mul_f64_e32 v[4:5], v[18:19], v[14:15]
	v_mul_f64_e32 v[20:21], v[10:11], v[4:5]
	s_delay_alu instid0(VALU_DEP_1) | instskip(NEXT) | instid1(VALU_DEP_1)
	v_fma_f64 v[8:9], v[4:5], v[10:11], -v[20:21]
	v_fmac_f64_e32 v[8:9], v[4:5], v[6:7]
	s_delay_alu instid0(VALU_DEP_1) | instskip(NEXT) | instid1(VALU_DEP_1)
	v_add_f64_e32 v[22:23], v[20:21], v[8:9]
	v_add_f64_e64 v[24:25], v[18:19], -v[22:23]
	v_add_f64_e64 v[16:17], v[22:23], -v[20:21]
	s_delay_alu instid0(VALU_DEP_2) | instskip(NEXT) | instid1(VALU_DEP_2)
	v_add_f64_e64 v[18:19], v[18:19], -v[24:25]
	v_add_f64_e64 v[8:9], v[16:17], -v[8:9]
	s_delay_alu instid0(VALU_DEP_2) | instskip(NEXT) | instid1(VALU_DEP_1)
	v_add_f64_e64 v[18:19], v[18:19], -v[22:23]
	v_add_f64_e32 v[2:3], v[2:3], v[18:19]
	s_delay_alu instid0(VALU_DEP_1) | instskip(NEXT) | instid1(VALU_DEP_1)
	v_add_f64_e32 v[2:3], v[8:9], v[2:3]
	v_add_f64_e32 v[8:9], v[24:25], v[2:3]
	s_delay_alu instid0(VALU_DEP_1) | instskip(SKIP_1) | instid1(VALU_DEP_2)
	v_mul_f64_e32 v[16:17], v[14:15], v[8:9]
	v_add_f64_e64 v[22:23], v[24:25], -v[8:9]
	v_mul_f64_e32 v[18:19], v[10:11], v[16:17]
	s_delay_alu instid0(VALU_DEP_2) | instskip(NEXT) | instid1(VALU_DEP_2)
	v_add_f64_e32 v[2:3], v[2:3], v[22:23]
	v_fma_f64 v[10:11], v[16:17], v[10:11], -v[18:19]
	s_delay_alu instid0(VALU_DEP_1) | instskip(NEXT) | instid1(VALU_DEP_1)
	v_fmac_f64_e32 v[10:11], v[16:17], v[6:7]
	v_add_f64_e32 v[6:7], v[18:19], v[10:11]
	s_delay_alu instid0(VALU_DEP_1) | instskip(SKIP_1) | instid1(VALU_DEP_2)
	v_add_f64_e64 v[20:21], v[8:9], -v[6:7]
	v_add_f64_e64 v[18:19], v[6:7], -v[18:19]
	v_add_f64_e64 v[8:9], v[8:9], -v[20:21]
	s_delay_alu instid0(VALU_DEP_1) | instskip(NEXT) | instid1(VALU_DEP_3)
	v_add_f64_e64 v[6:7], v[8:9], -v[6:7]
	v_add_f64_e64 v[8:9], v[18:19], -v[10:11]
	s_delay_alu instid0(VALU_DEP_2) | instskip(SKIP_1) | instid1(VALU_DEP_2)
	v_add_f64_e32 v[2:3], v[2:3], v[6:7]
	v_add_f64_e32 v[6:7], v[4:5], v[16:17]
	;; [unrolled: 1-line block ×3, first 2 shown]
	s_delay_alu instid0(VALU_DEP_2) | instskip(NEXT) | instid1(VALU_DEP_2)
	v_add_f64_e64 v[4:5], v[6:7], -v[4:5]
	v_add_f64_e32 v[2:3], v[20:21], v[2:3]
	s_delay_alu instid0(VALU_DEP_2) | instskip(NEXT) | instid1(VALU_DEP_2)
	v_add_f64_e64 v[4:5], v[16:17], -v[4:5]
	v_mul_f64_e32 v[2:3], v[14:15], v[2:3]
	s_delay_alu instid0(VALU_DEP_1) | instskip(NEXT) | instid1(VALU_DEP_1)
	v_add_f64_e32 v[2:3], v[4:5], v[2:3]
	v_add_f64_e32 v[4:5], v[6:7], v[2:3]
	s_delay_alu instid0(VALU_DEP_1) | instskip(NEXT) | instid1(VALU_DEP_1)
	v_mul_f64_e32 v[8:9], v[4:5], v[4:5]
	v_fmaak_f64 v[10:11], s[0:1], v[8:9], 0x3fc385386b47b09a
	v_mul_f64_e32 v[14:15], v[4:5], v[8:9]
	s_mov_b64 s[0:1], 0x3fe62e42fefa39ef
	s_delay_alu instid0(VALU_DEP_2) | instskip(NEXT) | instid1(VALU_DEP_1)
	v_fmaak_f64 v[10:11], v[8:9], v[10:11], 0x3fc7474dd7f4df2e
	v_fmaak_f64 v[10:11], v[8:9], v[10:11], 0x3fcc71c016291751
	s_delay_alu instid0(VALU_DEP_1) | instskip(NEXT) | instid1(VALU_DEP_1)
	v_fmaak_f64 v[10:11], v[8:9], v[10:11], 0x3fd249249b27acf1
	v_fmaak_f64 v[10:11], v[8:9], v[10:11], 0x3fd99999998ef7b6
	s_delay_alu instid0(VALU_DEP_1) | instskip(SKIP_2) | instid1(VALU_DEP_3)
	v_fmaak_f64 v[8:9], v[8:9], v[10:11], 0x3fe5555555555780
	v_ldexp_f64 v[10:11], v[4:5], 1
	v_add_f64_e64 v[4:5], v[4:5], -v[6:7]
	v_mul_f64_e32 v[8:9], v[14:15], v[8:9]
	v_cvt_f64_i32_e32 v[14:15], v13
	s_delay_alu instid0(VALU_DEP_3) | instskip(NEXT) | instid1(VALU_DEP_3)
	v_add_f64_e64 v[2:3], v[2:3], -v[4:5]
	v_add_f64_e32 v[6:7], v[10:11], v[8:9]
	s_delay_alu instid0(VALU_DEP_2) | instskip(NEXT) | instid1(VALU_DEP_2)
	v_ldexp_f64 v[2:3], v[2:3], 1
	v_add_f64_e64 v[4:5], v[6:7], -v[10:11]
	v_mul_f64_e32 v[10:11], 0x3fe62e42fefa39ef, v[14:15]
	s_delay_alu instid0(VALU_DEP_2) | instskip(NEXT) | instid1(VALU_DEP_2)
	v_add_f64_e64 v[4:5], v[8:9], -v[4:5]
	v_fma_f64 v[8:9], v[14:15], s[0:1], -v[10:11]
	v_cmp_neq_f64_e64 s0, 0x7ff00000, v[0:1]
	v_cmp_ngt_f64_e64 s1, -1.0, v[0:1]
	s_delay_alu instid0(VALU_DEP_4) | instskip(NEXT) | instid1(VALU_DEP_4)
	v_add_f64_e32 v[2:3], v[2:3], v[4:5]
	v_fmamk_f64 v[4:5], v[14:15], 0x3c7abc9e3b39803f, v[8:9]
	s_and_b32 vcc_lo, vcc_lo, s0
	s_delay_alu instid0(VALU_DEP_1) | instskip(NEXT) | instid1(VALU_DEP_3)
	v_add_f64_e32 v[8:9], v[10:11], v[4:5]
	v_add_f64_e32 v[14:15], v[6:7], v[2:3]
	s_delay_alu instid0(VALU_DEP_2) | instskip(NEXT) | instid1(VALU_DEP_2)
	v_add_f64_e64 v[10:11], v[8:9], -v[10:11]
	v_add_f64_e32 v[16:17], v[8:9], v[14:15]
	v_add_f64_e64 v[6:7], v[14:15], -v[6:7]
	s_delay_alu instid0(VALU_DEP_3) | instskip(NEXT) | instid1(VALU_DEP_3)
	v_add_f64_e64 v[4:5], v[4:5], -v[10:11]
	v_add_f64_e64 v[18:19], v[16:17], -v[8:9]
	s_delay_alu instid0(VALU_DEP_3) | instskip(NEXT) | instid1(VALU_DEP_2)
	v_add_f64_e64 v[2:3], v[2:3], -v[6:7]
	v_add_f64_e64 v[20:21], v[16:17], -v[18:19]
	;; [unrolled: 1-line block ×3, first 2 shown]
	s_delay_alu instid0(VALU_DEP_3) | instskip(NEXT) | instid1(VALU_DEP_3)
	v_add_f64_e32 v[10:11], v[4:5], v[2:3]
	v_add_f64_e64 v[8:9], v[8:9], -v[20:21]
	s_delay_alu instid0(VALU_DEP_1) | instskip(NEXT) | instid1(VALU_DEP_3)
	v_add_f64_e32 v[6:7], v[6:7], v[8:9]
	v_add_f64_e64 v[8:9], v[10:11], -v[4:5]
	s_delay_alu instid0(VALU_DEP_2) | instskip(NEXT) | instid1(VALU_DEP_2)
	v_add_f64_e32 v[6:7], v[10:11], v[6:7]
	v_add_f64_e64 v[10:11], v[10:11], -v[8:9]
	v_add_f64_e64 v[2:3], v[2:3], -v[8:9]
	s_delay_alu instid0(VALU_DEP_3) | instskip(NEXT) | instid1(VALU_DEP_3)
	v_add_f64_e32 v[14:15], v[16:17], v[6:7]
	v_add_f64_e64 v[4:5], v[4:5], -v[10:11]
	s_delay_alu instid0(VALU_DEP_2) | instskip(NEXT) | instid1(VALU_DEP_2)
	v_add_f64_e64 v[8:9], v[14:15], -v[16:17]
	v_add_f64_e32 v[2:3], v[2:3], v[4:5]
	s_delay_alu instid0(VALU_DEP_2) | instskip(NEXT) | instid1(VALU_DEP_1)
	v_add_f64_e64 v[4:5], v[6:7], -v[8:9]
	v_add_f64_e32 v[2:3], v[2:3], v[4:5]
	s_delay_alu instid0(VALU_DEP_1) | instskip(NEXT) | instid1(VALU_DEP_1)
	v_add_f64_e32 v[2:3], v[14:15], v[2:3]
	v_cndmask_b32_e32 v2, 0, v2, vcc_lo
	v_cmp_neq_f64_e32 vcc_lo, -1.0, v[0:1]
	s_delay_alu instid0(VALU_DEP_3) | instskip(NEXT) | instid1(VALU_DEP_1)
	v_cndmask_b32_e64 v3, 0x7ff00000, v3, s0
	v_cndmask_b32_e64 v3, 0x7ff80000, v3, s1
	s_delay_alu instid0(VALU_DEP_1) | instskip(NEXT) | instid1(VALU_DEP_1)
	v_cndmask_b32_e32 v3, 0xfff00000, v3, vcc_lo
	v_div_scale_f64 v[0:1], null, s[8:9], s[8:9], v[2:3]
	s_delay_alu instid0(VALU_DEP_1) | instskip(SKIP_1) | instid1(TRANS32_DEP_1)
	v_rcp_f64_e32 v[4:5], v[0:1]
	v_nop
	v_fma_f64 v[6:7], -v[0:1], v[4:5], 1.0
	s_delay_alu instid0(VALU_DEP_1) | instskip(NEXT) | instid1(VALU_DEP_1)
	v_fmac_f64_e32 v[4:5], v[4:5], v[6:7]
	v_fma_f64 v[6:7], -v[0:1], v[4:5], 1.0
	s_delay_alu instid0(VALU_DEP_1) | instskip(SKIP_1) | instid1(VALU_DEP_1)
	v_fmac_f64_e32 v[4:5], v[4:5], v[6:7]
	v_div_scale_f64 v[6:7], vcc_lo, v[2:3], s[8:9], v[2:3]
	v_mul_f64_e32 v[8:9], v[6:7], v[4:5]
	s_delay_alu instid0(VALU_DEP_1) | instskip(NEXT) | instid1(VALU_DEP_1)
	v_fma_f64 v[0:1], -v[0:1], v[8:9], v[6:7]
	v_div_fmas_f64 v[0:1], v[0:1], v[4:5], v[8:9]
	s_delay_alu instid0(VALU_DEP_1)
	v_div_fixup_f64 v[0:1], v[0:1], s[8:9], v[2:3]
.LBB6_656:
	s_or_b32 exec_lo, exec_lo, s25
	v_mul_lo_u32 v2, v12, s2
	s_and_b32 s1, s12, 0xff
	s_delay_alu instid0(SALU_CYCLE_1) | instskip(NEXT) | instid1(VALU_DEP_1)
	s_cmp_lt_i32 s1, 11
	v_ashrrev_i32_e32 v3, 31, v2
	s_delay_alu instid0(VALU_DEP_1)
	v_add_nc_u64_e32 v[4:5], s[4:5], v[2:3]
	s_cbranch_scc1 .LBB6_664
; %bb.657:
	s_and_b32 s25, 0xffff, s1
	s_delay_alu instid0(SALU_CYCLE_1)
	s_cmp_gt_i32 s25, 25
	s_cbranch_scc0 .LBB6_665
; %bb.658:
	s_cmp_gt_i32 s25, 28
	s_cbranch_scc0 .LBB6_666
; %bb.659:
	;; [unrolled: 3-line block ×4, first 2 shown]
	s_mov_b32 s27, 0
	s_mov_b32 s0, -1
	s_cmp_eq_u32 s25, 46
	s_mov_b32 s26, 0
	s_cbranch_scc0 .LBB6_669
; %bb.662:
	s_delay_alu instid0(VALU_DEP_4) | instskip(SKIP_2) | instid1(VALU_DEP_1)
	v_cvt_f32_f64_e32 v2, v[0:1]
	s_mov_b32 s26, -1
	s_mov_b32 s0, 0
	v_bfe_u32 v3, v2, 16, 1
	v_cmp_o_f32_e32 vcc_lo, v2, v2
	s_delay_alu instid0(VALU_DEP_2) | instskip(NEXT) | instid1(VALU_DEP_1)
	v_add3_u32 v3, v2, v3, 0x7fff
	v_lshrrev_b32_e32 v3, 16, v3
	s_delay_alu instid0(VALU_DEP_1)
	v_cndmask_b32_e32 v2, 0x7fc0, v3, vcc_lo
	global_store_b32 v[4:5], v2, off
	s_branch .LBB6_669
.LBB6_663:
	s_mov_b32 s25, 0
	s_mov_b32 s0, s21
	s_branch .LBB6_780
.LBB6_664:
	s_mov_b32 s25, -1
	s_mov_b32 s26, 0
	s_mov_b32 s0, s21
	s_branch .LBB6_738
.LBB6_665:
	s_mov_b32 s27, -1
	s_mov_b32 s26, 0
	s_mov_b32 s0, s21
	s_branch .LBB6_696
.LBB6_666:
	s_mov_b32 s27, -1
	s_mov_b32 s26, 0
	s_mov_b32 s0, s21
	s_branch .LBB6_679
.LBB6_667:
	s_mov_b32 s27, -1
	s_mov_b32 s26, 0
	s_mov_b32 s0, s21
	s_branch .LBB6_675
.LBB6_668:
	s_mov_b32 s27, -1
	s_mov_b32 s26, 0
	s_mov_b32 s0, s21
.LBB6_669:
	s_and_b32 vcc_lo, exec_lo, s27
	s_cbranch_vccz .LBB6_674
; %bb.670:
	s_cmp_eq_u32 s25, 44
	s_mov_b32 s0, -1
	s_cbranch_scc0 .LBB6_674
; %bb.671:
	s_wait_xcnt 0x0
	s_delay_alu instid0(VALU_DEP_4) | instskip(SKIP_2) | instid1(VALU_DEP_2)
	v_cvt_f32_f64_e32 v2, v[0:1]
	v_mov_b32_e32 v3, 0xff
	s_mov_b32 s26, exec_lo
	v_bfe_u32 v6, v2, 23, 8
	s_delay_alu instid0(VALU_DEP_1)
	v_cmpx_ne_u32_e32 0xff, v6
	s_cbranch_execz .LBB6_673
; %bb.672:
	v_and_b32_e32 v3, 0x400000, v2
	v_and_or_b32 v6, 0x3fffff, v2, v6
	v_lshrrev_b32_e32 v2, 23, v2
	s_delay_alu instid0(VALU_DEP_3) | instskip(NEXT) | instid1(VALU_DEP_3)
	v_cmp_ne_u32_e32 vcc_lo, 0, v3
	v_cmp_ne_u32_e64 s0, 0, v6
	s_and_b32 s0, vcc_lo, s0
	s_delay_alu instid0(SALU_CYCLE_1) | instskip(NEXT) | instid1(VALU_DEP_1)
	v_cndmask_b32_e64 v3, 0, 1, s0
	v_add_nc_u32_e32 v3, v2, v3
.LBB6_673:
	s_or_b32 exec_lo, exec_lo, s26
	s_mov_b32 s26, -1
	s_mov_b32 s0, 0
	global_store_b8 v[4:5], v3, off
.LBB6_674:
	s_mov_b32 s27, 0
.LBB6_675:
	s_delay_alu instid0(SALU_CYCLE_1)
	s_and_b32 vcc_lo, exec_lo, s27
	s_cbranch_vccz .LBB6_678
; %bb.676:
	s_cmp_eq_u32 s25, 29
	s_mov_b32 s0, -1
	s_cbranch_scc0 .LBB6_678
; %bb.677:
	s_wait_xcnt 0x0
	s_delay_alu instid0(VALU_DEP_4) | instskip(SKIP_3) | instid1(VALU_DEP_1)
	v_trunc_f64_e32 v[2:3], v[0:1]
	s_mov_b32 s26, -1
	s_mov_b32 s0, 0
	s_mov_b32 s27, 0
	v_ldexp_f64 v[6:7], v[2:3], 0xffffffe0
	s_delay_alu instid0(VALU_DEP_1) | instskip(NEXT) | instid1(VALU_DEP_1)
	v_floor_f64_e32 v[6:7], v[6:7]
	v_fmamk_f64 v[2:3], v[6:7], 0xc1f00000, v[2:3]
	v_cvt_u32_f64_e32 v7, v[6:7]
	s_delay_alu instid0(VALU_DEP_2)
	v_cvt_u32_f64_e32 v6, v[2:3]
	global_store_b64 v[4:5], v[6:7], off
	s_branch .LBB6_679
.LBB6_678:
	s_mov_b32 s27, 0
.LBB6_679:
	s_delay_alu instid0(SALU_CYCLE_1)
	s_and_b32 vcc_lo, exec_lo, s27
	s_cbranch_vccz .LBB6_695
; %bb.680:
	s_cmp_lt_i32 s25, 27
	s_mov_b32 s26, -1
	s_cbranch_scc1 .LBB6_686
; %bb.681:
	s_wait_xcnt 0x0
	s_delay_alu instid0(VALU_DEP_4)
	v_cvt_u32_f64_e32 v2, v[0:1]
	s_cmp_gt_i32 s25, 27
	s_cbranch_scc0 .LBB6_683
; %bb.682:
	s_mov_b32 s26, 0
	global_store_b32 v[4:5], v2, off
.LBB6_683:
	s_and_not1_b32 vcc_lo, exec_lo, s26
	s_cbranch_vccnz .LBB6_685
; %bb.684:
	global_store_b16 v[4:5], v2, off
.LBB6_685:
	s_mov_b32 s26, 0
.LBB6_686:
	s_delay_alu instid0(SALU_CYCLE_1)
	s_and_not1_b32 vcc_lo, exec_lo, s26
	s_cbranch_vccnz .LBB6_694
; %bb.687:
	s_wait_xcnt 0x0
	s_delay_alu instid0(VALU_DEP_4) | instskip(SKIP_2) | instid1(VALU_DEP_2)
	v_cvt_f32_f64_e32 v2, v[0:1]
	v_mov_b32_e32 v6, 0x80
	s_mov_b32 s26, exec_lo
	v_and_b32_e32 v3, 0x7fffffff, v2
	s_delay_alu instid0(VALU_DEP_1)
	v_cmpx_gt_u32_e32 0x43800000, v3
	s_cbranch_execz .LBB6_693
; %bb.688:
	v_cmp_lt_u32_e32 vcc_lo, 0x3bffffff, v3
	s_mov_b32 s27, 0
                                        ; implicit-def: $vgpr3
	s_and_saveexec_b32 s28, vcc_lo
	s_delay_alu instid0(SALU_CYCLE_1)
	s_xor_b32 s28, exec_lo, s28
	s_cbranch_execz .LBB6_795
; %bb.689:
	v_bfe_u32 v3, v2, 20, 1
	s_mov_b32 s27, exec_lo
	s_delay_alu instid0(VALU_DEP_1) | instskip(NEXT) | instid1(VALU_DEP_1)
	v_add3_u32 v3, v2, v3, 0x487ffff
	v_lshrrev_b32_e32 v3, 20, v3
	s_and_not1_saveexec_b32 s28, s28
	s_cbranch_execnz .LBB6_796
.LBB6_690:
	s_or_b32 exec_lo, exec_lo, s28
	v_mov_b32_e32 v6, 0
	s_and_saveexec_b32 s28, s27
.LBB6_691:
	v_lshrrev_b32_e32 v2, 24, v2
	s_delay_alu instid0(VALU_DEP_1)
	v_and_or_b32 v6, 0x80, v2, v3
.LBB6_692:
	s_or_b32 exec_lo, exec_lo, s28
.LBB6_693:
	s_delay_alu instid0(SALU_CYCLE_1)
	s_or_b32 exec_lo, exec_lo, s26
	global_store_b8 v[4:5], v6, off
.LBB6_694:
	s_mov_b32 s26, -1
.LBB6_695:
	s_mov_b32 s27, 0
.LBB6_696:
	s_delay_alu instid0(SALU_CYCLE_1)
	s_and_b32 vcc_lo, exec_lo, s27
	s_cbranch_vccz .LBB6_737
; %bb.697:
	s_cmp_gt_i32 s25, 22
	s_mov_b32 s27, -1
	s_cbranch_scc0 .LBB6_729
; %bb.698:
	s_cmp_lt_i32 s25, 24
	s_mov_b32 s26, -1
	s_cbranch_scc1 .LBB6_718
; %bb.699:
	s_cmp_gt_i32 s25, 24
	s_cbranch_scc0 .LBB6_707
; %bb.700:
	s_wait_xcnt 0x0
	s_delay_alu instid0(VALU_DEP_4) | instskip(SKIP_2) | instid1(VALU_DEP_2)
	v_cvt_f32_f64_e32 v2, v[0:1]
	v_mov_b32_e32 v6, 0x80
	s_mov_b32 s26, exec_lo
	v_and_b32_e32 v3, 0x7fffffff, v2
	s_delay_alu instid0(VALU_DEP_1)
	v_cmpx_gt_u32_e32 0x47800000, v3
	s_cbranch_execz .LBB6_706
; %bb.701:
	v_cmp_lt_u32_e32 vcc_lo, 0x37ffffff, v3
	s_mov_b32 s27, 0
                                        ; implicit-def: $vgpr3
	s_and_saveexec_b32 s28, vcc_lo
	s_delay_alu instid0(SALU_CYCLE_1)
	s_xor_b32 s28, exec_lo, s28
	s_cbranch_execz .LBB6_798
; %bb.702:
	v_bfe_u32 v3, v2, 21, 1
	s_mov_b32 s27, exec_lo
	s_delay_alu instid0(VALU_DEP_1) | instskip(NEXT) | instid1(VALU_DEP_1)
	v_add3_u32 v3, v2, v3, 0x88fffff
	v_lshrrev_b32_e32 v3, 21, v3
	s_and_not1_saveexec_b32 s28, s28
	s_cbranch_execnz .LBB6_799
.LBB6_703:
	s_or_b32 exec_lo, exec_lo, s28
	v_mov_b32_e32 v6, 0
	s_and_saveexec_b32 s28, s27
.LBB6_704:
	v_lshrrev_b32_e32 v2, 24, v2
	s_delay_alu instid0(VALU_DEP_1)
	v_and_or_b32 v6, 0x80, v2, v3
.LBB6_705:
	s_or_b32 exec_lo, exec_lo, s28
.LBB6_706:
	s_delay_alu instid0(SALU_CYCLE_1)
	s_or_b32 exec_lo, exec_lo, s26
	s_mov_b32 s26, 0
	global_store_b8 v[4:5], v6, off
.LBB6_707:
	s_and_b32 vcc_lo, exec_lo, s26
	s_cbranch_vccz .LBB6_717
; %bb.708:
	s_wait_xcnt 0x0
	s_delay_alu instid0(VALU_DEP_4) | instskip(SKIP_1) | instid1(VALU_DEP_1)
	v_cvt_f32_f64_e32 v2, v[0:1]
	s_mov_b32 s26, exec_lo
                                        ; implicit-def: $vgpr3
	v_and_b32_e32 v6, 0x7fffffff, v2
	s_delay_alu instid0(VALU_DEP_1)
	v_cmpx_gt_u32_e32 0x43f00000, v6
	s_xor_b32 s26, exec_lo, s26
	s_cbranch_execz .LBB6_714
; %bb.709:
	s_mov_b32 s27, exec_lo
                                        ; implicit-def: $vgpr3
	v_cmpx_lt_u32_e32 0x3c7fffff, v6
	s_xor_b32 s27, exec_lo, s27
; %bb.710:
	v_bfe_u32 v3, v2, 20, 1
	s_delay_alu instid0(VALU_DEP_1) | instskip(NEXT) | instid1(VALU_DEP_1)
	v_add3_u32 v3, v2, v3, 0x407ffff
	v_and_b32_e32 v6, 0xff00000, v3
	v_lshrrev_b32_e32 v3, 20, v3
	s_delay_alu instid0(VALU_DEP_2) | instskip(NEXT) | instid1(VALU_DEP_2)
	v_cmp_ne_u32_e32 vcc_lo, 0x7f00000, v6
	v_cndmask_b32_e32 v3, 0x7e, v3, vcc_lo
; %bb.711:
	s_and_not1_saveexec_b32 s27, s27
; %bb.712:
	v_add_f32_e64 v3, 0x46800000, |v2|
; %bb.713:
	s_or_b32 exec_lo, exec_lo, s27
                                        ; implicit-def: $vgpr6
.LBB6_714:
	s_and_not1_saveexec_b32 s26, s26
; %bb.715:
	v_mov_b32_e32 v3, 0x7f
	v_cmp_lt_u32_e32 vcc_lo, 0x7f800000, v6
	s_delay_alu instid0(VALU_DEP_2)
	v_cndmask_b32_e32 v3, 0x7e, v3, vcc_lo
; %bb.716:
	s_or_b32 exec_lo, exec_lo, s26
	v_lshrrev_b32_e32 v2, 24, v2
	s_delay_alu instid0(VALU_DEP_1)
	v_and_or_b32 v2, 0x80, v2, v3
	global_store_b8 v[4:5], v2, off
.LBB6_717:
	s_mov_b32 s26, 0
.LBB6_718:
	s_delay_alu instid0(SALU_CYCLE_1)
	s_and_not1_b32 vcc_lo, exec_lo, s26
	s_cbranch_vccnz .LBB6_728
; %bb.719:
	s_wait_xcnt 0x0
	s_delay_alu instid0(VALU_DEP_4) | instskip(SKIP_1) | instid1(VALU_DEP_1)
	v_cvt_f32_f64_e32 v2, v[0:1]
	s_mov_b32 s26, exec_lo
                                        ; implicit-def: $vgpr3
	v_and_b32_e32 v6, 0x7fffffff, v2
	s_delay_alu instid0(VALU_DEP_1)
	v_cmpx_gt_u32_e32 0x47800000, v6
	s_xor_b32 s26, exec_lo, s26
	s_cbranch_execz .LBB6_725
; %bb.720:
	s_mov_b32 s27, exec_lo
                                        ; implicit-def: $vgpr3
	v_cmpx_lt_u32_e32 0x387fffff, v6
	s_xor_b32 s27, exec_lo, s27
; %bb.721:
	v_bfe_u32 v3, v2, 21, 1
	s_delay_alu instid0(VALU_DEP_1) | instskip(NEXT) | instid1(VALU_DEP_1)
	v_add3_u32 v3, v2, v3, 0x80fffff
	v_lshrrev_b32_e32 v3, 21, v3
; %bb.722:
	s_and_not1_saveexec_b32 s27, s27
; %bb.723:
	v_add_f32_e64 v3, 0x43000000, |v2|
; %bb.724:
	s_or_b32 exec_lo, exec_lo, s27
                                        ; implicit-def: $vgpr6
.LBB6_725:
	s_and_not1_saveexec_b32 s26, s26
; %bb.726:
	v_mov_b32_e32 v3, 0x7f
	v_cmp_lt_u32_e32 vcc_lo, 0x7f800000, v6
	s_delay_alu instid0(VALU_DEP_2)
	v_cndmask_b32_e32 v3, 0x7c, v3, vcc_lo
; %bb.727:
	s_or_b32 exec_lo, exec_lo, s26
	v_lshrrev_b32_e32 v2, 24, v2
	s_delay_alu instid0(VALU_DEP_1)
	v_and_or_b32 v2, 0x80, v2, v3
	global_store_b8 v[4:5], v2, off
.LBB6_728:
	s_mov_b32 s27, 0
	s_mov_b32 s26, -1
.LBB6_729:
	s_and_not1_b32 vcc_lo, exec_lo, s27
	s_cbranch_vccnz .LBB6_737
; %bb.730:
	s_cmp_gt_i32 s25, 14
	s_mov_b32 s27, -1
	s_cbranch_scc0 .LBB6_734
; %bb.731:
	s_cmp_eq_u32 s25, 15
	s_mov_b32 s0, -1
	s_cbranch_scc0 .LBB6_733
; %bb.732:
	s_wait_xcnt 0x0
	s_delay_alu instid0(VALU_DEP_4) | instskip(SKIP_2) | instid1(VALU_DEP_1)
	v_cvt_f32_f64_e32 v2, v[0:1]
	s_mov_b32 s26, -1
	s_mov_b32 s0, 0
	v_bfe_u32 v3, v2, 16, 1
	v_cmp_o_f32_e32 vcc_lo, v2, v2
	s_delay_alu instid0(VALU_DEP_2) | instskip(NEXT) | instid1(VALU_DEP_1)
	v_add3_u32 v3, v2, v3, 0x7fff
	v_lshrrev_b32_e32 v3, 16, v3
	s_delay_alu instid0(VALU_DEP_1)
	v_cndmask_b32_e32 v2, 0x7fc0, v3, vcc_lo
	global_store_b16 v[4:5], v2, off
.LBB6_733:
	s_mov_b32 s27, 0
.LBB6_734:
	s_delay_alu instid0(SALU_CYCLE_1)
	s_and_b32 vcc_lo, exec_lo, s27
	s_cbranch_vccz .LBB6_737
; %bb.735:
	s_cmp_eq_u32 s25, 11
	s_mov_b32 s0, -1
	s_cbranch_scc0 .LBB6_737
; %bb.736:
	s_delay_alu instid0(VALU_DEP_4)
	v_cmp_neq_f64_e32 vcc_lo, 0, v[0:1]
	s_mov_b32 s26, -1
	s_mov_b32 s0, 0
	s_wait_xcnt 0x0
	v_cndmask_b32_e64 v2, 0, 1, vcc_lo
	global_store_b8 v[4:5], v2, off
.LBB6_737:
	s_mov_b32 s25, 0
.LBB6_738:
	s_delay_alu instid0(SALU_CYCLE_1)
	s_and_b32 vcc_lo, exec_lo, s25
	s_cbranch_vccz .LBB6_777
; %bb.739:
	s_and_b32 s1, 0xffff, s1
	s_mov_b32 s25, -1
	s_cmp_lt_i32 s1, 5
	s_cbranch_scc1 .LBB6_760
; %bb.740:
	s_cmp_lt_i32 s1, 8
	s_cbranch_scc1 .LBB6_750
; %bb.741:
	;; [unrolled: 3-line block ×3, first 2 shown]
	s_cmp_gt_i32 s1, 9
	s_cbranch_scc0 .LBB6_744
; %bb.743:
	s_wait_xcnt 0x0
	v_mov_b32_e32 v2, 0
	s_mov_b32 s25, 0
	s_delay_alu instid0(VALU_DEP_1)
	v_mov_b32_e32 v3, v2
	global_store_b128 v[4:5], v[0:3], off
.LBB6_744:
	s_and_not1_b32 vcc_lo, exec_lo, s25
	s_cbranch_vccnz .LBB6_746
; %bb.745:
	s_wait_xcnt 0x0
	s_delay_alu instid0(VALU_DEP_4)
	v_cvt_f32_f64_e32 v2, v[0:1]
	v_mov_b32_e32 v3, 0
	global_store_b64 v[4:5], v[2:3], off
.LBB6_746:
	s_mov_b32 s25, 0
.LBB6_747:
	s_delay_alu instid0(SALU_CYCLE_1)
	s_and_not1_b32 vcc_lo, exec_lo, s25
	s_cbranch_vccnz .LBB6_749
; %bb.748:
	s_wait_xcnt 0x0
	s_delay_alu instid0(VALU_DEP_4) | instskip(SKIP_2) | instid1(VALU_DEP_3)
	v_and_or_b32 v2, 0x1ff, v1, v0
	v_lshrrev_b32_e32 v3, 8, v1
	v_bfe_u32 v6, v1, 20, 11
	v_cmp_ne_u32_e32 vcc_lo, 0, v2
	s_delay_alu instid0(VALU_DEP_2) | instskip(SKIP_1) | instid1(VALU_DEP_1)
	v_sub_nc_u32_e32 v7, 0x3f1, v6
	v_cndmask_b32_e64 v2, 0, 1, vcc_lo
	v_and_or_b32 v2, 0xffe, v3, v2
	s_delay_alu instid0(VALU_DEP_3) | instskip(NEXT) | instid1(VALU_DEP_2)
	v_med3_i32 v3, v7, 0, 13
	v_or_b32_e32 v7, 0x1000, v2
	s_delay_alu instid0(VALU_DEP_1) | instskip(NEXT) | instid1(VALU_DEP_1)
	v_lshrrev_b32_e32 v8, v3, v7
	v_lshlrev_b32_e32 v3, v3, v8
	s_delay_alu instid0(VALU_DEP_1) | instskip(SKIP_1) | instid1(VALU_DEP_1)
	v_cmp_ne_u32_e32 vcc_lo, v3, v7
	v_cndmask_b32_e64 v3, 0, 1, vcc_lo
	v_or_b32_e32 v3, v8, v3
	v_add_nc_u32_e32 v6, 0xfffffc10, v6
	s_delay_alu instid0(VALU_DEP_1) | instskip(SKIP_1) | instid1(VALU_DEP_2)
	v_lshl_or_b32 v7, v6, 12, v2
	v_cmp_gt_i32_e32 vcc_lo, 1, v6
	v_cndmask_b32_e32 v3, v7, v3, vcc_lo
	s_delay_alu instid0(VALU_DEP_1) | instskip(NEXT) | instid1(VALU_DEP_1)
	v_dual_lshrrev_b32 v3, 2, v3 :: v_dual_bitop2_b32 v7, 7, v3 bitop3:0x40
	v_cmp_lt_i32_e32 vcc_lo, 5, v7
	v_cndmask_b32_e64 v8, 0, 1, vcc_lo
	v_cmp_eq_u32_e32 vcc_lo, 3, v7
	v_cndmask_b32_e64 v7, 0, 1, vcc_lo
	v_cmp_ne_u32_e32 vcc_lo, 0, v2
	s_delay_alu instid0(VALU_DEP_2) | instskip(NEXT) | instid1(VALU_DEP_1)
	v_or_b32_e32 v7, v7, v8
	v_dual_mov_b32 v8, 0x7e00 :: v_dual_add_nc_u32 v3, v3, v7
	s_delay_alu instid0(VALU_DEP_1) | instskip(SKIP_2) | instid1(VALU_DEP_4)
	v_cndmask_b32_e32 v2, 0x7c00, v8, vcc_lo
	v_cmp_gt_i32_e32 vcc_lo, 31, v6
	v_lshrrev_b32_e32 v7, 16, v1
	v_cndmask_b32_e32 v3, 0x7c00, v3, vcc_lo
	v_cmp_eq_u32_e32 vcc_lo, 0x40f, v6
	s_delay_alu instid0(VALU_DEP_2) | instskip(NEXT) | instid1(VALU_DEP_4)
	v_cndmask_b32_e32 v2, v3, v2, vcc_lo
	v_and_b32_e32 v3, 0x8000, v7
	s_delay_alu instid0(VALU_DEP_1)
	v_bitop3_b32 v2, v3, 0xffff, v2 bitop3:0xc8
	global_store_b32 v[4:5], v2, off
.LBB6_749:
	s_mov_b32 s25, 0
.LBB6_750:
	s_delay_alu instid0(SALU_CYCLE_1)
	s_and_not1_b32 vcc_lo, exec_lo, s25
	s_cbranch_vccnz .LBB6_759
; %bb.751:
	s_cmp_lt_i32 s1, 6
	s_mov_b32 s25, -1
	s_cbranch_scc1 .LBB6_757
; %bb.752:
	s_cmp_gt_i32 s1, 6
	s_cbranch_scc0 .LBB6_754
; %bb.753:
	s_mov_b32 s25, 0
	global_store_b64 v[4:5], v[0:1], off
.LBB6_754:
	s_and_not1_b32 vcc_lo, exec_lo, s25
	s_cbranch_vccnz .LBB6_756
; %bb.755:
	s_wait_xcnt 0x0
	s_delay_alu instid0(VALU_DEP_4)
	v_cvt_f32_f64_e32 v2, v[0:1]
	global_store_b32 v[4:5], v2, off
.LBB6_756:
	s_mov_b32 s25, 0
.LBB6_757:
	s_delay_alu instid0(SALU_CYCLE_1)
	s_and_not1_b32 vcc_lo, exec_lo, s25
	s_cbranch_vccnz .LBB6_759
; %bb.758:
	s_wait_xcnt 0x0
	s_delay_alu instid0(VALU_DEP_4) | instskip(SKIP_2) | instid1(VALU_DEP_3)
	v_and_or_b32 v2, 0x1ff, v1, v0
	v_lshrrev_b32_e32 v3, 8, v1
	v_bfe_u32 v6, v1, 20, 11
	v_cmp_ne_u32_e32 vcc_lo, 0, v2
	s_delay_alu instid0(VALU_DEP_2) | instskip(SKIP_1) | instid1(VALU_DEP_1)
	v_sub_nc_u32_e32 v7, 0x3f1, v6
	v_cndmask_b32_e64 v2, 0, 1, vcc_lo
	v_and_or_b32 v2, 0xffe, v3, v2
	s_delay_alu instid0(VALU_DEP_3) | instskip(NEXT) | instid1(VALU_DEP_2)
	v_med3_i32 v3, v7, 0, 13
	v_or_b32_e32 v7, 0x1000, v2
	s_delay_alu instid0(VALU_DEP_1) | instskip(NEXT) | instid1(VALU_DEP_1)
	v_lshrrev_b32_e32 v8, v3, v7
	v_lshlrev_b32_e32 v3, v3, v8
	s_delay_alu instid0(VALU_DEP_1) | instskip(SKIP_1) | instid1(VALU_DEP_1)
	v_cmp_ne_u32_e32 vcc_lo, v3, v7
	v_cndmask_b32_e64 v3, 0, 1, vcc_lo
	v_or_b32_e32 v3, v8, v3
	v_add_nc_u32_e32 v6, 0xfffffc10, v6
	s_delay_alu instid0(VALU_DEP_1) | instskip(SKIP_1) | instid1(VALU_DEP_2)
	v_lshl_or_b32 v7, v6, 12, v2
	v_cmp_gt_i32_e32 vcc_lo, 1, v6
	v_cndmask_b32_e32 v3, v7, v3, vcc_lo
	s_delay_alu instid0(VALU_DEP_1) | instskip(NEXT) | instid1(VALU_DEP_1)
	v_dual_lshrrev_b32 v3, 2, v3 :: v_dual_bitop2_b32 v7, 7, v3 bitop3:0x40
	v_cmp_lt_i32_e32 vcc_lo, 5, v7
	v_cndmask_b32_e64 v8, 0, 1, vcc_lo
	v_cmp_eq_u32_e32 vcc_lo, 3, v7
	v_cndmask_b32_e64 v7, 0, 1, vcc_lo
	v_cmp_ne_u32_e32 vcc_lo, 0, v2
	s_delay_alu instid0(VALU_DEP_2) | instskip(NEXT) | instid1(VALU_DEP_1)
	v_or_b32_e32 v7, v7, v8
	v_dual_mov_b32 v8, 0x7e00 :: v_dual_add_nc_u32 v3, v3, v7
	s_delay_alu instid0(VALU_DEP_1) | instskip(SKIP_1) | instid1(VALU_DEP_3)
	v_cndmask_b32_e32 v2, 0x7c00, v8, vcc_lo
	v_cmp_gt_i32_e32 vcc_lo, 31, v6
	v_cndmask_b32_e32 v3, 0x7c00, v3, vcc_lo
	v_cmp_eq_u32_e32 vcc_lo, 0x40f, v6
	s_delay_alu instid0(VALU_DEP_2) | instskip(NEXT) | instid1(VALU_DEP_1)
	v_dual_cndmask_b32 v2, v3, v2 :: v_dual_lshrrev_b32 v3, 16, v1
	v_and_or_b32 v2, 0x8000, v3, v2
	global_store_b16 v[4:5], v2, off
.LBB6_759:
	s_mov_b32 s25, 0
.LBB6_760:
	s_delay_alu instid0(SALU_CYCLE_1)
	s_and_not1_b32 vcc_lo, exec_lo, s25
	s_cbranch_vccnz .LBB6_776
; %bb.761:
	s_cmp_lt_i32 s1, 2
	s_mov_b32 s25, -1
	s_cbranch_scc1 .LBB6_771
; %bb.762:
	s_cmp_lt_i32 s1, 3
	s_cbranch_scc1 .LBB6_768
; %bb.763:
	s_cmp_gt_i32 s1, 3
	s_cbranch_scc0 .LBB6_765
; %bb.764:
	s_wait_xcnt 0x0
	s_delay_alu instid0(VALU_DEP_4) | instskip(SKIP_1) | instid1(VALU_DEP_1)
	v_trunc_f64_e32 v[2:3], v[0:1]
	s_mov_b32 s25, 0
	v_ldexp_f64 v[6:7], v[2:3], 0xffffffe0
	s_delay_alu instid0(VALU_DEP_1) | instskip(NEXT) | instid1(VALU_DEP_1)
	v_floor_f64_e32 v[6:7], v[6:7]
	v_fmamk_f64 v[2:3], v[6:7], 0xc1f00000, v[2:3]
	v_cvt_i32_f64_e32 v7, v[6:7]
	s_delay_alu instid0(VALU_DEP_2)
	v_cvt_u32_f64_e32 v6, v[2:3]
	global_store_b64 v[4:5], v[6:7], off
.LBB6_765:
	s_and_not1_b32 vcc_lo, exec_lo, s25
	s_cbranch_vccnz .LBB6_767
; %bb.766:
	s_wait_xcnt 0x0
	s_delay_alu instid0(VALU_DEP_4)
	v_cvt_i32_f64_e32 v2, v[0:1]
	global_store_b32 v[4:5], v2, off
.LBB6_767:
	s_mov_b32 s25, 0
.LBB6_768:
	s_delay_alu instid0(SALU_CYCLE_1)
	s_and_not1_b32 vcc_lo, exec_lo, s25
	s_cbranch_vccnz .LBB6_770
; %bb.769:
	s_wait_xcnt 0x0
	s_delay_alu instid0(VALU_DEP_4)
	v_cvt_i32_f64_e32 v2, v[0:1]
	global_store_b16 v[4:5], v2, off
.LBB6_770:
	s_mov_b32 s25, 0
.LBB6_771:
	s_delay_alu instid0(SALU_CYCLE_1)
	s_and_not1_b32 vcc_lo, exec_lo, s25
	s_cbranch_vccnz .LBB6_776
; %bb.772:
	s_cmp_gt_i32 s1, 0
	s_mov_b32 s1, -1
	s_cbranch_scc0 .LBB6_774
; %bb.773:
	s_wait_xcnt 0x0
	s_delay_alu instid0(VALU_DEP_4)
	v_cvt_i32_f64_e32 v2, v[0:1]
	s_mov_b32 s1, 0
	global_store_b8 v[4:5], v2, off
.LBB6_774:
	s_and_not1_b32 vcc_lo, exec_lo, s1
	s_cbranch_vccnz .LBB6_776
; %bb.775:
	s_wait_xcnt 0x0
	s_delay_alu instid0(VALU_DEP_4) | instskip(NEXT) | instid1(VALU_DEP_1)
	v_trunc_f64_e32 v[0:1], v[0:1]
	v_ldexp_f64 v[2:3], v[0:1], 0xffffffe0
	s_delay_alu instid0(VALU_DEP_1) | instskip(NEXT) | instid1(VALU_DEP_1)
	v_floor_f64_e32 v[2:3], v[2:3]
	v_fmamk_f64 v[0:1], v[2:3], 0xc1f00000, v[0:1]
	s_delay_alu instid0(VALU_DEP_1)
	v_cvt_u32_f64_e32 v0, v[0:1]
	global_store_b8 v[4:5], v0, off
.LBB6_776:
	s_mov_b32 s26, -1
.LBB6_777:
	s_delay_alu instid0(SALU_CYCLE_1)
	s_and_not1_b32 vcc_lo, exec_lo, s26
	s_cbranch_vccnz .LBB6_779
; %bb.778:
	v_add_nc_u32_e32 v12, 0x80, v12
	s_mov_b32 s25, -1
	s_branch .LBB6_781
.LBB6_779:
	s_mov_b32 s25, 0
.LBB6_780:
                                        ; implicit-def: $vgpr12
.LBB6_781:
	s_and_not1_b32 s1, s21, exec_lo
	s_and_b32 s0, s0, exec_lo
	s_and_not1_b32 s26, s20, exec_lo
	s_and_b32 s24, s24, exec_lo
	s_or_b32 s1, s1, s0
	s_or_b32 s0, s26, s24
	s_or_not1_b32 s24, s25, exec_lo
.LBB6_782:
	s_wait_xcnt 0x0
	s_or_b32 exec_lo, exec_lo, s23
	s_mov_b32 s25, 0
	s_mov_b32 s26, 0
	;; [unrolled: 1-line block ×3, first 2 shown]
                                        ; implicit-def: $vgpr2_vgpr3
                                        ; implicit-def: $vgpr0_vgpr1
	s_and_saveexec_b32 s23, s24
	s_cbranch_execz .LBB6_867
; %bb.783:
	v_cmp_gt_i32_e32 vcc_lo, s17, v12
	s_mov_b32 s24, 0
	s_mov_b32 s25, s0
	;; [unrolled: 1-line block ×3, first 2 shown]
                                        ; implicit-def: $vgpr2_vgpr3
                                        ; implicit-def: $vgpr0_vgpr1
	s_and_saveexec_b32 s17, vcc_lo
	s_cbranch_execz .LBB6_866
; %bb.784:
	s_wait_loadcnt 0x0
	v_mul_lo_u32 v0, v12, s3
	s_and_b32 s24, 0xffff, s14
	s_delay_alu instid0(SALU_CYCLE_1) | instskip(NEXT) | instid1(VALU_DEP_1)
	s_cmp_lt_i32 s24, 11
	v_ashrrev_i32_e32 v1, 31, v0
	s_delay_alu instid0(VALU_DEP_1)
	v_add_nc_u64_e32 v[2:3], s[6:7], v[0:1]
	s_cbranch_scc1 .LBB6_791
; %bb.785:
	s_cmp_gt_i32 s24, 25
	s_cbranch_scc0 .LBB6_792
; %bb.786:
	s_cmp_gt_i32 s24, 28
	s_cbranch_scc0 .LBB6_793
; %bb.787:
	s_cmp_gt_i32 s24, 43
	s_cbranch_scc0 .LBB6_794
; %bb.788:
	s_cmp_gt_i32 s24, 45
	s_cbranch_scc0 .LBB6_797
; %bb.789:
	s_cmp_eq_u32 s24, 46
	s_cbranch_scc0 .LBB6_800
; %bb.790:
	global_load_b32 v0, v[2:3], off
	s_mov_b32 s25, 0
	s_mov_b32 s27, -1
	s_wait_loadcnt 0x0
	v_lshlrev_b32_e32 v0, 16, v0
	s_delay_alu instid0(VALU_DEP_1)
	v_cvt_f64_f32_e32 v[0:1], v0
	s_branch .LBB6_802
.LBB6_791:
	s_mov_b32 s24, -1
	s_mov_b32 s25, s0
                                        ; implicit-def: $vgpr0_vgpr1
	s_branch .LBB6_865
.LBB6_792:
	s_mov_b32 s28, -1
	s_mov_b32 s25, s0
                                        ; implicit-def: $vgpr0_vgpr1
	s_branch .LBB6_831
.LBB6_793:
	s_mov_b32 s28, -1
	s_mov_b32 s25, s0
                                        ; implicit-def: $vgpr0_vgpr1
	s_branch .LBB6_812
.LBB6_794:
	s_mov_b32 s28, -1
	s_mov_b32 s25, s0
                                        ; implicit-def: $vgpr0_vgpr1
	s_branch .LBB6_807
.LBB6_795:
	s_and_not1_saveexec_b32 s28, s28
	s_cbranch_execz .LBB6_690
.LBB6_796:
	v_add_f32_e64 v3, 0x46000000, |v2|
	s_and_not1_b32 s27, s27, exec_lo
	s_delay_alu instid0(VALU_DEP_1) | instskip(NEXT) | instid1(VALU_DEP_1)
	v_and_b32_e32 v3, 0xff, v3
	v_cmp_ne_u32_e32 vcc_lo, 0, v3
	s_and_b32 s29, vcc_lo, exec_lo
	s_delay_alu instid0(SALU_CYCLE_1)
	s_or_b32 s27, s27, s29
	s_or_b32 exec_lo, exec_lo, s28
	v_mov_b32_e32 v6, 0
	s_and_saveexec_b32 s28, s27
	s_cbranch_execnz .LBB6_691
	s_branch .LBB6_692
.LBB6_797:
	s_mov_b32 s28, -1
	s_mov_b32 s25, s0
	s_branch .LBB6_801
.LBB6_798:
	s_and_not1_saveexec_b32 s28, s28
	s_cbranch_execz .LBB6_703
.LBB6_799:
	v_add_f32_e64 v3, 0x42800000, |v2|
	s_and_not1_b32 s27, s27, exec_lo
	s_delay_alu instid0(VALU_DEP_1) | instskip(NEXT) | instid1(VALU_DEP_1)
	v_and_b32_e32 v3, 0xff, v3
	v_cmp_ne_u32_e32 vcc_lo, 0, v3
	s_and_b32 s29, vcc_lo, exec_lo
	s_delay_alu instid0(SALU_CYCLE_1)
	s_or_b32 s27, s27, s29
	s_or_b32 exec_lo, exec_lo, s28
	v_mov_b32_e32 v6, 0
	s_and_saveexec_b32 s28, s27
	s_cbranch_execnz .LBB6_704
	s_branch .LBB6_705
.LBB6_800:
	s_mov_b32 s25, -1
.LBB6_801:
                                        ; implicit-def: $vgpr0_vgpr1
.LBB6_802:
	s_and_b32 vcc_lo, exec_lo, s28
	s_cbranch_vccz .LBB6_806
; %bb.803:
	s_cmp_eq_u32 s24, 44
	s_cbranch_scc0 .LBB6_805
; %bb.804:
	global_load_u8 v4, v[2:3], off
	s_mov_b32 s25, 0
	s_mov_b32 s27, -1
	s_wait_loadcnt 0x0
	v_cmp_ne_u32_e32 vcc_lo, 0xff, v4
	v_lshlrev_b32_e32 v0, 23, v4
	s_delay_alu instid0(VALU_DEP_1) | instskip(NEXT) | instid1(VALU_DEP_1)
	v_cvt_f64_f32_e32 v[0:1], v0
	v_cndmask_b32_e32 v0, 0x20000000, v0, vcc_lo
	s_delay_alu instid0(VALU_DEP_2) | instskip(SKIP_1) | instid1(VALU_DEP_2)
	v_cndmask_b32_e32 v1, 0x7ff80000, v1, vcc_lo
	v_cmp_ne_u32_e32 vcc_lo, 0, v4
	v_cndmask_b32_e32 v1, 0x38000000, v1, vcc_lo
	s_delay_alu instid0(VALU_DEP_4)
	v_cndmask_b32_e32 v0, 0, v0, vcc_lo
	s_branch .LBB6_806
.LBB6_805:
	s_mov_b32 s25, -1
                                        ; implicit-def: $vgpr0_vgpr1
.LBB6_806:
	s_mov_b32 s28, 0
.LBB6_807:
	s_delay_alu instid0(SALU_CYCLE_1)
	s_and_b32 vcc_lo, exec_lo, s28
	s_cbranch_vccz .LBB6_811
; %bb.808:
	s_cmp_eq_u32 s24, 29
	s_cbranch_scc0 .LBB6_810
; %bb.809:
	global_load_b64 v[0:1], v[2:3], off
	s_mov_b32 s25, 0
	s_mov_b32 s27, -1
	s_mov_b32 s28, 0
	s_wait_loadcnt 0x0
	v_cvt_f64_u32_e32 v[4:5], v1
	v_cvt_f64_u32_e32 v[0:1], v0
	s_delay_alu instid0(VALU_DEP_2) | instskip(NEXT) | instid1(VALU_DEP_1)
	v_ldexp_f64 v[4:5], v[4:5], 32
	v_add_f64_e32 v[0:1], v[4:5], v[0:1]
	s_branch .LBB6_812
.LBB6_810:
	s_mov_b32 s25, -1
                                        ; implicit-def: $vgpr0_vgpr1
.LBB6_811:
	s_mov_b32 s28, 0
.LBB6_812:
	s_delay_alu instid0(SALU_CYCLE_1)
	s_and_b32 vcc_lo, exec_lo, s28
	s_cbranch_vccz .LBB6_830
; %bb.813:
	s_cmp_lt_i32 s24, 27
	s_cbranch_scc1 .LBB6_816
; %bb.814:
	s_cmp_gt_i32 s24, 27
	s_cbranch_scc0 .LBB6_817
; %bb.815:
	global_load_b32 v0, v[2:3], off
	s_mov_b32 s27, 0
	s_wait_loadcnt 0x0
	v_cvt_f64_u32_e32 v[0:1], v0
	s_branch .LBB6_818
.LBB6_816:
	s_mov_b32 s27, -1
                                        ; implicit-def: $vgpr0_vgpr1
	s_branch .LBB6_821
.LBB6_817:
	s_mov_b32 s27, -1
                                        ; implicit-def: $vgpr0_vgpr1
.LBB6_818:
	s_delay_alu instid0(SALU_CYCLE_1)
	s_and_not1_b32 vcc_lo, exec_lo, s27
	s_cbranch_vccnz .LBB6_820
; %bb.819:
	global_load_u16 v0, v[2:3], off
	s_wait_loadcnt 0x0
	v_cvt_f64_u32_e32 v[0:1], v0
.LBB6_820:
	s_mov_b32 s27, 0
.LBB6_821:
	s_delay_alu instid0(SALU_CYCLE_1)
	s_and_not1_b32 vcc_lo, exec_lo, s27
	s_cbranch_vccnz .LBB6_829
; %bb.822:
	global_load_u8 v4, v[2:3], off
	s_mov_b32 s27, 0
	s_mov_b32 s28, exec_lo
	s_wait_loadcnt 0x0
	v_cmpx_lt_i16_e32 0x7f, v4
	s_xor_b32 s28, exec_lo, s28
	s_cbranch_execz .LBB6_843
; %bb.823:
	s_mov_b32 s27, -1
	s_mov_b32 s29, exec_lo
	v_cmpx_eq_u16_e32 0x80, v4
; %bb.824:
	s_xor_b32 s27, exec_lo, -1
; %bb.825:
	s_or_b32 exec_lo, exec_lo, s29
	s_delay_alu instid0(SALU_CYCLE_1)
	s_and_b32 s27, s27, exec_lo
	s_or_saveexec_b32 s28, s28
	v_mov_b64_e32 v[0:1], 0x7ff8000020000000
	s_xor_b32 exec_lo, exec_lo, s28
	s_cbranch_execnz .LBB6_844
.LBB6_826:
	s_or_b32 exec_lo, exec_lo, s28
	s_and_saveexec_b32 s28, s27
	s_cbranch_execz .LBB6_828
.LBB6_827:
	v_and_b32_e32 v0, 0xffff, v4
	s_delay_alu instid0(VALU_DEP_1) | instskip(SKIP_1) | instid1(VALU_DEP_2)
	v_and_b32_e32 v1, 7, v0
	v_bfe_u32 v7, v0, 3, 4
	v_clz_i32_u32_e32 v5, v1
	s_delay_alu instid0(VALU_DEP_2) | instskip(NEXT) | instid1(VALU_DEP_2)
	v_cmp_eq_u32_e32 vcc_lo, 0, v7
	v_min_u32_e32 v5, 32, v5
	s_delay_alu instid0(VALU_DEP_1) | instskip(NEXT) | instid1(VALU_DEP_1)
	v_subrev_nc_u32_e32 v6, 28, v5
	v_dual_lshlrev_b32 v0, v6, v0 :: v_dual_sub_nc_u32 v5, 29, v5
	s_delay_alu instid0(VALU_DEP_1) | instskip(NEXT) | instid1(VALU_DEP_2)
	v_and_b32_e32 v0, 7, v0
	v_dual_cndmask_b32 v5, v7, v5 :: v_dual_lshlrev_b32 v4, 24, v4
	s_delay_alu instid0(VALU_DEP_2) | instskip(NEXT) | instid1(VALU_DEP_2)
	v_cndmask_b32_e32 v0, v1, v0, vcc_lo
	v_and_b32_e32 v1, 0x80000000, v4
	s_delay_alu instid0(VALU_DEP_3) | instskip(NEXT) | instid1(VALU_DEP_3)
	v_lshl_add_u32 v4, v5, 23, 0x3b800000
	v_lshlrev_b32_e32 v0, 20, v0
	s_delay_alu instid0(VALU_DEP_1) | instskip(NEXT) | instid1(VALU_DEP_1)
	v_or3_b32 v0, v1, v4, v0
	v_cvt_f64_f32_e32 v[0:1], v0
.LBB6_828:
	s_or_b32 exec_lo, exec_lo, s28
.LBB6_829:
	s_mov_b32 s27, -1
.LBB6_830:
	s_mov_b32 s28, 0
.LBB6_831:
	s_delay_alu instid0(SALU_CYCLE_1)
	s_and_b32 vcc_lo, exec_lo, s28
	s_cbranch_vccz .LBB6_864
; %bb.832:
	s_cmp_gt_i32 s24, 22
	s_cbranch_scc0 .LBB6_842
; %bb.833:
	s_cmp_lt_i32 s24, 24
	s_cbranch_scc1 .LBB6_845
; %bb.834:
	s_cmp_gt_i32 s24, 24
	s_cbranch_scc0 .LBB6_846
; %bb.835:
	global_load_u8 v4, v[2:3], off
	s_mov_b32 s27, exec_lo
	s_wait_loadcnt 0x0
	v_cmpx_lt_i16_e32 0x7f, v4
	s_xor_b32 s27, exec_lo, s27
	s_cbranch_execz .LBB6_858
; %bb.836:
	s_mov_b32 s26, -1
	s_mov_b32 s28, exec_lo
	v_cmpx_eq_u16_e32 0x80, v4
; %bb.837:
	s_xor_b32 s26, exec_lo, -1
; %bb.838:
	s_or_b32 exec_lo, exec_lo, s28
	s_delay_alu instid0(SALU_CYCLE_1)
	s_and_b32 s26, s26, exec_lo
	s_or_saveexec_b32 s27, s27
	v_mov_b64_e32 v[0:1], 0x7ff8000020000000
	s_xor_b32 exec_lo, exec_lo, s27
	s_cbranch_execnz .LBB6_859
.LBB6_839:
	s_or_b32 exec_lo, exec_lo, s27
	s_and_saveexec_b32 s27, s26
	s_cbranch_execz .LBB6_841
.LBB6_840:
	v_and_b32_e32 v0, 0xffff, v4
	s_delay_alu instid0(VALU_DEP_1) | instskip(SKIP_1) | instid1(VALU_DEP_2)
	v_and_b32_e32 v1, 3, v0
	v_bfe_u32 v7, v0, 2, 5
	v_clz_i32_u32_e32 v5, v1
	s_delay_alu instid0(VALU_DEP_2) | instskip(NEXT) | instid1(VALU_DEP_2)
	v_cmp_eq_u32_e32 vcc_lo, 0, v7
	v_min_u32_e32 v5, 32, v5
	s_delay_alu instid0(VALU_DEP_1) | instskip(NEXT) | instid1(VALU_DEP_1)
	v_subrev_nc_u32_e32 v6, 29, v5
	v_dual_lshlrev_b32 v0, v6, v0 :: v_dual_sub_nc_u32 v5, 30, v5
	s_delay_alu instid0(VALU_DEP_1) | instskip(NEXT) | instid1(VALU_DEP_2)
	v_and_b32_e32 v0, 3, v0
	v_dual_cndmask_b32 v5, v7, v5 :: v_dual_lshlrev_b32 v4, 24, v4
	s_delay_alu instid0(VALU_DEP_2) | instskip(NEXT) | instid1(VALU_DEP_2)
	v_cndmask_b32_e32 v0, v1, v0, vcc_lo
	v_and_b32_e32 v1, 0x80000000, v4
	s_delay_alu instid0(VALU_DEP_3) | instskip(NEXT) | instid1(VALU_DEP_3)
	v_lshl_add_u32 v4, v5, 23, 0x37800000
	v_lshlrev_b32_e32 v0, 21, v0
	s_delay_alu instid0(VALU_DEP_1) | instskip(NEXT) | instid1(VALU_DEP_1)
	v_or3_b32 v0, v1, v4, v0
	v_cvt_f64_f32_e32 v[0:1], v0
.LBB6_841:
	s_or_b32 exec_lo, exec_lo, s27
	s_mov_b32 s26, 0
	s_branch .LBB6_847
.LBB6_842:
	s_mov_b32 s26, -1
                                        ; implicit-def: $vgpr0_vgpr1
	s_branch .LBB6_853
.LBB6_843:
	s_or_saveexec_b32 s28, s28
	v_mov_b64_e32 v[0:1], 0x7ff8000020000000
	s_xor_b32 exec_lo, exec_lo, s28
	s_cbranch_execz .LBB6_826
.LBB6_844:
	v_cmp_ne_u16_e32 vcc_lo, 0, v4
	v_mov_b64_e32 v[0:1], 0
	s_and_not1_b32 s27, s27, exec_lo
	s_and_b32 s29, vcc_lo, exec_lo
	s_delay_alu instid0(SALU_CYCLE_1)
	s_or_b32 s27, s27, s29
	s_or_b32 exec_lo, exec_lo, s28
	s_and_saveexec_b32 s28, s27
	s_cbranch_execnz .LBB6_827
	s_branch .LBB6_828
.LBB6_845:
	s_mov_b32 s26, -1
                                        ; implicit-def: $vgpr0_vgpr1
	s_branch .LBB6_850
.LBB6_846:
	s_mov_b32 s26, -1
                                        ; implicit-def: $vgpr0_vgpr1
.LBB6_847:
	s_delay_alu instid0(SALU_CYCLE_1)
	s_and_b32 vcc_lo, exec_lo, s26
	s_cbranch_vccz .LBB6_849
; %bb.848:
	global_load_u8 v0, v[2:3], off
	s_wait_loadcnt 0x0
	v_lshlrev_b32_e32 v0, 24, v0
	s_delay_alu instid0(VALU_DEP_1) | instskip(NEXT) | instid1(VALU_DEP_1)
	v_and_b32_e32 v1, 0x7f000000, v0
	v_clz_i32_u32_e32 v4, v1
	v_cmp_ne_u32_e32 vcc_lo, 0, v1
	v_add_nc_u32_e32 v6, 0x1000000, v1
	s_delay_alu instid0(VALU_DEP_3) | instskip(NEXT) | instid1(VALU_DEP_1)
	v_min_u32_e32 v4, 32, v4
	v_sub_nc_u32_e64 v4, v4, 4 clamp
	s_delay_alu instid0(VALU_DEP_1) | instskip(NEXT) | instid1(VALU_DEP_1)
	v_dual_lshlrev_b32 v5, v4, v1 :: v_dual_lshlrev_b32 v4, 23, v4
	v_lshrrev_b32_e32 v5, 4, v5
	s_delay_alu instid0(VALU_DEP_1) | instskip(NEXT) | instid1(VALU_DEP_1)
	v_dual_sub_nc_u32 v4, v5, v4 :: v_dual_ashrrev_i32 v5, 8, v6
	v_add_nc_u32_e32 v4, 0x3c000000, v4
	s_delay_alu instid0(VALU_DEP_1) | instskip(NEXT) | instid1(VALU_DEP_1)
	v_and_or_b32 v4, 0x7f800000, v5, v4
	v_cndmask_b32_e32 v1, 0, v4, vcc_lo
	s_delay_alu instid0(VALU_DEP_1) | instskip(NEXT) | instid1(VALU_DEP_1)
	v_and_or_b32 v0, 0x80000000, v0, v1
	v_cvt_f64_f32_e32 v[0:1], v0
.LBB6_849:
	s_mov_b32 s26, 0
.LBB6_850:
	s_delay_alu instid0(SALU_CYCLE_1)
	s_and_not1_b32 vcc_lo, exec_lo, s26
	s_cbranch_vccnz .LBB6_852
; %bb.851:
	global_load_u8 v0, v[2:3], off
	s_wait_loadcnt 0x0
	v_lshlrev_b32_e32 v1, 25, v0
	v_lshlrev_b16 v0, 8, v0
	s_delay_alu instid0(VALU_DEP_1) | instskip(SKIP_1) | instid1(VALU_DEP_2)
	v_and_or_b32 v5, 0x7f00, v0, 0.5
	v_bfe_i32 v0, v0, 0, 16
	v_add_f32_e32 v5, -0.5, v5
	v_lshrrev_b32_e32 v4, 4, v1
	v_cmp_gt_u32_e32 vcc_lo, 0x8000000, v1
	s_delay_alu instid0(VALU_DEP_2) | instskip(NEXT) | instid1(VALU_DEP_1)
	v_or_b32_e32 v4, 0x70000000, v4
	v_mul_f32_e32 v4, 0x7800000, v4
	s_delay_alu instid0(VALU_DEP_1) | instskip(NEXT) | instid1(VALU_DEP_1)
	v_cndmask_b32_e32 v1, v4, v5, vcc_lo
	v_and_or_b32 v0, 0x80000000, v0, v1
	s_delay_alu instid0(VALU_DEP_1)
	v_cvt_f64_f32_e32 v[0:1], v0
.LBB6_852:
	s_mov_b32 s26, 0
	s_mov_b32 s27, -1
.LBB6_853:
	s_and_not1_b32 vcc_lo, exec_lo, s26
	s_mov_b32 s26, 0
	s_cbranch_vccnz .LBB6_864
; %bb.854:
	s_cmp_gt_i32 s24, 14
	s_cbranch_scc0 .LBB6_857
; %bb.855:
	s_cmp_eq_u32 s24, 15
	s_cbranch_scc0 .LBB6_860
; %bb.856:
	global_load_u16 v0, v[2:3], off
	s_mov_b32 s25, 0
	s_mov_b32 s27, -1
	s_wait_loadcnt 0x0
	v_lshlrev_b32_e32 v0, 16, v0
	s_delay_alu instid0(VALU_DEP_1)
	v_cvt_f64_f32_e32 v[0:1], v0
	s_branch .LBB6_862
.LBB6_857:
	s_mov_b32 s26, -1
	s_branch .LBB6_861
.LBB6_858:
	s_or_saveexec_b32 s27, s27
	v_mov_b64_e32 v[0:1], 0x7ff8000020000000
	s_xor_b32 exec_lo, exec_lo, s27
	s_cbranch_execz .LBB6_839
.LBB6_859:
	v_cmp_ne_u16_e32 vcc_lo, 0, v4
	v_mov_b64_e32 v[0:1], 0
	s_and_not1_b32 s26, s26, exec_lo
	s_and_b32 s28, vcc_lo, exec_lo
	s_delay_alu instid0(SALU_CYCLE_1)
	s_or_b32 s26, s26, s28
	s_or_b32 exec_lo, exec_lo, s27
	s_and_saveexec_b32 s27, s26
	s_cbranch_execnz .LBB6_840
	s_branch .LBB6_841
.LBB6_860:
	s_mov_b32 s25, -1
.LBB6_861:
                                        ; implicit-def: $vgpr0_vgpr1
.LBB6_862:
	s_and_b32 vcc_lo, exec_lo, s26
	s_mov_b32 s26, 0
	s_cbranch_vccz .LBB6_864
; %bb.863:
	s_cmp_lg_u32 s24, 11
	s_mov_b32 s26, -1
	s_cselect_b32 s24, -1, 0
	s_and_not1_b32 s25, s25, exec_lo
	s_and_b32 s24, s24, exec_lo
	s_delay_alu instid0(SALU_CYCLE_1)
	s_or_b32 s25, s25, s24
.LBB6_864:
	s_mov_b32 s24, 0
.LBB6_865:
	s_and_not1_b32 s29, s0, exec_lo
	s_and_b32 s25, s25, exec_lo
	s_and_b32 s27, s27, exec_lo
	;; [unrolled: 1-line block ×4, first 2 shown]
	s_or_b32 s25, s29, s25
.LBB6_866:
	s_wait_xcnt 0x0
	s_or_b32 exec_lo, exec_lo, s17
	s_delay_alu instid0(SALU_CYCLE_1)
	s_and_not1_b32 s0, s0, exec_lo
	s_and_b32 s17, s25, exec_lo
	s_and_b32 s27, s27, exec_lo
	;; [unrolled: 1-line block ×4, first 2 shown]
	s_or_b32 s0, s0, s17
.LBB6_867:
	s_or_b32 exec_lo, exec_lo, s23
	s_delay_alu instid0(SALU_CYCLE_1)
	s_and_not1_b32 s17, s21, exec_lo
	s_and_b32 s1, s1, exec_lo
	s_and_b32 s0, s0, exec_lo
	s_or_b32 s21, s17, s1
	s_and_not1_b32 s17, s20, exec_lo
	s_and_b32 s24, s27, exec_lo
	s_and_b32 s23, s26, exec_lo
	;; [unrolled: 1-line block ×3, first 2 shown]
	s_or_b32 s20, s17, s0
.LBB6_868:
	s_or_b32 exec_lo, exec_lo, s22
	s_delay_alu instid0(SALU_CYCLE_1)
	s_and_not1_b32 s0, s16, exec_lo
	s_and_b32 s16, s21, exec_lo
	s_and_not1_b32 s17, s18, exec_lo
	s_and_b32 s18, s20, exec_lo
	s_or_b32 s16, s0, s16
	s_and_b32 s0, s24, exec_lo
	s_and_b32 s21, s23, exec_lo
	;; [unrolled: 1-line block ×3, first 2 shown]
	s_or_b32 s18, s17, s18
	s_or_b32 exec_lo, exec_lo, s19
	s_mov_b32 s17, 0
	s_and_saveexec_b32 s1, s18
	s_cbranch_execz .LBB6_264
.LBB6_869:
	s_mov_b32 s17, exec_lo
	s_and_not1_b32 s20, s20, exec_lo
	s_trap 2
	s_or_b32 exec_lo, exec_lo, s1
	s_and_saveexec_b32 s1, s20
	s_delay_alu instid0(SALU_CYCLE_1)
	s_xor_b32 s1, exec_lo, s1
	s_cbranch_execnz .LBB6_265
.LBB6_870:
	s_or_b32 exec_lo, exec_lo, s1
	s_and_saveexec_b32 s1, s21
	s_cbranch_execz .LBB6_916
.LBB6_871:
	s_sext_i32_i16 s18, s14
	s_delay_alu instid0(SALU_CYCLE_1)
	s_cmp_lt_i32 s18, 5
	s_cbranch_scc1 .LBB6_876
; %bb.872:
	s_cmp_lt_i32 s18, 8
	s_cbranch_scc1 .LBB6_877
; %bb.873:
	;; [unrolled: 3-line block ×3, first 2 shown]
	s_cmp_gt_i32 s18, 9
	s_cbranch_scc0 .LBB6_879
; %bb.875:
	s_wait_loadcnt 0x0
	global_load_b64 v[0:1], v[2:3], off
	s_mov_b32 s18, 0
	s_branch .LBB6_880
.LBB6_876:
                                        ; implicit-def: $vgpr0_vgpr1
	s_branch .LBB6_897
.LBB6_877:
                                        ; implicit-def: $vgpr0_vgpr1
	s_branch .LBB6_886
.LBB6_878:
	s_mov_b32 s18, -1
                                        ; implicit-def: $vgpr0_vgpr1
	s_branch .LBB6_883
.LBB6_879:
	s_mov_b32 s18, -1
                                        ; implicit-def: $vgpr0_vgpr1
.LBB6_880:
	s_delay_alu instid0(SALU_CYCLE_1)
	s_and_not1_b32 vcc_lo, exec_lo, s18
	s_cbranch_vccnz .LBB6_882
; %bb.881:
	s_wait_loadcnt 0x0
	global_load_b32 v0, v[2:3], off
	s_wait_loadcnt 0x0
	v_cvt_f64_f32_e32 v[0:1], v0
.LBB6_882:
	s_mov_b32 s18, 0
.LBB6_883:
	s_delay_alu instid0(SALU_CYCLE_1)
	s_and_not1_b32 vcc_lo, exec_lo, s18
	s_cbranch_vccnz .LBB6_885
; %bb.884:
	s_wait_loadcnt 0x0
	global_load_b32 v0, v[2:3], off
	s_wait_loadcnt 0x0
	v_cvt_f32_f16_e32 v0, v0
	s_delay_alu instid0(VALU_DEP_1)
	v_cvt_f64_f32_e32 v[0:1], v0
.LBB6_885:
	s_cbranch_execnz .LBB6_896
.LBB6_886:
	s_sext_i32_i16 s18, s14
	s_delay_alu instid0(SALU_CYCLE_1)
	s_cmp_lt_i32 s18, 6
	s_cbranch_scc1 .LBB6_889
; %bb.887:
	s_cmp_gt_i32 s18, 6
	s_cbranch_scc0 .LBB6_890
; %bb.888:
	s_wait_loadcnt 0x0
	global_load_b64 v[0:1], v[2:3], off
	s_mov_b32 s18, 0
	s_branch .LBB6_891
.LBB6_889:
	s_mov_b32 s18, -1
                                        ; implicit-def: $vgpr0_vgpr1
	s_branch .LBB6_894
.LBB6_890:
	s_mov_b32 s18, -1
                                        ; implicit-def: $vgpr0_vgpr1
.LBB6_891:
	s_delay_alu instid0(SALU_CYCLE_1)
	s_and_not1_b32 vcc_lo, exec_lo, s18
	s_cbranch_vccnz .LBB6_893
; %bb.892:
	s_wait_loadcnt 0x0
	global_load_b32 v0, v[2:3], off
	s_wait_loadcnt 0x0
	v_cvt_f64_f32_e32 v[0:1], v0
.LBB6_893:
	s_mov_b32 s18, 0
.LBB6_894:
	s_delay_alu instid0(SALU_CYCLE_1)
	s_and_not1_b32 vcc_lo, exec_lo, s18
	s_cbranch_vccnz .LBB6_896
; %bb.895:
	s_wait_loadcnt 0x0
	global_load_u16 v0, v[2:3], off
	s_wait_loadcnt 0x0
	v_cvt_f32_f16_e32 v0, v0
	s_delay_alu instid0(VALU_DEP_1)
	v_cvt_f64_f32_e32 v[0:1], v0
.LBB6_896:
	s_cbranch_execnz .LBB6_915
.LBB6_897:
	s_sext_i32_i16 s18, s14
	s_delay_alu instid0(SALU_CYCLE_1)
	s_cmp_lt_i32 s18, 2
	s_cbranch_scc1 .LBB6_901
; %bb.898:
	s_cmp_lt_i32 s18, 3
	s_cbranch_scc1 .LBB6_902
; %bb.899:
	s_cmp_gt_i32 s18, 3
	s_cbranch_scc0 .LBB6_903
; %bb.900:
	s_wait_loadcnt 0x0
	global_load_b64 v[0:1], v[2:3], off
	s_mov_b32 s18, 0
	s_wait_loadcnt 0x0
	v_cvt_f64_i32_e32 v[4:5], v1
	v_cvt_f64_u32_e32 v[0:1], v0
	s_delay_alu instid0(VALU_DEP_2) | instskip(NEXT) | instid1(VALU_DEP_1)
	v_ldexp_f64 v[4:5], v[4:5], 32
	v_add_f64_e32 v[0:1], v[4:5], v[0:1]
	s_branch .LBB6_904
.LBB6_901:
                                        ; implicit-def: $vgpr0_vgpr1
	s_branch .LBB6_910
.LBB6_902:
	s_mov_b32 s18, -1
                                        ; implicit-def: $vgpr0_vgpr1
	s_branch .LBB6_907
.LBB6_903:
	s_mov_b32 s18, -1
                                        ; implicit-def: $vgpr0_vgpr1
.LBB6_904:
	s_delay_alu instid0(SALU_CYCLE_1)
	s_and_not1_b32 vcc_lo, exec_lo, s18
	s_cbranch_vccnz .LBB6_906
; %bb.905:
	s_wait_loadcnt 0x0
	global_load_b32 v0, v[2:3], off
	s_wait_loadcnt 0x0
	v_cvt_f64_i32_e32 v[0:1], v0
.LBB6_906:
	s_mov_b32 s18, 0
.LBB6_907:
	s_delay_alu instid0(SALU_CYCLE_1)
	s_and_not1_b32 vcc_lo, exec_lo, s18
	s_cbranch_vccnz .LBB6_909
; %bb.908:
	s_wait_loadcnt 0x0
	global_load_i16 v0, v[2:3], off
	s_wait_loadcnt 0x0
	v_cvt_f64_i32_e32 v[0:1], v0
.LBB6_909:
	s_cbranch_execnz .LBB6_915
.LBB6_910:
	s_sext_i32_i16 s18, s14
	s_delay_alu instid0(SALU_CYCLE_1)
	s_cmp_gt_i32 s18, 0
	s_mov_b32 s18, 0
	s_cbranch_scc0 .LBB6_912
; %bb.911:
	s_wait_loadcnt 0x0
	global_load_i8 v0, v[2:3], off
	s_wait_loadcnt 0x0
	v_cvt_f64_i32_e32 v[0:1], v0
	s_branch .LBB6_913
.LBB6_912:
	s_mov_b32 s18, -1
                                        ; implicit-def: $vgpr0_vgpr1
.LBB6_913:
	s_delay_alu instid0(SALU_CYCLE_1)
	s_and_not1_b32 vcc_lo, exec_lo, s18
	s_cbranch_vccnz .LBB6_915
; %bb.914:
	s_wait_loadcnt 0x0
	global_load_u8 v0, v[2:3], off
	s_wait_loadcnt 0x0
	v_cvt_f64_u32_e32 v[0:1], v0
.LBB6_915:
	s_or_b32 s0, s0, exec_lo
.LBB6_916:
	s_wait_xcnt 0x0
	s_or_b32 exec_lo, exec_lo, s1
	s_mov_b32 s20, 0
	s_mov_b32 s19, 0
                                        ; implicit-def: $sgpr1
                                        ; implicit-def: $vgpr4_vgpr5
	s_and_saveexec_b32 s18, s0
	s_cbranch_execz .LBB6_926
; %bb.917:
	s_wait_loadcnt 0x0
	s_delay_alu instid0(VALU_DEP_1) | instskip(SKIP_1) | instid1(VALU_DEP_1)
	v_mul_f64_e32 v[2:3], s[8:9], v[0:1]
	s_mov_b32 s19, exec_lo
	v_cmpx_nlt_f64_e32 s[10:11], v[2:3]
	s_cbranch_execz .LBB6_919
; %bb.918:
	v_mul_f64_e32 v[0:1], 0x3ff71547652b82fe, v[2:3]
	s_mov_b64 s[0:1], 0x3e5ade156a5dcb37
	v_cmp_nlt_f64_e32 vcc_lo, 0x40900000, v[2:3]
	s_delay_alu instid0(VALU_DEP_2) | instskip(NEXT) | instid1(VALU_DEP_1)
	v_rndne_f64_e32 v[0:1], v[0:1]
	v_fmamk_f64 v[4:5], v[0:1], 0xbfe62e42fefa39ef, v[2:3]
	v_cvt_i32_f64_e32 v8, v[0:1]
	s_delay_alu instid0(VALU_DEP_2) | instskip(NEXT) | instid1(VALU_DEP_1)
	v_fmamk_f64 v[4:5], v[0:1], 0xbc7abc9e3b39803f, v[4:5]
	v_fmaak_f64 v[6:7], s[0:1], v[4:5], 0x3e928af3fca7ab0c
	v_cmp_ngt_f64_e64 s0, 0xc090cc00, v[2:3]
	s_delay_alu instid0(VALU_DEP_2) | instskip(NEXT) | instid1(VALU_DEP_1)
	v_fmaak_f64 v[6:7], v[4:5], v[6:7], 0x3ec71dee623fde64
	v_fmaak_f64 v[6:7], v[4:5], v[6:7], 0x3efa01997c89e6b0
	s_delay_alu instid0(VALU_DEP_1) | instskip(NEXT) | instid1(VALU_DEP_1)
	v_fmaak_f64 v[6:7], v[4:5], v[6:7], 0x3f2a01a014761f6e
	v_fmaak_f64 v[6:7], v[4:5], v[6:7], 0x3f56c16c1852b7b0
	s_delay_alu instid0(VALU_DEP_1) | instskip(NEXT) | instid1(VALU_DEP_1)
	;; [unrolled: 3-line block ×4, first 2 shown]
	v_fma_f64 v[6:7], v[4:5], v[6:7], 1.0
	v_fma_f64 v[0:1], v[4:5], v[6:7], 1.0
	s_delay_alu instid0(VALU_DEP_1) | instskip(NEXT) | instid1(VALU_DEP_1)
	v_ldexp_f64 v[0:1], v[0:1], v8
	v_cndmask_b32_e32 v1, 0x7ff00000, v1, vcc_lo
	s_and_b32 vcc_lo, s0, vcc_lo
	s_delay_alu instid0(VALU_DEP_1) | instid1(SALU_CYCLE_1)
	v_dual_cndmask_b32 v0, 0, v0, vcc_lo :: v_dual_cndmask_b32 v1, 0, v1, s0
	s_mov_b64 s[0:1], 0x3fe5555555555555
	s_delay_alu instid0(VALU_DEP_1) | instskip(NEXT) | instid1(VALU_DEP_1)
	v_add_f64_e32 v[2:3], 1.0, v[0:1]
	v_frexp_mant_f64_e32 v[4:5], v[2:3]
	v_frexp_exp_i32_f64_e32 v8, v[2:3]
	s_delay_alu instid0(VALU_DEP_2) | instskip(SKIP_1) | instid1(VALU_DEP_2)
	v_cmp_gt_f64_e32 vcc_lo, s[0:1], v[4:5]
	s_mov_b64 s[0:1], 0x3fc3ab76bf559e2b
	v_subrev_co_ci_u32_e64 v13, null, 0, v8, vcc_lo
	v_add_f64_e32 v[6:7], -1.0, v[2:3]
	v_cmp_nge_f64_e32 vcc_lo, -1.0, v[0:1]
	s_delay_alu instid0(VALU_DEP_2) | instskip(NEXT) | instid1(VALU_DEP_1)
	v_dual_add_f64 v[4:5], v[6:7], -v[2:3] :: v_dual_sub_nc_u32 v10, 0, v13
	v_ldexp_f64 v[2:3], v[2:3], v10
	v_add_f64_e64 v[6:7], v[0:1], -v[6:7]
	s_delay_alu instid0(VALU_DEP_3) | instskip(NEXT) | instid1(VALU_DEP_3)
	v_add_f64_e32 v[4:5], 1.0, v[4:5]
	v_add_f64_e32 v[8:9], 1.0, v[2:3]
	v_add_f64_e32 v[16:17], -1.0, v[2:3]
	s_delay_alu instid0(VALU_DEP_3) | instskip(NEXT) | instid1(VALU_DEP_3)
	v_add_f64_e32 v[4:5], v[6:7], v[4:5]
	v_add_f64_e32 v[6:7], -1.0, v[8:9]
	s_delay_alu instid0(VALU_DEP_3) | instskip(NEXT) | instid1(VALU_DEP_3)
	v_add_f64_e32 v[18:19], 1.0, v[16:17]
	v_ldexp_f64 v[4:5], v[4:5], v10
	s_delay_alu instid0(VALU_DEP_3) | instskip(NEXT) | instid1(VALU_DEP_3)
	v_add_f64_e64 v[6:7], v[2:3], -v[6:7]
	v_add_f64_e64 v[2:3], v[2:3], -v[18:19]
	s_delay_alu instid0(VALU_DEP_2) | instskip(NEXT) | instid1(VALU_DEP_2)
	v_add_f64_e32 v[6:7], v[4:5], v[6:7]
	v_add_f64_e32 v[2:3], v[4:5], v[2:3]
	s_delay_alu instid0(VALU_DEP_2) | instskip(NEXT) | instid1(VALU_DEP_2)
	v_add_f64_e32 v[10:11], v[8:9], v[6:7]
	v_add_f64_e32 v[18:19], v[16:17], v[2:3]
	s_delay_alu instid0(VALU_DEP_2) | instskip(SKIP_1) | instid1(VALU_DEP_2)
	v_rcp_f64_e32 v[14:15], v[10:11]
	v_add_f64_e64 v[8:9], v[10:11], -v[8:9]
	v_add_f64_e64 v[16:17], v[18:19], -v[16:17]
	s_delay_alu instid0(VALU_DEP_2) | instskip(NEXT) | instid1(VALU_DEP_2)
	v_add_f64_e64 v[6:7], v[6:7], -v[8:9]
	v_add_f64_e64 v[2:3], v[2:3], -v[16:17]
	s_delay_alu instid0(TRANS32_DEP_1) | instskip(NEXT) | instid1(VALU_DEP_1)
	v_fma_f64 v[20:21], -v[10:11], v[14:15], 1.0
	v_fmac_f64_e32 v[14:15], v[20:21], v[14:15]
	s_delay_alu instid0(VALU_DEP_1) | instskip(NEXT) | instid1(VALU_DEP_1)
	v_fma_f64 v[4:5], -v[10:11], v[14:15], 1.0
	v_fmac_f64_e32 v[14:15], v[4:5], v[14:15]
	s_delay_alu instid0(VALU_DEP_1) | instskip(NEXT) | instid1(VALU_DEP_1)
	v_mul_f64_e32 v[4:5], v[18:19], v[14:15]
	v_mul_f64_e32 v[20:21], v[10:11], v[4:5]
	s_delay_alu instid0(VALU_DEP_1) | instskip(NEXT) | instid1(VALU_DEP_1)
	v_fma_f64 v[8:9], v[4:5], v[10:11], -v[20:21]
	v_fmac_f64_e32 v[8:9], v[4:5], v[6:7]
	s_delay_alu instid0(VALU_DEP_1) | instskip(NEXT) | instid1(VALU_DEP_1)
	v_add_f64_e32 v[22:23], v[20:21], v[8:9]
	v_add_f64_e64 v[24:25], v[18:19], -v[22:23]
	v_add_f64_e64 v[16:17], v[22:23], -v[20:21]
	s_delay_alu instid0(VALU_DEP_2) | instskip(NEXT) | instid1(VALU_DEP_2)
	v_add_f64_e64 v[18:19], v[18:19], -v[24:25]
	v_add_f64_e64 v[8:9], v[16:17], -v[8:9]
	s_delay_alu instid0(VALU_DEP_2) | instskip(NEXT) | instid1(VALU_DEP_1)
	v_add_f64_e64 v[18:19], v[18:19], -v[22:23]
	v_add_f64_e32 v[2:3], v[2:3], v[18:19]
	s_delay_alu instid0(VALU_DEP_1) | instskip(NEXT) | instid1(VALU_DEP_1)
	v_add_f64_e32 v[2:3], v[8:9], v[2:3]
	v_add_f64_e32 v[8:9], v[24:25], v[2:3]
	s_delay_alu instid0(VALU_DEP_1) | instskip(SKIP_1) | instid1(VALU_DEP_2)
	v_mul_f64_e32 v[16:17], v[14:15], v[8:9]
	v_add_f64_e64 v[22:23], v[24:25], -v[8:9]
	v_mul_f64_e32 v[18:19], v[10:11], v[16:17]
	s_delay_alu instid0(VALU_DEP_2) | instskip(NEXT) | instid1(VALU_DEP_2)
	v_add_f64_e32 v[2:3], v[2:3], v[22:23]
	v_fma_f64 v[10:11], v[16:17], v[10:11], -v[18:19]
	s_delay_alu instid0(VALU_DEP_1) | instskip(NEXT) | instid1(VALU_DEP_1)
	v_fmac_f64_e32 v[10:11], v[16:17], v[6:7]
	v_add_f64_e32 v[6:7], v[18:19], v[10:11]
	s_delay_alu instid0(VALU_DEP_1) | instskip(SKIP_1) | instid1(VALU_DEP_2)
	v_add_f64_e64 v[20:21], v[8:9], -v[6:7]
	v_add_f64_e64 v[18:19], v[6:7], -v[18:19]
	;; [unrolled: 1-line block ×3, first 2 shown]
	s_delay_alu instid0(VALU_DEP_1) | instskip(NEXT) | instid1(VALU_DEP_3)
	v_add_f64_e64 v[6:7], v[8:9], -v[6:7]
	v_add_f64_e64 v[8:9], v[18:19], -v[10:11]
	s_delay_alu instid0(VALU_DEP_2) | instskip(SKIP_1) | instid1(VALU_DEP_2)
	v_add_f64_e32 v[2:3], v[2:3], v[6:7]
	v_add_f64_e32 v[6:7], v[4:5], v[16:17]
	;; [unrolled: 1-line block ×3, first 2 shown]
	s_delay_alu instid0(VALU_DEP_2) | instskip(NEXT) | instid1(VALU_DEP_2)
	v_add_f64_e64 v[4:5], v[6:7], -v[4:5]
	v_add_f64_e32 v[2:3], v[20:21], v[2:3]
	s_delay_alu instid0(VALU_DEP_2) | instskip(NEXT) | instid1(VALU_DEP_2)
	v_add_f64_e64 v[4:5], v[16:17], -v[4:5]
	v_mul_f64_e32 v[2:3], v[14:15], v[2:3]
	s_delay_alu instid0(VALU_DEP_1) | instskip(NEXT) | instid1(VALU_DEP_1)
	v_add_f64_e32 v[2:3], v[4:5], v[2:3]
	v_add_f64_e32 v[4:5], v[6:7], v[2:3]
	s_delay_alu instid0(VALU_DEP_1) | instskip(NEXT) | instid1(VALU_DEP_1)
	v_mul_f64_e32 v[8:9], v[4:5], v[4:5]
	v_fmaak_f64 v[10:11], s[0:1], v[8:9], 0x3fc385386b47b09a
	v_mul_f64_e32 v[14:15], v[4:5], v[8:9]
	s_mov_b64 s[0:1], 0x3fe62e42fefa39ef
	s_delay_alu instid0(VALU_DEP_2) | instskip(NEXT) | instid1(VALU_DEP_1)
	v_fmaak_f64 v[10:11], v[8:9], v[10:11], 0x3fc7474dd7f4df2e
	v_fmaak_f64 v[10:11], v[8:9], v[10:11], 0x3fcc71c016291751
	s_delay_alu instid0(VALU_DEP_1) | instskip(NEXT) | instid1(VALU_DEP_1)
	v_fmaak_f64 v[10:11], v[8:9], v[10:11], 0x3fd249249b27acf1
	v_fmaak_f64 v[10:11], v[8:9], v[10:11], 0x3fd99999998ef7b6
	s_delay_alu instid0(VALU_DEP_1) | instskip(SKIP_2) | instid1(VALU_DEP_3)
	v_fmaak_f64 v[8:9], v[8:9], v[10:11], 0x3fe5555555555780
	v_ldexp_f64 v[10:11], v[4:5], 1
	v_add_f64_e64 v[4:5], v[4:5], -v[6:7]
	v_mul_f64_e32 v[8:9], v[14:15], v[8:9]
	v_cvt_f64_i32_e32 v[14:15], v13
	s_delay_alu instid0(VALU_DEP_3) | instskip(NEXT) | instid1(VALU_DEP_3)
	v_add_f64_e64 v[2:3], v[2:3], -v[4:5]
	v_add_f64_e32 v[6:7], v[10:11], v[8:9]
	s_delay_alu instid0(VALU_DEP_2) | instskip(NEXT) | instid1(VALU_DEP_2)
	v_ldexp_f64 v[2:3], v[2:3], 1
	v_add_f64_e64 v[4:5], v[6:7], -v[10:11]
	v_mul_f64_e32 v[10:11], 0x3fe62e42fefa39ef, v[14:15]
	s_delay_alu instid0(VALU_DEP_2) | instskip(NEXT) | instid1(VALU_DEP_2)
	v_add_f64_e64 v[4:5], v[8:9], -v[4:5]
	v_fma_f64 v[8:9], v[14:15], s[0:1], -v[10:11]
	v_cmp_neq_f64_e64 s0, 0x7ff00000, v[0:1]
	v_cmp_ngt_f64_e64 s1, -1.0, v[0:1]
	s_delay_alu instid0(VALU_DEP_4) | instskip(NEXT) | instid1(VALU_DEP_4)
	v_add_f64_e32 v[2:3], v[2:3], v[4:5]
	v_fmamk_f64 v[4:5], v[14:15], 0x3c7abc9e3b39803f, v[8:9]
	s_and_b32 vcc_lo, vcc_lo, s0
	s_delay_alu instid0(VALU_DEP_1) | instskip(NEXT) | instid1(VALU_DEP_3)
	v_add_f64_e32 v[8:9], v[10:11], v[4:5]
	v_add_f64_e32 v[14:15], v[6:7], v[2:3]
	s_delay_alu instid0(VALU_DEP_2) | instskip(NEXT) | instid1(VALU_DEP_2)
	v_add_f64_e64 v[10:11], v[8:9], -v[10:11]
	v_add_f64_e32 v[16:17], v[8:9], v[14:15]
	v_add_f64_e64 v[6:7], v[14:15], -v[6:7]
	s_delay_alu instid0(VALU_DEP_3) | instskip(NEXT) | instid1(VALU_DEP_3)
	v_add_f64_e64 v[4:5], v[4:5], -v[10:11]
	v_add_f64_e64 v[18:19], v[16:17], -v[8:9]
	s_delay_alu instid0(VALU_DEP_3) | instskip(NEXT) | instid1(VALU_DEP_2)
	v_add_f64_e64 v[2:3], v[2:3], -v[6:7]
	v_add_f64_e64 v[20:21], v[16:17], -v[18:19]
	;; [unrolled: 1-line block ×3, first 2 shown]
	s_delay_alu instid0(VALU_DEP_3) | instskip(NEXT) | instid1(VALU_DEP_3)
	v_add_f64_e32 v[10:11], v[4:5], v[2:3]
	v_add_f64_e64 v[8:9], v[8:9], -v[20:21]
	s_delay_alu instid0(VALU_DEP_1) | instskip(NEXT) | instid1(VALU_DEP_3)
	v_add_f64_e32 v[6:7], v[6:7], v[8:9]
	v_add_f64_e64 v[8:9], v[10:11], -v[4:5]
	s_delay_alu instid0(VALU_DEP_2) | instskip(NEXT) | instid1(VALU_DEP_2)
	v_add_f64_e32 v[6:7], v[10:11], v[6:7]
	v_add_f64_e64 v[10:11], v[10:11], -v[8:9]
	v_add_f64_e64 v[2:3], v[2:3], -v[8:9]
	s_delay_alu instid0(VALU_DEP_3) | instskip(NEXT) | instid1(VALU_DEP_3)
	v_add_f64_e32 v[14:15], v[16:17], v[6:7]
	v_add_f64_e64 v[4:5], v[4:5], -v[10:11]
	s_delay_alu instid0(VALU_DEP_2) | instskip(NEXT) | instid1(VALU_DEP_2)
	v_add_f64_e64 v[8:9], v[14:15], -v[16:17]
	v_add_f64_e32 v[2:3], v[2:3], v[4:5]
	s_delay_alu instid0(VALU_DEP_2) | instskip(NEXT) | instid1(VALU_DEP_1)
	v_add_f64_e64 v[4:5], v[6:7], -v[8:9]
	v_add_f64_e32 v[2:3], v[2:3], v[4:5]
	s_delay_alu instid0(VALU_DEP_1) | instskip(NEXT) | instid1(VALU_DEP_1)
	v_add_f64_e32 v[2:3], v[14:15], v[2:3]
	v_cndmask_b32_e32 v2, 0, v2, vcc_lo
	v_cmp_neq_f64_e32 vcc_lo, -1.0, v[0:1]
	s_delay_alu instid0(VALU_DEP_3) | instskip(NEXT) | instid1(VALU_DEP_1)
	v_cndmask_b32_e64 v3, 0x7ff00000, v3, s0
	v_cndmask_b32_e64 v3, 0x7ff80000, v3, s1
	s_delay_alu instid0(VALU_DEP_1) | instskip(NEXT) | instid1(VALU_DEP_1)
	v_cndmask_b32_e32 v3, 0xfff00000, v3, vcc_lo
	v_div_scale_f64 v[0:1], null, s[8:9], s[8:9], v[2:3]
	s_delay_alu instid0(VALU_DEP_1) | instskip(SKIP_1) | instid1(TRANS32_DEP_1)
	v_rcp_f64_e32 v[4:5], v[0:1]
	v_nop
	v_fma_f64 v[6:7], -v[0:1], v[4:5], 1.0
	s_delay_alu instid0(VALU_DEP_1) | instskip(NEXT) | instid1(VALU_DEP_1)
	v_fmac_f64_e32 v[4:5], v[4:5], v[6:7]
	v_fma_f64 v[6:7], -v[0:1], v[4:5], 1.0
	s_delay_alu instid0(VALU_DEP_1) | instskip(SKIP_1) | instid1(VALU_DEP_1)
	v_fmac_f64_e32 v[4:5], v[4:5], v[6:7]
	v_div_scale_f64 v[6:7], vcc_lo, v[2:3], s[8:9], v[2:3]
	v_mul_f64_e32 v[8:9], v[6:7], v[4:5]
	s_delay_alu instid0(VALU_DEP_1) | instskip(NEXT) | instid1(VALU_DEP_1)
	v_fma_f64 v[0:1], -v[0:1], v[8:9], v[6:7]
	v_div_fmas_f64 v[0:1], v[0:1], v[4:5], v[8:9]
	s_delay_alu instid0(VALU_DEP_1)
	v_div_fixup_f64 v[0:1], v[0:1], s[8:9], v[2:3]
.LBB6_919:
	s_or_b32 exec_lo, exec_lo, s19
	v_mul_lo_u32 v2, v12, s2
	s_and_b32 s1, s12, 0xff
	s_delay_alu instid0(SALU_CYCLE_1) | instskip(NEXT) | instid1(VALU_DEP_1)
	s_cmp_lt_i32 s1, 11
	v_ashrrev_i32_e32 v3, 31, v2
	s_delay_alu instid0(VALU_DEP_1)
	v_add_nc_u64_e32 v[4:5], s[4:5], v[2:3]
	s_cbranch_scc1 .LBB6_929
; %bb.920:
	s_and_b32 s19, 0xffff, s1
	s_mov_b32 s20, -1
	s_cmp_gt_i32 s19, 25
	s_mov_b32 s0, s16
	s_cbranch_scc0 .LBB6_957
; %bb.921:
	s_cmp_gt_i32 s19, 28
	s_mov_b32 s0, s16
	s_cbranch_scc0 .LBB6_941
; %bb.922:
	;; [unrolled: 4-line block ×4, first 2 shown]
	s_cmp_eq_u32 s19, 46
	s_mov_b32 s0, -1
	s_cbranch_scc0 .LBB6_930
; %bb.925:
	s_delay_alu instid0(VALU_DEP_4) | instskip(SKIP_2) | instid1(VALU_DEP_1)
	v_cvt_f32_f64_e32 v2, v[0:1]
	s_mov_b32 s0, 0
	s_mov_b32 s20, 0
	v_bfe_u32 v3, v2, 16, 1
	v_cmp_o_f32_e32 vcc_lo, v2, v2
	s_delay_alu instid0(VALU_DEP_2) | instskip(NEXT) | instid1(VALU_DEP_1)
	v_add3_u32 v3, v2, v3, 0x7fff
	v_lshrrev_b32_e32 v3, 16, v3
	s_delay_alu instid0(VALU_DEP_1)
	v_cndmask_b32_e32 v2, 0x7fc0, v3, vcc_lo
	global_store_b32 v[4:5], v2, off
	s_branch .LBB6_931
.LBB6_926:
	s_or_b32 exec_lo, exec_lo, s18
	s_and_saveexec_b32 s0, s16
	s_cbranch_execnz .LBB6_999
.LBB6_927:
	s_or_b32 exec_lo, exec_lo, s0
	s_and_saveexec_b32 s0, s20
	s_delay_alu instid0(SALU_CYCLE_1)
	s_xor_b32 s0, exec_lo, s0
	s_cbranch_execz .LBB6_1000
.LBB6_928:
	s_wait_loadcnt 0x0
	s_delay_alu instid0(VALU_DEP_1)
	v_cmp_neq_f64_e32 vcc_lo, 0, v[0:1]
	v_cndmask_b32_e64 v2, 0, 1, vcc_lo
	global_store_b8 v[4:5], v2, off
	s_wait_xcnt 0x0
	s_or_b32 exec_lo, exec_lo, s0
	s_and_saveexec_b32 s0, s19
	s_delay_alu instid0(SALU_CYCLE_1)
	s_xor_b32 s0, exec_lo, s0
	s_cbranch_execz .LBB6_1038
	s_branch .LBB6_1001
.LBB6_929:
	s_mov_b32 s21, 0
	s_mov_b32 s20, -1
	s_mov_b32 s0, s16
	s_branch .LBB6_998
.LBB6_930:
	s_mov_b32 s20, 0
.LBB6_931:
	s_delay_alu instid0(SALU_CYCLE_1)
	s_and_b32 vcc_lo, exec_lo, s20
	s_cbranch_vccz .LBB6_936
; %bb.932:
	s_cmp_eq_u32 s19, 44
	s_mov_b32 s0, -1
	s_cbranch_scc0 .LBB6_936
; %bb.933:
	s_wait_xcnt 0x0
	s_delay_alu instid0(VALU_DEP_4) | instskip(SKIP_2) | instid1(VALU_DEP_2)
	v_cvt_f32_f64_e32 v2, v[0:1]
	v_mov_b32_e32 v3, 0xff
	s_mov_b32 s20, exec_lo
	v_bfe_u32 v6, v2, 23, 8
	s_delay_alu instid0(VALU_DEP_1)
	v_cmpx_ne_u32_e32 0xff, v6
	s_cbranch_execz .LBB6_935
; %bb.934:
	v_and_b32_e32 v3, 0x400000, v2
	v_and_or_b32 v6, 0x3fffff, v2, v6
	v_lshrrev_b32_e32 v2, 23, v2
	s_delay_alu instid0(VALU_DEP_3) | instskip(NEXT) | instid1(VALU_DEP_3)
	v_cmp_ne_u32_e32 vcc_lo, 0, v3
	v_cmp_ne_u32_e64 s0, 0, v6
	s_and_b32 s0, vcc_lo, s0
	s_delay_alu instid0(SALU_CYCLE_1) | instskip(NEXT) | instid1(VALU_DEP_1)
	v_cndmask_b32_e64 v3, 0, 1, s0
	v_add_nc_u32_e32 v3, v2, v3
.LBB6_935:
	s_or_b32 exec_lo, exec_lo, s20
	s_mov_b32 s0, 0
	global_store_b8 v[4:5], v3, off
.LBB6_936:
	s_mov_b32 s20, 0
.LBB6_937:
	s_delay_alu instid0(SALU_CYCLE_1)
	s_and_b32 vcc_lo, exec_lo, s20
	s_cbranch_vccz .LBB6_940
; %bb.938:
	s_cmp_eq_u32 s19, 29
	s_mov_b32 s0, -1
	s_cbranch_scc0 .LBB6_940
; %bb.939:
	s_wait_xcnt 0x0
	s_delay_alu instid0(VALU_DEP_4) | instskip(SKIP_2) | instid1(VALU_DEP_1)
	v_trunc_f64_e32 v[2:3], v[0:1]
	s_mov_b32 s0, 0
	s_mov_b32 s20, 0
	v_ldexp_f64 v[6:7], v[2:3], 0xffffffe0
	s_delay_alu instid0(VALU_DEP_1) | instskip(NEXT) | instid1(VALU_DEP_1)
	v_floor_f64_e32 v[6:7], v[6:7]
	v_fmamk_f64 v[2:3], v[6:7], 0xc1f00000, v[2:3]
	v_cvt_u32_f64_e32 v7, v[6:7]
	s_delay_alu instid0(VALU_DEP_2)
	v_cvt_u32_f64_e32 v6, v[2:3]
	global_store_b64 v[4:5], v[6:7], off
	s_branch .LBB6_941
.LBB6_940:
	s_mov_b32 s20, 0
.LBB6_941:
	s_delay_alu instid0(SALU_CYCLE_1)
	s_and_b32 vcc_lo, exec_lo, s20
	s_cbranch_vccz .LBB6_956
; %bb.942:
	s_cmp_lt_i32 s19, 27
	s_mov_b32 s20, -1
	s_cbranch_scc1 .LBB6_948
; %bb.943:
	s_wait_xcnt 0x0
	s_delay_alu instid0(VALU_DEP_4)
	v_cvt_u32_f64_e32 v2, v[0:1]
	s_cmp_gt_i32 s19, 27
	s_cbranch_scc0 .LBB6_945
; %bb.944:
	s_mov_b32 s20, 0
	global_store_b32 v[4:5], v2, off
.LBB6_945:
	s_and_not1_b32 vcc_lo, exec_lo, s20
	s_cbranch_vccnz .LBB6_947
; %bb.946:
	global_store_b16 v[4:5], v2, off
.LBB6_947:
	s_mov_b32 s20, 0
.LBB6_948:
	s_delay_alu instid0(SALU_CYCLE_1)
	s_and_not1_b32 vcc_lo, exec_lo, s20
	s_cbranch_vccnz .LBB6_956
; %bb.949:
	s_wait_xcnt 0x0
	s_delay_alu instid0(VALU_DEP_4) | instskip(SKIP_2) | instid1(VALU_DEP_2)
	v_cvt_f32_f64_e32 v2, v[0:1]
	v_mov_b32_e32 v6, 0x80
	s_mov_b32 s20, exec_lo
	v_and_b32_e32 v3, 0x7fffffff, v2
	s_delay_alu instid0(VALU_DEP_1)
	v_cmpx_gt_u32_e32 0x43800000, v3
	s_cbranch_execz .LBB6_955
; %bb.950:
	v_cmp_lt_u32_e32 vcc_lo, 0x3bffffff, v3
	s_mov_b32 s21, 0
                                        ; implicit-def: $vgpr3
	s_and_saveexec_b32 s22, vcc_lo
	s_delay_alu instid0(SALU_CYCLE_1)
	s_xor_b32 s22, exec_lo, s22
	s_cbranch_execz .LBB6_1053
; %bb.951:
	v_bfe_u32 v3, v2, 20, 1
	s_mov_b32 s21, exec_lo
	s_delay_alu instid0(VALU_DEP_1) | instskip(NEXT) | instid1(VALU_DEP_1)
	v_add3_u32 v3, v2, v3, 0x487ffff
	v_lshrrev_b32_e32 v3, 20, v3
	s_and_not1_saveexec_b32 s22, s22
	s_cbranch_execnz .LBB6_1054
.LBB6_952:
	s_or_b32 exec_lo, exec_lo, s22
	v_mov_b32_e32 v6, 0
	s_and_saveexec_b32 s22, s21
.LBB6_953:
	v_lshrrev_b32_e32 v2, 24, v2
	s_delay_alu instid0(VALU_DEP_1)
	v_and_or_b32 v6, 0x80, v2, v3
.LBB6_954:
	s_or_b32 exec_lo, exec_lo, s22
.LBB6_955:
	s_delay_alu instid0(SALU_CYCLE_1)
	s_or_b32 exec_lo, exec_lo, s20
	global_store_b8 v[4:5], v6, off
.LBB6_956:
	s_mov_b32 s20, 0
.LBB6_957:
	s_delay_alu instid0(SALU_CYCLE_1)
	s_and_b32 vcc_lo, exec_lo, s20
	s_mov_b32 s20, 0
	s_cbranch_vccz .LBB6_997
; %bb.958:
	s_cmp_gt_i32 s19, 22
	s_mov_b32 s21, -1
	s_cbranch_scc0 .LBB6_990
; %bb.959:
	s_cmp_lt_i32 s19, 24
	s_cbranch_scc1 .LBB6_979
; %bb.960:
	s_cmp_gt_i32 s19, 24
	s_cbranch_scc0 .LBB6_968
; %bb.961:
	s_wait_xcnt 0x0
	s_delay_alu instid0(VALU_DEP_4) | instskip(SKIP_2) | instid1(VALU_DEP_2)
	v_cvt_f32_f64_e32 v2, v[0:1]
	v_mov_b32_e32 v6, 0x80
	s_mov_b32 s21, exec_lo
	v_and_b32_e32 v3, 0x7fffffff, v2
	s_delay_alu instid0(VALU_DEP_1)
	v_cmpx_gt_u32_e32 0x47800000, v3
	s_cbranch_execz .LBB6_967
; %bb.962:
	v_cmp_lt_u32_e32 vcc_lo, 0x37ffffff, v3
	s_mov_b32 s22, 0
                                        ; implicit-def: $vgpr3
	s_and_saveexec_b32 s23, vcc_lo
	s_delay_alu instid0(SALU_CYCLE_1)
	s_xor_b32 s23, exec_lo, s23
	s_cbranch_execz .LBB6_1181
; %bb.963:
	v_bfe_u32 v3, v2, 21, 1
	s_mov_b32 s22, exec_lo
	s_delay_alu instid0(VALU_DEP_1) | instskip(NEXT) | instid1(VALU_DEP_1)
	v_add3_u32 v3, v2, v3, 0x88fffff
	v_lshrrev_b32_e32 v3, 21, v3
	s_and_not1_saveexec_b32 s23, s23
	s_cbranch_execnz .LBB6_1182
.LBB6_964:
	s_or_b32 exec_lo, exec_lo, s23
	v_mov_b32_e32 v6, 0
	s_and_saveexec_b32 s23, s22
.LBB6_965:
	v_lshrrev_b32_e32 v2, 24, v2
	s_delay_alu instid0(VALU_DEP_1)
	v_and_or_b32 v6, 0x80, v2, v3
.LBB6_966:
	s_or_b32 exec_lo, exec_lo, s23
.LBB6_967:
	s_delay_alu instid0(SALU_CYCLE_1)
	s_or_b32 exec_lo, exec_lo, s21
	s_mov_b32 s21, 0
	global_store_b8 v[4:5], v6, off
.LBB6_968:
	s_and_b32 vcc_lo, exec_lo, s21
	s_cbranch_vccz .LBB6_978
; %bb.969:
	s_wait_xcnt 0x0
	s_delay_alu instid0(VALU_DEP_4) | instskip(SKIP_1) | instid1(VALU_DEP_1)
	v_cvt_f32_f64_e32 v2, v[0:1]
	s_mov_b32 s21, exec_lo
                                        ; implicit-def: $vgpr3
	v_and_b32_e32 v6, 0x7fffffff, v2
	s_delay_alu instid0(VALU_DEP_1)
	v_cmpx_gt_u32_e32 0x43f00000, v6
	s_xor_b32 s21, exec_lo, s21
	s_cbranch_execz .LBB6_975
; %bb.970:
	s_mov_b32 s22, exec_lo
                                        ; implicit-def: $vgpr3
	v_cmpx_lt_u32_e32 0x3c7fffff, v6
	s_xor_b32 s22, exec_lo, s22
; %bb.971:
	v_bfe_u32 v3, v2, 20, 1
	s_delay_alu instid0(VALU_DEP_1) | instskip(NEXT) | instid1(VALU_DEP_1)
	v_add3_u32 v3, v2, v3, 0x407ffff
	v_and_b32_e32 v6, 0xff00000, v3
	v_lshrrev_b32_e32 v3, 20, v3
	s_delay_alu instid0(VALU_DEP_2) | instskip(NEXT) | instid1(VALU_DEP_2)
	v_cmp_ne_u32_e32 vcc_lo, 0x7f00000, v6
	v_cndmask_b32_e32 v3, 0x7e, v3, vcc_lo
; %bb.972:
	s_and_not1_saveexec_b32 s22, s22
; %bb.973:
	v_add_f32_e64 v3, 0x46800000, |v2|
; %bb.974:
	s_or_b32 exec_lo, exec_lo, s22
                                        ; implicit-def: $vgpr6
.LBB6_975:
	s_and_not1_saveexec_b32 s21, s21
; %bb.976:
	v_mov_b32_e32 v3, 0x7f
	v_cmp_lt_u32_e32 vcc_lo, 0x7f800000, v6
	s_delay_alu instid0(VALU_DEP_2)
	v_cndmask_b32_e32 v3, 0x7e, v3, vcc_lo
; %bb.977:
	s_or_b32 exec_lo, exec_lo, s21
	v_lshrrev_b32_e32 v2, 24, v2
	s_delay_alu instid0(VALU_DEP_1)
	v_and_or_b32 v2, 0x80, v2, v3
	global_store_b8 v[4:5], v2, off
.LBB6_978:
	s_mov_b32 s21, 0
.LBB6_979:
	s_delay_alu instid0(SALU_CYCLE_1)
	s_and_not1_b32 vcc_lo, exec_lo, s21
	s_cbranch_vccnz .LBB6_989
; %bb.980:
	s_wait_xcnt 0x0
	s_delay_alu instid0(VALU_DEP_4) | instskip(SKIP_1) | instid1(VALU_DEP_1)
	v_cvt_f32_f64_e32 v2, v[0:1]
	s_mov_b32 s21, exec_lo
                                        ; implicit-def: $vgpr3
	v_and_b32_e32 v6, 0x7fffffff, v2
	s_delay_alu instid0(VALU_DEP_1)
	v_cmpx_gt_u32_e32 0x47800000, v6
	s_xor_b32 s21, exec_lo, s21
	s_cbranch_execz .LBB6_986
; %bb.981:
	s_mov_b32 s22, exec_lo
                                        ; implicit-def: $vgpr3
	v_cmpx_lt_u32_e32 0x387fffff, v6
	s_xor_b32 s22, exec_lo, s22
; %bb.982:
	v_bfe_u32 v3, v2, 21, 1
	s_delay_alu instid0(VALU_DEP_1) | instskip(NEXT) | instid1(VALU_DEP_1)
	v_add3_u32 v3, v2, v3, 0x80fffff
	v_lshrrev_b32_e32 v3, 21, v3
; %bb.983:
	s_and_not1_saveexec_b32 s22, s22
; %bb.984:
	v_add_f32_e64 v3, 0x43000000, |v2|
; %bb.985:
	s_or_b32 exec_lo, exec_lo, s22
                                        ; implicit-def: $vgpr6
.LBB6_986:
	s_and_not1_saveexec_b32 s21, s21
; %bb.987:
	v_mov_b32_e32 v3, 0x7f
	v_cmp_lt_u32_e32 vcc_lo, 0x7f800000, v6
	s_delay_alu instid0(VALU_DEP_2)
	v_cndmask_b32_e32 v3, 0x7c, v3, vcc_lo
; %bb.988:
	s_or_b32 exec_lo, exec_lo, s21
	v_lshrrev_b32_e32 v2, 24, v2
	s_delay_alu instid0(VALU_DEP_1)
	v_and_or_b32 v2, 0x80, v2, v3
	global_store_b8 v[4:5], v2, off
.LBB6_989:
	s_mov_b32 s21, 0
.LBB6_990:
	s_delay_alu instid0(SALU_CYCLE_1)
	s_and_not1_b32 vcc_lo, exec_lo, s21
	s_mov_b32 s21, 0
	s_cbranch_vccnz .LBB6_998
; %bb.991:
	s_cmp_gt_i32 s19, 14
	s_mov_b32 s21, -1
	s_cbranch_scc0 .LBB6_995
; %bb.992:
	s_cmp_eq_u32 s19, 15
	s_mov_b32 s0, -1
	s_cbranch_scc0 .LBB6_994
; %bb.993:
	s_wait_xcnt 0x0
	s_delay_alu instid0(VALU_DEP_4) | instskip(SKIP_1) | instid1(VALU_DEP_1)
	v_cvt_f32_f64_e32 v2, v[0:1]
	s_mov_b32 s0, 0
	v_bfe_u32 v3, v2, 16, 1
	v_cmp_o_f32_e32 vcc_lo, v2, v2
	s_delay_alu instid0(VALU_DEP_2) | instskip(NEXT) | instid1(VALU_DEP_1)
	v_add3_u32 v3, v2, v3, 0x7fff
	v_lshrrev_b32_e32 v3, 16, v3
	s_delay_alu instid0(VALU_DEP_1)
	v_cndmask_b32_e32 v2, 0x7fc0, v3, vcc_lo
	global_store_b16 v[4:5], v2, off
.LBB6_994:
	s_mov_b32 s21, 0
.LBB6_995:
	s_delay_alu instid0(SALU_CYCLE_1)
	s_and_b32 vcc_lo, exec_lo, s21
	s_mov_b32 s21, 0
	s_cbranch_vccz .LBB6_998
; %bb.996:
	s_cmp_lg_u32 s19, 11
	s_mov_b32 s21, -1
	s_cselect_b32 s19, -1, 0
	s_and_not1_b32 s0, s0, exec_lo
	s_and_b32 s19, s19, exec_lo
	s_delay_alu instid0(SALU_CYCLE_1)
	s_or_b32 s0, s0, s19
	s_branch .LBB6_998
.LBB6_997:
	s_mov_b32 s21, 0
.LBB6_998:
	s_and_not1_b32 s16, s16, exec_lo
	s_and_b32 s0, s0, exec_lo
	s_and_b32 s19, s20, exec_lo
	;; [unrolled: 1-line block ×3, first 2 shown]
	s_or_b32 s16, s16, s0
	s_wait_xcnt 0x0
	s_or_b32 exec_lo, exec_lo, s18
	s_and_saveexec_b32 s0, s16
	s_cbranch_execz .LBB6_927
.LBB6_999:
	s_or_b32 s17, s17, exec_lo
	s_and_not1_b32 s20, s20, exec_lo
	s_trap 2
	s_or_b32 exec_lo, exec_lo, s0
	s_and_saveexec_b32 s0, s20
	s_delay_alu instid0(SALU_CYCLE_1)
	s_xor_b32 s0, exec_lo, s0
	s_cbranch_execnz .LBB6_928
.LBB6_1000:
	s_or_b32 exec_lo, exec_lo, s0
	s_and_saveexec_b32 s0, s19
	s_delay_alu instid0(SALU_CYCLE_1)
	s_xor_b32 s0, exec_lo, s0
	s_cbranch_execz .LBB6_1038
.LBB6_1001:
	s_sext_i32_i16 s18, s1
	s_mov_b32 s16, -1
	s_cmp_lt_i32 s18, 5
	s_cbranch_scc1 .LBB6_1022
; %bb.1002:
	s_cmp_lt_i32 s18, 8
	s_cbranch_scc1 .LBB6_1012
; %bb.1003:
	;; [unrolled: 3-line block ×3, first 2 shown]
	s_cmp_gt_i32 s18, 9
	s_cbranch_scc0 .LBB6_1006
; %bb.1005:
	v_mov_b32_e32 v2, 0
	s_mov_b32 s16, 0
	s_delay_alu instid0(VALU_DEP_1)
	v_mov_b32_e32 v3, v2
	s_wait_loadcnt 0x0
	global_store_b128 v[4:5], v[0:3], off
.LBB6_1006:
	s_and_not1_b32 vcc_lo, exec_lo, s16
	s_cbranch_vccnz .LBB6_1008
; %bb.1007:
	s_wait_loadcnt 0x0
	v_cvt_f32_f64_e32 v2, v[0:1]
	v_mov_b32_e32 v3, 0
	global_store_b64 v[4:5], v[2:3], off
.LBB6_1008:
	s_mov_b32 s16, 0
.LBB6_1009:
	s_delay_alu instid0(SALU_CYCLE_1)
	s_and_not1_b32 vcc_lo, exec_lo, s16
	s_cbranch_vccnz .LBB6_1011
; %bb.1010:
	s_wait_loadcnt 0x0
	s_delay_alu instid0(VALU_DEP_1) | instskip(SKIP_2) | instid1(VALU_DEP_3)
	v_and_or_b32 v2, 0x1ff, v1, v0
	v_lshrrev_b32_e32 v3, 8, v1
	v_bfe_u32 v6, v1, 20, 11
	v_cmp_ne_u32_e32 vcc_lo, 0, v2
	s_delay_alu instid0(VALU_DEP_2) | instskip(SKIP_1) | instid1(VALU_DEP_1)
	v_sub_nc_u32_e32 v7, 0x3f1, v6
	v_cndmask_b32_e64 v2, 0, 1, vcc_lo
	v_and_or_b32 v2, 0xffe, v3, v2
	s_delay_alu instid0(VALU_DEP_3) | instskip(NEXT) | instid1(VALU_DEP_2)
	v_med3_i32 v3, v7, 0, 13
	v_or_b32_e32 v7, 0x1000, v2
	s_delay_alu instid0(VALU_DEP_1) | instskip(NEXT) | instid1(VALU_DEP_1)
	v_lshrrev_b32_e32 v8, v3, v7
	v_lshlrev_b32_e32 v3, v3, v8
	s_delay_alu instid0(VALU_DEP_1) | instskip(SKIP_1) | instid1(VALU_DEP_1)
	v_cmp_ne_u32_e32 vcc_lo, v3, v7
	v_cndmask_b32_e64 v3, 0, 1, vcc_lo
	v_or_b32_e32 v3, v8, v3
	v_add_nc_u32_e32 v6, 0xfffffc10, v6
	s_delay_alu instid0(VALU_DEP_1) | instskip(SKIP_1) | instid1(VALU_DEP_2)
	v_lshl_or_b32 v7, v6, 12, v2
	v_cmp_gt_i32_e32 vcc_lo, 1, v6
	v_cndmask_b32_e32 v3, v7, v3, vcc_lo
	s_delay_alu instid0(VALU_DEP_1) | instskip(NEXT) | instid1(VALU_DEP_1)
	v_dual_lshrrev_b32 v3, 2, v3 :: v_dual_bitop2_b32 v7, 7, v3 bitop3:0x40
	v_cmp_lt_i32_e32 vcc_lo, 5, v7
	v_cndmask_b32_e64 v8, 0, 1, vcc_lo
	v_cmp_eq_u32_e32 vcc_lo, 3, v7
	v_cndmask_b32_e64 v7, 0, 1, vcc_lo
	v_cmp_ne_u32_e32 vcc_lo, 0, v2
	s_delay_alu instid0(VALU_DEP_2) | instskip(NEXT) | instid1(VALU_DEP_1)
	v_or_b32_e32 v7, v7, v8
	v_dual_mov_b32 v8, 0x7e00 :: v_dual_add_nc_u32 v3, v3, v7
	s_delay_alu instid0(VALU_DEP_1) | instskip(SKIP_2) | instid1(VALU_DEP_4)
	v_cndmask_b32_e32 v2, 0x7c00, v8, vcc_lo
	v_cmp_gt_i32_e32 vcc_lo, 31, v6
	v_lshrrev_b32_e32 v7, 16, v1
	v_cndmask_b32_e32 v3, 0x7c00, v3, vcc_lo
	v_cmp_eq_u32_e32 vcc_lo, 0x40f, v6
	s_delay_alu instid0(VALU_DEP_2) | instskip(NEXT) | instid1(VALU_DEP_4)
	v_cndmask_b32_e32 v2, v3, v2, vcc_lo
	v_and_b32_e32 v3, 0x8000, v7
	s_delay_alu instid0(VALU_DEP_1)
	v_bitop3_b32 v2, v3, 0xffff, v2 bitop3:0xc8
	global_store_b32 v[4:5], v2, off
.LBB6_1011:
	s_mov_b32 s16, 0
.LBB6_1012:
	s_delay_alu instid0(SALU_CYCLE_1)
	s_and_not1_b32 vcc_lo, exec_lo, s16
	s_cbranch_vccnz .LBB6_1021
; %bb.1013:
	s_sext_i32_i16 s18, s1
	s_mov_b32 s16, -1
	s_cmp_lt_i32 s18, 6
	s_cbranch_scc1 .LBB6_1019
; %bb.1014:
	s_cmp_gt_i32 s18, 6
	s_cbranch_scc0 .LBB6_1016
; %bb.1015:
	s_mov_b32 s16, 0
	s_wait_loadcnt 0x0
	global_store_b64 v[4:5], v[0:1], off
.LBB6_1016:
	s_and_not1_b32 vcc_lo, exec_lo, s16
	s_cbranch_vccnz .LBB6_1018
; %bb.1017:
	s_wait_loadcnt 0x0
	v_cvt_f32_f64_e32 v2, v[0:1]
	global_store_b32 v[4:5], v2, off
.LBB6_1018:
	s_mov_b32 s16, 0
.LBB6_1019:
	s_delay_alu instid0(SALU_CYCLE_1)
	s_and_not1_b32 vcc_lo, exec_lo, s16
	s_cbranch_vccnz .LBB6_1021
; %bb.1020:
	s_wait_loadcnt 0x0
	v_and_or_b32 v2, 0x1ff, v1, v0
	v_lshrrev_b32_e32 v3, 8, v1
	v_bfe_u32 v6, v1, 20, 11
	s_delay_alu instid0(VALU_DEP_3) | instskip(NEXT) | instid1(VALU_DEP_2)
	v_cmp_ne_u32_e32 vcc_lo, 0, v2
	v_sub_nc_u32_e32 v7, 0x3f1, v6
	v_cndmask_b32_e64 v2, 0, 1, vcc_lo
	s_delay_alu instid0(VALU_DEP_1) | instskip(NEXT) | instid1(VALU_DEP_3)
	v_and_or_b32 v2, 0xffe, v3, v2
	v_med3_i32 v3, v7, 0, 13
	s_delay_alu instid0(VALU_DEP_2) | instskip(NEXT) | instid1(VALU_DEP_1)
	v_or_b32_e32 v7, 0x1000, v2
	v_lshrrev_b32_e32 v8, v3, v7
	s_delay_alu instid0(VALU_DEP_1) | instskip(NEXT) | instid1(VALU_DEP_1)
	v_lshlrev_b32_e32 v3, v3, v8
	v_cmp_ne_u32_e32 vcc_lo, v3, v7
	v_cndmask_b32_e64 v3, 0, 1, vcc_lo
	s_delay_alu instid0(VALU_DEP_1) | instskip(SKIP_1) | instid1(VALU_DEP_1)
	v_or_b32_e32 v3, v8, v3
	v_add_nc_u32_e32 v6, 0xfffffc10, v6
	v_lshl_or_b32 v7, v6, 12, v2
	v_cmp_gt_i32_e32 vcc_lo, 1, v6
	s_delay_alu instid0(VALU_DEP_2) | instskip(NEXT) | instid1(VALU_DEP_1)
	v_cndmask_b32_e32 v3, v7, v3, vcc_lo
	v_dual_lshrrev_b32 v3, 2, v3 :: v_dual_bitop2_b32 v7, 7, v3 bitop3:0x40
	s_delay_alu instid0(VALU_DEP_1) | instskip(SKIP_4) | instid1(VALU_DEP_2)
	v_cmp_lt_i32_e32 vcc_lo, 5, v7
	v_cndmask_b32_e64 v8, 0, 1, vcc_lo
	v_cmp_eq_u32_e32 vcc_lo, 3, v7
	v_cndmask_b32_e64 v7, 0, 1, vcc_lo
	v_cmp_ne_u32_e32 vcc_lo, 0, v2
	v_or_b32_e32 v7, v7, v8
	s_delay_alu instid0(VALU_DEP_1) | instskip(NEXT) | instid1(VALU_DEP_1)
	v_dual_mov_b32 v8, 0x7e00 :: v_dual_add_nc_u32 v3, v3, v7
	v_cndmask_b32_e32 v2, 0x7c00, v8, vcc_lo
	v_cmp_gt_i32_e32 vcc_lo, 31, v6
	s_delay_alu instid0(VALU_DEP_3) | instskip(SKIP_1) | instid1(VALU_DEP_2)
	v_cndmask_b32_e32 v3, 0x7c00, v3, vcc_lo
	v_cmp_eq_u32_e32 vcc_lo, 0x40f, v6
	v_dual_cndmask_b32 v2, v3, v2 :: v_dual_lshrrev_b32 v3, 16, v1
	s_delay_alu instid0(VALU_DEP_1)
	v_and_or_b32 v2, 0x8000, v3, v2
	global_store_b16 v[4:5], v2, off
.LBB6_1021:
	s_mov_b32 s16, 0
.LBB6_1022:
	s_delay_alu instid0(SALU_CYCLE_1)
	s_and_not1_b32 vcc_lo, exec_lo, s16
	s_cbranch_vccnz .LBB6_1038
; %bb.1023:
	s_sext_i32_i16 s18, s1
	s_mov_b32 s16, -1
	s_cmp_lt_i32 s18, 2
	s_cbranch_scc1 .LBB6_1033
; %bb.1024:
	s_cmp_lt_i32 s18, 3
	s_cbranch_scc1 .LBB6_1030
; %bb.1025:
	s_cmp_gt_i32 s18, 3
	s_cbranch_scc0 .LBB6_1027
; %bb.1026:
	s_wait_loadcnt 0x0
	v_trunc_f64_e32 v[2:3], v[0:1]
	s_mov_b32 s16, 0
	s_delay_alu instid0(VALU_DEP_1) | instskip(NEXT) | instid1(VALU_DEP_1)
	v_ldexp_f64 v[6:7], v[2:3], 0xffffffe0
	v_floor_f64_e32 v[6:7], v[6:7]
	s_delay_alu instid0(VALU_DEP_1) | instskip(SKIP_1) | instid1(VALU_DEP_2)
	v_fmamk_f64 v[2:3], v[6:7], 0xc1f00000, v[2:3]
	v_cvt_i32_f64_e32 v7, v[6:7]
	v_cvt_u32_f64_e32 v6, v[2:3]
	global_store_b64 v[4:5], v[6:7], off
.LBB6_1027:
	s_and_not1_b32 vcc_lo, exec_lo, s16
	s_cbranch_vccnz .LBB6_1029
; %bb.1028:
	s_wait_loadcnt 0x0
	v_cvt_i32_f64_e32 v2, v[0:1]
	global_store_b32 v[4:5], v2, off
.LBB6_1029:
	s_mov_b32 s16, 0
.LBB6_1030:
	s_delay_alu instid0(SALU_CYCLE_1)
	s_and_not1_b32 vcc_lo, exec_lo, s16
	s_cbranch_vccnz .LBB6_1032
; %bb.1031:
	s_wait_loadcnt 0x0
	v_cvt_i32_f64_e32 v2, v[0:1]
	global_store_b16 v[4:5], v2, off
.LBB6_1032:
	s_mov_b32 s16, 0
.LBB6_1033:
	s_delay_alu instid0(SALU_CYCLE_1)
	s_and_not1_b32 vcc_lo, exec_lo, s16
	s_cbranch_vccnz .LBB6_1038
; %bb.1034:
	s_sext_i32_i16 s1, s1
	s_delay_alu instid0(SALU_CYCLE_1)
	s_cmp_gt_i32 s1, 0
	s_mov_b32 s1, -1
	s_cbranch_scc0 .LBB6_1036
; %bb.1035:
	s_wait_loadcnt 0x0
	v_cvt_i32_f64_e32 v2, v[0:1]
	s_mov_b32 s1, 0
	global_store_b8 v[4:5], v2, off
.LBB6_1036:
	s_and_not1_b32 vcc_lo, exec_lo, s1
	s_cbranch_vccnz .LBB6_1038
; %bb.1037:
	s_wait_loadcnt 0x0
	v_trunc_f64_e32 v[0:1], v[0:1]
	s_delay_alu instid0(VALU_DEP_1) | instskip(NEXT) | instid1(VALU_DEP_1)
	v_ldexp_f64 v[2:3], v[0:1], 0xffffffe0
	v_floor_f64_e32 v[2:3], v[2:3]
	s_delay_alu instid0(VALU_DEP_1) | instskip(NEXT) | instid1(VALU_DEP_1)
	v_fmamk_f64 v[0:1], v[2:3], 0xc1f00000, v[0:1]
	v_cvt_u32_f64_e32 v0, v[0:1]
	global_store_b8 v[4:5], v0, off
.LBB6_1038:
	s_wait_xcnt 0x0
	s_or_b32 exec_lo, exec_lo, s0
	s_delay_alu instid0(SALU_CYCLE_1)
	s_and_b32 s16, s17, exec_lo
                                        ; implicit-def: $vgpr12
.LBB6_1039:
	s_or_saveexec_b32 s15, s15
	s_mov_b32 s0, 0
                                        ; implicit-def: $sgpr1
                                        ; implicit-def: $vgpr0_vgpr1
                                        ; implicit-def: $vgpr8_vgpr9
	s_xor_b32 exec_lo, exec_lo, s15
	s_cbranch_execz .LBB6_1644
; %bb.1040:
	v_mul_lo_u32 v2, s3, v12
	s_and_b32 s14, 0xffff, s14
	s_delay_alu instid0(SALU_CYCLE_1) | instskip(NEXT) | instid1(VALU_DEP_1)
	s_cmp_lt_i32 s14, 11
	v_ashrrev_i32_e32 v3, 31, v2
	s_delay_alu instid0(VALU_DEP_1)
	v_add_nc_u64_e32 v[4:5], s[6:7], v[2:3]
	s_cbranch_scc1 .LBB6_1047
; %bb.1041:
	s_cmp_gt_i32 s14, 25
	s_mov_b32 s1, 0
	s_cbranch_scc0 .LBB6_1049
; %bb.1042:
	s_cmp_gt_i32 s14, 28
	s_cbranch_scc0 .LBB6_1050
; %bb.1043:
	s_cmp_gt_i32 s14, 43
	;; [unrolled: 3-line block ×3, first 2 shown]
	s_cbranch_scc0 .LBB6_1052
; %bb.1045:
	s_cmp_eq_u32 s14, 46
	s_cbranch_scc0 .LBB6_1055
; %bb.1046:
	s_wait_loadcnt 0x0
	global_load_b32 v0, v[4:5], off
	s_mov_b32 s17, -1
	s_wait_loadcnt 0x0
	v_lshlrev_b32_e32 v0, 16, v0
	s_delay_alu instid0(VALU_DEP_1)
	v_cvt_f64_f32_e32 v[0:1], v0
	s_branch .LBB6_1057
.LBB6_1047:
	s_mov_b32 s17, 0
	s_mov_b32 s13, s16
                                        ; implicit-def: $vgpr0_vgpr1
	s_cbranch_execnz .LBB6_1120
.LBB6_1048:
	s_and_not1_b32 vcc_lo, exec_lo, s17
                                        ; implicit-def: $vgpr10_vgpr11
	s_cbranch_vccz .LBB6_1165
	s_branch .LBB6_1642
.LBB6_1049:
	s_mov_b32 s17, 0
                                        ; implicit-def: $vgpr0_vgpr1
	s_cbranch_execnz .LBB6_1085
	s_branch .LBB6_1116
.LBB6_1050:
	s_mov_b32 s13, -1
	s_mov_b32 s17, 0
                                        ; implicit-def: $vgpr0_vgpr1
	s_branch .LBB6_1066
.LBB6_1051:
	s_mov_b32 s17, 0
                                        ; implicit-def: $vgpr0_vgpr1
	s_cbranch_execnz .LBB6_1062
	s_branch .LBB6_1065
.LBB6_1052:
	s_mov_b32 s13, -1
	s_branch .LBB6_1056
.LBB6_1053:
	s_and_not1_saveexec_b32 s22, s22
	s_cbranch_execz .LBB6_952
.LBB6_1054:
	v_add_f32_e64 v3, 0x46000000, |v2|
	s_and_not1_b32 s21, s21, exec_lo
	s_delay_alu instid0(VALU_DEP_1) | instskip(NEXT) | instid1(VALU_DEP_1)
	v_and_b32_e32 v3, 0xff, v3
	v_cmp_ne_u32_e32 vcc_lo, 0, v3
	s_and_b32 s23, vcc_lo, exec_lo
	s_delay_alu instid0(SALU_CYCLE_1)
	s_or_b32 s21, s21, s23
	s_or_b32 exec_lo, exec_lo, s22
	v_mov_b32_e32 v6, 0
	s_and_saveexec_b32 s22, s21
	s_cbranch_execnz .LBB6_953
	s_branch .LBB6_954
.LBB6_1055:
	s_mov_b32 s0, -1
.LBB6_1056:
	s_mov_b32 s17, 0
                                        ; implicit-def: $vgpr0_vgpr1
.LBB6_1057:
	s_and_b32 vcc_lo, exec_lo, s13
	s_cbranch_vccz .LBB6_1060
; %bb.1058:
	s_cmp_eq_u32 s14, 44
	s_cbranch_scc0 .LBB6_1061
; %bb.1059:
	global_load_u8 v3, v[4:5], off
	s_mov_b32 s0, 0
	s_mov_b32 s17, -1
	s_wait_loadcnt 0x0
	v_cmp_ne_u32_e32 vcc_lo, 0xff, v3
	v_lshlrev_b32_e32 v0, 23, v3
	s_delay_alu instid0(VALU_DEP_1) | instskip(NEXT) | instid1(VALU_DEP_1)
	v_cvt_f64_f32_e32 v[0:1], v0
	v_cndmask_b32_e32 v0, 0x20000000, v0, vcc_lo
	s_delay_alu instid0(VALU_DEP_2) | instskip(SKIP_1) | instid1(VALU_DEP_2)
	v_cndmask_b32_e32 v1, 0x7ff80000, v1, vcc_lo
	v_cmp_ne_u32_e32 vcc_lo, 0, v3
	v_cndmask_b32_e32 v1, 0x38000000, v1, vcc_lo
	s_delay_alu instid0(VALU_DEP_4)
	v_cndmask_b32_e32 v0, 0, v0, vcc_lo
.LBB6_1060:
	s_branch .LBB6_1065
.LBB6_1061:
	s_mov_b32 s0, -1
                                        ; implicit-def: $vgpr0_vgpr1
	s_branch .LBB6_1065
.LBB6_1062:
	s_cmp_eq_u32 s14, 29
	s_cbranch_scc0 .LBB6_1064
; %bb.1063:
	s_wait_loadcnt 0x0
	global_load_b64 v[0:1], v[4:5], off
	s_mov_b32 s0, 0
	s_mov_b32 s17, -1
	s_mov_b32 s13, 0
	s_wait_loadcnt 0x0
	v_cvt_f64_u32_e32 v[6:7], v1
	v_cvt_f64_u32_e32 v[0:1], v0
	s_delay_alu instid0(VALU_DEP_2) | instskip(NEXT) | instid1(VALU_DEP_1)
	v_ldexp_f64 v[6:7], v[6:7], 32
	v_add_f64_e32 v[0:1], v[6:7], v[0:1]
	s_branch .LBB6_1066
.LBB6_1064:
	s_mov_b32 s0, -1
                                        ; implicit-def: $vgpr0_vgpr1
.LBB6_1065:
	s_mov_b32 s13, 0
.LBB6_1066:
	s_delay_alu instid0(SALU_CYCLE_1)
	s_and_b32 vcc_lo, exec_lo, s13
	s_cbranch_vccz .LBB6_1084
; %bb.1067:
	s_cmp_lt_i32 s14, 27
	s_cbranch_scc1 .LBB6_1070
; %bb.1068:
	s_cmp_gt_i32 s14, 27
	s_cbranch_scc0 .LBB6_1071
; %bb.1069:
	s_wait_loadcnt 0x0
	global_load_b32 v0, v[4:5], off
	s_mov_b32 s13, 0
	s_wait_loadcnt 0x0
	v_cvt_f64_u32_e32 v[0:1], v0
	s_branch .LBB6_1072
.LBB6_1070:
	s_mov_b32 s13, -1
                                        ; implicit-def: $vgpr0_vgpr1
	s_branch .LBB6_1075
.LBB6_1071:
	s_mov_b32 s13, -1
                                        ; implicit-def: $vgpr0_vgpr1
.LBB6_1072:
	s_delay_alu instid0(SALU_CYCLE_1)
	s_and_not1_b32 vcc_lo, exec_lo, s13
	s_cbranch_vccnz .LBB6_1074
; %bb.1073:
	s_wait_loadcnt 0x0
	global_load_u16 v0, v[4:5], off
	s_wait_loadcnt 0x0
	v_cvt_f64_u32_e32 v[0:1], v0
.LBB6_1074:
	s_mov_b32 s13, 0
.LBB6_1075:
	s_delay_alu instid0(SALU_CYCLE_1)
	s_and_not1_b32 vcc_lo, exec_lo, s13
	s_cbranch_vccnz .LBB6_1083
; %bb.1076:
	global_load_u8 v3, v[4:5], off
	s_mov_b32 s13, 0
	s_mov_b32 s17, exec_lo
	s_wait_loadcnt 0x0
	v_cmpx_lt_i16_e32 0x7f, v3
	s_xor_b32 s17, exec_lo, s17
	s_cbranch_execz .LBB6_1096
; %bb.1077:
	s_mov_b32 s13, -1
	s_mov_b32 s18, exec_lo
	v_cmpx_eq_u16_e32 0x80, v3
; %bb.1078:
	s_xor_b32 s13, exec_lo, -1
; %bb.1079:
	s_or_b32 exec_lo, exec_lo, s18
	s_delay_alu instid0(SALU_CYCLE_1)
	s_and_b32 s13, s13, exec_lo
	s_or_saveexec_b32 s17, s17
	v_mov_b64_e32 v[0:1], 0x7ff8000020000000
	s_xor_b32 exec_lo, exec_lo, s17
	s_cbranch_execnz .LBB6_1097
.LBB6_1080:
	s_or_b32 exec_lo, exec_lo, s17
	s_and_saveexec_b32 s17, s13
	s_cbranch_execz .LBB6_1082
.LBB6_1081:
	v_and_b32_e32 v0, 0xffff, v3
	s_delay_alu instid0(VALU_DEP_1) | instskip(SKIP_1) | instid1(VALU_DEP_2)
	v_and_b32_e32 v1, 7, v0
	v_bfe_u32 v8, v0, 3, 4
	v_clz_i32_u32_e32 v6, v1
	s_delay_alu instid0(VALU_DEP_2) | instskip(NEXT) | instid1(VALU_DEP_2)
	v_cmp_eq_u32_e32 vcc_lo, 0, v8
	v_min_u32_e32 v6, 32, v6
	s_delay_alu instid0(VALU_DEP_1) | instskip(NEXT) | instid1(VALU_DEP_1)
	v_subrev_nc_u32_e32 v7, 28, v6
	v_dual_lshlrev_b32 v0, v7, v0 :: v_dual_sub_nc_u32 v6, 29, v6
	s_delay_alu instid0(VALU_DEP_1) | instskip(NEXT) | instid1(VALU_DEP_1)
	v_dual_lshlrev_b32 v3, 24, v3 :: v_dual_bitop2_b32 v0, 7, v0 bitop3:0x40
	v_dual_cndmask_b32 v6, v8, v6, vcc_lo :: v_dual_cndmask_b32 v0, v1, v0, vcc_lo
	s_delay_alu instid0(VALU_DEP_2) | instskip(NEXT) | instid1(VALU_DEP_2)
	v_and_b32_e32 v1, 0x80000000, v3
	v_lshl_add_u32 v3, v6, 23, 0x3b800000
	s_delay_alu instid0(VALU_DEP_3) | instskip(NEXT) | instid1(VALU_DEP_1)
	v_lshlrev_b32_e32 v0, 20, v0
	v_or3_b32 v0, v1, v3, v0
	s_delay_alu instid0(VALU_DEP_1)
	v_cvt_f64_f32_e32 v[0:1], v0
.LBB6_1082:
	s_or_b32 exec_lo, exec_lo, s17
.LBB6_1083:
	s_mov_b32 s17, -1
.LBB6_1084:
	s_branch .LBB6_1116
.LBB6_1085:
	s_cmp_gt_i32 s14, 22
	s_cbranch_scc0 .LBB6_1095
; %bb.1086:
	s_cmp_lt_i32 s14, 24
	s_cbranch_scc1 .LBB6_1098
; %bb.1087:
	s_cmp_gt_i32 s14, 24
	s_cbranch_scc0 .LBB6_1099
; %bb.1088:
	global_load_u8 v3, v[4:5], off
	s_mov_b32 s13, exec_lo
	s_wait_loadcnt 0x0
	v_cmpx_lt_i16_e32 0x7f, v3
	s_xor_b32 s13, exec_lo, s13
	s_cbranch_execz .LBB6_1110
; %bb.1089:
	s_mov_b32 s1, -1
	s_mov_b32 s17, exec_lo
	v_cmpx_eq_u16_e32 0x80, v3
; %bb.1090:
	s_xor_b32 s1, exec_lo, -1
; %bb.1091:
	s_or_b32 exec_lo, exec_lo, s17
	s_delay_alu instid0(SALU_CYCLE_1)
	s_and_b32 s1, s1, exec_lo
	s_or_saveexec_b32 s13, s13
	v_mov_b64_e32 v[0:1], 0x7ff8000020000000
	s_xor_b32 exec_lo, exec_lo, s13
	s_cbranch_execnz .LBB6_1111
.LBB6_1092:
	s_or_b32 exec_lo, exec_lo, s13
	s_and_saveexec_b32 s13, s1
	s_cbranch_execz .LBB6_1094
.LBB6_1093:
	v_and_b32_e32 v0, 0xffff, v3
	s_delay_alu instid0(VALU_DEP_1) | instskip(SKIP_1) | instid1(VALU_DEP_2)
	v_and_b32_e32 v1, 3, v0
	v_bfe_u32 v8, v0, 2, 5
	v_clz_i32_u32_e32 v6, v1
	s_delay_alu instid0(VALU_DEP_2) | instskip(NEXT) | instid1(VALU_DEP_2)
	v_cmp_eq_u32_e32 vcc_lo, 0, v8
	v_min_u32_e32 v6, 32, v6
	s_delay_alu instid0(VALU_DEP_1) | instskip(NEXT) | instid1(VALU_DEP_1)
	v_subrev_nc_u32_e32 v7, 29, v6
	v_dual_lshlrev_b32 v0, v7, v0 :: v_dual_sub_nc_u32 v6, 30, v6
	s_delay_alu instid0(VALU_DEP_1) | instskip(NEXT) | instid1(VALU_DEP_1)
	v_dual_lshlrev_b32 v3, 24, v3 :: v_dual_bitop2_b32 v0, 3, v0 bitop3:0x40
	v_dual_cndmask_b32 v6, v8, v6, vcc_lo :: v_dual_cndmask_b32 v0, v1, v0, vcc_lo
	s_delay_alu instid0(VALU_DEP_2) | instskip(NEXT) | instid1(VALU_DEP_2)
	v_and_b32_e32 v1, 0x80000000, v3
	v_lshl_add_u32 v3, v6, 23, 0x37800000
	s_delay_alu instid0(VALU_DEP_3) | instskip(NEXT) | instid1(VALU_DEP_1)
	v_lshlrev_b32_e32 v0, 21, v0
	v_or3_b32 v0, v1, v3, v0
	s_delay_alu instid0(VALU_DEP_1)
	v_cvt_f64_f32_e32 v[0:1], v0
.LBB6_1094:
	s_or_b32 exec_lo, exec_lo, s13
	s_mov_b32 s1, 0
	s_branch .LBB6_1100
.LBB6_1095:
                                        ; implicit-def: $vgpr0_vgpr1
	s_mov_b32 s1, 0
	s_branch .LBB6_1106
.LBB6_1096:
	s_or_saveexec_b32 s17, s17
	v_mov_b64_e32 v[0:1], 0x7ff8000020000000
	s_xor_b32 exec_lo, exec_lo, s17
	s_cbranch_execz .LBB6_1080
.LBB6_1097:
	v_cmp_ne_u16_e32 vcc_lo, 0, v3
	v_mov_b64_e32 v[0:1], 0
	s_and_not1_b32 s13, s13, exec_lo
	s_and_b32 s18, vcc_lo, exec_lo
	s_delay_alu instid0(SALU_CYCLE_1)
	s_or_b32 s13, s13, s18
	s_or_b32 exec_lo, exec_lo, s17
	s_and_saveexec_b32 s17, s13
	s_cbranch_execnz .LBB6_1081
	s_branch .LBB6_1082
.LBB6_1098:
	s_mov_b32 s1, -1
                                        ; implicit-def: $vgpr0_vgpr1
	s_branch .LBB6_1103
.LBB6_1099:
	s_mov_b32 s1, -1
                                        ; implicit-def: $vgpr0_vgpr1
.LBB6_1100:
	s_delay_alu instid0(SALU_CYCLE_1)
	s_and_b32 vcc_lo, exec_lo, s1
	s_cbranch_vccz .LBB6_1102
; %bb.1101:
	s_wait_loadcnt 0x0
	global_load_u8 v0, v[4:5], off
	s_wait_loadcnt 0x0
	v_lshlrev_b32_e32 v0, 24, v0
	s_delay_alu instid0(VALU_DEP_1) | instskip(NEXT) | instid1(VALU_DEP_1)
	v_and_b32_e32 v1, 0x7f000000, v0
	v_clz_i32_u32_e32 v3, v1
	v_add_nc_u32_e32 v7, 0x1000000, v1
	v_cmp_ne_u32_e32 vcc_lo, 0, v1
	s_delay_alu instid0(VALU_DEP_3) | instskip(NEXT) | instid1(VALU_DEP_1)
	v_min_u32_e32 v3, 32, v3
	v_sub_nc_u32_e64 v3, v3, 4 clamp
	s_delay_alu instid0(VALU_DEP_1) | instskip(NEXT) | instid1(VALU_DEP_1)
	v_dual_lshlrev_b32 v6, v3, v1 :: v_dual_lshlrev_b32 v3, 23, v3
	v_lshrrev_b32_e32 v6, 4, v6
	s_delay_alu instid0(VALU_DEP_1) | instskip(SKIP_1) | instid1(VALU_DEP_2)
	v_sub_nc_u32_e32 v3, v6, v3
	v_ashrrev_i32_e32 v6, 8, v7
	v_add_nc_u32_e32 v3, 0x3c000000, v3
	s_delay_alu instid0(VALU_DEP_1) | instskip(NEXT) | instid1(VALU_DEP_1)
	v_and_or_b32 v3, 0x7f800000, v6, v3
	v_cndmask_b32_e32 v1, 0, v3, vcc_lo
	s_delay_alu instid0(VALU_DEP_1) | instskip(NEXT) | instid1(VALU_DEP_1)
	v_and_or_b32 v0, 0x80000000, v0, v1
	v_cvt_f64_f32_e32 v[0:1], v0
.LBB6_1102:
	s_mov_b32 s1, 0
.LBB6_1103:
	s_delay_alu instid0(SALU_CYCLE_1)
	s_and_not1_b32 vcc_lo, exec_lo, s1
	s_cbranch_vccnz .LBB6_1105
; %bb.1104:
	s_wait_loadcnt 0x0
	global_load_u8 v0, v[4:5], off
	s_wait_loadcnt 0x0
	v_lshlrev_b32_e32 v1, 25, v0
	v_lshlrev_b16 v0, 8, v0
	s_delay_alu instid0(VALU_DEP_1) | instskip(SKIP_1) | instid1(VALU_DEP_2)
	v_and_or_b32 v6, 0x7f00, v0, 0.5
	v_bfe_i32 v0, v0, 0, 16
	v_dual_add_f32 v6, -0.5, v6 :: v_dual_lshrrev_b32 v3, 4, v1
	v_cmp_gt_u32_e32 vcc_lo, 0x8000000, v1
	s_delay_alu instid0(VALU_DEP_2) | instskip(NEXT) | instid1(VALU_DEP_1)
	v_or_b32_e32 v3, 0x70000000, v3
	v_mul_f32_e32 v3, 0x7800000, v3
	s_delay_alu instid0(VALU_DEP_1) | instskip(NEXT) | instid1(VALU_DEP_1)
	v_cndmask_b32_e32 v1, v3, v6, vcc_lo
	v_and_or_b32 v0, 0x80000000, v0, v1
	s_delay_alu instid0(VALU_DEP_1)
	v_cvt_f64_f32_e32 v[0:1], v0
.LBB6_1105:
	s_mov_b32 s17, -1
	s_mov_b32 s1, 0
	s_cbranch_execnz .LBB6_1116
.LBB6_1106:
	s_cmp_gt_i32 s14, 14
	s_cbranch_scc0 .LBB6_1109
; %bb.1107:
	s_cmp_eq_u32 s14, 15
	s_cbranch_scc0 .LBB6_1112
; %bb.1108:
	s_wait_loadcnt 0x0
	global_load_u16 v0, v[4:5], off
	s_mov_b32 s0, 0
	s_mov_b32 s17, -1
	s_wait_loadcnt 0x0
	v_lshlrev_b32_e32 v0, 16, v0
	s_delay_alu instid0(VALU_DEP_1)
	v_cvt_f64_f32_e32 v[0:1], v0
	s_branch .LBB6_1114
.LBB6_1109:
	s_mov_b32 s1, -1
	s_branch .LBB6_1113
.LBB6_1110:
	s_or_saveexec_b32 s13, s13
	v_mov_b64_e32 v[0:1], 0x7ff8000020000000
	s_xor_b32 exec_lo, exec_lo, s13
	s_cbranch_execz .LBB6_1092
.LBB6_1111:
	v_cmp_ne_u16_e32 vcc_lo, 0, v3
	v_mov_b64_e32 v[0:1], 0
	s_and_not1_b32 s1, s1, exec_lo
	s_and_b32 s17, vcc_lo, exec_lo
	s_delay_alu instid0(SALU_CYCLE_1)
	s_or_b32 s1, s1, s17
	s_or_b32 exec_lo, exec_lo, s13
	s_and_saveexec_b32 s13, s1
	s_cbranch_execnz .LBB6_1093
	s_branch .LBB6_1094
.LBB6_1112:
	s_mov_b32 s0, -1
.LBB6_1113:
                                        ; implicit-def: $vgpr0_vgpr1
.LBB6_1114:
	s_and_b32 vcc_lo, exec_lo, s1
	s_mov_b32 s1, 0
	s_cbranch_vccz .LBB6_1116
; %bb.1115:
	s_cmp_lg_u32 s14, 11
	s_mov_b32 s1, -1
	s_cselect_b32 s0, -1, 0
.LBB6_1116:
	s_delay_alu instid0(SALU_CYCLE_1)
	s_and_b32 vcc_lo, exec_lo, s0
	s_mov_b32 s13, s16
	s_cbranch_vccnz .LBB6_1179
; %bb.1117:
	s_and_not1_b32 vcc_lo, exec_lo, s1
	s_cbranch_vccnz .LBB6_1119
.LBB6_1118:
	s_wait_loadcnt 0x0
	global_load_u8 v0, v[4:5], off
	s_mov_b32 s17, -1
	s_wait_loadcnt 0x0
	v_cmp_ne_u16_e32 vcc_lo, 0, v0
	v_mov_b32_e32 v0, 0
	v_cndmask_b32_e64 v1, 0, 0x3ff00000, vcc_lo
.LBB6_1119:
	s_branch .LBB6_1048
.LBB6_1120:
	s_cmp_lt_i32 s14, 5
	s_cbranch_scc1 .LBB6_1125
; %bb.1121:
	s_cmp_lt_i32 s14, 8
	s_cbranch_scc1 .LBB6_1126
; %bb.1122:
	;; [unrolled: 3-line block ×3, first 2 shown]
	s_cmp_gt_i32 s14, 9
	s_cbranch_scc0 .LBB6_1128
; %bb.1124:
	s_wait_loadcnt 0x0
	global_load_b64 v[0:1], v[4:5], off
	s_mov_b32 s0, 0
	s_branch .LBB6_1129
.LBB6_1125:
                                        ; implicit-def: $vgpr0_vgpr1
	s_branch .LBB6_1146
.LBB6_1126:
                                        ; implicit-def: $vgpr0_vgpr1
	s_branch .LBB6_1135
.LBB6_1127:
	s_mov_b32 s0, -1
                                        ; implicit-def: $vgpr0_vgpr1
	s_branch .LBB6_1132
.LBB6_1128:
	s_mov_b32 s0, -1
                                        ; implicit-def: $vgpr0_vgpr1
.LBB6_1129:
	s_delay_alu instid0(SALU_CYCLE_1)
	s_and_not1_b32 vcc_lo, exec_lo, s0
	s_cbranch_vccnz .LBB6_1131
; %bb.1130:
	s_wait_loadcnt 0x0
	global_load_b32 v0, v[4:5], off
	s_wait_loadcnt 0x0
	v_cvt_f64_f32_e32 v[0:1], v0
.LBB6_1131:
	s_mov_b32 s0, 0
.LBB6_1132:
	s_delay_alu instid0(SALU_CYCLE_1)
	s_and_not1_b32 vcc_lo, exec_lo, s0
	s_cbranch_vccnz .LBB6_1134
; %bb.1133:
	s_wait_loadcnt 0x0
	global_load_b32 v0, v[4:5], off
	s_wait_loadcnt 0x0
	v_cvt_f32_f16_e32 v0, v0
	s_delay_alu instid0(VALU_DEP_1)
	v_cvt_f64_f32_e32 v[0:1], v0
.LBB6_1134:
	s_cbranch_execnz .LBB6_1145
.LBB6_1135:
	s_cmp_lt_i32 s14, 6
	s_cbranch_scc1 .LBB6_1138
; %bb.1136:
	s_cmp_gt_i32 s14, 6
	s_cbranch_scc0 .LBB6_1139
; %bb.1137:
	s_wait_loadcnt 0x0
	global_load_b64 v[0:1], v[4:5], off
	s_mov_b32 s0, 0
	s_branch .LBB6_1140
.LBB6_1138:
	s_mov_b32 s0, -1
                                        ; implicit-def: $vgpr0_vgpr1
	s_branch .LBB6_1143
.LBB6_1139:
	s_mov_b32 s0, -1
                                        ; implicit-def: $vgpr0_vgpr1
.LBB6_1140:
	s_delay_alu instid0(SALU_CYCLE_1)
	s_and_not1_b32 vcc_lo, exec_lo, s0
	s_cbranch_vccnz .LBB6_1142
; %bb.1141:
	s_wait_loadcnt 0x0
	global_load_b32 v0, v[4:5], off
	s_wait_loadcnt 0x0
	v_cvt_f64_f32_e32 v[0:1], v0
.LBB6_1142:
	s_mov_b32 s0, 0
.LBB6_1143:
	s_delay_alu instid0(SALU_CYCLE_1)
	s_and_not1_b32 vcc_lo, exec_lo, s0
	s_cbranch_vccnz .LBB6_1145
; %bb.1144:
	s_wait_loadcnt 0x0
	global_load_u16 v0, v[4:5], off
	s_wait_loadcnt 0x0
	v_cvt_f32_f16_e32 v0, v0
	s_delay_alu instid0(VALU_DEP_1)
	v_cvt_f64_f32_e32 v[0:1], v0
.LBB6_1145:
	s_cbranch_execnz .LBB6_1164
.LBB6_1146:
	s_cmp_lt_i32 s14, 2
	s_cbranch_scc1 .LBB6_1150
; %bb.1147:
	s_cmp_lt_i32 s14, 3
	s_cbranch_scc1 .LBB6_1151
; %bb.1148:
	s_cmp_gt_i32 s14, 3
	s_cbranch_scc0 .LBB6_1152
; %bb.1149:
	s_wait_loadcnt 0x0
	global_load_b64 v[0:1], v[4:5], off
	s_mov_b32 s0, 0
	s_wait_loadcnt 0x0
	v_cvt_f64_i32_e32 v[6:7], v1
	v_cvt_f64_u32_e32 v[0:1], v0
	s_delay_alu instid0(VALU_DEP_2) | instskip(NEXT) | instid1(VALU_DEP_1)
	v_ldexp_f64 v[6:7], v[6:7], 32
	v_add_f64_e32 v[0:1], v[6:7], v[0:1]
	s_branch .LBB6_1153
.LBB6_1150:
                                        ; implicit-def: $vgpr0_vgpr1
	s_branch .LBB6_1159
.LBB6_1151:
	s_mov_b32 s0, -1
                                        ; implicit-def: $vgpr0_vgpr1
	s_branch .LBB6_1156
.LBB6_1152:
	s_mov_b32 s0, -1
                                        ; implicit-def: $vgpr0_vgpr1
.LBB6_1153:
	s_delay_alu instid0(SALU_CYCLE_1)
	s_and_not1_b32 vcc_lo, exec_lo, s0
	s_cbranch_vccnz .LBB6_1155
; %bb.1154:
	s_wait_loadcnt 0x0
	global_load_b32 v0, v[4:5], off
	s_wait_loadcnt 0x0
	v_cvt_f64_i32_e32 v[0:1], v0
.LBB6_1155:
	s_mov_b32 s0, 0
.LBB6_1156:
	s_delay_alu instid0(SALU_CYCLE_1)
	s_and_not1_b32 vcc_lo, exec_lo, s0
	s_cbranch_vccnz .LBB6_1158
; %bb.1157:
	s_wait_loadcnt 0x0
	global_load_i16 v0, v[4:5], off
	s_wait_loadcnt 0x0
	v_cvt_f64_i32_e32 v[0:1], v0
.LBB6_1158:
	s_cbranch_execnz .LBB6_1164
.LBB6_1159:
	s_cmp_gt_i32 s14, 0
	s_mov_b32 s0, 0
	s_cbranch_scc0 .LBB6_1161
; %bb.1160:
	s_wait_loadcnt 0x0
	global_load_i8 v0, v[4:5], off
	s_wait_loadcnt 0x0
	v_cvt_f64_i32_e32 v[0:1], v0
	s_branch .LBB6_1162
.LBB6_1161:
	s_mov_b32 s0, -1
                                        ; implicit-def: $vgpr0_vgpr1
.LBB6_1162:
	s_delay_alu instid0(SALU_CYCLE_1)
	s_and_not1_b32 vcc_lo, exec_lo, s0
	s_cbranch_vccnz .LBB6_1164
; %bb.1163:
	s_wait_loadcnt 0x0
	global_load_u8 v0, v[4:5], off
	s_wait_loadcnt 0x0
	v_cvt_f64_u32_e32 v[0:1], v0
.LBB6_1164:
                                        ; implicit-def: $vgpr10_vgpr11
.LBB6_1165:
	s_wait_loadcnt 0x0
	s_delay_alu instid0(VALU_DEP_1) | instskip(SKIP_1) | instid1(VALU_DEP_1)
	v_mul_f64_e32 v[4:5], s[8:9], v[0:1]
	s_mov_b32 s17, exec_lo
	v_cmpx_nlt_f64_e32 s[10:11], v[4:5]
	s_cbranch_execz .LBB6_1167
; %bb.1166:
	v_mul_f64_e32 v[0:1], 0x3ff71547652b82fe, v[4:5]
	s_mov_b64 s[0:1], 0x3e5ade156a5dcb37
	v_cmp_nlt_f64_e32 vcc_lo, 0x40900000, v[4:5]
	s_delay_alu instid0(VALU_DEP_2) | instskip(NEXT) | instid1(VALU_DEP_1)
	v_rndne_f64_e32 v[0:1], v[0:1]
	v_fmamk_f64 v[6:7], v[0:1], 0xbfe62e42fefa39ef, v[4:5]
	v_cvt_i32_f64_e32 v3, v[0:1]
	s_delay_alu instid0(VALU_DEP_2) | instskip(NEXT) | instid1(VALU_DEP_1)
	v_fmamk_f64 v[6:7], v[0:1], 0xbc7abc9e3b39803f, v[6:7]
	v_fmaak_f64 v[8:9], s[0:1], v[6:7], 0x3e928af3fca7ab0c
	v_cmp_ngt_f64_e64 s0, 0xc090cc00, v[4:5]
	s_delay_alu instid0(VALU_DEP_2) | instskip(NEXT) | instid1(VALU_DEP_1)
	v_fmaak_f64 v[8:9], v[6:7], v[8:9], 0x3ec71dee623fde64
	v_fmaak_f64 v[8:9], v[6:7], v[8:9], 0x3efa01997c89e6b0
	s_delay_alu instid0(VALU_DEP_1) | instskip(NEXT) | instid1(VALU_DEP_1)
	v_fmaak_f64 v[8:9], v[6:7], v[8:9], 0x3f2a01a014761f6e
	v_fmaak_f64 v[8:9], v[6:7], v[8:9], 0x3f56c16c1852b7b0
	s_delay_alu instid0(VALU_DEP_1) | instskip(NEXT) | instid1(VALU_DEP_1)
	;; [unrolled: 3-line block ×4, first 2 shown]
	v_fma_f64 v[8:9], v[6:7], v[8:9], 1.0
	v_fma_f64 v[0:1], v[6:7], v[8:9], 1.0
	s_delay_alu instid0(VALU_DEP_1) | instskip(NEXT) | instid1(VALU_DEP_1)
	v_ldexp_f64 v[0:1], v[0:1], v3
	v_cndmask_b32_e32 v1, 0x7ff00000, v1, vcc_lo
	s_and_b32 vcc_lo, s0, vcc_lo
	s_delay_alu instid0(VALU_DEP_1) | instid1(SALU_CYCLE_1)
	v_dual_cndmask_b32 v0, 0, v0, vcc_lo :: v_dual_cndmask_b32 v1, 0, v1, s0
	s_mov_b64 s[0:1], 0x3fe5555555555555
	s_delay_alu instid0(VALU_DEP_1) | instskip(NEXT) | instid1(VALU_DEP_1)
	v_add_f64_e32 v[4:5], 1.0, v[0:1]
	v_frexp_mant_f64_e32 v[6:7], v[4:5]
	v_frexp_exp_i32_f64_e32 v3, v[4:5]
	s_delay_alu instid0(VALU_DEP_2) | instskip(SKIP_1) | instid1(VALU_DEP_2)
	v_cmp_gt_f64_e32 vcc_lo, s[0:1], v[6:7]
	s_mov_b64 s[0:1], 0x3fc3ab76bf559e2b
	v_subrev_co_ci_u32_e64 v3, null, 0, v3, vcc_lo
	v_cmp_nge_f64_e32 vcc_lo, -1.0, v[0:1]
	s_delay_alu instid0(VALU_DEP_2) | instskip(NEXT) | instid1(VALU_DEP_1)
	v_dual_add_f64 v[8:9], -1.0, v[4:5] :: v_dual_sub_nc_u32 v13, 0, v3
	v_add_f64_e64 v[6:7], v[8:9], -v[4:5]
	s_delay_alu instid0(VALU_DEP_2) | instskip(SKIP_1) | instid1(VALU_DEP_3)
	v_ldexp_f64 v[4:5], v[4:5], v13
	v_add_f64_e64 v[8:9], v[0:1], -v[8:9]
	v_add_f64_e32 v[6:7], 1.0, v[6:7]
	s_delay_alu instid0(VALU_DEP_3) | instskip(SKIP_1) | instid1(VALU_DEP_3)
	v_add_f64_e32 v[10:11], 1.0, v[4:5]
	v_add_f64_e32 v[18:19], -1.0, v[4:5]
	v_add_f64_e32 v[6:7], v[8:9], v[6:7]
	s_delay_alu instid0(VALU_DEP_3) | instskip(NEXT) | instid1(VALU_DEP_3)
	v_add_f64_e32 v[8:9], -1.0, v[10:11]
	v_add_f64_e32 v[20:21], 1.0, v[18:19]
	s_delay_alu instid0(VALU_DEP_3) | instskip(NEXT) | instid1(VALU_DEP_3)
	v_ldexp_f64 v[6:7], v[6:7], v13
	v_add_f64_e64 v[8:9], v[4:5], -v[8:9]
	s_delay_alu instid0(VALU_DEP_3) | instskip(NEXT) | instid1(VALU_DEP_2)
	v_add_f64_e64 v[4:5], v[4:5], -v[20:21]
	v_add_f64_e32 v[8:9], v[6:7], v[8:9]
	s_delay_alu instid0(VALU_DEP_2) | instskip(NEXT) | instid1(VALU_DEP_2)
	v_add_f64_e32 v[4:5], v[6:7], v[4:5]
	v_add_f64_e32 v[14:15], v[10:11], v[8:9]
	s_delay_alu instid0(VALU_DEP_2) | instskip(NEXT) | instid1(VALU_DEP_2)
	v_add_f64_e32 v[20:21], v[18:19], v[4:5]
	v_rcp_f64_e32 v[16:17], v[14:15]
	v_add_f64_e64 v[10:11], v[14:15], -v[10:11]
	s_delay_alu instid0(VALU_DEP_2) | instskip(NEXT) | instid1(VALU_DEP_2)
	v_add_f64_e64 v[18:19], v[20:21], -v[18:19]
	v_add_f64_e64 v[8:9], v[8:9], -v[10:11]
	s_delay_alu instid0(VALU_DEP_2) | instskip(NEXT) | instid1(TRANS32_DEP_1)
	v_add_f64_e64 v[4:5], v[4:5], -v[18:19]
	v_fma_f64 v[22:23], -v[14:15], v[16:17], 1.0
	s_delay_alu instid0(VALU_DEP_1) | instskip(NEXT) | instid1(VALU_DEP_1)
	v_fmac_f64_e32 v[16:17], v[22:23], v[16:17]
	v_fma_f64 v[6:7], -v[14:15], v[16:17], 1.0
	s_delay_alu instid0(VALU_DEP_1) | instskip(NEXT) | instid1(VALU_DEP_1)
	v_fmac_f64_e32 v[16:17], v[6:7], v[16:17]
	v_mul_f64_e32 v[6:7], v[20:21], v[16:17]
	s_delay_alu instid0(VALU_DEP_1) | instskip(NEXT) | instid1(VALU_DEP_1)
	v_mul_f64_e32 v[22:23], v[14:15], v[6:7]
	v_fma_f64 v[10:11], v[6:7], v[14:15], -v[22:23]
	s_delay_alu instid0(VALU_DEP_1) | instskip(NEXT) | instid1(VALU_DEP_1)
	v_fmac_f64_e32 v[10:11], v[6:7], v[8:9]
	v_add_f64_e32 v[24:25], v[22:23], v[10:11]
	s_delay_alu instid0(VALU_DEP_1) | instskip(SKIP_1) | instid1(VALU_DEP_2)
	v_add_f64_e64 v[26:27], v[20:21], -v[24:25]
	v_add_f64_e64 v[18:19], v[24:25], -v[22:23]
	;; [unrolled: 1-line block ×3, first 2 shown]
	s_delay_alu instid0(VALU_DEP_2) | instskip(NEXT) | instid1(VALU_DEP_2)
	v_add_f64_e64 v[10:11], v[18:19], -v[10:11]
	v_add_f64_e64 v[20:21], v[20:21], -v[24:25]
	s_delay_alu instid0(VALU_DEP_1) | instskip(NEXT) | instid1(VALU_DEP_1)
	v_add_f64_e32 v[4:5], v[4:5], v[20:21]
	v_add_f64_e32 v[4:5], v[10:11], v[4:5]
	s_delay_alu instid0(VALU_DEP_1) | instskip(NEXT) | instid1(VALU_DEP_1)
	v_add_f64_e32 v[10:11], v[26:27], v[4:5]
	v_mul_f64_e32 v[18:19], v[16:17], v[10:11]
	v_add_f64_e64 v[24:25], v[26:27], -v[10:11]
	s_delay_alu instid0(VALU_DEP_2) | instskip(NEXT) | instid1(VALU_DEP_2)
	v_mul_f64_e32 v[20:21], v[14:15], v[18:19]
	v_add_f64_e32 v[4:5], v[4:5], v[24:25]
	s_delay_alu instid0(VALU_DEP_2) | instskip(NEXT) | instid1(VALU_DEP_1)
	v_fma_f64 v[14:15], v[18:19], v[14:15], -v[20:21]
	v_fmac_f64_e32 v[14:15], v[18:19], v[8:9]
	s_delay_alu instid0(VALU_DEP_1) | instskip(NEXT) | instid1(VALU_DEP_1)
	v_add_f64_e32 v[8:9], v[20:21], v[14:15]
	v_add_f64_e64 v[22:23], v[10:11], -v[8:9]
	v_add_f64_e64 v[20:21], v[8:9], -v[20:21]
	s_delay_alu instid0(VALU_DEP_2) | instskip(NEXT) | instid1(VALU_DEP_1)
	v_add_f64_e64 v[10:11], v[10:11], -v[22:23]
	v_add_f64_e64 v[8:9], v[10:11], -v[8:9]
	s_delay_alu instid0(VALU_DEP_3) | instskip(NEXT) | instid1(VALU_DEP_2)
	v_add_f64_e64 v[10:11], v[20:21], -v[14:15]
	v_add_f64_e32 v[4:5], v[4:5], v[8:9]
	v_add_f64_e32 v[8:9], v[6:7], v[18:19]
	s_delay_alu instid0(VALU_DEP_2) | instskip(NEXT) | instid1(VALU_DEP_2)
	v_add_f64_e32 v[4:5], v[10:11], v[4:5]
	v_add_f64_e64 v[6:7], v[8:9], -v[6:7]
	s_delay_alu instid0(VALU_DEP_2) | instskip(NEXT) | instid1(VALU_DEP_2)
	v_add_f64_e32 v[4:5], v[22:23], v[4:5]
	v_add_f64_e64 v[6:7], v[18:19], -v[6:7]
	s_delay_alu instid0(VALU_DEP_2) | instskip(NEXT) | instid1(VALU_DEP_1)
	v_mul_f64_e32 v[4:5], v[16:17], v[4:5]
	v_add_f64_e32 v[4:5], v[6:7], v[4:5]
	s_delay_alu instid0(VALU_DEP_1) | instskip(NEXT) | instid1(VALU_DEP_1)
	v_add_f64_e32 v[6:7], v[8:9], v[4:5]
	v_mul_f64_e32 v[10:11], v[6:7], v[6:7]
	s_delay_alu instid0(VALU_DEP_1) | instskip(SKIP_2) | instid1(VALU_DEP_2)
	v_fmaak_f64 v[14:15], s[0:1], v[10:11], 0x3fc385386b47b09a
	v_mul_f64_e32 v[16:17], v[6:7], v[10:11]
	s_mov_b64 s[0:1], 0x3fe62e42fefa39ef
	v_fmaak_f64 v[14:15], v[10:11], v[14:15], 0x3fc7474dd7f4df2e
	s_delay_alu instid0(VALU_DEP_1) | instskip(NEXT) | instid1(VALU_DEP_1)
	v_fmaak_f64 v[14:15], v[10:11], v[14:15], 0x3fcc71c016291751
	v_fmaak_f64 v[14:15], v[10:11], v[14:15], 0x3fd249249b27acf1
	s_delay_alu instid0(VALU_DEP_1) | instskip(NEXT) | instid1(VALU_DEP_1)
	v_fmaak_f64 v[14:15], v[10:11], v[14:15], 0x3fd99999998ef7b6
	v_fmaak_f64 v[10:11], v[10:11], v[14:15], 0x3fe5555555555780
	v_ldexp_f64 v[14:15], v[6:7], 1
	v_add_f64_e64 v[6:7], v[6:7], -v[8:9]
	s_delay_alu instid0(VALU_DEP_3) | instskip(SKIP_1) | instid1(VALU_DEP_3)
	v_mul_f64_e32 v[10:11], v[16:17], v[10:11]
	v_cvt_f64_i32_e32 v[16:17], v3
	v_add_f64_e64 v[4:5], v[4:5], -v[6:7]
	s_delay_alu instid0(VALU_DEP_3) | instskip(NEXT) | instid1(VALU_DEP_2)
	v_add_f64_e32 v[8:9], v[14:15], v[10:11]
	v_ldexp_f64 v[4:5], v[4:5], 1
	s_delay_alu instid0(VALU_DEP_2) | instskip(SKIP_1) | instid1(VALU_DEP_2)
	v_add_f64_e64 v[6:7], v[8:9], -v[14:15]
	v_mul_f64_e32 v[14:15], 0x3fe62e42fefa39ef, v[16:17]
	v_add_f64_e64 v[6:7], v[10:11], -v[6:7]
	s_delay_alu instid0(VALU_DEP_2) | instskip(SKIP_2) | instid1(VALU_DEP_4)
	v_fma_f64 v[10:11], v[16:17], s[0:1], -v[14:15]
	v_cmp_neq_f64_e64 s0, 0x7ff00000, v[0:1]
	v_cmp_ngt_f64_e64 s1, -1.0, v[0:1]
	v_add_f64_e32 v[4:5], v[4:5], v[6:7]
	s_delay_alu instid0(VALU_DEP_4) | instskip(SKIP_1) | instid1(VALU_DEP_1)
	v_fmamk_f64 v[6:7], v[16:17], 0x3c7abc9e3b39803f, v[10:11]
	s_and_b32 vcc_lo, vcc_lo, s0
	v_add_f64_e32 v[10:11], v[14:15], v[6:7]
	s_delay_alu instid0(VALU_DEP_3) | instskip(NEXT) | instid1(VALU_DEP_2)
	v_add_f64_e32 v[16:17], v[8:9], v[4:5]
	v_add_f64_e64 v[14:15], v[10:11], -v[14:15]
	s_delay_alu instid0(VALU_DEP_2) | instskip(SKIP_1) | instid1(VALU_DEP_3)
	v_add_f64_e32 v[18:19], v[10:11], v[16:17]
	v_add_f64_e64 v[8:9], v[16:17], -v[8:9]
	v_add_f64_e64 v[6:7], v[6:7], -v[14:15]
	s_delay_alu instid0(VALU_DEP_3) | instskip(NEXT) | instid1(VALU_DEP_3)
	v_add_f64_e64 v[20:21], v[18:19], -v[10:11]
	v_add_f64_e64 v[4:5], v[4:5], -v[8:9]
	s_delay_alu instid0(VALU_DEP_2) | instskip(SKIP_1) | instid1(VALU_DEP_3)
	v_add_f64_e64 v[22:23], v[18:19], -v[20:21]
	v_add_f64_e64 v[8:9], v[16:17], -v[20:21]
	v_add_f64_e32 v[14:15], v[6:7], v[4:5]
	s_delay_alu instid0(VALU_DEP_3) | instskip(NEXT) | instid1(VALU_DEP_1)
	v_add_f64_e64 v[10:11], v[10:11], -v[22:23]
	v_add_f64_e32 v[8:9], v[8:9], v[10:11]
	s_delay_alu instid0(VALU_DEP_3) | instskip(NEXT) | instid1(VALU_DEP_2)
	v_add_f64_e64 v[10:11], v[14:15], -v[6:7]
	v_add_f64_e32 v[8:9], v[14:15], v[8:9]
	s_delay_alu instid0(VALU_DEP_2) | instskip(SKIP_1) | instid1(VALU_DEP_3)
	v_add_f64_e64 v[14:15], v[14:15], -v[10:11]
	v_add_f64_e64 v[4:5], v[4:5], -v[10:11]
	v_add_f64_e32 v[16:17], v[18:19], v[8:9]
	s_delay_alu instid0(VALU_DEP_3) | instskip(NEXT) | instid1(VALU_DEP_2)
	v_add_f64_e64 v[6:7], v[6:7], -v[14:15]
	v_add_f64_e64 v[10:11], v[16:17], -v[18:19]
	s_delay_alu instid0(VALU_DEP_2) | instskip(NEXT) | instid1(VALU_DEP_2)
	v_add_f64_e32 v[4:5], v[4:5], v[6:7]
	v_add_f64_e64 v[6:7], v[8:9], -v[10:11]
	s_delay_alu instid0(VALU_DEP_1) | instskip(NEXT) | instid1(VALU_DEP_1)
	v_add_f64_e32 v[4:5], v[4:5], v[6:7]
	v_add_f64_e32 v[4:5], v[16:17], v[4:5]
	s_delay_alu instid0(VALU_DEP_1) | instskip(SKIP_1) | instid1(VALU_DEP_3)
	v_cndmask_b32_e32 v4, 0, v4, vcc_lo
	v_cmp_neq_f64_e32 vcc_lo, -1.0, v[0:1]
	v_cndmask_b32_e64 v3, 0x7ff00000, v5, s0
	s_delay_alu instid0(VALU_DEP_1) | instskip(NEXT) | instid1(VALU_DEP_1)
	v_cndmask_b32_e64 v3, 0x7ff80000, v3, s1
	v_cndmask_b32_e32 v5, 0xfff00000, v3, vcc_lo
	s_delay_alu instid0(VALU_DEP_1) | instskip(NEXT) | instid1(VALU_DEP_1)
	v_div_scale_f64 v[0:1], null, s[8:9], s[8:9], v[4:5]
	v_rcp_f64_e32 v[6:7], v[0:1]
	v_nop
	s_delay_alu instid0(TRANS32_DEP_1) | instskip(NEXT) | instid1(VALU_DEP_1)
	v_fma_f64 v[8:9], -v[0:1], v[6:7], 1.0
	v_fmac_f64_e32 v[6:7], v[6:7], v[8:9]
	s_delay_alu instid0(VALU_DEP_1) | instskip(NEXT) | instid1(VALU_DEP_1)
	v_fma_f64 v[8:9], -v[0:1], v[6:7], 1.0
	v_fmac_f64_e32 v[6:7], v[6:7], v[8:9]
	v_div_scale_f64 v[8:9], vcc_lo, v[4:5], s[8:9], v[4:5]
	s_delay_alu instid0(VALU_DEP_1) | instskip(NEXT) | instid1(VALU_DEP_1)
	v_mul_f64_e32 v[10:11], v[8:9], v[6:7]
	v_fma_f64 v[0:1], -v[0:1], v[10:11], v[8:9]
	s_delay_alu instid0(VALU_DEP_1) | instskip(NEXT) | instid1(VALU_DEP_1)
	v_div_fmas_f64 v[0:1], v[0:1], v[6:7], v[10:11]
	v_div_fixup_f64 v[0:1], v[0:1], s[8:9], v[4:5]
.LBB6_1167:
	s_or_b32 exec_lo, exec_lo, s17
	s_lshl_b32 s3, s3, 7
	s_cmp_lt_i32 s14, 11
	v_add_nc_u32_e32 v2, s3, v2
	s_delay_alu instid0(VALU_DEP_1) | instskip(NEXT) | instid1(VALU_DEP_1)
	v_ashrrev_i32_e32 v3, 31, v2
	v_add_nc_u64_e32 v[6:7], s[6:7], v[2:3]
	s_cbranch_scc1 .LBB6_1174
; %bb.1168:
	s_cmp_gt_i32 s14, 25
	s_mov_b32 s1, 0
	s_cbranch_scc0 .LBB6_1176
; %bb.1169:
	s_cmp_gt_i32 s14, 28
	s_cbranch_scc0 .LBB6_1177
; %bb.1170:
	s_cmp_gt_i32 s14, 43
	;; [unrolled: 3-line block ×3, first 2 shown]
	s_cbranch_scc0 .LBB6_1180
; %bb.1172:
	s_cmp_eq_u32 s14, 46
	s_mov_b32 s18, 0
	s_cbranch_scc0 .LBB6_1183
; %bb.1173:
	global_load_b32 v3, v[6:7], off
	s_mov_b32 s0, 0
	s_mov_b32 s17, -1
	s_wait_loadcnt 0x0
	v_lshlrev_b32_e32 v3, 16, v3
	s_delay_alu instid0(VALU_DEP_1)
	v_cvt_f64_f32_e32 v[4:5], v3
	s_branch .LBB6_1185
.LBB6_1174:
	s_mov_b32 s17, 0
                                        ; implicit-def: $vgpr4_vgpr5
	s_cbranch_execnz .LBB6_1250
.LBB6_1175:
	s_and_not1_b32 vcc_lo, exec_lo, s17
	s_cbranch_vccnz .LBB6_1642
	s_branch .LBB6_1297
.LBB6_1176:
	s_mov_b32 s17, 0
	s_mov_b32 s0, 0
                                        ; implicit-def: $vgpr4_vgpr5
	s_cbranch_execnz .LBB6_1214
	s_branch .LBB6_1246
.LBB6_1177:
	s_mov_b32 s18, -1
	s_mov_b32 s17, 0
	s_mov_b32 s0, 0
                                        ; implicit-def: $vgpr4_vgpr5
	s_branch .LBB6_1195
.LBB6_1178:
	s_mov_b32 s18, -1
	s_mov_b32 s17, 0
	s_mov_b32 s0, 0
                                        ; implicit-def: $vgpr4_vgpr5
	s_branch .LBB6_1190
.LBB6_1179:
	s_or_b32 s13, s16, exec_lo
	s_trap 2
	s_cbranch_execz .LBB6_1118
	s_branch .LBB6_1119
.LBB6_1180:
	s_mov_b32 s18, -1
	s_mov_b32 s17, 0
	s_mov_b32 s0, 0
	s_branch .LBB6_1184
.LBB6_1181:
	s_and_not1_saveexec_b32 s23, s23
	s_cbranch_execz .LBB6_964
.LBB6_1182:
	v_add_f32_e64 v3, 0x42800000, |v2|
	s_and_not1_b32 s22, s22, exec_lo
	s_delay_alu instid0(VALU_DEP_1) | instskip(NEXT) | instid1(VALU_DEP_1)
	v_and_b32_e32 v3, 0xff, v3
	v_cmp_ne_u32_e32 vcc_lo, 0, v3
	s_and_b32 s24, vcc_lo, exec_lo
	s_delay_alu instid0(SALU_CYCLE_1)
	s_or_b32 s22, s22, s24
	s_or_b32 exec_lo, exec_lo, s23
	v_mov_b32_e32 v6, 0
	s_and_saveexec_b32 s23, s22
	s_cbranch_execnz .LBB6_965
	s_branch .LBB6_966
.LBB6_1183:
	s_mov_b32 s0, -1
	s_mov_b32 s17, 0
.LBB6_1184:
                                        ; implicit-def: $vgpr4_vgpr5
.LBB6_1185:
	s_and_b32 vcc_lo, exec_lo, s18
	s_cbranch_vccz .LBB6_1189
; %bb.1186:
	s_cmp_eq_u32 s14, 44
	s_cbranch_scc0 .LBB6_1188
; %bb.1187:
	global_load_u8 v3, v[6:7], off
	s_mov_b32 s0, 0
	s_mov_b32 s17, -1
	s_wait_loadcnt 0x0
	v_cmp_ne_u32_e32 vcc_lo, 0xff, v3
	v_lshlrev_b32_e32 v4, 23, v3
	s_delay_alu instid0(VALU_DEP_1) | instskip(NEXT) | instid1(VALU_DEP_1)
	v_cvt_f64_f32_e32 v[4:5], v4
	v_cndmask_b32_e32 v4, 0x20000000, v4, vcc_lo
	s_delay_alu instid0(VALU_DEP_2) | instskip(SKIP_1) | instid1(VALU_DEP_2)
	v_cndmask_b32_e32 v5, 0x7ff80000, v5, vcc_lo
	v_cmp_ne_u32_e32 vcc_lo, 0, v3
	v_cndmask_b32_e32 v5, 0x38000000, v5, vcc_lo
	s_delay_alu instid0(VALU_DEP_4)
	v_cndmask_b32_e32 v4, 0, v4, vcc_lo
	s_branch .LBB6_1189
.LBB6_1188:
	s_mov_b32 s0, -1
                                        ; implicit-def: $vgpr4_vgpr5
.LBB6_1189:
	s_mov_b32 s18, 0
.LBB6_1190:
	s_delay_alu instid0(SALU_CYCLE_1)
	s_and_b32 vcc_lo, exec_lo, s18
	s_cbranch_vccz .LBB6_1194
; %bb.1191:
	s_cmp_eq_u32 s14, 29
	s_cbranch_scc0 .LBB6_1193
; %bb.1192:
	global_load_b64 v[4:5], v[6:7], off
	s_mov_b32 s0, 0
	s_mov_b32 s17, -1
	s_mov_b32 s18, 0
	s_wait_loadcnt 0x0
	v_cvt_f64_u32_e32 v[8:9], v5
	v_cvt_f64_u32_e32 v[4:5], v4
	s_delay_alu instid0(VALU_DEP_2) | instskip(NEXT) | instid1(VALU_DEP_1)
	v_ldexp_f64 v[8:9], v[8:9], 32
	v_add_f64_e32 v[4:5], v[8:9], v[4:5]
	s_branch .LBB6_1195
.LBB6_1193:
	s_mov_b32 s0, -1
                                        ; implicit-def: $vgpr4_vgpr5
.LBB6_1194:
	s_mov_b32 s18, 0
.LBB6_1195:
	s_delay_alu instid0(SALU_CYCLE_1)
	s_and_b32 vcc_lo, exec_lo, s18
	s_cbranch_vccz .LBB6_1213
; %bb.1196:
	s_cmp_lt_i32 s14, 27
	s_cbranch_scc1 .LBB6_1199
; %bb.1197:
	s_cmp_gt_i32 s14, 27
	s_cbranch_scc0 .LBB6_1200
; %bb.1198:
	global_load_b32 v3, v[6:7], off
	s_mov_b32 s17, 0
	s_wait_loadcnt 0x0
	v_cvt_f64_u32_e32 v[4:5], v3
	s_branch .LBB6_1201
.LBB6_1199:
	s_mov_b32 s17, -1
                                        ; implicit-def: $vgpr4_vgpr5
	s_branch .LBB6_1204
.LBB6_1200:
	s_mov_b32 s17, -1
                                        ; implicit-def: $vgpr4_vgpr5
.LBB6_1201:
	s_delay_alu instid0(SALU_CYCLE_1)
	s_and_not1_b32 vcc_lo, exec_lo, s17
	s_cbranch_vccnz .LBB6_1203
; %bb.1202:
	global_load_u16 v3, v[6:7], off
	s_wait_loadcnt 0x0
	v_cvt_f64_u32_e32 v[4:5], v3
.LBB6_1203:
	s_mov_b32 s17, 0
.LBB6_1204:
	s_delay_alu instid0(SALU_CYCLE_1)
	s_and_not1_b32 vcc_lo, exec_lo, s17
	s_cbranch_vccnz .LBB6_1212
; %bb.1205:
	global_load_u8 v3, v[6:7], off
	s_mov_b32 s17, 0
	s_mov_b32 s18, exec_lo
	s_wait_loadcnt 0x0
	v_cmpx_lt_i16_e32 0x7f, v3
	s_xor_b32 s18, exec_lo, s18
	s_cbranch_execz .LBB6_1225
; %bb.1206:
	s_mov_b32 s17, -1
	s_mov_b32 s19, exec_lo
	v_cmpx_eq_u16_e32 0x80, v3
; %bb.1207:
	s_xor_b32 s17, exec_lo, -1
; %bb.1208:
	s_or_b32 exec_lo, exec_lo, s19
	s_delay_alu instid0(SALU_CYCLE_1)
	s_and_b32 s17, s17, exec_lo
	s_or_saveexec_b32 s18, s18
	v_mov_b64_e32 v[4:5], 0x7ff8000020000000
	s_xor_b32 exec_lo, exec_lo, s18
	s_cbranch_execnz .LBB6_1226
.LBB6_1209:
	s_or_b32 exec_lo, exec_lo, s18
	s_and_saveexec_b32 s18, s17
	s_cbranch_execz .LBB6_1211
.LBB6_1210:
	v_and_b32_e32 v4, 0xffff, v3
	s_delay_alu instid0(VALU_DEP_1) | instskip(SKIP_1) | instid1(VALU_DEP_2)
	v_dual_lshlrev_b32 v3, 24, v3 :: v_dual_bitop2_b32 v5, 7, v4 bitop3:0x40
	v_bfe_u32 v10, v4, 3, 4
	v_and_b32_e32 v3, 0x80000000, v3
	s_delay_alu instid0(VALU_DEP_3) | instskip(NEXT) | instid1(VALU_DEP_3)
	v_clz_i32_u32_e32 v8, v5
	v_cmp_eq_u32_e32 vcc_lo, 0, v10
	s_delay_alu instid0(VALU_DEP_2) | instskip(NEXT) | instid1(VALU_DEP_1)
	v_min_u32_e32 v8, 32, v8
	v_subrev_nc_u32_e32 v9, 28, v8
	v_sub_nc_u32_e32 v8, 29, v8
	s_delay_alu instid0(VALU_DEP_2) | instskip(NEXT) | instid1(VALU_DEP_2)
	v_lshlrev_b32_e32 v4, v9, v4
	v_cndmask_b32_e32 v8, v10, v8, vcc_lo
	s_delay_alu instid0(VALU_DEP_2) | instskip(NEXT) | instid1(VALU_DEP_1)
	v_and_b32_e32 v4, 7, v4
	v_cndmask_b32_e32 v4, v5, v4, vcc_lo
	s_delay_alu instid0(VALU_DEP_3) | instskip(NEXT) | instid1(VALU_DEP_2)
	v_lshl_add_u32 v5, v8, 23, 0x3b800000
	v_lshlrev_b32_e32 v4, 20, v4
	s_delay_alu instid0(VALU_DEP_1) | instskip(NEXT) | instid1(VALU_DEP_1)
	v_or3_b32 v3, v3, v5, v4
	v_cvt_f64_f32_e32 v[4:5], v3
.LBB6_1211:
	s_or_b32 exec_lo, exec_lo, s18
.LBB6_1212:
	s_mov_b32 s17, -1
.LBB6_1213:
	s_branch .LBB6_1246
.LBB6_1214:
	s_cmp_gt_i32 s14, 22
	s_cbranch_scc0 .LBB6_1224
; %bb.1215:
	s_cmp_lt_i32 s14, 24
	s_cbranch_scc1 .LBB6_1227
; %bb.1216:
	s_cmp_gt_i32 s14, 24
	s_cbranch_scc0 .LBB6_1228
; %bb.1217:
	global_load_u8 v3, v[6:7], off
	s_mov_b32 s17, exec_lo
	s_wait_loadcnt 0x0
	v_cmpx_lt_i16_e32 0x7f, v3
	s_xor_b32 s17, exec_lo, s17
	s_cbranch_execz .LBB6_1240
; %bb.1218:
	s_mov_b32 s1, -1
	s_mov_b32 s18, exec_lo
	v_cmpx_eq_u16_e32 0x80, v3
; %bb.1219:
	s_xor_b32 s1, exec_lo, -1
; %bb.1220:
	s_or_b32 exec_lo, exec_lo, s18
	s_delay_alu instid0(SALU_CYCLE_1)
	s_and_b32 s1, s1, exec_lo
	s_or_saveexec_b32 s17, s17
	v_mov_b64_e32 v[4:5], 0x7ff8000020000000
	s_xor_b32 exec_lo, exec_lo, s17
	s_cbranch_execnz .LBB6_1241
.LBB6_1221:
	s_or_b32 exec_lo, exec_lo, s17
	s_and_saveexec_b32 s17, s1
	s_cbranch_execz .LBB6_1223
.LBB6_1222:
	v_and_b32_e32 v4, 0xffff, v3
	s_delay_alu instid0(VALU_DEP_1) | instskip(SKIP_1) | instid1(VALU_DEP_2)
	v_dual_lshlrev_b32 v3, 24, v3 :: v_dual_bitop2_b32 v5, 3, v4 bitop3:0x40
	v_bfe_u32 v10, v4, 2, 5
	v_and_b32_e32 v3, 0x80000000, v3
	s_delay_alu instid0(VALU_DEP_3) | instskip(NEXT) | instid1(VALU_DEP_3)
	v_clz_i32_u32_e32 v8, v5
	v_cmp_eq_u32_e32 vcc_lo, 0, v10
	s_delay_alu instid0(VALU_DEP_2) | instskip(NEXT) | instid1(VALU_DEP_1)
	v_min_u32_e32 v8, 32, v8
	v_subrev_nc_u32_e32 v9, 29, v8
	v_sub_nc_u32_e32 v8, 30, v8
	s_delay_alu instid0(VALU_DEP_2) | instskip(NEXT) | instid1(VALU_DEP_2)
	v_lshlrev_b32_e32 v4, v9, v4
	v_cndmask_b32_e32 v8, v10, v8, vcc_lo
	s_delay_alu instid0(VALU_DEP_2) | instskip(NEXT) | instid1(VALU_DEP_1)
	v_and_b32_e32 v4, 3, v4
	v_cndmask_b32_e32 v4, v5, v4, vcc_lo
	s_delay_alu instid0(VALU_DEP_3) | instskip(NEXT) | instid1(VALU_DEP_2)
	v_lshl_add_u32 v5, v8, 23, 0x37800000
	v_lshlrev_b32_e32 v4, 21, v4
	s_delay_alu instid0(VALU_DEP_1) | instskip(NEXT) | instid1(VALU_DEP_1)
	v_or3_b32 v3, v3, v5, v4
	v_cvt_f64_f32_e32 v[4:5], v3
.LBB6_1223:
	s_or_b32 exec_lo, exec_lo, s17
	s_mov_b32 s1, 0
	s_branch .LBB6_1229
.LBB6_1224:
	s_mov_b32 s1, -1
                                        ; implicit-def: $vgpr4_vgpr5
	s_branch .LBB6_1235
.LBB6_1225:
	s_or_saveexec_b32 s18, s18
	v_mov_b64_e32 v[4:5], 0x7ff8000020000000
	s_xor_b32 exec_lo, exec_lo, s18
	s_cbranch_execz .LBB6_1209
.LBB6_1226:
	v_cmp_ne_u16_e32 vcc_lo, 0, v3
	v_mov_b64_e32 v[4:5], 0
	s_and_not1_b32 s17, s17, exec_lo
	s_and_b32 s19, vcc_lo, exec_lo
	s_delay_alu instid0(SALU_CYCLE_1)
	s_or_b32 s17, s17, s19
	s_or_b32 exec_lo, exec_lo, s18
	s_and_saveexec_b32 s18, s17
	s_cbranch_execnz .LBB6_1210
	s_branch .LBB6_1211
.LBB6_1227:
	s_mov_b32 s1, -1
                                        ; implicit-def: $vgpr4_vgpr5
	s_branch .LBB6_1232
.LBB6_1228:
	s_mov_b32 s1, -1
                                        ; implicit-def: $vgpr4_vgpr5
.LBB6_1229:
	s_delay_alu instid0(SALU_CYCLE_1)
	s_and_b32 vcc_lo, exec_lo, s1
	s_cbranch_vccz .LBB6_1231
; %bb.1230:
	global_load_u8 v3, v[6:7], off
	s_wait_loadcnt 0x0
	v_lshlrev_b32_e32 v3, 24, v3
	s_delay_alu instid0(VALU_DEP_1) | instskip(NEXT) | instid1(VALU_DEP_1)
	v_and_b32_e32 v4, 0x7f000000, v3
	v_clz_i32_u32_e32 v5, v4
	v_cmp_ne_u32_e32 vcc_lo, 0, v4
	v_add_nc_u32_e32 v9, 0x1000000, v4
	s_delay_alu instid0(VALU_DEP_3) | instskip(NEXT) | instid1(VALU_DEP_1)
	v_min_u32_e32 v5, 32, v5
	v_sub_nc_u32_e64 v5, v5, 4 clamp
	s_delay_alu instid0(VALU_DEP_1) | instskip(NEXT) | instid1(VALU_DEP_1)
	v_dual_lshlrev_b32 v8, v5, v4 :: v_dual_lshlrev_b32 v5, 23, v5
	v_lshrrev_b32_e32 v8, 4, v8
	s_delay_alu instid0(VALU_DEP_1) | instskip(SKIP_1) | instid1(VALU_DEP_2)
	v_sub_nc_u32_e32 v5, v8, v5
	v_ashrrev_i32_e32 v8, 8, v9
	v_add_nc_u32_e32 v5, 0x3c000000, v5
	s_delay_alu instid0(VALU_DEP_1) | instskip(NEXT) | instid1(VALU_DEP_1)
	v_and_or_b32 v5, 0x7f800000, v8, v5
	v_cndmask_b32_e32 v4, 0, v5, vcc_lo
	s_delay_alu instid0(VALU_DEP_1) | instskip(NEXT) | instid1(VALU_DEP_1)
	v_and_or_b32 v3, 0x80000000, v3, v4
	v_cvt_f64_f32_e32 v[4:5], v3
.LBB6_1231:
	s_mov_b32 s1, 0
.LBB6_1232:
	s_delay_alu instid0(SALU_CYCLE_1)
	s_and_not1_b32 vcc_lo, exec_lo, s1
	s_cbranch_vccnz .LBB6_1234
; %bb.1233:
	global_load_u8 v3, v[6:7], off
	s_wait_loadcnt 0x0
	v_lshlrev_b32_e32 v4, 25, v3
	v_lshlrev_b16 v3, 8, v3
	s_delay_alu instid0(VALU_DEP_1) | instskip(SKIP_1) | instid1(VALU_DEP_2)
	v_and_or_b32 v8, 0x7f00, v3, 0.5
	v_bfe_i32 v3, v3, 0, 16
	v_add_f32_e32 v8, -0.5, v8
	v_lshrrev_b32_e32 v5, 4, v4
	v_cmp_gt_u32_e32 vcc_lo, 0x8000000, v4
	s_delay_alu instid0(VALU_DEP_2) | instskip(NEXT) | instid1(VALU_DEP_1)
	v_or_b32_e32 v5, 0x70000000, v5
	v_mul_f32_e32 v5, 0x7800000, v5
	s_delay_alu instid0(VALU_DEP_1) | instskip(NEXT) | instid1(VALU_DEP_1)
	v_cndmask_b32_e32 v4, v5, v8, vcc_lo
	v_and_or_b32 v3, 0x80000000, v3, v4
	s_delay_alu instid0(VALU_DEP_1)
	v_cvt_f64_f32_e32 v[4:5], v3
.LBB6_1234:
	s_mov_b32 s1, 0
	s_mov_b32 s17, -1
.LBB6_1235:
	s_and_not1_b32 vcc_lo, exec_lo, s1
	s_mov_b32 s1, 0
	s_cbranch_vccnz .LBB6_1246
; %bb.1236:
	s_cmp_gt_i32 s14, 14
	s_cbranch_scc0 .LBB6_1239
; %bb.1237:
	s_cmp_eq_u32 s14, 15
	s_cbranch_scc0 .LBB6_1242
; %bb.1238:
	global_load_u16 v3, v[6:7], off
	s_mov_b32 s0, 0
	s_mov_b32 s17, -1
	s_wait_loadcnt 0x0
	v_lshlrev_b32_e32 v3, 16, v3
	s_delay_alu instid0(VALU_DEP_1)
	v_cvt_f64_f32_e32 v[4:5], v3
	s_branch .LBB6_1244
.LBB6_1239:
	s_mov_b32 s1, -1
	s_branch .LBB6_1243
.LBB6_1240:
	s_or_saveexec_b32 s17, s17
	v_mov_b64_e32 v[4:5], 0x7ff8000020000000
	s_xor_b32 exec_lo, exec_lo, s17
	s_cbranch_execz .LBB6_1221
.LBB6_1241:
	v_cmp_ne_u16_e32 vcc_lo, 0, v3
	v_mov_b64_e32 v[4:5], 0
	s_and_not1_b32 s1, s1, exec_lo
	s_and_b32 s18, vcc_lo, exec_lo
	s_delay_alu instid0(SALU_CYCLE_1)
	s_or_b32 s1, s1, s18
	s_or_b32 exec_lo, exec_lo, s17
	s_and_saveexec_b32 s17, s1
	s_cbranch_execnz .LBB6_1222
	s_branch .LBB6_1223
.LBB6_1242:
	s_mov_b32 s0, -1
.LBB6_1243:
                                        ; implicit-def: $vgpr4_vgpr5
.LBB6_1244:
	s_and_b32 vcc_lo, exec_lo, s1
	s_mov_b32 s1, 0
	s_cbranch_vccz .LBB6_1246
; %bb.1245:
	s_cmp_lg_u32 s14, 11
	s_mov_b32 s1, -1
	s_cselect_b32 s0, -1, 0
.LBB6_1246:
	s_delay_alu instid0(SALU_CYCLE_1)
	s_and_b32 vcc_lo, exec_lo, s0
	s_cbranch_vccnz .LBB6_1311
; %bb.1247:
	s_and_not1_b32 vcc_lo, exec_lo, s1
	s_cbranch_vccnz .LBB6_1249
.LBB6_1248:
	global_load_u8 v3, v[6:7], off
	v_mov_b32_e32 v4, 0
	s_mov_b32 s17, -1
	s_wait_loadcnt 0x0
	v_cmp_ne_u16_e32 vcc_lo, 0, v3
	v_cndmask_b32_e64 v5, 0, 0x3ff00000, vcc_lo
.LBB6_1249:
	s_branch .LBB6_1175
.LBB6_1250:
	s_cmp_lt_i32 s14, 5
	s_cbranch_scc1 .LBB6_1255
; %bb.1251:
	s_cmp_lt_i32 s14, 8
	s_cbranch_scc1 .LBB6_1256
; %bb.1252:
	;; [unrolled: 3-line block ×3, first 2 shown]
	s_cmp_gt_i32 s14, 9
	s_cbranch_scc0 .LBB6_1258
; %bb.1254:
	global_load_b64 v[4:5], v[6:7], off
	s_mov_b32 s0, 0
	s_branch .LBB6_1259
.LBB6_1255:
                                        ; implicit-def: $vgpr4_vgpr5
	s_branch .LBB6_1277
.LBB6_1256:
	s_mov_b32 s0, -1
                                        ; implicit-def: $vgpr4_vgpr5
	s_branch .LBB6_1265
.LBB6_1257:
	s_mov_b32 s0, -1
                                        ; implicit-def: $vgpr4_vgpr5
	s_branch .LBB6_1262
.LBB6_1258:
	s_mov_b32 s0, -1
                                        ; implicit-def: $vgpr4_vgpr5
.LBB6_1259:
	s_delay_alu instid0(SALU_CYCLE_1)
	s_and_not1_b32 vcc_lo, exec_lo, s0
	s_cbranch_vccnz .LBB6_1261
; %bb.1260:
	global_load_b32 v3, v[6:7], off
	s_wait_loadcnt 0x0
	v_cvt_f64_f32_e32 v[4:5], v3
.LBB6_1261:
	s_mov_b32 s0, 0
.LBB6_1262:
	s_delay_alu instid0(SALU_CYCLE_1)
	s_and_not1_b32 vcc_lo, exec_lo, s0
	s_cbranch_vccnz .LBB6_1264
; %bb.1263:
	global_load_b32 v3, v[6:7], off
	s_wait_loadcnt 0x0
	v_cvt_f32_f16_e32 v3, v3
	s_delay_alu instid0(VALU_DEP_1)
	v_cvt_f64_f32_e32 v[4:5], v3
.LBB6_1264:
	s_mov_b32 s0, 0
.LBB6_1265:
	s_delay_alu instid0(SALU_CYCLE_1)
	s_and_not1_b32 vcc_lo, exec_lo, s0
	s_cbranch_vccnz .LBB6_1276
; %bb.1266:
	s_cmp_lt_i32 s14, 6
	s_cbranch_scc1 .LBB6_1269
; %bb.1267:
	s_cmp_gt_i32 s14, 6
	s_cbranch_scc0 .LBB6_1270
; %bb.1268:
	s_wait_loadcnt 0x0
	global_load_b64 v[4:5], v[6:7], off
	s_mov_b32 s0, 0
	s_branch .LBB6_1271
.LBB6_1269:
	s_mov_b32 s0, -1
                                        ; implicit-def: $vgpr4_vgpr5
	s_branch .LBB6_1274
.LBB6_1270:
	s_mov_b32 s0, -1
                                        ; implicit-def: $vgpr4_vgpr5
.LBB6_1271:
	s_delay_alu instid0(SALU_CYCLE_1)
	s_and_not1_b32 vcc_lo, exec_lo, s0
	s_cbranch_vccnz .LBB6_1273
; %bb.1272:
	global_load_b32 v3, v[6:7], off
	s_wait_loadcnt 0x0
	v_cvt_f64_f32_e32 v[4:5], v3
.LBB6_1273:
	s_mov_b32 s0, 0
.LBB6_1274:
	s_delay_alu instid0(SALU_CYCLE_1)
	s_and_not1_b32 vcc_lo, exec_lo, s0
	s_cbranch_vccnz .LBB6_1276
; %bb.1275:
	global_load_u16 v3, v[6:7], off
	s_wait_loadcnt 0x0
	v_cvt_f32_f16_e32 v3, v3
	s_delay_alu instid0(VALU_DEP_1)
	v_cvt_f64_f32_e32 v[4:5], v3
.LBB6_1276:
	s_cbranch_execnz .LBB6_1296
.LBB6_1277:
	s_cmp_lt_i32 s14, 2
	s_cbranch_scc1 .LBB6_1281
; %bb.1278:
	s_cmp_lt_i32 s14, 3
	s_cbranch_scc1 .LBB6_1282
; %bb.1279:
	s_cmp_gt_i32 s14, 3
	s_cbranch_scc0 .LBB6_1283
; %bb.1280:
	s_wait_loadcnt 0x0
	global_load_b64 v[4:5], v[6:7], off
	s_mov_b32 s0, 0
	s_wait_loadcnt 0x0
	v_cvt_f64_i32_e32 v[8:9], v5
	v_cvt_f64_u32_e32 v[4:5], v4
	s_delay_alu instid0(VALU_DEP_2) | instskip(NEXT) | instid1(VALU_DEP_1)
	v_ldexp_f64 v[8:9], v[8:9], 32
	v_add_f64_e32 v[4:5], v[8:9], v[4:5]
	s_branch .LBB6_1284
.LBB6_1281:
	s_mov_b32 s0, -1
                                        ; implicit-def: $vgpr4_vgpr5
	s_branch .LBB6_1290
.LBB6_1282:
	s_mov_b32 s0, -1
                                        ; implicit-def: $vgpr4_vgpr5
	s_branch .LBB6_1287
.LBB6_1283:
	s_mov_b32 s0, -1
                                        ; implicit-def: $vgpr4_vgpr5
.LBB6_1284:
	s_delay_alu instid0(SALU_CYCLE_1)
	s_and_not1_b32 vcc_lo, exec_lo, s0
	s_cbranch_vccnz .LBB6_1286
; %bb.1285:
	global_load_b32 v3, v[6:7], off
	s_wait_loadcnt 0x0
	v_cvt_f64_i32_e32 v[4:5], v3
.LBB6_1286:
	s_mov_b32 s0, 0
.LBB6_1287:
	s_delay_alu instid0(SALU_CYCLE_1)
	s_and_not1_b32 vcc_lo, exec_lo, s0
	s_cbranch_vccnz .LBB6_1289
; %bb.1288:
	global_load_i16 v3, v[6:7], off
	s_wait_loadcnt 0x0
	v_cvt_f64_i32_e32 v[4:5], v3
.LBB6_1289:
	s_mov_b32 s0, 0
.LBB6_1290:
	s_delay_alu instid0(SALU_CYCLE_1)
	s_and_not1_b32 vcc_lo, exec_lo, s0
	s_cbranch_vccnz .LBB6_1296
; %bb.1291:
	s_cmp_gt_i32 s14, 0
	s_mov_b32 s0, 0
	s_cbranch_scc0 .LBB6_1293
; %bb.1292:
	global_load_i8 v3, v[6:7], off
	s_wait_loadcnt 0x0
	v_cvt_f64_i32_e32 v[4:5], v3
	s_branch .LBB6_1294
.LBB6_1293:
	s_mov_b32 s0, -1
                                        ; implicit-def: $vgpr4_vgpr5
.LBB6_1294:
	s_delay_alu instid0(SALU_CYCLE_1)
	s_and_not1_b32 vcc_lo, exec_lo, s0
	s_cbranch_vccnz .LBB6_1296
; %bb.1295:
	global_load_u8 v3, v[6:7], off
	s_wait_loadcnt 0x0
	v_cvt_f64_u32_e32 v[4:5], v3
.LBB6_1296:
.LBB6_1297:
	s_wait_loadcnt 0x0
	s_delay_alu instid0(VALU_DEP_1) | instskip(SKIP_1) | instid1(VALU_DEP_1)
	v_mul_f64_e32 v[6:7], s[8:9], v[4:5]
	s_mov_b32 s17, exec_lo
	v_cmpx_nlt_f64_e32 s[10:11], v[6:7]
	s_cbranch_execz .LBB6_1299
; %bb.1298:
	v_mul_f64_e32 v[4:5], 0x3ff71547652b82fe, v[6:7]
	s_mov_b64 s[0:1], 0x3e5ade156a5dcb37
	v_cmp_nlt_f64_e32 vcc_lo, 0x40900000, v[6:7]
	s_delay_alu instid0(VALU_DEP_2) | instskip(NEXT) | instid1(VALU_DEP_1)
	v_rndne_f64_e32 v[4:5], v[4:5]
	v_fmamk_f64 v[8:9], v[4:5], 0xbfe62e42fefa39ef, v[6:7]
	v_cvt_i32_f64_e32 v3, v[4:5]
	s_delay_alu instid0(VALU_DEP_2) | instskip(NEXT) | instid1(VALU_DEP_1)
	v_fmamk_f64 v[8:9], v[4:5], 0xbc7abc9e3b39803f, v[8:9]
	v_fmaak_f64 v[10:11], s[0:1], v[8:9], 0x3e928af3fca7ab0c
	v_cmp_ngt_f64_e64 s0, 0xc090cc00, v[6:7]
	s_delay_alu instid0(VALU_DEP_2) | instskip(NEXT) | instid1(VALU_DEP_1)
	v_fmaak_f64 v[10:11], v[8:9], v[10:11], 0x3ec71dee623fde64
	v_fmaak_f64 v[10:11], v[8:9], v[10:11], 0x3efa01997c89e6b0
	s_delay_alu instid0(VALU_DEP_1) | instskip(NEXT) | instid1(VALU_DEP_1)
	v_fmaak_f64 v[10:11], v[8:9], v[10:11], 0x3f2a01a014761f6e
	v_fmaak_f64 v[10:11], v[8:9], v[10:11], 0x3f56c16c1852b7b0
	s_delay_alu instid0(VALU_DEP_1) | instskip(NEXT) | instid1(VALU_DEP_1)
	;; [unrolled: 3-line block ×4, first 2 shown]
	v_fma_f64 v[10:11], v[8:9], v[10:11], 1.0
	v_fma_f64 v[4:5], v[8:9], v[10:11], 1.0
	s_delay_alu instid0(VALU_DEP_1) | instskip(NEXT) | instid1(VALU_DEP_1)
	v_ldexp_f64 v[4:5], v[4:5], v3
	v_cndmask_b32_e32 v3, 0x7ff00000, v5, vcc_lo
	s_and_b32 vcc_lo, s0, vcc_lo
	s_delay_alu instid0(VALU_DEP_1) | instid1(SALU_CYCLE_1)
	v_dual_cndmask_b32 v4, 0, v4, vcc_lo :: v_dual_cndmask_b32 v5, 0, v3, s0
	s_mov_b64 s[0:1], 0x3fe5555555555555
	s_delay_alu instid0(VALU_DEP_1) | instskip(NEXT) | instid1(VALU_DEP_1)
	v_add_f64_e32 v[6:7], 1.0, v[4:5]
	v_frexp_mant_f64_e32 v[8:9], v[6:7]
	v_frexp_exp_i32_f64_e32 v3, v[6:7]
	s_delay_alu instid0(VALU_DEP_2) | instskip(SKIP_1) | instid1(VALU_DEP_2)
	v_cmp_gt_f64_e32 vcc_lo, s[0:1], v[8:9]
	s_mov_b64 s[0:1], 0x3fc3ab76bf559e2b
	v_subrev_co_ci_u32_e64 v3, null, 0, v3, vcc_lo
	v_cmp_nge_f64_e32 vcc_lo, -1.0, v[4:5]
	s_delay_alu instid0(VALU_DEP_2) | instskip(SKIP_1) | instid1(VALU_DEP_1)
	v_sub_nc_u32_e32 v13, 0, v3
	v_add_f64_e32 v[10:11], -1.0, v[6:7]
	v_add_f64_e64 v[8:9], v[10:11], -v[6:7]
	s_delay_alu instid0(VALU_DEP_3) | instskip(SKIP_1) | instid1(VALU_DEP_3)
	v_ldexp_f64 v[6:7], v[6:7], v13
	v_add_f64_e64 v[10:11], v[4:5], -v[10:11]
	v_add_f64_e32 v[8:9], 1.0, v[8:9]
	s_delay_alu instid0(VALU_DEP_3) | instskip(SKIP_1) | instid1(VALU_DEP_3)
	v_add_f64_e32 v[14:15], 1.0, v[6:7]
	v_add_f64_e32 v[20:21], -1.0, v[6:7]
	v_add_f64_e32 v[8:9], v[10:11], v[8:9]
	s_delay_alu instid0(VALU_DEP_3) | instskip(NEXT) | instid1(VALU_DEP_3)
	v_add_f64_e32 v[10:11], -1.0, v[14:15]
	v_add_f64_e32 v[22:23], 1.0, v[20:21]
	s_delay_alu instid0(VALU_DEP_3) | instskip(NEXT) | instid1(VALU_DEP_3)
	v_ldexp_f64 v[8:9], v[8:9], v13
	v_add_f64_e64 v[10:11], v[6:7], -v[10:11]
	s_delay_alu instid0(VALU_DEP_3) | instskip(NEXT) | instid1(VALU_DEP_2)
	v_add_f64_e64 v[6:7], v[6:7], -v[22:23]
	v_add_f64_e32 v[10:11], v[8:9], v[10:11]
	s_delay_alu instid0(VALU_DEP_2) | instskip(NEXT) | instid1(VALU_DEP_2)
	v_add_f64_e32 v[6:7], v[8:9], v[6:7]
	v_add_f64_e32 v[16:17], v[14:15], v[10:11]
	s_delay_alu instid0(VALU_DEP_2) | instskip(NEXT) | instid1(VALU_DEP_2)
	v_add_f64_e32 v[22:23], v[20:21], v[6:7]
	v_rcp_f64_e32 v[18:19], v[16:17]
	v_add_f64_e64 v[14:15], v[16:17], -v[14:15]
	s_delay_alu instid0(VALU_DEP_2) | instskip(NEXT) | instid1(VALU_DEP_2)
	v_add_f64_e64 v[20:21], v[22:23], -v[20:21]
	v_add_f64_e64 v[10:11], v[10:11], -v[14:15]
	s_delay_alu instid0(VALU_DEP_2) | instskip(NEXT) | instid1(TRANS32_DEP_1)
	v_add_f64_e64 v[6:7], v[6:7], -v[20:21]
	v_fma_f64 v[24:25], -v[16:17], v[18:19], 1.0
	s_delay_alu instid0(VALU_DEP_1) | instskip(NEXT) | instid1(VALU_DEP_1)
	v_fmac_f64_e32 v[18:19], v[24:25], v[18:19]
	v_fma_f64 v[8:9], -v[16:17], v[18:19], 1.0
	s_delay_alu instid0(VALU_DEP_1) | instskip(NEXT) | instid1(VALU_DEP_1)
	v_fmac_f64_e32 v[18:19], v[8:9], v[18:19]
	v_mul_f64_e32 v[8:9], v[22:23], v[18:19]
	s_delay_alu instid0(VALU_DEP_1) | instskip(NEXT) | instid1(VALU_DEP_1)
	v_mul_f64_e32 v[24:25], v[16:17], v[8:9]
	v_fma_f64 v[14:15], v[8:9], v[16:17], -v[24:25]
	s_delay_alu instid0(VALU_DEP_1) | instskip(NEXT) | instid1(VALU_DEP_1)
	v_fmac_f64_e32 v[14:15], v[8:9], v[10:11]
	v_add_f64_e32 v[26:27], v[24:25], v[14:15]
	s_delay_alu instid0(VALU_DEP_1) | instskip(SKIP_1) | instid1(VALU_DEP_2)
	v_add_f64_e64 v[28:29], v[22:23], -v[26:27]
	v_add_f64_e64 v[20:21], v[26:27], -v[24:25]
	;; [unrolled: 1-line block ×3, first 2 shown]
	s_delay_alu instid0(VALU_DEP_2) | instskip(NEXT) | instid1(VALU_DEP_2)
	v_add_f64_e64 v[14:15], v[20:21], -v[14:15]
	v_add_f64_e64 v[22:23], v[22:23], -v[26:27]
	s_delay_alu instid0(VALU_DEP_1) | instskip(NEXT) | instid1(VALU_DEP_1)
	v_add_f64_e32 v[6:7], v[6:7], v[22:23]
	v_add_f64_e32 v[6:7], v[14:15], v[6:7]
	s_delay_alu instid0(VALU_DEP_1) | instskip(NEXT) | instid1(VALU_DEP_1)
	v_add_f64_e32 v[14:15], v[28:29], v[6:7]
	v_mul_f64_e32 v[20:21], v[18:19], v[14:15]
	v_add_f64_e64 v[26:27], v[28:29], -v[14:15]
	s_delay_alu instid0(VALU_DEP_2) | instskip(NEXT) | instid1(VALU_DEP_2)
	v_mul_f64_e32 v[22:23], v[16:17], v[20:21]
	v_add_f64_e32 v[6:7], v[6:7], v[26:27]
	s_delay_alu instid0(VALU_DEP_2) | instskip(NEXT) | instid1(VALU_DEP_1)
	v_fma_f64 v[16:17], v[20:21], v[16:17], -v[22:23]
	v_fmac_f64_e32 v[16:17], v[20:21], v[10:11]
	s_delay_alu instid0(VALU_DEP_1) | instskip(NEXT) | instid1(VALU_DEP_1)
	v_add_f64_e32 v[10:11], v[22:23], v[16:17]
	v_add_f64_e64 v[24:25], v[14:15], -v[10:11]
	v_add_f64_e64 v[22:23], v[10:11], -v[22:23]
	s_delay_alu instid0(VALU_DEP_2) | instskip(NEXT) | instid1(VALU_DEP_1)
	v_add_f64_e64 v[14:15], v[14:15], -v[24:25]
	v_add_f64_e64 v[10:11], v[14:15], -v[10:11]
	s_delay_alu instid0(VALU_DEP_3) | instskip(NEXT) | instid1(VALU_DEP_2)
	v_add_f64_e64 v[14:15], v[22:23], -v[16:17]
	v_add_f64_e32 v[6:7], v[6:7], v[10:11]
	v_add_f64_e32 v[10:11], v[8:9], v[20:21]
	s_delay_alu instid0(VALU_DEP_2) | instskip(NEXT) | instid1(VALU_DEP_2)
	v_add_f64_e32 v[6:7], v[14:15], v[6:7]
	v_add_f64_e64 v[8:9], v[10:11], -v[8:9]
	s_delay_alu instid0(VALU_DEP_2) | instskip(NEXT) | instid1(VALU_DEP_2)
	v_add_f64_e32 v[6:7], v[24:25], v[6:7]
	v_add_f64_e64 v[8:9], v[20:21], -v[8:9]
	s_delay_alu instid0(VALU_DEP_2) | instskip(NEXT) | instid1(VALU_DEP_1)
	v_mul_f64_e32 v[6:7], v[18:19], v[6:7]
	v_add_f64_e32 v[6:7], v[8:9], v[6:7]
	s_delay_alu instid0(VALU_DEP_1) | instskip(NEXT) | instid1(VALU_DEP_1)
	v_add_f64_e32 v[8:9], v[10:11], v[6:7]
	v_mul_f64_e32 v[14:15], v[8:9], v[8:9]
	s_delay_alu instid0(VALU_DEP_1) | instskip(SKIP_2) | instid1(VALU_DEP_2)
	v_fmaak_f64 v[16:17], s[0:1], v[14:15], 0x3fc385386b47b09a
	v_mul_f64_e32 v[18:19], v[8:9], v[14:15]
	s_mov_b64 s[0:1], 0x3fe62e42fefa39ef
	v_fmaak_f64 v[16:17], v[14:15], v[16:17], 0x3fc7474dd7f4df2e
	s_delay_alu instid0(VALU_DEP_1) | instskip(NEXT) | instid1(VALU_DEP_1)
	v_fmaak_f64 v[16:17], v[14:15], v[16:17], 0x3fcc71c016291751
	v_fmaak_f64 v[16:17], v[14:15], v[16:17], 0x3fd249249b27acf1
	s_delay_alu instid0(VALU_DEP_1) | instskip(NEXT) | instid1(VALU_DEP_1)
	v_fmaak_f64 v[16:17], v[14:15], v[16:17], 0x3fd99999998ef7b6
	v_fmaak_f64 v[14:15], v[14:15], v[16:17], 0x3fe5555555555780
	v_ldexp_f64 v[16:17], v[8:9], 1
	v_add_f64_e64 v[8:9], v[8:9], -v[10:11]
	s_delay_alu instid0(VALU_DEP_3) | instskip(SKIP_1) | instid1(VALU_DEP_3)
	v_mul_f64_e32 v[14:15], v[18:19], v[14:15]
	v_cvt_f64_i32_e32 v[18:19], v3
	v_add_f64_e64 v[6:7], v[6:7], -v[8:9]
	s_delay_alu instid0(VALU_DEP_3) | instskip(NEXT) | instid1(VALU_DEP_2)
	v_add_f64_e32 v[10:11], v[16:17], v[14:15]
	v_ldexp_f64 v[6:7], v[6:7], 1
	s_delay_alu instid0(VALU_DEP_2) | instskip(SKIP_1) | instid1(VALU_DEP_2)
	v_add_f64_e64 v[8:9], v[10:11], -v[16:17]
	v_mul_f64_e32 v[16:17], 0x3fe62e42fefa39ef, v[18:19]
	v_add_f64_e64 v[8:9], v[14:15], -v[8:9]
	s_delay_alu instid0(VALU_DEP_2) | instskip(SKIP_2) | instid1(VALU_DEP_4)
	v_fma_f64 v[14:15], v[18:19], s[0:1], -v[16:17]
	v_cmp_neq_f64_e64 s0, 0x7ff00000, v[4:5]
	v_cmp_ngt_f64_e64 s1, -1.0, v[4:5]
	v_add_f64_e32 v[6:7], v[6:7], v[8:9]
	s_delay_alu instid0(VALU_DEP_4) | instskip(SKIP_1) | instid1(VALU_DEP_1)
	v_fmamk_f64 v[8:9], v[18:19], 0x3c7abc9e3b39803f, v[14:15]
	s_and_b32 vcc_lo, vcc_lo, s0
	v_add_f64_e32 v[14:15], v[16:17], v[8:9]
	s_delay_alu instid0(VALU_DEP_3) | instskip(NEXT) | instid1(VALU_DEP_2)
	v_add_f64_e32 v[18:19], v[10:11], v[6:7]
	v_add_f64_e64 v[16:17], v[14:15], -v[16:17]
	s_delay_alu instid0(VALU_DEP_2) | instskip(SKIP_1) | instid1(VALU_DEP_3)
	v_add_f64_e32 v[20:21], v[14:15], v[18:19]
	v_add_f64_e64 v[10:11], v[18:19], -v[10:11]
	v_add_f64_e64 v[8:9], v[8:9], -v[16:17]
	s_delay_alu instid0(VALU_DEP_3) | instskip(NEXT) | instid1(VALU_DEP_3)
	v_add_f64_e64 v[22:23], v[20:21], -v[14:15]
	v_add_f64_e64 v[6:7], v[6:7], -v[10:11]
	s_delay_alu instid0(VALU_DEP_2) | instskip(SKIP_1) | instid1(VALU_DEP_3)
	v_add_f64_e64 v[24:25], v[20:21], -v[22:23]
	v_add_f64_e64 v[10:11], v[18:19], -v[22:23]
	v_add_f64_e32 v[16:17], v[8:9], v[6:7]
	s_delay_alu instid0(VALU_DEP_3) | instskip(NEXT) | instid1(VALU_DEP_1)
	v_add_f64_e64 v[14:15], v[14:15], -v[24:25]
	v_add_f64_e32 v[10:11], v[10:11], v[14:15]
	s_delay_alu instid0(VALU_DEP_3) | instskip(NEXT) | instid1(VALU_DEP_2)
	v_add_f64_e64 v[14:15], v[16:17], -v[8:9]
	v_add_f64_e32 v[10:11], v[16:17], v[10:11]
	s_delay_alu instid0(VALU_DEP_2) | instskip(SKIP_1) | instid1(VALU_DEP_3)
	v_add_f64_e64 v[16:17], v[16:17], -v[14:15]
	v_add_f64_e64 v[6:7], v[6:7], -v[14:15]
	v_add_f64_e32 v[18:19], v[20:21], v[10:11]
	s_delay_alu instid0(VALU_DEP_3) | instskip(NEXT) | instid1(VALU_DEP_2)
	v_add_f64_e64 v[8:9], v[8:9], -v[16:17]
	v_add_f64_e64 v[14:15], v[18:19], -v[20:21]
	s_delay_alu instid0(VALU_DEP_2) | instskip(NEXT) | instid1(VALU_DEP_2)
	v_add_f64_e32 v[6:7], v[6:7], v[8:9]
	v_add_f64_e64 v[8:9], v[10:11], -v[14:15]
	s_delay_alu instid0(VALU_DEP_1) | instskip(NEXT) | instid1(VALU_DEP_1)
	v_add_f64_e32 v[6:7], v[6:7], v[8:9]
	v_add_f64_e32 v[6:7], v[18:19], v[6:7]
	s_delay_alu instid0(VALU_DEP_1) | instskip(SKIP_1) | instid1(VALU_DEP_3)
	v_cndmask_b32_e32 v6, 0, v6, vcc_lo
	v_cmp_neq_f64_e32 vcc_lo, -1.0, v[4:5]
	v_cndmask_b32_e64 v3, 0x7ff00000, v7, s0
	s_delay_alu instid0(VALU_DEP_1) | instskip(NEXT) | instid1(VALU_DEP_1)
	v_cndmask_b32_e64 v3, 0x7ff80000, v3, s1
	v_cndmask_b32_e32 v7, 0xfff00000, v3, vcc_lo
	s_delay_alu instid0(VALU_DEP_1) | instskip(NEXT) | instid1(VALU_DEP_1)
	v_div_scale_f64 v[4:5], null, s[8:9], s[8:9], v[6:7]
	v_rcp_f64_e32 v[8:9], v[4:5]
	v_nop
	s_delay_alu instid0(TRANS32_DEP_1) | instskip(NEXT) | instid1(VALU_DEP_1)
	v_fma_f64 v[10:11], -v[4:5], v[8:9], 1.0
	v_fmac_f64_e32 v[8:9], v[8:9], v[10:11]
	s_delay_alu instid0(VALU_DEP_1) | instskip(NEXT) | instid1(VALU_DEP_1)
	v_fma_f64 v[10:11], -v[4:5], v[8:9], 1.0
	v_fmac_f64_e32 v[8:9], v[8:9], v[10:11]
	v_div_scale_f64 v[10:11], vcc_lo, v[6:7], s[8:9], v[6:7]
	s_delay_alu instid0(VALU_DEP_1) | instskip(NEXT) | instid1(VALU_DEP_1)
	v_mul_f64_e32 v[14:15], v[10:11], v[8:9]
	v_fma_f64 v[4:5], -v[4:5], v[14:15], v[10:11]
	s_delay_alu instid0(VALU_DEP_1) | instskip(NEXT) | instid1(VALU_DEP_1)
	v_div_fmas_f64 v[4:5], v[4:5], v[8:9], v[14:15]
	v_div_fixup_f64 v[4:5], v[4:5], s[8:9], v[6:7]
.LBB6_1299:
	s_or_b32 exec_lo, exec_lo, s17
	v_add_nc_u32_e32 v2, s3, v2
	s_cmp_lt_i32 s14, 11
	s_delay_alu instid0(VALU_DEP_1) | instskip(NEXT) | instid1(VALU_DEP_1)
	v_ashrrev_i32_e32 v3, 31, v2
	v_add_nc_u64_e32 v[6:7], s[6:7], v[2:3]
	s_cbranch_scc1 .LBB6_1306
; %bb.1300:
	s_cmp_gt_i32 s14, 25
	s_mov_b32 s1, 0
	s_cbranch_scc0 .LBB6_1308
; %bb.1301:
	s_cmp_gt_i32 s14, 28
	s_cbranch_scc0 .LBB6_1309
; %bb.1302:
	s_cmp_gt_i32 s14, 43
	;; [unrolled: 3-line block ×3, first 2 shown]
	s_cbranch_scc0 .LBB6_1312
; %bb.1304:
	s_cmp_eq_u32 s14, 46
	s_mov_b32 s18, 0
	s_cbranch_scc0 .LBB6_1313
; %bb.1305:
	global_load_b32 v3, v[6:7], off
	s_mov_b32 s0, 0
	s_mov_b32 s17, -1
	s_wait_loadcnt 0x0
	v_lshlrev_b32_e32 v3, 16, v3
	s_delay_alu instid0(VALU_DEP_1)
	v_cvt_f64_f32_e32 v[10:11], v3
	s_branch .LBB6_1315
.LBB6_1306:
	s_mov_b32 s17, 0
                                        ; implicit-def: $vgpr10_vgpr11
	s_cbranch_execnz .LBB6_1381
.LBB6_1307:
	s_and_not1_b32 vcc_lo, exec_lo, s17
	s_cbranch_vccnz .LBB6_1642
	s_branch .LBB6_1429
.LBB6_1308:
	s_mov_b32 s18, -1
	s_mov_b32 s17, 0
	s_mov_b32 s0, 0
                                        ; implicit-def: $vgpr10_vgpr11
	s_branch .LBB6_1344
.LBB6_1309:
	s_mov_b32 s18, -1
	s_mov_b32 s17, 0
	s_mov_b32 s0, 0
                                        ; implicit-def: $vgpr10_vgpr11
	s_branch .LBB6_1325
.LBB6_1310:
	s_mov_b32 s18, -1
	s_mov_b32 s17, 0
	s_mov_b32 s0, 0
                                        ; implicit-def: $vgpr10_vgpr11
	s_branch .LBB6_1320
.LBB6_1311:
	s_or_b32 s13, s13, exec_lo
	s_trap 2
	s_cbranch_execz .LBB6_1248
	s_branch .LBB6_1249
.LBB6_1312:
	s_mov_b32 s18, -1
	s_mov_b32 s17, 0
	s_mov_b32 s0, 0
	s_branch .LBB6_1314
.LBB6_1313:
	s_mov_b32 s0, -1
	s_mov_b32 s17, 0
.LBB6_1314:
                                        ; implicit-def: $vgpr10_vgpr11
.LBB6_1315:
	s_and_b32 vcc_lo, exec_lo, s18
	s_cbranch_vccz .LBB6_1319
; %bb.1316:
	s_cmp_eq_u32 s14, 44
	s_cbranch_scc0 .LBB6_1318
; %bb.1317:
	global_load_u8 v3, v[6:7], off
	s_mov_b32 s0, 0
	s_mov_b32 s17, -1
	s_wait_loadcnt 0x0
	v_cmp_ne_u32_e32 vcc_lo, 0xff, v3
	v_lshlrev_b32_e32 v8, 23, v3
	s_delay_alu instid0(VALU_DEP_1) | instskip(NEXT) | instid1(VALU_DEP_1)
	v_cvt_f64_f32_e32 v[8:9], v8
	v_cndmask_b32_e32 v8, 0x20000000, v8, vcc_lo
	s_delay_alu instid0(VALU_DEP_2) | instskip(SKIP_1) | instid1(VALU_DEP_2)
	v_cndmask_b32_e32 v9, 0x7ff80000, v9, vcc_lo
	v_cmp_ne_u32_e32 vcc_lo, 0, v3
	v_cndmask_b32_e32 v11, 0x38000000, v9, vcc_lo
	s_delay_alu instid0(VALU_DEP_4)
	v_cndmask_b32_e32 v10, 0, v8, vcc_lo
	s_branch .LBB6_1319
.LBB6_1318:
	s_mov_b32 s0, -1
                                        ; implicit-def: $vgpr10_vgpr11
.LBB6_1319:
	s_mov_b32 s18, 0
.LBB6_1320:
	s_delay_alu instid0(SALU_CYCLE_1)
	s_and_b32 vcc_lo, exec_lo, s18
	s_cbranch_vccz .LBB6_1324
; %bb.1321:
	s_cmp_eq_u32 s14, 29
	s_cbranch_scc0 .LBB6_1323
; %bb.1322:
	global_load_b64 v[8:9], v[6:7], off
	s_mov_b32 s0, 0
	s_mov_b32 s17, -1
	s_mov_b32 s18, 0
	s_wait_loadcnt 0x0
	v_cvt_f64_u32_e32 v[10:11], v9
	v_cvt_f64_u32_e32 v[8:9], v8
	s_delay_alu instid0(VALU_DEP_2) | instskip(NEXT) | instid1(VALU_DEP_1)
	v_ldexp_f64 v[10:11], v[10:11], 32
	v_add_f64_e32 v[10:11], v[10:11], v[8:9]
	s_branch .LBB6_1325
.LBB6_1323:
	s_mov_b32 s0, -1
                                        ; implicit-def: $vgpr10_vgpr11
.LBB6_1324:
	s_mov_b32 s18, 0
.LBB6_1325:
	s_delay_alu instid0(SALU_CYCLE_1)
	s_and_b32 vcc_lo, exec_lo, s18
	s_cbranch_vccz .LBB6_1343
; %bb.1326:
	s_cmp_lt_i32 s14, 27
	s_cbranch_scc1 .LBB6_1329
; %bb.1327:
	s_cmp_gt_i32 s14, 27
	s_cbranch_scc0 .LBB6_1330
; %bb.1328:
	global_load_b32 v3, v[6:7], off
	s_mov_b32 s17, 0
	s_wait_loadcnt 0x0
	v_cvt_f64_u32_e32 v[10:11], v3
	s_branch .LBB6_1331
.LBB6_1329:
	s_mov_b32 s17, -1
                                        ; implicit-def: $vgpr10_vgpr11
	s_branch .LBB6_1334
.LBB6_1330:
	s_mov_b32 s17, -1
                                        ; implicit-def: $vgpr10_vgpr11
.LBB6_1331:
	s_delay_alu instid0(SALU_CYCLE_1)
	s_and_not1_b32 vcc_lo, exec_lo, s17
	s_cbranch_vccnz .LBB6_1333
; %bb.1332:
	global_load_u16 v3, v[6:7], off
	s_wait_loadcnt 0x0
	v_cvt_f64_u32_e32 v[10:11], v3
.LBB6_1333:
	s_mov_b32 s17, 0
.LBB6_1334:
	s_delay_alu instid0(SALU_CYCLE_1)
	s_and_not1_b32 vcc_lo, exec_lo, s17
	s_cbranch_vccnz .LBB6_1342
; %bb.1335:
	global_load_u8 v3, v[6:7], off
	s_mov_b32 s17, 0
	s_mov_b32 s18, exec_lo
	s_wait_loadcnt 0x0
	v_cmpx_lt_i16_e32 0x7f, v3
	s_xor_b32 s18, exec_lo, s18
	s_cbranch_execz .LBB6_1356
; %bb.1336:
	s_mov_b32 s17, -1
	s_mov_b32 s19, exec_lo
	v_cmpx_eq_u16_e32 0x80, v3
; %bb.1337:
	s_xor_b32 s17, exec_lo, -1
; %bb.1338:
	s_or_b32 exec_lo, exec_lo, s19
	s_delay_alu instid0(SALU_CYCLE_1)
	s_and_b32 s17, s17, exec_lo
	s_or_saveexec_b32 s18, s18
	v_mov_b64_e32 v[10:11], 0x7ff8000020000000
	s_xor_b32 exec_lo, exec_lo, s18
	s_cbranch_execnz .LBB6_1357
.LBB6_1339:
	s_or_b32 exec_lo, exec_lo, s18
	s_and_saveexec_b32 s18, s17
	s_cbranch_execz .LBB6_1341
.LBB6_1340:
	v_and_b32_e32 v8, 0xffff, v3
	s_delay_alu instid0(VALU_DEP_1) | instskip(SKIP_1) | instid1(VALU_DEP_2)
	v_and_b32_e32 v9, 7, v8
	v_bfe_u32 v13, v8, 3, 4
	v_clz_i32_u32_e32 v10, v9
	s_delay_alu instid0(VALU_DEP_2) | instskip(NEXT) | instid1(VALU_DEP_2)
	v_cmp_eq_u32_e32 vcc_lo, 0, v13
	v_min_u32_e32 v10, 32, v10
	s_delay_alu instid0(VALU_DEP_1) | instskip(NEXT) | instid1(VALU_DEP_1)
	v_subrev_nc_u32_e32 v11, 28, v10
	v_dual_lshlrev_b32 v8, v11, v8 :: v_dual_sub_nc_u32 v10, 29, v10
	s_delay_alu instid0(VALU_DEP_1) | instskip(NEXT) | instid1(VALU_DEP_2)
	v_dual_lshlrev_b32 v3, 24, v3 :: v_dual_bitop2_b32 v8, 7, v8 bitop3:0x40
	v_cndmask_b32_e32 v10, v13, v10, vcc_lo
	s_delay_alu instid0(VALU_DEP_2) | instskip(NEXT) | instid1(VALU_DEP_3)
	v_cndmask_b32_e32 v8, v9, v8, vcc_lo
	v_and_b32_e32 v3, 0x80000000, v3
	s_delay_alu instid0(VALU_DEP_3) | instskip(NEXT) | instid1(VALU_DEP_3)
	v_lshl_add_u32 v9, v10, 23, 0x3b800000
	v_lshlrev_b32_e32 v8, 20, v8
	s_delay_alu instid0(VALU_DEP_1) | instskip(NEXT) | instid1(VALU_DEP_1)
	v_or3_b32 v3, v3, v9, v8
	v_cvt_f64_f32_e32 v[10:11], v3
.LBB6_1341:
	s_or_b32 exec_lo, exec_lo, s18
.LBB6_1342:
	s_mov_b32 s17, -1
.LBB6_1343:
	s_mov_b32 s18, 0
.LBB6_1344:
	s_delay_alu instid0(SALU_CYCLE_1)
	s_and_b32 vcc_lo, exec_lo, s18
	s_cbranch_vccz .LBB6_1377
; %bb.1345:
	s_cmp_gt_i32 s14, 22
	s_cbranch_scc0 .LBB6_1355
; %bb.1346:
	s_cmp_lt_i32 s14, 24
	s_cbranch_scc1 .LBB6_1358
; %bb.1347:
	s_cmp_gt_i32 s14, 24
	s_cbranch_scc0 .LBB6_1359
; %bb.1348:
	global_load_u8 v3, v[6:7], off
	s_mov_b32 s17, exec_lo
	s_wait_loadcnt 0x0
	v_cmpx_lt_i16_e32 0x7f, v3
	s_xor_b32 s17, exec_lo, s17
	s_cbranch_execz .LBB6_1371
; %bb.1349:
	s_mov_b32 s1, -1
	s_mov_b32 s18, exec_lo
	v_cmpx_eq_u16_e32 0x80, v3
; %bb.1350:
	s_xor_b32 s1, exec_lo, -1
; %bb.1351:
	s_or_b32 exec_lo, exec_lo, s18
	s_delay_alu instid0(SALU_CYCLE_1)
	s_and_b32 s1, s1, exec_lo
	s_or_saveexec_b32 s17, s17
	v_mov_b64_e32 v[10:11], 0x7ff8000020000000
	s_xor_b32 exec_lo, exec_lo, s17
	s_cbranch_execnz .LBB6_1372
.LBB6_1352:
	s_or_b32 exec_lo, exec_lo, s17
	s_and_saveexec_b32 s17, s1
	s_cbranch_execz .LBB6_1354
.LBB6_1353:
	v_and_b32_e32 v8, 0xffff, v3
	s_delay_alu instid0(VALU_DEP_1) | instskip(SKIP_1) | instid1(VALU_DEP_2)
	v_and_b32_e32 v9, 3, v8
	v_bfe_u32 v13, v8, 2, 5
	v_clz_i32_u32_e32 v10, v9
	s_delay_alu instid0(VALU_DEP_2) | instskip(NEXT) | instid1(VALU_DEP_2)
	v_cmp_eq_u32_e32 vcc_lo, 0, v13
	v_min_u32_e32 v10, 32, v10
	s_delay_alu instid0(VALU_DEP_1) | instskip(NEXT) | instid1(VALU_DEP_1)
	v_subrev_nc_u32_e32 v11, 29, v10
	v_dual_lshlrev_b32 v8, v11, v8 :: v_dual_sub_nc_u32 v10, 30, v10
	s_delay_alu instid0(VALU_DEP_1) | instskip(NEXT) | instid1(VALU_DEP_2)
	v_dual_lshlrev_b32 v3, 24, v3 :: v_dual_bitop2_b32 v8, 3, v8 bitop3:0x40
	v_cndmask_b32_e32 v10, v13, v10, vcc_lo
	s_delay_alu instid0(VALU_DEP_2) | instskip(NEXT) | instid1(VALU_DEP_3)
	v_cndmask_b32_e32 v8, v9, v8, vcc_lo
	v_and_b32_e32 v3, 0x80000000, v3
	s_delay_alu instid0(VALU_DEP_3) | instskip(NEXT) | instid1(VALU_DEP_3)
	v_lshl_add_u32 v9, v10, 23, 0x37800000
	v_lshlrev_b32_e32 v8, 21, v8
	s_delay_alu instid0(VALU_DEP_1) | instskip(NEXT) | instid1(VALU_DEP_1)
	v_or3_b32 v3, v3, v9, v8
	v_cvt_f64_f32_e32 v[10:11], v3
.LBB6_1354:
	s_or_b32 exec_lo, exec_lo, s17
	s_mov_b32 s1, 0
	s_branch .LBB6_1360
.LBB6_1355:
	s_mov_b32 s1, -1
                                        ; implicit-def: $vgpr10_vgpr11
	s_branch .LBB6_1366
.LBB6_1356:
	s_or_saveexec_b32 s18, s18
	v_mov_b64_e32 v[10:11], 0x7ff8000020000000
	s_xor_b32 exec_lo, exec_lo, s18
	s_cbranch_execz .LBB6_1339
.LBB6_1357:
	v_cmp_ne_u16_e32 vcc_lo, 0, v3
	v_mov_b64_e32 v[10:11], 0
	s_and_not1_b32 s17, s17, exec_lo
	s_and_b32 s19, vcc_lo, exec_lo
	s_delay_alu instid0(SALU_CYCLE_1)
	s_or_b32 s17, s17, s19
	s_or_b32 exec_lo, exec_lo, s18
	s_and_saveexec_b32 s18, s17
	s_cbranch_execnz .LBB6_1340
	s_branch .LBB6_1341
.LBB6_1358:
	s_mov_b32 s1, -1
                                        ; implicit-def: $vgpr10_vgpr11
	s_branch .LBB6_1363
.LBB6_1359:
	s_mov_b32 s1, -1
                                        ; implicit-def: $vgpr10_vgpr11
.LBB6_1360:
	s_delay_alu instid0(SALU_CYCLE_1)
	s_and_b32 vcc_lo, exec_lo, s1
	s_cbranch_vccz .LBB6_1362
; %bb.1361:
	global_load_u8 v3, v[6:7], off
	s_wait_loadcnt 0x0
	v_lshlrev_b32_e32 v3, 24, v3
	s_delay_alu instid0(VALU_DEP_1) | instskip(NEXT) | instid1(VALU_DEP_1)
	v_and_b32_e32 v8, 0x7f000000, v3
	v_clz_i32_u32_e32 v9, v8
	v_cmp_ne_u32_e32 vcc_lo, 0, v8
	v_add_nc_u32_e32 v11, 0x1000000, v8
	s_delay_alu instid0(VALU_DEP_3) | instskip(NEXT) | instid1(VALU_DEP_1)
	v_min_u32_e32 v9, 32, v9
	v_sub_nc_u32_e64 v9, v9, 4 clamp
	s_delay_alu instid0(VALU_DEP_1) | instskip(NEXT) | instid1(VALU_DEP_1)
	v_dual_lshlrev_b32 v10, v9, v8 :: v_dual_lshlrev_b32 v9, 23, v9
	v_lshrrev_b32_e32 v10, 4, v10
	s_delay_alu instid0(VALU_DEP_1) | instskip(NEXT) | instid1(VALU_DEP_1)
	v_dual_sub_nc_u32 v9, v10, v9 :: v_dual_ashrrev_i32 v10, 8, v11
	v_add_nc_u32_e32 v9, 0x3c000000, v9
	s_delay_alu instid0(VALU_DEP_1) | instskip(NEXT) | instid1(VALU_DEP_1)
	v_and_or_b32 v9, 0x7f800000, v10, v9
	v_cndmask_b32_e32 v8, 0, v9, vcc_lo
	s_delay_alu instid0(VALU_DEP_1) | instskip(NEXT) | instid1(VALU_DEP_1)
	v_and_or_b32 v3, 0x80000000, v3, v8
	v_cvt_f64_f32_e32 v[10:11], v3
.LBB6_1362:
	s_mov_b32 s1, 0
.LBB6_1363:
	s_delay_alu instid0(SALU_CYCLE_1)
	s_and_not1_b32 vcc_lo, exec_lo, s1
	s_cbranch_vccnz .LBB6_1365
; %bb.1364:
	global_load_u8 v3, v[6:7], off
	s_wait_loadcnt 0x0
	v_lshlrev_b32_e32 v8, 25, v3
	v_lshlrev_b16 v3, 8, v3
	s_delay_alu instid0(VALU_DEP_1) | instskip(SKIP_1) | instid1(VALU_DEP_2)
	v_and_or_b32 v10, 0x7f00, v3, 0.5
	v_bfe_i32 v3, v3, 0, 16
	v_dual_add_f32 v10, -0.5, v10 :: v_dual_lshrrev_b32 v9, 4, v8
	v_cmp_gt_u32_e32 vcc_lo, 0x8000000, v8
	s_delay_alu instid0(VALU_DEP_2) | instskip(NEXT) | instid1(VALU_DEP_1)
	v_or_b32_e32 v9, 0x70000000, v9
	v_mul_f32_e32 v9, 0x7800000, v9
	s_delay_alu instid0(VALU_DEP_1) | instskip(NEXT) | instid1(VALU_DEP_1)
	v_cndmask_b32_e32 v8, v9, v10, vcc_lo
	v_and_or_b32 v3, 0x80000000, v3, v8
	s_delay_alu instid0(VALU_DEP_1)
	v_cvt_f64_f32_e32 v[10:11], v3
.LBB6_1365:
	s_mov_b32 s1, 0
	s_mov_b32 s17, -1
.LBB6_1366:
	s_and_not1_b32 vcc_lo, exec_lo, s1
	s_mov_b32 s1, 0
	s_cbranch_vccnz .LBB6_1377
; %bb.1367:
	s_cmp_gt_i32 s14, 14
	s_cbranch_scc0 .LBB6_1370
; %bb.1368:
	s_cmp_eq_u32 s14, 15
	s_cbranch_scc0 .LBB6_1373
; %bb.1369:
	global_load_u16 v3, v[6:7], off
	s_mov_b32 s0, 0
	s_mov_b32 s17, -1
	s_wait_loadcnt 0x0
	v_lshlrev_b32_e32 v3, 16, v3
	s_delay_alu instid0(VALU_DEP_1)
	v_cvt_f64_f32_e32 v[10:11], v3
	s_branch .LBB6_1375
.LBB6_1370:
	s_mov_b32 s1, -1
	s_branch .LBB6_1374
.LBB6_1371:
	s_or_saveexec_b32 s17, s17
	v_mov_b64_e32 v[10:11], 0x7ff8000020000000
	s_xor_b32 exec_lo, exec_lo, s17
	s_cbranch_execz .LBB6_1352
.LBB6_1372:
	v_cmp_ne_u16_e32 vcc_lo, 0, v3
	v_mov_b64_e32 v[10:11], 0
	s_and_not1_b32 s1, s1, exec_lo
	s_and_b32 s18, vcc_lo, exec_lo
	s_delay_alu instid0(SALU_CYCLE_1)
	s_or_b32 s1, s1, s18
	s_or_b32 exec_lo, exec_lo, s17
	s_and_saveexec_b32 s17, s1
	s_cbranch_execnz .LBB6_1353
	s_branch .LBB6_1354
.LBB6_1373:
	s_mov_b32 s0, -1
.LBB6_1374:
                                        ; implicit-def: $vgpr10_vgpr11
.LBB6_1375:
	s_and_b32 vcc_lo, exec_lo, s1
	s_mov_b32 s1, 0
	s_cbranch_vccz .LBB6_1377
; %bb.1376:
	s_cmp_lg_u32 s14, 11
	s_mov_b32 s1, -1
	s_cselect_b32 s0, -1, 0
.LBB6_1377:
	s_delay_alu instid0(SALU_CYCLE_1)
	s_and_b32 vcc_lo, exec_lo, s0
	s_cbranch_vccnz .LBB6_1442
; %bb.1378:
	s_and_not1_b32 vcc_lo, exec_lo, s1
	s_cbranch_vccnz .LBB6_1380
.LBB6_1379:
	global_load_u8 v3, v[6:7], off
	v_mov_b32_e32 v10, 0
	s_mov_b32 s17, -1
	s_wait_loadcnt 0x0
	v_cmp_ne_u16_e32 vcc_lo, 0, v3
	v_cndmask_b32_e64 v11, 0, 0x3ff00000, vcc_lo
.LBB6_1380:
	s_branch .LBB6_1307
.LBB6_1381:
	s_cmp_lt_i32 s14, 5
	s_cbranch_scc1 .LBB6_1386
; %bb.1382:
	s_cmp_lt_i32 s14, 8
	s_cbranch_scc1 .LBB6_1387
; %bb.1383:
	;; [unrolled: 3-line block ×3, first 2 shown]
	s_cmp_gt_i32 s14, 9
	s_cbranch_scc0 .LBB6_1389
; %bb.1385:
	global_load_b64 v[10:11], v[6:7], off
	s_mov_b32 s0, 0
	s_branch .LBB6_1390
.LBB6_1386:
	s_mov_b32 s0, -1
                                        ; implicit-def: $vgpr10_vgpr11
	s_branch .LBB6_1408
.LBB6_1387:
	s_mov_b32 s0, -1
                                        ; implicit-def: $vgpr10_vgpr11
	s_branch .LBB6_1396
.LBB6_1388:
	s_mov_b32 s0, -1
                                        ; implicit-def: $vgpr10_vgpr11
	s_branch .LBB6_1393
.LBB6_1389:
	s_mov_b32 s0, -1
                                        ; implicit-def: $vgpr10_vgpr11
.LBB6_1390:
	s_delay_alu instid0(SALU_CYCLE_1)
	s_and_not1_b32 vcc_lo, exec_lo, s0
	s_cbranch_vccnz .LBB6_1392
; %bb.1391:
	global_load_b32 v3, v[6:7], off
	s_wait_loadcnt 0x0
	v_cvt_f64_f32_e32 v[10:11], v3
.LBB6_1392:
	s_mov_b32 s0, 0
.LBB6_1393:
	s_delay_alu instid0(SALU_CYCLE_1)
	s_and_not1_b32 vcc_lo, exec_lo, s0
	s_cbranch_vccnz .LBB6_1395
; %bb.1394:
	global_load_b32 v3, v[6:7], off
	s_wait_loadcnt 0x0
	v_cvt_f32_f16_e32 v3, v3
	s_delay_alu instid0(VALU_DEP_1)
	v_cvt_f64_f32_e32 v[10:11], v3
.LBB6_1395:
	s_mov_b32 s0, 0
.LBB6_1396:
	s_delay_alu instid0(SALU_CYCLE_1)
	s_and_not1_b32 vcc_lo, exec_lo, s0
	s_cbranch_vccnz .LBB6_1407
; %bb.1397:
	s_cmp_lt_i32 s14, 6
	s_cbranch_scc1 .LBB6_1400
; %bb.1398:
	s_cmp_gt_i32 s14, 6
	s_cbranch_scc0 .LBB6_1401
; %bb.1399:
	s_wait_loadcnt 0x0
	global_load_b64 v[10:11], v[6:7], off
	s_mov_b32 s0, 0
	s_branch .LBB6_1402
.LBB6_1400:
	s_mov_b32 s0, -1
                                        ; implicit-def: $vgpr10_vgpr11
	s_branch .LBB6_1405
.LBB6_1401:
	s_mov_b32 s0, -1
                                        ; implicit-def: $vgpr10_vgpr11
.LBB6_1402:
	s_delay_alu instid0(SALU_CYCLE_1)
	s_and_not1_b32 vcc_lo, exec_lo, s0
	s_cbranch_vccnz .LBB6_1404
; %bb.1403:
	global_load_b32 v3, v[6:7], off
	s_wait_loadcnt 0x0
	v_cvt_f64_f32_e32 v[10:11], v3
.LBB6_1404:
	s_mov_b32 s0, 0
.LBB6_1405:
	s_delay_alu instid0(SALU_CYCLE_1)
	s_and_not1_b32 vcc_lo, exec_lo, s0
	s_cbranch_vccnz .LBB6_1407
; %bb.1406:
	global_load_u16 v3, v[6:7], off
	s_wait_loadcnt 0x0
	v_cvt_f32_f16_e32 v3, v3
	s_delay_alu instid0(VALU_DEP_1)
	v_cvt_f64_f32_e32 v[10:11], v3
.LBB6_1407:
	s_mov_b32 s0, 0
.LBB6_1408:
	s_delay_alu instid0(SALU_CYCLE_1)
	s_and_not1_b32 vcc_lo, exec_lo, s0
	s_cbranch_vccnz .LBB6_1428
; %bb.1409:
	s_cmp_lt_i32 s14, 2
	s_cbranch_scc1 .LBB6_1413
; %bb.1410:
	s_cmp_lt_i32 s14, 3
	s_cbranch_scc1 .LBB6_1414
; %bb.1411:
	s_cmp_gt_i32 s14, 3
	s_cbranch_scc0 .LBB6_1415
; %bb.1412:
	global_load_b64 v[8:9], v[6:7], off
	s_mov_b32 s0, 0
	s_wait_loadcnt 0x0
	v_cvt_f64_i32_e32 v[10:11], v9
	v_cvt_f64_u32_e32 v[8:9], v8
	s_delay_alu instid0(VALU_DEP_2) | instskip(NEXT) | instid1(VALU_DEP_1)
	v_ldexp_f64 v[10:11], v[10:11], 32
	v_add_f64_e32 v[10:11], v[10:11], v[8:9]
	s_branch .LBB6_1416
.LBB6_1413:
	s_mov_b32 s0, -1
                                        ; implicit-def: $vgpr10_vgpr11
	s_branch .LBB6_1422
.LBB6_1414:
	s_mov_b32 s0, -1
                                        ; implicit-def: $vgpr10_vgpr11
	s_branch .LBB6_1419
.LBB6_1415:
	s_mov_b32 s0, -1
                                        ; implicit-def: $vgpr10_vgpr11
.LBB6_1416:
	s_delay_alu instid0(SALU_CYCLE_1)
	s_and_not1_b32 vcc_lo, exec_lo, s0
	s_cbranch_vccnz .LBB6_1418
; %bb.1417:
	global_load_b32 v3, v[6:7], off
	s_wait_loadcnt 0x0
	v_cvt_f64_i32_e32 v[10:11], v3
.LBB6_1418:
	s_mov_b32 s0, 0
.LBB6_1419:
	s_delay_alu instid0(SALU_CYCLE_1)
	s_and_not1_b32 vcc_lo, exec_lo, s0
	s_cbranch_vccnz .LBB6_1421
; %bb.1420:
	global_load_i16 v3, v[6:7], off
	s_wait_loadcnt 0x0
	v_cvt_f64_i32_e32 v[10:11], v3
.LBB6_1421:
	s_mov_b32 s0, 0
.LBB6_1422:
	s_delay_alu instid0(SALU_CYCLE_1)
	s_and_not1_b32 vcc_lo, exec_lo, s0
	s_cbranch_vccnz .LBB6_1428
; %bb.1423:
	s_cmp_gt_i32 s14, 0
	s_mov_b32 s0, 0
	s_cbranch_scc0 .LBB6_1425
; %bb.1424:
	global_load_i8 v3, v[6:7], off
	s_wait_loadcnt 0x0
	v_cvt_f64_i32_e32 v[10:11], v3
	s_branch .LBB6_1426
.LBB6_1425:
	s_mov_b32 s0, -1
                                        ; implicit-def: $vgpr10_vgpr11
.LBB6_1426:
	s_delay_alu instid0(SALU_CYCLE_1)
	s_and_not1_b32 vcc_lo, exec_lo, s0
	s_cbranch_vccnz .LBB6_1428
; %bb.1427:
	global_load_u8 v3, v[6:7], off
	s_wait_loadcnt 0x0
	v_cvt_f64_u32_e32 v[10:11], v3
.LBB6_1428:
.LBB6_1429:
	s_wait_loadcnt 0x0
	s_delay_alu instid0(VALU_DEP_1) | instskip(SKIP_1) | instid1(VALU_DEP_1)
	v_mul_f64_e32 v[6:7], s[8:9], v[10:11]
	s_mov_b32 s17, exec_lo
	v_cmpx_nlt_f64_e32 s[10:11], v[6:7]
	s_cbranch_execz .LBB6_1431
; %bb.1430:
	v_mul_f64_e32 v[8:9], 0x3ff71547652b82fe, v[6:7]
	s_mov_b64 s[0:1], 0x3e5ade156a5dcb37
	v_cmp_nlt_f64_e32 vcc_lo, 0x40900000, v[6:7]
	s_delay_alu instid0(VALU_DEP_2) | instskip(NEXT) | instid1(VALU_DEP_1)
	v_rndne_f64_e32 v[8:9], v[8:9]
	v_fmamk_f64 v[10:11], v[8:9], 0xbfe62e42fefa39ef, v[6:7]
	v_cvt_i32_f64_e32 v3, v[8:9]
	s_delay_alu instid0(VALU_DEP_2) | instskip(NEXT) | instid1(VALU_DEP_1)
	v_fmamk_f64 v[10:11], v[8:9], 0xbc7abc9e3b39803f, v[10:11]
	v_fmaak_f64 v[14:15], s[0:1], v[10:11], 0x3e928af3fca7ab0c
	v_cmp_ngt_f64_e64 s0, 0xc090cc00, v[6:7]
	s_delay_alu instid0(VALU_DEP_2) | instskip(NEXT) | instid1(VALU_DEP_1)
	v_fmaak_f64 v[14:15], v[10:11], v[14:15], 0x3ec71dee623fde64
	v_fmaak_f64 v[14:15], v[10:11], v[14:15], 0x3efa01997c89e6b0
	s_delay_alu instid0(VALU_DEP_1) | instskip(NEXT) | instid1(VALU_DEP_1)
	v_fmaak_f64 v[14:15], v[10:11], v[14:15], 0x3f2a01a014761f6e
	v_fmaak_f64 v[14:15], v[10:11], v[14:15], 0x3f56c16c1852b7b0
	s_delay_alu instid0(VALU_DEP_1) | instskip(NEXT) | instid1(VALU_DEP_1)
	;; [unrolled: 3-line block ×4, first 2 shown]
	v_fma_f64 v[14:15], v[10:11], v[14:15], 1.0
	v_fma_f64 v[8:9], v[10:11], v[14:15], 1.0
	s_delay_alu instid0(VALU_DEP_1) | instskip(NEXT) | instid1(VALU_DEP_1)
	v_ldexp_f64 v[8:9], v[8:9], v3
	v_cndmask_b32_e32 v3, 0x7ff00000, v9, vcc_lo
	s_and_b32 vcc_lo, s0, vcc_lo
	s_delay_alu instid0(VALU_DEP_1) | instid1(SALU_CYCLE_1)
	v_dual_cndmask_b32 v6, 0, v8, vcc_lo :: v_dual_cndmask_b32 v7, 0, v3, s0
	s_mov_b64 s[0:1], 0x3fe5555555555555
	s_delay_alu instid0(VALU_DEP_1) | instskip(NEXT) | instid1(VALU_DEP_1)
	v_add_f64_e32 v[8:9], 1.0, v[6:7]
	v_frexp_mant_f64_e32 v[10:11], v[8:9]
	v_frexp_exp_i32_f64_e32 v3, v[8:9]
	s_delay_alu instid0(VALU_DEP_2) | instskip(SKIP_1) | instid1(VALU_DEP_2)
	v_cmp_gt_f64_e32 vcc_lo, s[0:1], v[10:11]
	s_mov_b64 s[0:1], 0x3fc3ab76bf559e2b
	v_subrev_co_ci_u32_e64 v3, null, 0, v3, vcc_lo
	v_add_f64_e32 v[14:15], -1.0, v[8:9]
	v_cmp_nge_f64_e32 vcc_lo, -1.0, v[6:7]
	s_delay_alu instid0(VALU_DEP_2) | instskip(NEXT) | instid1(VALU_DEP_1)
	v_dual_add_f64 v[10:11], v[14:15], -v[8:9] :: v_dual_sub_nc_u32 v13, 0, v3
	v_ldexp_f64 v[8:9], v[8:9], v13
	v_add_f64_e64 v[14:15], v[6:7], -v[14:15]
	s_delay_alu instid0(VALU_DEP_3) | instskip(NEXT) | instid1(VALU_DEP_3)
	v_add_f64_e32 v[10:11], 1.0, v[10:11]
	v_add_f64_e32 v[16:17], 1.0, v[8:9]
	v_add_f64_e32 v[22:23], -1.0, v[8:9]
	s_delay_alu instid0(VALU_DEP_3) | instskip(NEXT) | instid1(VALU_DEP_3)
	v_add_f64_e32 v[10:11], v[14:15], v[10:11]
	v_add_f64_e32 v[14:15], -1.0, v[16:17]
	s_delay_alu instid0(VALU_DEP_3) | instskip(NEXT) | instid1(VALU_DEP_3)
	v_add_f64_e32 v[24:25], 1.0, v[22:23]
	v_ldexp_f64 v[10:11], v[10:11], v13
	s_delay_alu instid0(VALU_DEP_3) | instskip(NEXT) | instid1(VALU_DEP_3)
	v_add_f64_e64 v[14:15], v[8:9], -v[14:15]
	v_add_f64_e64 v[8:9], v[8:9], -v[24:25]
	s_delay_alu instid0(VALU_DEP_2) | instskip(NEXT) | instid1(VALU_DEP_2)
	v_add_f64_e32 v[14:15], v[10:11], v[14:15]
	v_add_f64_e32 v[8:9], v[10:11], v[8:9]
	s_delay_alu instid0(VALU_DEP_2) | instskip(NEXT) | instid1(VALU_DEP_2)
	v_add_f64_e32 v[18:19], v[16:17], v[14:15]
	v_add_f64_e32 v[24:25], v[22:23], v[8:9]
	s_delay_alu instid0(VALU_DEP_2) | instskip(SKIP_1) | instid1(VALU_DEP_2)
	v_rcp_f64_e32 v[20:21], v[18:19]
	v_add_f64_e64 v[16:17], v[18:19], -v[16:17]
	v_add_f64_e64 v[22:23], v[24:25], -v[22:23]
	s_delay_alu instid0(VALU_DEP_2) | instskip(NEXT) | instid1(VALU_DEP_2)
	v_add_f64_e64 v[14:15], v[14:15], -v[16:17]
	v_add_f64_e64 v[8:9], v[8:9], -v[22:23]
	s_delay_alu instid0(TRANS32_DEP_1) | instskip(NEXT) | instid1(VALU_DEP_1)
	v_fma_f64 v[26:27], -v[18:19], v[20:21], 1.0
	v_fmac_f64_e32 v[20:21], v[26:27], v[20:21]
	s_delay_alu instid0(VALU_DEP_1) | instskip(NEXT) | instid1(VALU_DEP_1)
	v_fma_f64 v[10:11], -v[18:19], v[20:21], 1.0
	v_fmac_f64_e32 v[20:21], v[10:11], v[20:21]
	s_delay_alu instid0(VALU_DEP_1) | instskip(NEXT) | instid1(VALU_DEP_1)
	v_mul_f64_e32 v[10:11], v[24:25], v[20:21]
	v_mul_f64_e32 v[26:27], v[18:19], v[10:11]
	s_delay_alu instid0(VALU_DEP_1) | instskip(NEXT) | instid1(VALU_DEP_1)
	v_fma_f64 v[16:17], v[10:11], v[18:19], -v[26:27]
	v_fmac_f64_e32 v[16:17], v[10:11], v[14:15]
	s_delay_alu instid0(VALU_DEP_1) | instskip(NEXT) | instid1(VALU_DEP_1)
	v_add_f64_e32 v[28:29], v[26:27], v[16:17]
	v_add_f64_e64 v[30:31], v[24:25], -v[28:29]
	v_add_f64_e64 v[22:23], v[28:29], -v[26:27]
	s_delay_alu instid0(VALU_DEP_2) | instskip(NEXT) | instid1(VALU_DEP_2)
	v_add_f64_e64 v[24:25], v[24:25], -v[30:31]
	v_add_f64_e64 v[16:17], v[22:23], -v[16:17]
	s_delay_alu instid0(VALU_DEP_2) | instskip(NEXT) | instid1(VALU_DEP_1)
	v_add_f64_e64 v[24:25], v[24:25], -v[28:29]
	v_add_f64_e32 v[8:9], v[8:9], v[24:25]
	s_delay_alu instid0(VALU_DEP_1) | instskip(NEXT) | instid1(VALU_DEP_1)
	v_add_f64_e32 v[8:9], v[16:17], v[8:9]
	v_add_f64_e32 v[16:17], v[30:31], v[8:9]
	s_delay_alu instid0(VALU_DEP_1) | instskip(SKIP_1) | instid1(VALU_DEP_2)
	v_mul_f64_e32 v[22:23], v[20:21], v[16:17]
	v_add_f64_e64 v[28:29], v[30:31], -v[16:17]
	v_mul_f64_e32 v[24:25], v[18:19], v[22:23]
	s_delay_alu instid0(VALU_DEP_2) | instskip(NEXT) | instid1(VALU_DEP_2)
	v_add_f64_e32 v[8:9], v[8:9], v[28:29]
	v_fma_f64 v[18:19], v[22:23], v[18:19], -v[24:25]
	s_delay_alu instid0(VALU_DEP_1) | instskip(NEXT) | instid1(VALU_DEP_1)
	v_fmac_f64_e32 v[18:19], v[22:23], v[14:15]
	v_add_f64_e32 v[14:15], v[24:25], v[18:19]
	s_delay_alu instid0(VALU_DEP_1) | instskip(SKIP_1) | instid1(VALU_DEP_2)
	v_add_f64_e64 v[26:27], v[16:17], -v[14:15]
	v_add_f64_e64 v[24:25], v[14:15], -v[24:25]
	;; [unrolled: 1-line block ×3, first 2 shown]
	s_delay_alu instid0(VALU_DEP_1) | instskip(NEXT) | instid1(VALU_DEP_3)
	v_add_f64_e64 v[14:15], v[16:17], -v[14:15]
	v_add_f64_e64 v[16:17], v[24:25], -v[18:19]
	s_delay_alu instid0(VALU_DEP_2) | instskip(SKIP_1) | instid1(VALU_DEP_2)
	v_add_f64_e32 v[8:9], v[8:9], v[14:15]
	v_add_f64_e32 v[14:15], v[10:11], v[22:23]
	;; [unrolled: 1-line block ×3, first 2 shown]
	s_delay_alu instid0(VALU_DEP_2) | instskip(NEXT) | instid1(VALU_DEP_2)
	v_add_f64_e64 v[10:11], v[14:15], -v[10:11]
	v_add_f64_e32 v[8:9], v[26:27], v[8:9]
	s_delay_alu instid0(VALU_DEP_2) | instskip(NEXT) | instid1(VALU_DEP_2)
	v_add_f64_e64 v[10:11], v[22:23], -v[10:11]
	v_mul_f64_e32 v[8:9], v[20:21], v[8:9]
	s_delay_alu instid0(VALU_DEP_1) | instskip(NEXT) | instid1(VALU_DEP_1)
	v_add_f64_e32 v[8:9], v[10:11], v[8:9]
	v_add_f64_e32 v[10:11], v[14:15], v[8:9]
	s_delay_alu instid0(VALU_DEP_1) | instskip(NEXT) | instid1(VALU_DEP_1)
	v_mul_f64_e32 v[16:17], v[10:11], v[10:11]
	v_fmaak_f64 v[18:19], s[0:1], v[16:17], 0x3fc385386b47b09a
	v_mul_f64_e32 v[20:21], v[10:11], v[16:17]
	s_mov_b64 s[0:1], 0x3fe62e42fefa39ef
	s_delay_alu instid0(VALU_DEP_2) | instskip(NEXT) | instid1(VALU_DEP_1)
	v_fmaak_f64 v[18:19], v[16:17], v[18:19], 0x3fc7474dd7f4df2e
	v_fmaak_f64 v[18:19], v[16:17], v[18:19], 0x3fcc71c016291751
	s_delay_alu instid0(VALU_DEP_1) | instskip(NEXT) | instid1(VALU_DEP_1)
	v_fmaak_f64 v[18:19], v[16:17], v[18:19], 0x3fd249249b27acf1
	v_fmaak_f64 v[18:19], v[16:17], v[18:19], 0x3fd99999998ef7b6
	s_delay_alu instid0(VALU_DEP_1) | instskip(SKIP_2) | instid1(VALU_DEP_3)
	v_fmaak_f64 v[16:17], v[16:17], v[18:19], 0x3fe5555555555780
	v_ldexp_f64 v[18:19], v[10:11], 1
	v_add_f64_e64 v[10:11], v[10:11], -v[14:15]
	v_mul_f64_e32 v[16:17], v[20:21], v[16:17]
	v_cvt_f64_i32_e32 v[20:21], v3
	s_delay_alu instid0(VALU_DEP_3) | instskip(NEXT) | instid1(VALU_DEP_3)
	v_add_f64_e64 v[8:9], v[8:9], -v[10:11]
	v_add_f64_e32 v[14:15], v[18:19], v[16:17]
	s_delay_alu instid0(VALU_DEP_2) | instskip(NEXT) | instid1(VALU_DEP_2)
	v_ldexp_f64 v[8:9], v[8:9], 1
	v_add_f64_e64 v[10:11], v[14:15], -v[18:19]
	v_mul_f64_e32 v[18:19], 0x3fe62e42fefa39ef, v[20:21]
	s_delay_alu instid0(VALU_DEP_2) | instskip(NEXT) | instid1(VALU_DEP_2)
	v_add_f64_e64 v[10:11], v[16:17], -v[10:11]
	v_fma_f64 v[16:17], v[20:21], s[0:1], -v[18:19]
	v_cmp_neq_f64_e64 s0, 0x7ff00000, v[6:7]
	v_cmp_ngt_f64_e64 s1, -1.0, v[6:7]
	s_delay_alu instid0(VALU_DEP_4) | instskip(NEXT) | instid1(VALU_DEP_4)
	v_add_f64_e32 v[8:9], v[8:9], v[10:11]
	v_fmamk_f64 v[10:11], v[20:21], 0x3c7abc9e3b39803f, v[16:17]
	s_and_b32 vcc_lo, vcc_lo, s0
	s_delay_alu instid0(VALU_DEP_1) | instskip(NEXT) | instid1(VALU_DEP_3)
	v_add_f64_e32 v[16:17], v[18:19], v[10:11]
	v_add_f64_e32 v[20:21], v[14:15], v[8:9]
	s_delay_alu instid0(VALU_DEP_2) | instskip(NEXT) | instid1(VALU_DEP_2)
	v_add_f64_e64 v[18:19], v[16:17], -v[18:19]
	v_add_f64_e32 v[22:23], v[16:17], v[20:21]
	v_add_f64_e64 v[14:15], v[20:21], -v[14:15]
	s_delay_alu instid0(VALU_DEP_3) | instskip(NEXT) | instid1(VALU_DEP_3)
	v_add_f64_e64 v[10:11], v[10:11], -v[18:19]
	v_add_f64_e64 v[24:25], v[22:23], -v[16:17]
	s_delay_alu instid0(VALU_DEP_3) | instskip(NEXT) | instid1(VALU_DEP_2)
	v_add_f64_e64 v[8:9], v[8:9], -v[14:15]
	v_add_f64_e64 v[26:27], v[22:23], -v[24:25]
	;; [unrolled: 1-line block ×3, first 2 shown]
	s_delay_alu instid0(VALU_DEP_3) | instskip(NEXT) | instid1(VALU_DEP_3)
	v_add_f64_e32 v[18:19], v[10:11], v[8:9]
	v_add_f64_e64 v[16:17], v[16:17], -v[26:27]
	s_delay_alu instid0(VALU_DEP_1) | instskip(NEXT) | instid1(VALU_DEP_3)
	v_add_f64_e32 v[14:15], v[14:15], v[16:17]
	v_add_f64_e64 v[16:17], v[18:19], -v[10:11]
	s_delay_alu instid0(VALU_DEP_2) | instskip(NEXT) | instid1(VALU_DEP_2)
	v_add_f64_e32 v[14:15], v[18:19], v[14:15]
	v_add_f64_e64 v[18:19], v[18:19], -v[16:17]
	v_add_f64_e64 v[8:9], v[8:9], -v[16:17]
	s_delay_alu instid0(VALU_DEP_3) | instskip(NEXT) | instid1(VALU_DEP_3)
	v_add_f64_e32 v[20:21], v[22:23], v[14:15]
	v_add_f64_e64 v[10:11], v[10:11], -v[18:19]
	s_delay_alu instid0(VALU_DEP_2) | instskip(NEXT) | instid1(VALU_DEP_2)
	v_add_f64_e64 v[16:17], v[20:21], -v[22:23]
	v_add_f64_e32 v[8:9], v[8:9], v[10:11]
	s_delay_alu instid0(VALU_DEP_2) | instskip(NEXT) | instid1(VALU_DEP_1)
	v_add_f64_e64 v[10:11], v[14:15], -v[16:17]
	v_add_f64_e32 v[8:9], v[8:9], v[10:11]
	s_delay_alu instid0(VALU_DEP_1) | instskip(NEXT) | instid1(VALU_DEP_1)
	v_add_f64_e32 v[8:9], v[20:21], v[8:9]
	v_cndmask_b32_e32 v8, 0, v8, vcc_lo
	v_cmp_neq_f64_e32 vcc_lo, -1.0, v[6:7]
	s_delay_alu instid0(VALU_DEP_3) | instskip(NEXT) | instid1(VALU_DEP_1)
	v_cndmask_b32_e64 v3, 0x7ff00000, v9, s0
	v_cndmask_b32_e64 v3, 0x7ff80000, v3, s1
	s_delay_alu instid0(VALU_DEP_1) | instskip(NEXT) | instid1(VALU_DEP_1)
	v_cndmask_b32_e32 v9, 0xfff00000, v3, vcc_lo
	v_div_scale_f64 v[6:7], null, s[8:9], s[8:9], v[8:9]
	s_delay_alu instid0(VALU_DEP_1) | instskip(SKIP_1) | instid1(TRANS32_DEP_1)
	v_rcp_f64_e32 v[10:11], v[6:7]
	v_nop
	v_fma_f64 v[14:15], -v[6:7], v[10:11], 1.0
	s_delay_alu instid0(VALU_DEP_1) | instskip(NEXT) | instid1(VALU_DEP_1)
	v_fmac_f64_e32 v[10:11], v[10:11], v[14:15]
	v_fma_f64 v[14:15], -v[6:7], v[10:11], 1.0
	s_delay_alu instid0(VALU_DEP_1) | instskip(SKIP_1) | instid1(VALU_DEP_1)
	v_fmac_f64_e32 v[10:11], v[10:11], v[14:15]
	v_div_scale_f64 v[14:15], vcc_lo, v[8:9], s[8:9], v[8:9]
	v_mul_f64_e32 v[16:17], v[14:15], v[10:11]
	s_delay_alu instid0(VALU_DEP_1) | instskip(NEXT) | instid1(VALU_DEP_1)
	v_fma_f64 v[6:7], -v[6:7], v[16:17], v[14:15]
	v_div_fmas_f64 v[6:7], v[6:7], v[10:11], v[16:17]
	s_delay_alu instid0(VALU_DEP_1)
	v_div_fixup_f64 v[10:11], v[6:7], s[8:9], v[8:9]
.LBB6_1431:
	s_or_b32 exec_lo, exec_lo, s17
	v_add_nc_u32_e32 v2, s3, v2
	s_cmp_lt_i32 s14, 11
	s_delay_alu instid0(VALU_DEP_1) | instskip(NEXT) | instid1(VALU_DEP_1)
	v_ashrrev_i32_e32 v3, 31, v2
	v_add_nc_u64_e32 v[2:3], s[6:7], v[2:3]
	s_cbranch_scc1 .LBB6_1438
; %bb.1432:
	s_cmp_gt_i32 s14, 25
	s_mov_b32 s1, 0
	s_cbranch_scc0 .LBB6_1439
; %bb.1433:
	s_cmp_gt_i32 s14, 28
	s_cbranch_scc0 .LBB6_1440
; %bb.1434:
	s_cmp_gt_i32 s14, 43
	;; [unrolled: 3-line block ×3, first 2 shown]
	s_cbranch_scc0 .LBB6_1443
; %bb.1436:
	s_cmp_eq_u32 s14, 46
	s_mov_b32 s6, 0
	s_cbranch_scc0 .LBB6_1444
; %bb.1437:
	global_load_b32 v6, v[2:3], off
	s_mov_b32 s0, 0
	s_mov_b32 s3, -1
	s_wait_loadcnt 0x0
	v_lshlrev_b32_e32 v6, 16, v6
	s_delay_alu instid0(VALU_DEP_1)
	v_cvt_f64_f32_e32 v[8:9], v6
	s_branch .LBB6_1446
.LBB6_1438:
	s_mov_b32 s0, -1
	s_mov_b32 s3, 0
                                        ; implicit-def: $vgpr8_vgpr9
	s_branch .LBB6_1512
.LBB6_1439:
	s_mov_b32 s6, -1
	s_mov_b32 s3, 0
	s_mov_b32 s0, 0
                                        ; implicit-def: $vgpr8_vgpr9
	s_branch .LBB6_1475
.LBB6_1440:
	s_mov_b32 s6, -1
	s_mov_b32 s3, 0
	s_mov_b32 s0, 0
                                        ; implicit-def: $vgpr8_vgpr9
	s_branch .LBB6_1456
.LBB6_1441:
	s_mov_b32 s6, -1
	s_mov_b32 s3, 0
	s_mov_b32 s0, 0
                                        ; implicit-def: $vgpr8_vgpr9
	s_branch .LBB6_1451
.LBB6_1442:
	s_or_b32 s13, s13, exec_lo
	s_trap 2
	s_cbranch_execz .LBB6_1379
	s_branch .LBB6_1380
.LBB6_1443:
	s_mov_b32 s6, -1
	s_mov_b32 s3, 0
	s_mov_b32 s0, 0
	s_branch .LBB6_1445
.LBB6_1444:
	s_mov_b32 s0, -1
	s_mov_b32 s3, 0
.LBB6_1445:
                                        ; implicit-def: $vgpr8_vgpr9
.LBB6_1446:
	s_and_b32 vcc_lo, exec_lo, s6
	s_cbranch_vccz .LBB6_1450
; %bb.1447:
	s_cmp_eq_u32 s14, 44
	s_cbranch_scc0 .LBB6_1449
; %bb.1448:
	global_load_u8 v8, v[2:3], off
	s_mov_b32 s0, 0
	s_mov_b32 s3, -1
	s_wait_loadcnt 0x0
	v_cmp_ne_u32_e32 vcc_lo, 0xff, v8
	v_lshlrev_b32_e32 v6, 23, v8
	s_delay_alu instid0(VALU_DEP_1) | instskip(NEXT) | instid1(VALU_DEP_1)
	v_cvt_f64_f32_e32 v[6:7], v6
	v_cndmask_b32_e32 v6, 0x20000000, v6, vcc_lo
	s_delay_alu instid0(VALU_DEP_2) | instskip(SKIP_1) | instid1(VALU_DEP_2)
	v_cndmask_b32_e32 v7, 0x7ff80000, v7, vcc_lo
	v_cmp_ne_u32_e32 vcc_lo, 0, v8
	v_cndmask_b32_e32 v9, 0x38000000, v7, vcc_lo
	s_delay_alu instid0(VALU_DEP_4)
	v_cndmask_b32_e32 v8, 0, v6, vcc_lo
	s_branch .LBB6_1450
.LBB6_1449:
	s_mov_b32 s0, -1
                                        ; implicit-def: $vgpr8_vgpr9
.LBB6_1450:
	s_mov_b32 s6, 0
.LBB6_1451:
	s_delay_alu instid0(SALU_CYCLE_1)
	s_and_b32 vcc_lo, exec_lo, s6
	s_cbranch_vccz .LBB6_1455
; %bb.1452:
	s_cmp_eq_u32 s14, 29
	s_cbranch_scc0 .LBB6_1454
; %bb.1453:
	global_load_b64 v[6:7], v[2:3], off
	s_mov_b32 s0, 0
	s_mov_b32 s3, -1
	s_mov_b32 s6, 0
	s_wait_loadcnt 0x0
	v_cvt_f64_u32_e32 v[8:9], v7
	v_cvt_f64_u32_e32 v[6:7], v6
	s_delay_alu instid0(VALU_DEP_2) | instskip(NEXT) | instid1(VALU_DEP_1)
	v_ldexp_f64 v[8:9], v[8:9], 32
	v_add_f64_e32 v[8:9], v[8:9], v[6:7]
	s_branch .LBB6_1456
.LBB6_1454:
	s_mov_b32 s0, -1
                                        ; implicit-def: $vgpr8_vgpr9
.LBB6_1455:
	s_mov_b32 s6, 0
.LBB6_1456:
	s_delay_alu instid0(SALU_CYCLE_1)
	s_and_b32 vcc_lo, exec_lo, s6
	s_cbranch_vccz .LBB6_1474
; %bb.1457:
	s_cmp_lt_i32 s14, 27
	s_cbranch_scc1 .LBB6_1460
; %bb.1458:
	s_cmp_gt_i32 s14, 27
	s_cbranch_scc0 .LBB6_1461
; %bb.1459:
	global_load_b32 v6, v[2:3], off
	s_mov_b32 s3, 0
	s_wait_loadcnt 0x0
	v_cvt_f64_u32_e32 v[8:9], v6
	s_branch .LBB6_1462
.LBB6_1460:
	s_mov_b32 s3, -1
                                        ; implicit-def: $vgpr8_vgpr9
	s_branch .LBB6_1465
.LBB6_1461:
	s_mov_b32 s3, -1
                                        ; implicit-def: $vgpr8_vgpr9
.LBB6_1462:
	s_delay_alu instid0(SALU_CYCLE_1)
	s_and_not1_b32 vcc_lo, exec_lo, s3
	s_cbranch_vccnz .LBB6_1464
; %bb.1463:
	global_load_u16 v6, v[2:3], off
	s_wait_loadcnt 0x0
	v_cvt_f64_u32_e32 v[8:9], v6
.LBB6_1464:
	s_mov_b32 s3, 0
.LBB6_1465:
	s_delay_alu instid0(SALU_CYCLE_1)
	s_and_not1_b32 vcc_lo, exec_lo, s3
	s_cbranch_vccnz .LBB6_1473
; %bb.1466:
	global_load_u8 v6, v[2:3], off
	s_mov_b32 s3, 0
	s_mov_b32 s6, exec_lo
	s_wait_loadcnt 0x0
	v_cmpx_lt_i16_e32 0x7f, v6
	s_xor_b32 s6, exec_lo, s6
	s_cbranch_execz .LBB6_1487
; %bb.1467:
	s_mov_b32 s3, -1
	s_mov_b32 s7, exec_lo
	v_cmpx_eq_u16_e32 0x80, v6
; %bb.1468:
	s_xor_b32 s3, exec_lo, -1
; %bb.1469:
	s_or_b32 exec_lo, exec_lo, s7
	s_delay_alu instid0(SALU_CYCLE_1)
	s_and_b32 s3, s3, exec_lo
	s_or_saveexec_b32 s6, s6
	v_mov_b64_e32 v[8:9], 0x7ff8000020000000
	s_xor_b32 exec_lo, exec_lo, s6
	s_cbranch_execnz .LBB6_1488
.LBB6_1470:
	s_or_b32 exec_lo, exec_lo, s6
	s_and_saveexec_b32 s6, s3
	s_cbranch_execz .LBB6_1472
.LBB6_1471:
	v_and_b32_e32 v7, 0xffff, v6
	s_delay_alu instid0(VALU_DEP_1) | instskip(SKIP_1) | instid1(VALU_DEP_2)
	v_and_b32_e32 v8, 7, v7
	v_bfe_u32 v14, v7, 3, 4
	v_clz_i32_u32_e32 v9, v8
	s_delay_alu instid0(VALU_DEP_2) | instskip(NEXT) | instid1(VALU_DEP_2)
	v_cmp_eq_u32_e32 vcc_lo, 0, v14
	v_min_u32_e32 v9, 32, v9
	s_delay_alu instid0(VALU_DEP_1) | instskip(NEXT) | instid1(VALU_DEP_1)
	v_subrev_nc_u32_e32 v13, 28, v9
	v_dual_lshlrev_b32 v7, v13, v7 :: v_dual_sub_nc_u32 v9, 29, v9
	s_delay_alu instid0(VALU_DEP_1) | instskip(NEXT) | instid1(VALU_DEP_1)
	v_dual_lshlrev_b32 v6, 24, v6 :: v_dual_bitop2_b32 v7, 7, v7 bitop3:0x40
	v_dual_cndmask_b32 v9, v14, v9, vcc_lo :: v_dual_cndmask_b32 v7, v8, v7, vcc_lo
	s_delay_alu instid0(VALU_DEP_2) | instskip(NEXT) | instid1(VALU_DEP_2)
	v_and_b32_e32 v6, 0x80000000, v6
	v_lshl_add_u32 v8, v9, 23, 0x3b800000
	s_delay_alu instid0(VALU_DEP_3) | instskip(NEXT) | instid1(VALU_DEP_1)
	v_lshlrev_b32_e32 v7, 20, v7
	v_or3_b32 v6, v6, v8, v7
	s_delay_alu instid0(VALU_DEP_1)
	v_cvt_f64_f32_e32 v[8:9], v6
.LBB6_1472:
	s_or_b32 exec_lo, exec_lo, s6
.LBB6_1473:
	s_mov_b32 s3, -1
.LBB6_1474:
	s_mov_b32 s6, 0
.LBB6_1475:
	s_delay_alu instid0(SALU_CYCLE_1)
	s_and_b32 vcc_lo, exec_lo, s6
	s_cbranch_vccz .LBB6_1508
; %bb.1476:
	s_cmp_gt_i32 s14, 22
	s_cbranch_scc0 .LBB6_1486
; %bb.1477:
	s_cmp_lt_i32 s14, 24
	s_cbranch_scc1 .LBB6_1489
; %bb.1478:
	s_cmp_gt_i32 s14, 24
	s_cbranch_scc0 .LBB6_1490
; %bb.1479:
	global_load_u8 v6, v[2:3], off
	s_mov_b32 s3, exec_lo
	s_wait_loadcnt 0x0
	v_cmpx_lt_i16_e32 0x7f, v6
	s_xor_b32 s3, exec_lo, s3
	s_cbranch_execz .LBB6_1502
; %bb.1480:
	s_mov_b32 s1, -1
	s_mov_b32 s6, exec_lo
	v_cmpx_eq_u16_e32 0x80, v6
; %bb.1481:
	s_xor_b32 s1, exec_lo, -1
; %bb.1482:
	s_or_b32 exec_lo, exec_lo, s6
	s_delay_alu instid0(SALU_CYCLE_1)
	s_and_b32 s1, s1, exec_lo
	s_or_saveexec_b32 s3, s3
	v_mov_b64_e32 v[8:9], 0x7ff8000020000000
	s_xor_b32 exec_lo, exec_lo, s3
	s_cbranch_execnz .LBB6_1503
.LBB6_1483:
	s_or_b32 exec_lo, exec_lo, s3
	s_and_saveexec_b32 s3, s1
	s_cbranch_execz .LBB6_1485
.LBB6_1484:
	v_and_b32_e32 v7, 0xffff, v6
	s_delay_alu instid0(VALU_DEP_1) | instskip(SKIP_1) | instid1(VALU_DEP_2)
	v_and_b32_e32 v8, 3, v7
	v_bfe_u32 v14, v7, 2, 5
	v_clz_i32_u32_e32 v9, v8
	s_delay_alu instid0(VALU_DEP_2) | instskip(NEXT) | instid1(VALU_DEP_2)
	v_cmp_eq_u32_e32 vcc_lo, 0, v14
	v_min_u32_e32 v9, 32, v9
	s_delay_alu instid0(VALU_DEP_1) | instskip(NEXT) | instid1(VALU_DEP_1)
	v_subrev_nc_u32_e32 v13, 29, v9
	v_dual_lshlrev_b32 v7, v13, v7 :: v_dual_sub_nc_u32 v9, 30, v9
	s_delay_alu instid0(VALU_DEP_1) | instskip(NEXT) | instid1(VALU_DEP_1)
	v_dual_lshlrev_b32 v6, 24, v6 :: v_dual_bitop2_b32 v7, 3, v7 bitop3:0x40
	v_dual_cndmask_b32 v9, v14, v9, vcc_lo :: v_dual_cndmask_b32 v7, v8, v7, vcc_lo
	s_delay_alu instid0(VALU_DEP_2) | instskip(NEXT) | instid1(VALU_DEP_2)
	v_and_b32_e32 v6, 0x80000000, v6
	v_lshl_add_u32 v8, v9, 23, 0x37800000
	s_delay_alu instid0(VALU_DEP_3) | instskip(NEXT) | instid1(VALU_DEP_1)
	v_lshlrev_b32_e32 v7, 21, v7
	v_or3_b32 v6, v6, v8, v7
	s_delay_alu instid0(VALU_DEP_1)
	v_cvt_f64_f32_e32 v[8:9], v6
.LBB6_1485:
	s_or_b32 exec_lo, exec_lo, s3
	s_mov_b32 s1, 0
	s_branch .LBB6_1491
.LBB6_1486:
	s_mov_b32 s1, -1
                                        ; implicit-def: $vgpr8_vgpr9
	s_branch .LBB6_1497
.LBB6_1487:
	s_or_saveexec_b32 s6, s6
	v_mov_b64_e32 v[8:9], 0x7ff8000020000000
	s_xor_b32 exec_lo, exec_lo, s6
	s_cbranch_execz .LBB6_1470
.LBB6_1488:
	v_cmp_ne_u16_e32 vcc_lo, 0, v6
	v_mov_b64_e32 v[8:9], 0
	s_and_not1_b32 s3, s3, exec_lo
	s_and_b32 s7, vcc_lo, exec_lo
	s_delay_alu instid0(SALU_CYCLE_1)
	s_or_b32 s3, s3, s7
	s_or_b32 exec_lo, exec_lo, s6
	s_and_saveexec_b32 s6, s3
	s_cbranch_execnz .LBB6_1471
	s_branch .LBB6_1472
.LBB6_1489:
	s_mov_b32 s1, -1
                                        ; implicit-def: $vgpr8_vgpr9
	s_branch .LBB6_1494
.LBB6_1490:
	s_mov_b32 s1, -1
                                        ; implicit-def: $vgpr8_vgpr9
.LBB6_1491:
	s_delay_alu instid0(SALU_CYCLE_1)
	s_and_b32 vcc_lo, exec_lo, s1
	s_cbranch_vccz .LBB6_1493
; %bb.1492:
	global_load_u8 v6, v[2:3], off
	s_wait_loadcnt 0x0
	v_lshlrev_b32_e32 v6, 24, v6
	s_delay_alu instid0(VALU_DEP_1) | instskip(NEXT) | instid1(VALU_DEP_1)
	v_and_b32_e32 v7, 0x7f000000, v6
	v_clz_i32_u32_e32 v8, v7
	v_add_nc_u32_e32 v13, 0x1000000, v7
	v_cmp_ne_u32_e32 vcc_lo, 0, v7
	s_delay_alu instid0(VALU_DEP_3) | instskip(NEXT) | instid1(VALU_DEP_1)
	v_min_u32_e32 v8, 32, v8
	v_sub_nc_u32_e64 v8, v8, 4 clamp
	s_delay_alu instid0(VALU_DEP_1) | instskip(NEXT) | instid1(VALU_DEP_1)
	v_dual_lshlrev_b32 v9, v8, v7 :: v_dual_lshlrev_b32 v8, 23, v8
	v_lshrrev_b32_e32 v9, 4, v9
	s_delay_alu instid0(VALU_DEP_1) | instskip(NEXT) | instid1(VALU_DEP_1)
	v_dual_sub_nc_u32 v8, v9, v8 :: v_dual_ashrrev_i32 v9, 8, v13
	v_add_nc_u32_e32 v8, 0x3c000000, v8
	s_delay_alu instid0(VALU_DEP_1) | instskip(NEXT) | instid1(VALU_DEP_1)
	v_and_or_b32 v8, 0x7f800000, v9, v8
	v_cndmask_b32_e32 v7, 0, v8, vcc_lo
	s_delay_alu instid0(VALU_DEP_1) | instskip(NEXT) | instid1(VALU_DEP_1)
	v_and_or_b32 v6, 0x80000000, v6, v7
	v_cvt_f64_f32_e32 v[8:9], v6
.LBB6_1493:
	s_mov_b32 s1, 0
.LBB6_1494:
	s_delay_alu instid0(SALU_CYCLE_1)
	s_and_not1_b32 vcc_lo, exec_lo, s1
	s_cbranch_vccnz .LBB6_1496
; %bb.1495:
	global_load_u8 v6, v[2:3], off
	s_wait_loadcnt 0x0
	v_lshlrev_b32_e32 v7, 25, v6
	v_lshlrev_b16 v6, 8, v6
	s_delay_alu instid0(VALU_DEP_1) | instskip(SKIP_1) | instid1(VALU_DEP_2)
	v_and_or_b32 v9, 0x7f00, v6, 0.5
	v_bfe_i32 v6, v6, 0, 16
	v_dual_add_f32 v9, -0.5, v9 :: v_dual_lshrrev_b32 v8, 4, v7
	v_cmp_gt_u32_e32 vcc_lo, 0x8000000, v7
	s_delay_alu instid0(VALU_DEP_2) | instskip(NEXT) | instid1(VALU_DEP_1)
	v_or_b32_e32 v8, 0x70000000, v8
	v_mul_f32_e32 v8, 0x7800000, v8
	s_delay_alu instid0(VALU_DEP_1) | instskip(NEXT) | instid1(VALU_DEP_1)
	v_cndmask_b32_e32 v7, v8, v9, vcc_lo
	v_and_or_b32 v6, 0x80000000, v6, v7
	s_delay_alu instid0(VALU_DEP_1)
	v_cvt_f64_f32_e32 v[8:9], v6
.LBB6_1496:
	s_mov_b32 s1, 0
	s_mov_b32 s3, -1
.LBB6_1497:
	s_and_not1_b32 vcc_lo, exec_lo, s1
	s_mov_b32 s1, 0
	s_cbranch_vccnz .LBB6_1508
; %bb.1498:
	s_cmp_gt_i32 s14, 14
	s_cbranch_scc0 .LBB6_1501
; %bb.1499:
	s_cmp_eq_u32 s14, 15
	s_cbranch_scc0 .LBB6_1504
; %bb.1500:
	global_load_u16 v6, v[2:3], off
	s_mov_b32 s0, 0
	s_mov_b32 s3, -1
	s_wait_loadcnt 0x0
	v_lshlrev_b32_e32 v6, 16, v6
	s_delay_alu instid0(VALU_DEP_1)
	v_cvt_f64_f32_e32 v[8:9], v6
	s_branch .LBB6_1506
.LBB6_1501:
	s_mov_b32 s1, -1
	s_branch .LBB6_1505
.LBB6_1502:
	s_or_saveexec_b32 s3, s3
	v_mov_b64_e32 v[8:9], 0x7ff8000020000000
	s_xor_b32 exec_lo, exec_lo, s3
	s_cbranch_execz .LBB6_1483
.LBB6_1503:
	v_cmp_ne_u16_e32 vcc_lo, 0, v6
	v_mov_b64_e32 v[8:9], 0
	s_and_not1_b32 s1, s1, exec_lo
	s_and_b32 s6, vcc_lo, exec_lo
	s_delay_alu instid0(SALU_CYCLE_1)
	s_or_b32 s1, s1, s6
	s_or_b32 exec_lo, exec_lo, s3
	s_and_saveexec_b32 s3, s1
	s_cbranch_execnz .LBB6_1484
	s_branch .LBB6_1485
.LBB6_1504:
	s_mov_b32 s0, -1
.LBB6_1505:
                                        ; implicit-def: $vgpr8_vgpr9
.LBB6_1506:
	s_and_b32 vcc_lo, exec_lo, s1
	s_mov_b32 s1, 0
	s_cbranch_vccz .LBB6_1508
; %bb.1507:
	s_cmp_lg_u32 s14, 11
	s_mov_b32 s1, -1
	s_cselect_b32 s0, -1, 0
.LBB6_1508:
	s_delay_alu instid0(SALU_CYCLE_1)
	s_and_b32 vcc_lo, exec_lo, s0
	s_cbranch_vccnz .LBB6_2044
; %bb.1509:
	s_and_not1_b32 vcc_lo, exec_lo, s1
	s_cbranch_vccnz .LBB6_1511
.LBB6_1510:
	global_load_u8 v6, v[2:3], off
	v_mov_b32_e32 v8, 0
	s_mov_b32 s3, -1
	s_wait_loadcnt 0x0
	v_cmp_ne_u16_e32 vcc_lo, 0, v6
	v_cndmask_b32_e64 v9, 0, 0x3ff00000, vcc_lo
.LBB6_1511:
	s_mov_b32 s0, 0
.LBB6_1512:
	s_delay_alu instid0(SALU_CYCLE_1)
	s_and_b32 vcc_lo, exec_lo, s0
	s_cbranch_vccz .LBB6_1561
; %bb.1513:
	s_cmp_lt_i32 s14, 5
	s_cbranch_scc1 .LBB6_1518
; %bb.1514:
	s_cmp_lt_i32 s14, 8
	s_cbranch_scc1 .LBB6_1519
	;; [unrolled: 3-line block ×3, first 2 shown]
; %bb.1516:
	s_cmp_gt_i32 s14, 9
	s_cbranch_scc0 .LBB6_1521
; %bb.1517:
	global_load_b64 v[8:9], v[2:3], off
	s_mov_b32 s0, 0
	s_branch .LBB6_1522
.LBB6_1518:
	s_mov_b32 s0, -1
                                        ; implicit-def: $vgpr8_vgpr9
	s_branch .LBB6_1540
.LBB6_1519:
	s_mov_b32 s0, -1
                                        ; implicit-def: $vgpr8_vgpr9
	s_branch .LBB6_1528
.LBB6_1520:
	s_mov_b32 s0, -1
                                        ; implicit-def: $vgpr8_vgpr9
	s_branch .LBB6_1525
.LBB6_1521:
	s_mov_b32 s0, -1
                                        ; implicit-def: $vgpr8_vgpr9
.LBB6_1522:
	s_delay_alu instid0(SALU_CYCLE_1)
	s_and_not1_b32 vcc_lo, exec_lo, s0
	s_cbranch_vccnz .LBB6_1524
; %bb.1523:
	global_load_b32 v6, v[2:3], off
	s_wait_loadcnt 0x0
	v_cvt_f64_f32_e32 v[8:9], v6
.LBB6_1524:
	s_mov_b32 s0, 0
.LBB6_1525:
	s_delay_alu instid0(SALU_CYCLE_1)
	s_and_not1_b32 vcc_lo, exec_lo, s0
	s_cbranch_vccnz .LBB6_1527
; %bb.1526:
	global_load_b32 v6, v[2:3], off
	s_wait_loadcnt 0x0
	v_cvt_f32_f16_e32 v6, v6
	s_delay_alu instid0(VALU_DEP_1)
	v_cvt_f64_f32_e32 v[8:9], v6
.LBB6_1527:
	s_mov_b32 s0, 0
.LBB6_1528:
	s_delay_alu instid0(SALU_CYCLE_1)
	s_and_not1_b32 vcc_lo, exec_lo, s0
	s_cbranch_vccnz .LBB6_1539
; %bb.1529:
	s_cmp_lt_i32 s14, 6
	s_cbranch_scc1 .LBB6_1532
; %bb.1530:
	s_cmp_gt_i32 s14, 6
	s_cbranch_scc0 .LBB6_1533
; %bb.1531:
	s_wait_loadcnt 0x0
	global_load_b64 v[8:9], v[2:3], off
	s_mov_b32 s0, 0
	s_branch .LBB6_1534
.LBB6_1532:
	s_mov_b32 s0, -1
                                        ; implicit-def: $vgpr8_vgpr9
	s_branch .LBB6_1537
.LBB6_1533:
	s_mov_b32 s0, -1
                                        ; implicit-def: $vgpr8_vgpr9
.LBB6_1534:
	s_delay_alu instid0(SALU_CYCLE_1)
	s_and_not1_b32 vcc_lo, exec_lo, s0
	s_cbranch_vccnz .LBB6_1536
; %bb.1535:
	global_load_b32 v6, v[2:3], off
	s_wait_loadcnt 0x0
	v_cvt_f64_f32_e32 v[8:9], v6
.LBB6_1536:
	s_mov_b32 s0, 0
.LBB6_1537:
	s_delay_alu instid0(SALU_CYCLE_1)
	s_and_not1_b32 vcc_lo, exec_lo, s0
	s_cbranch_vccnz .LBB6_1539
; %bb.1538:
	global_load_u16 v6, v[2:3], off
	s_wait_loadcnt 0x0
	v_cvt_f32_f16_e32 v6, v6
	s_delay_alu instid0(VALU_DEP_1)
	v_cvt_f64_f32_e32 v[8:9], v6
.LBB6_1539:
	s_mov_b32 s0, 0
.LBB6_1540:
	s_delay_alu instid0(SALU_CYCLE_1)
	s_and_not1_b32 vcc_lo, exec_lo, s0
	s_cbranch_vccnz .LBB6_1560
; %bb.1541:
	s_cmp_lt_i32 s14, 2
	s_cbranch_scc1 .LBB6_1545
; %bb.1542:
	s_cmp_lt_i32 s14, 3
	s_cbranch_scc1 .LBB6_1546
; %bb.1543:
	s_cmp_gt_i32 s14, 3
	s_cbranch_scc0 .LBB6_1547
; %bb.1544:
	global_load_b64 v[6:7], v[2:3], off
	s_mov_b32 s0, 0
	s_wait_loadcnt 0x0
	v_cvt_f64_i32_e32 v[8:9], v7
	v_cvt_f64_u32_e32 v[6:7], v6
	s_delay_alu instid0(VALU_DEP_2) | instskip(NEXT) | instid1(VALU_DEP_1)
	v_ldexp_f64 v[8:9], v[8:9], 32
	v_add_f64_e32 v[8:9], v[8:9], v[6:7]
	s_branch .LBB6_1548
.LBB6_1545:
	s_mov_b32 s0, -1
                                        ; implicit-def: $vgpr8_vgpr9
	s_branch .LBB6_1554
.LBB6_1546:
	s_mov_b32 s0, -1
                                        ; implicit-def: $vgpr8_vgpr9
	s_branch .LBB6_1551
.LBB6_1547:
	s_mov_b32 s0, -1
                                        ; implicit-def: $vgpr8_vgpr9
.LBB6_1548:
	s_delay_alu instid0(SALU_CYCLE_1)
	s_and_not1_b32 vcc_lo, exec_lo, s0
	s_cbranch_vccnz .LBB6_1550
; %bb.1549:
	global_load_b32 v6, v[2:3], off
	s_wait_loadcnt 0x0
	v_cvt_f64_i32_e32 v[8:9], v6
.LBB6_1550:
	s_mov_b32 s0, 0
.LBB6_1551:
	s_delay_alu instid0(SALU_CYCLE_1)
	s_and_not1_b32 vcc_lo, exec_lo, s0
	s_cbranch_vccnz .LBB6_1553
; %bb.1552:
	global_load_i16 v6, v[2:3], off
	s_wait_loadcnt 0x0
	v_cvt_f64_i32_e32 v[8:9], v6
.LBB6_1553:
	s_mov_b32 s0, 0
.LBB6_1554:
	s_delay_alu instid0(SALU_CYCLE_1)
	s_and_not1_b32 vcc_lo, exec_lo, s0
	s_cbranch_vccnz .LBB6_1560
; %bb.1555:
	s_cmp_gt_i32 s14, 0
	s_mov_b32 s0, 0
	s_cbranch_scc0 .LBB6_1557
; %bb.1556:
	global_load_i8 v6, v[2:3], off
	s_wait_loadcnt 0x0
	v_cvt_f64_i32_e32 v[8:9], v6
	s_branch .LBB6_1558
.LBB6_1557:
	s_mov_b32 s0, -1
                                        ; implicit-def: $vgpr8_vgpr9
.LBB6_1558:
	s_delay_alu instid0(SALU_CYCLE_1)
	s_and_not1_b32 vcc_lo, exec_lo, s0
	s_cbranch_vccnz .LBB6_1560
; %bb.1559:
	global_load_u8 v2, v[2:3], off
	s_wait_loadcnt 0x0
	v_cvt_f64_u32_e32 v[8:9], v2
.LBB6_1560:
	s_mov_b32 s3, -1
.LBB6_1561:
	s_delay_alu instid0(SALU_CYCLE_1)
	s_and_not1_b32 vcc_lo, exec_lo, s3
	s_cbranch_vccnz .LBB6_1642
; %bb.1562:
	s_wait_loadcnt 0x0
	s_delay_alu instid0(VALU_DEP_1) | instskip(SKIP_1) | instid1(VALU_DEP_1)
	v_mul_f64_e32 v[2:3], s[8:9], v[8:9]
	s_mov_b32 s3, exec_lo
	v_cmpx_nlt_f64_e32 s[10:11], v[2:3]
	s_cbranch_execz .LBB6_1564
; %bb.1563:
	v_mul_f64_e32 v[6:7], 0x3ff71547652b82fe, v[2:3]
	s_mov_b64 s[0:1], 0x3e5ade156a5dcb37
	v_cmp_nlt_f64_e32 vcc_lo, 0x40900000, v[2:3]
	s_delay_alu instid0(VALU_DEP_2) | instskip(NEXT) | instid1(VALU_DEP_1)
	v_rndne_f64_e32 v[6:7], v[6:7]
	v_fmamk_f64 v[8:9], v[6:7], 0xbfe62e42fefa39ef, v[2:3]
	v_cvt_i32_f64_e32 v13, v[6:7]
	s_delay_alu instid0(VALU_DEP_2) | instskip(NEXT) | instid1(VALU_DEP_1)
	v_fmamk_f64 v[8:9], v[6:7], 0xbc7abc9e3b39803f, v[8:9]
	v_fmaak_f64 v[14:15], s[0:1], v[8:9], 0x3e928af3fca7ab0c
	v_cmp_ngt_f64_e64 s0, 0xc090cc00, v[2:3]
	s_delay_alu instid0(VALU_DEP_2) | instskip(NEXT) | instid1(VALU_DEP_1)
	v_fmaak_f64 v[14:15], v[8:9], v[14:15], 0x3ec71dee623fde64
	v_fmaak_f64 v[14:15], v[8:9], v[14:15], 0x3efa01997c89e6b0
	s_delay_alu instid0(VALU_DEP_1) | instskip(NEXT) | instid1(VALU_DEP_1)
	v_fmaak_f64 v[14:15], v[8:9], v[14:15], 0x3f2a01a014761f6e
	v_fmaak_f64 v[14:15], v[8:9], v[14:15], 0x3f56c16c1852b7b0
	s_delay_alu instid0(VALU_DEP_1) | instskip(NEXT) | instid1(VALU_DEP_1)
	;; [unrolled: 3-line block ×4, first 2 shown]
	v_fma_f64 v[14:15], v[8:9], v[14:15], 1.0
	v_fma_f64 v[6:7], v[8:9], v[14:15], 1.0
	s_delay_alu instid0(VALU_DEP_1) | instskip(NEXT) | instid1(VALU_DEP_1)
	v_ldexp_f64 v[6:7], v[6:7], v13
	v_cndmask_b32_e32 v7, 0x7ff00000, v7, vcc_lo
	s_and_b32 vcc_lo, s0, vcc_lo
	s_delay_alu instid0(VALU_DEP_1) | instid1(SALU_CYCLE_1)
	v_dual_cndmask_b32 v2, 0, v6, vcc_lo :: v_dual_cndmask_b32 v3, 0, v7, s0
	s_mov_b64 s[0:1], 0x3fe5555555555555
	s_delay_alu instid0(VALU_DEP_1) | instskip(NEXT) | instid1(VALU_DEP_1)
	v_add_f64_e32 v[6:7], 1.0, v[2:3]
	v_frexp_mant_f64_e32 v[8:9], v[6:7]
	v_frexp_exp_i32_f64_e32 v13, v[6:7]
	v_add_f64_e32 v[14:15], -1.0, v[6:7]
	s_delay_alu instid0(VALU_DEP_3) | instskip(SKIP_1) | instid1(VALU_DEP_2)
	v_cmp_gt_f64_e32 vcc_lo, s[0:1], v[8:9]
	s_mov_b64 s[0:1], 0x3fc3ab76bf559e2b
	v_add_f64_e64 v[8:9], v[14:15], -v[6:7]
	v_add_f64_e64 v[14:15], v[2:3], -v[14:15]
	v_subrev_co_ci_u32_e64 v13, null, 0, v13, vcc_lo
	s_delay_alu instid0(VALU_DEP_3) | instskip(SKIP_1) | instid1(VALU_DEP_3)
	v_add_f64_e32 v[8:9], 1.0, v[8:9]
	v_cmp_nge_f64_e32 vcc_lo, -1.0, v[2:3]
	v_sub_nc_u32_e32 v18, 0, v13
	s_delay_alu instid0(VALU_DEP_1) | instskip(NEXT) | instid1(VALU_DEP_4)
	v_ldexp_f64 v[6:7], v[6:7], v18
	v_add_f64_e32 v[8:9], v[14:15], v[8:9]
	s_delay_alu instid0(VALU_DEP_2) | instskip(SKIP_1) | instid1(VALU_DEP_3)
	v_add_f64_e32 v[16:17], 1.0, v[6:7]
	v_add_f64_e32 v[22:23], -1.0, v[6:7]
	v_ldexp_f64 v[8:9], v[8:9], v18
	s_delay_alu instid0(VALU_DEP_3) | instskip(NEXT) | instid1(VALU_DEP_3)
	v_add_f64_e32 v[14:15], -1.0, v[16:17]
	v_add_f64_e32 v[24:25], 1.0, v[22:23]
	s_delay_alu instid0(VALU_DEP_2) | instskip(NEXT) | instid1(VALU_DEP_2)
	v_add_f64_e64 v[14:15], v[6:7], -v[14:15]
	v_add_f64_e64 v[6:7], v[6:7], -v[24:25]
	s_delay_alu instid0(VALU_DEP_2) | instskip(NEXT) | instid1(VALU_DEP_2)
	v_add_f64_e32 v[14:15], v[8:9], v[14:15]
	v_add_f64_e32 v[6:7], v[8:9], v[6:7]
	s_delay_alu instid0(VALU_DEP_2) | instskip(NEXT) | instid1(VALU_DEP_2)
	v_add_f64_e32 v[18:19], v[16:17], v[14:15]
	v_add_f64_e32 v[24:25], v[22:23], v[6:7]
	s_delay_alu instid0(VALU_DEP_2) | instskip(SKIP_1) | instid1(VALU_DEP_2)
	v_rcp_f64_e32 v[20:21], v[18:19]
	v_add_f64_e64 v[16:17], v[18:19], -v[16:17]
	v_add_f64_e64 v[22:23], v[24:25], -v[22:23]
	s_delay_alu instid0(VALU_DEP_2) | instskip(NEXT) | instid1(VALU_DEP_2)
	v_add_f64_e64 v[14:15], v[14:15], -v[16:17]
	v_add_f64_e64 v[6:7], v[6:7], -v[22:23]
	s_delay_alu instid0(TRANS32_DEP_1) | instskip(NEXT) | instid1(VALU_DEP_1)
	v_fma_f64 v[26:27], -v[18:19], v[20:21], 1.0
	v_fmac_f64_e32 v[20:21], v[26:27], v[20:21]
	s_delay_alu instid0(VALU_DEP_1) | instskip(NEXT) | instid1(VALU_DEP_1)
	v_fma_f64 v[8:9], -v[18:19], v[20:21], 1.0
	v_fmac_f64_e32 v[20:21], v[8:9], v[20:21]
	s_delay_alu instid0(VALU_DEP_1) | instskip(NEXT) | instid1(VALU_DEP_1)
	v_mul_f64_e32 v[8:9], v[24:25], v[20:21]
	v_mul_f64_e32 v[26:27], v[18:19], v[8:9]
	s_delay_alu instid0(VALU_DEP_1) | instskip(NEXT) | instid1(VALU_DEP_1)
	v_fma_f64 v[16:17], v[8:9], v[18:19], -v[26:27]
	v_fmac_f64_e32 v[16:17], v[8:9], v[14:15]
	s_delay_alu instid0(VALU_DEP_1) | instskip(NEXT) | instid1(VALU_DEP_1)
	v_add_f64_e32 v[28:29], v[26:27], v[16:17]
	v_add_f64_e64 v[30:31], v[24:25], -v[28:29]
	v_add_f64_e64 v[22:23], v[28:29], -v[26:27]
	s_delay_alu instid0(VALU_DEP_2) | instskip(NEXT) | instid1(VALU_DEP_2)
	v_add_f64_e64 v[24:25], v[24:25], -v[30:31]
	v_add_f64_e64 v[16:17], v[22:23], -v[16:17]
	s_delay_alu instid0(VALU_DEP_2) | instskip(NEXT) | instid1(VALU_DEP_1)
	v_add_f64_e64 v[24:25], v[24:25], -v[28:29]
	v_add_f64_e32 v[6:7], v[6:7], v[24:25]
	s_delay_alu instid0(VALU_DEP_1) | instskip(NEXT) | instid1(VALU_DEP_1)
	v_add_f64_e32 v[6:7], v[16:17], v[6:7]
	v_add_f64_e32 v[16:17], v[30:31], v[6:7]
	s_delay_alu instid0(VALU_DEP_1) | instskip(SKIP_1) | instid1(VALU_DEP_2)
	v_mul_f64_e32 v[22:23], v[20:21], v[16:17]
	v_add_f64_e64 v[28:29], v[30:31], -v[16:17]
	v_mul_f64_e32 v[24:25], v[18:19], v[22:23]
	s_delay_alu instid0(VALU_DEP_2) | instskip(NEXT) | instid1(VALU_DEP_2)
	v_add_f64_e32 v[6:7], v[6:7], v[28:29]
	v_fma_f64 v[18:19], v[22:23], v[18:19], -v[24:25]
	s_delay_alu instid0(VALU_DEP_1) | instskip(NEXT) | instid1(VALU_DEP_1)
	v_fmac_f64_e32 v[18:19], v[22:23], v[14:15]
	v_add_f64_e32 v[14:15], v[24:25], v[18:19]
	s_delay_alu instid0(VALU_DEP_1) | instskip(SKIP_1) | instid1(VALU_DEP_2)
	v_add_f64_e64 v[26:27], v[16:17], -v[14:15]
	v_add_f64_e64 v[24:25], v[14:15], -v[24:25]
	;; [unrolled: 1-line block ×3, first 2 shown]
	s_delay_alu instid0(VALU_DEP_1) | instskip(NEXT) | instid1(VALU_DEP_3)
	v_add_f64_e64 v[14:15], v[16:17], -v[14:15]
	v_add_f64_e64 v[16:17], v[24:25], -v[18:19]
	s_delay_alu instid0(VALU_DEP_2) | instskip(SKIP_1) | instid1(VALU_DEP_2)
	v_add_f64_e32 v[6:7], v[6:7], v[14:15]
	v_add_f64_e32 v[14:15], v[8:9], v[22:23]
	;; [unrolled: 1-line block ×3, first 2 shown]
	s_delay_alu instid0(VALU_DEP_2) | instskip(NEXT) | instid1(VALU_DEP_2)
	v_add_f64_e64 v[8:9], v[14:15], -v[8:9]
	v_add_f64_e32 v[6:7], v[26:27], v[6:7]
	s_delay_alu instid0(VALU_DEP_2) | instskip(NEXT) | instid1(VALU_DEP_2)
	v_add_f64_e64 v[8:9], v[22:23], -v[8:9]
	v_mul_f64_e32 v[6:7], v[20:21], v[6:7]
	s_delay_alu instid0(VALU_DEP_1) | instskip(NEXT) | instid1(VALU_DEP_1)
	v_add_f64_e32 v[6:7], v[8:9], v[6:7]
	v_add_f64_e32 v[8:9], v[14:15], v[6:7]
	s_delay_alu instid0(VALU_DEP_1) | instskip(NEXT) | instid1(VALU_DEP_1)
	v_mul_f64_e32 v[16:17], v[8:9], v[8:9]
	v_fmaak_f64 v[18:19], s[0:1], v[16:17], 0x3fc385386b47b09a
	v_mul_f64_e32 v[20:21], v[8:9], v[16:17]
	s_mov_b64 s[0:1], 0x3fe62e42fefa39ef
	s_delay_alu instid0(VALU_DEP_2) | instskip(NEXT) | instid1(VALU_DEP_1)
	v_fmaak_f64 v[18:19], v[16:17], v[18:19], 0x3fc7474dd7f4df2e
	v_fmaak_f64 v[18:19], v[16:17], v[18:19], 0x3fcc71c016291751
	s_delay_alu instid0(VALU_DEP_1) | instskip(NEXT) | instid1(VALU_DEP_1)
	v_fmaak_f64 v[18:19], v[16:17], v[18:19], 0x3fd249249b27acf1
	v_fmaak_f64 v[18:19], v[16:17], v[18:19], 0x3fd99999998ef7b6
	s_delay_alu instid0(VALU_DEP_1) | instskip(SKIP_2) | instid1(VALU_DEP_3)
	v_fmaak_f64 v[16:17], v[16:17], v[18:19], 0x3fe5555555555780
	v_ldexp_f64 v[18:19], v[8:9], 1
	v_add_f64_e64 v[8:9], v[8:9], -v[14:15]
	v_mul_f64_e32 v[16:17], v[20:21], v[16:17]
	v_cvt_f64_i32_e32 v[20:21], v13
	s_delay_alu instid0(VALU_DEP_3) | instskip(NEXT) | instid1(VALU_DEP_3)
	v_add_f64_e64 v[6:7], v[6:7], -v[8:9]
	v_add_f64_e32 v[14:15], v[18:19], v[16:17]
	s_delay_alu instid0(VALU_DEP_2) | instskip(NEXT) | instid1(VALU_DEP_2)
	v_ldexp_f64 v[6:7], v[6:7], 1
	v_add_f64_e64 v[8:9], v[14:15], -v[18:19]
	v_mul_f64_e32 v[18:19], 0x3fe62e42fefa39ef, v[20:21]
	s_delay_alu instid0(VALU_DEP_2) | instskip(NEXT) | instid1(VALU_DEP_2)
	v_add_f64_e64 v[8:9], v[16:17], -v[8:9]
	v_fma_f64 v[16:17], v[20:21], s[0:1], -v[18:19]
	v_cmp_neq_f64_e64 s0, 0x7ff00000, v[2:3]
	v_cmp_ngt_f64_e64 s1, -1.0, v[2:3]
	s_delay_alu instid0(VALU_DEP_4) | instskip(NEXT) | instid1(VALU_DEP_4)
	v_add_f64_e32 v[6:7], v[6:7], v[8:9]
	v_fmamk_f64 v[8:9], v[20:21], 0x3c7abc9e3b39803f, v[16:17]
	s_and_b32 vcc_lo, vcc_lo, s0
	s_delay_alu instid0(VALU_DEP_1) | instskip(NEXT) | instid1(VALU_DEP_3)
	v_add_f64_e32 v[16:17], v[18:19], v[8:9]
	v_add_f64_e32 v[20:21], v[14:15], v[6:7]
	s_delay_alu instid0(VALU_DEP_2) | instskip(NEXT) | instid1(VALU_DEP_2)
	v_add_f64_e64 v[18:19], v[16:17], -v[18:19]
	v_add_f64_e32 v[22:23], v[16:17], v[20:21]
	v_add_f64_e64 v[14:15], v[20:21], -v[14:15]
	s_delay_alu instid0(VALU_DEP_3) | instskip(NEXT) | instid1(VALU_DEP_3)
	v_add_f64_e64 v[8:9], v[8:9], -v[18:19]
	v_add_f64_e64 v[24:25], v[22:23], -v[16:17]
	s_delay_alu instid0(VALU_DEP_3) | instskip(NEXT) | instid1(VALU_DEP_2)
	v_add_f64_e64 v[6:7], v[6:7], -v[14:15]
	v_add_f64_e64 v[26:27], v[22:23], -v[24:25]
	;; [unrolled: 1-line block ×3, first 2 shown]
	s_delay_alu instid0(VALU_DEP_3) | instskip(NEXT) | instid1(VALU_DEP_3)
	v_add_f64_e32 v[18:19], v[8:9], v[6:7]
	v_add_f64_e64 v[16:17], v[16:17], -v[26:27]
	s_delay_alu instid0(VALU_DEP_1) | instskip(NEXT) | instid1(VALU_DEP_3)
	v_add_f64_e32 v[14:15], v[14:15], v[16:17]
	v_add_f64_e64 v[16:17], v[18:19], -v[8:9]
	s_delay_alu instid0(VALU_DEP_2) | instskip(NEXT) | instid1(VALU_DEP_2)
	v_add_f64_e32 v[14:15], v[18:19], v[14:15]
	v_add_f64_e64 v[18:19], v[18:19], -v[16:17]
	v_add_f64_e64 v[6:7], v[6:7], -v[16:17]
	s_delay_alu instid0(VALU_DEP_3) | instskip(NEXT) | instid1(VALU_DEP_3)
	v_add_f64_e32 v[20:21], v[22:23], v[14:15]
	v_add_f64_e64 v[8:9], v[8:9], -v[18:19]
	s_delay_alu instid0(VALU_DEP_2) | instskip(NEXT) | instid1(VALU_DEP_2)
	v_add_f64_e64 v[16:17], v[20:21], -v[22:23]
	v_add_f64_e32 v[6:7], v[6:7], v[8:9]
	s_delay_alu instid0(VALU_DEP_2) | instskip(NEXT) | instid1(VALU_DEP_1)
	v_add_f64_e64 v[8:9], v[14:15], -v[16:17]
	v_add_f64_e32 v[6:7], v[6:7], v[8:9]
	s_delay_alu instid0(VALU_DEP_1) | instskip(NEXT) | instid1(VALU_DEP_1)
	v_add_f64_e32 v[6:7], v[20:21], v[6:7]
	v_cndmask_b32_e32 v6, 0, v6, vcc_lo
	v_cmp_neq_f64_e32 vcc_lo, -1.0, v[2:3]
	s_delay_alu instid0(VALU_DEP_3) | instskip(NEXT) | instid1(VALU_DEP_1)
	v_cndmask_b32_e64 v7, 0x7ff00000, v7, s0
	v_cndmask_b32_e64 v7, 0x7ff80000, v7, s1
	s_delay_alu instid0(VALU_DEP_1) | instskip(NEXT) | instid1(VALU_DEP_1)
	v_cndmask_b32_e32 v7, 0xfff00000, v7, vcc_lo
	v_div_scale_f64 v[2:3], null, s[8:9], s[8:9], v[6:7]
	s_delay_alu instid0(VALU_DEP_1) | instskip(SKIP_1) | instid1(TRANS32_DEP_1)
	v_rcp_f64_e32 v[8:9], v[2:3]
	v_nop
	v_fma_f64 v[14:15], -v[2:3], v[8:9], 1.0
	s_delay_alu instid0(VALU_DEP_1) | instskip(NEXT) | instid1(VALU_DEP_1)
	v_fmac_f64_e32 v[8:9], v[8:9], v[14:15]
	v_fma_f64 v[14:15], -v[2:3], v[8:9], 1.0
	s_delay_alu instid0(VALU_DEP_1) | instskip(SKIP_1) | instid1(VALU_DEP_1)
	v_fmac_f64_e32 v[8:9], v[8:9], v[14:15]
	v_div_scale_f64 v[14:15], vcc_lo, v[6:7], s[8:9], v[6:7]
	v_mul_f64_e32 v[16:17], v[14:15], v[8:9]
	s_delay_alu instid0(VALU_DEP_1) | instskip(NEXT) | instid1(VALU_DEP_1)
	v_fma_f64 v[2:3], -v[2:3], v[16:17], v[14:15]
	v_div_fmas_f64 v[2:3], v[2:3], v[8:9], v[16:17]
	s_delay_alu instid0(VALU_DEP_1)
	v_div_fixup_f64 v[8:9], v[2:3], s[8:9], v[6:7]
.LBB6_1564:
	s_or_b32 exec_lo, exec_lo, s3
	v_mul_lo_u32 v6, s2, v12
	s_and_b32 s1, s12, 0xff
	s_delay_alu instid0(SALU_CYCLE_1) | instskip(NEXT) | instid1(VALU_DEP_1)
	s_cmp_lt_i32 s1, 11
	v_ashrrev_i32_e32 v7, 31, v6
	s_delay_alu instid0(VALU_DEP_1)
	v_add_nc_u64_e32 v[12:13], s[4:5], v[6:7]
	s_cbranch_scc1 .LBB6_1687
; %bb.1565:
	s_and_b32 s3, 0xffff, s1
	s_mov_b32 s8, -1
	s_mov_b32 s6, 0
	s_cmp_gt_i32 s3, 25
	s_mov_b32 s7, 0
	s_mov_b32 s0, 0
	s_cbranch_scc0 .LBB6_1598
; %bb.1566:
	s_cmp_gt_i32 s3, 28
	s_cbranch_scc0 .LBB6_1581
; %bb.1567:
	s_cmp_gt_i32 s3, 43
	s_cbranch_scc0 .LBB6_1577
; %bb.1568:
	s_cmp_gt_i32 s3, 45
	s_cbranch_scc0 .LBB6_1571
; %bb.1569:
	s_mov_b32 s0, -1
	s_mov_b32 s8, 0
	s_cmp_eq_u32 s3, 46
	s_cbranch_scc0 .LBB6_1571
; %bb.1570:
	v_cvt_f32_f64_e32 v2, v[0:1]
	s_mov_b32 s0, 0
	s_mov_b32 s7, -1
	s_delay_alu instid0(VALU_DEP_1) | instskip(SKIP_1) | instid1(VALU_DEP_2)
	v_bfe_u32 v3, v2, 16, 1
	v_cmp_o_f32_e32 vcc_lo, v2, v2
	v_add3_u32 v3, v2, v3, 0x7fff
	s_delay_alu instid0(VALU_DEP_1) | instskip(NEXT) | instid1(VALU_DEP_1)
	v_lshrrev_b32_e32 v3, 16, v3
	v_cndmask_b32_e32 v2, 0x7fc0, v3, vcc_lo
	global_store_b32 v[12:13], v2, off
.LBB6_1571:
	s_and_b32 vcc_lo, exec_lo, s8
	s_cbranch_vccz .LBB6_1576
; %bb.1572:
	s_cmp_eq_u32 s3, 44
	s_mov_b32 s0, -1
	s_cbranch_scc0 .LBB6_1576
; %bb.1573:
	s_wait_xcnt 0x0
	v_cvt_f32_f64_e32 v2, v[0:1]
	v_mov_b32_e32 v3, 0xff
	s_mov_b32 s7, exec_lo
	s_delay_alu instid0(VALU_DEP_2) | instskip(NEXT) | instid1(VALU_DEP_1)
	v_bfe_u32 v7, v2, 23, 8
	v_cmpx_ne_u32_e32 0xff, v7
	s_cbranch_execz .LBB6_1575
; %bb.1574:
	v_and_b32_e32 v3, 0x400000, v2
	v_and_or_b32 v7, 0x3fffff, v2, v7
	v_lshrrev_b32_e32 v2, 23, v2
	s_delay_alu instid0(VALU_DEP_3) | instskip(NEXT) | instid1(VALU_DEP_3)
	v_cmp_ne_u32_e32 vcc_lo, 0, v3
	v_cmp_ne_u32_e64 s0, 0, v7
	s_and_b32 s0, vcc_lo, s0
	s_delay_alu instid0(SALU_CYCLE_1) | instskip(NEXT) | instid1(VALU_DEP_1)
	v_cndmask_b32_e64 v3, 0, 1, s0
	v_add_nc_u32_e32 v3, v2, v3
.LBB6_1575:
	s_or_b32 exec_lo, exec_lo, s7
	s_mov_b32 s0, 0
	s_mov_b32 s7, -1
	global_store_b8 v[12:13], v3, off
.LBB6_1576:
	s_mov_b32 s8, 0
.LBB6_1577:
	s_delay_alu instid0(SALU_CYCLE_1)
	s_and_b32 vcc_lo, exec_lo, s8
	s_cbranch_vccz .LBB6_1580
; %bb.1578:
	s_cmp_eq_u32 s3, 29
	s_mov_b32 s0, -1
	s_cbranch_scc0 .LBB6_1580
; %bb.1579:
	s_wait_xcnt 0x0
	v_trunc_f64_e32 v[2:3], v[0:1]
	s_mov_b32 s0, 0
	s_mov_b32 s7, -1
	s_delay_alu instid0(VALU_DEP_1) | instskip(NEXT) | instid1(VALU_DEP_1)
	v_ldexp_f64 v[14:15], v[2:3], 0xffffffe0
	v_floor_f64_e32 v[14:15], v[14:15]
	s_delay_alu instid0(VALU_DEP_1) | instskip(SKIP_1) | instid1(VALU_DEP_2)
	v_fmamk_f64 v[2:3], v[14:15], 0xc1f00000, v[2:3]
	v_cvt_u32_f64_e32 v15, v[14:15]
	v_cvt_u32_f64_e32 v14, v[2:3]
	global_store_b64 v[12:13], v[14:15], off
.LBB6_1580:
	s_mov_b32 s8, 0
.LBB6_1581:
	s_delay_alu instid0(SALU_CYCLE_1)
	s_and_b32 vcc_lo, exec_lo, s8
	s_cbranch_vccz .LBB6_1597
; %bb.1582:
	s_cmp_lt_i32 s3, 27
	s_mov_b32 s7, -1
	s_cbranch_scc1 .LBB6_1588
; %bb.1583:
	s_wait_xcnt 0x0
	v_cvt_u32_f64_e32 v2, v[0:1]
	s_cmp_gt_i32 s3, 27
	s_cbranch_scc0 .LBB6_1585
; %bb.1584:
	s_mov_b32 s7, 0
	global_store_b32 v[12:13], v2, off
.LBB6_1585:
	s_and_not1_b32 vcc_lo, exec_lo, s7
	s_cbranch_vccnz .LBB6_1587
; %bb.1586:
	global_store_b16 v[12:13], v2, off
.LBB6_1587:
	s_mov_b32 s7, 0
.LBB6_1588:
	s_delay_alu instid0(SALU_CYCLE_1)
	s_and_not1_b32 vcc_lo, exec_lo, s7
	s_cbranch_vccnz .LBB6_1596
; %bb.1589:
	s_wait_xcnt 0x0
	v_cvt_f32_f64_e32 v2, v[0:1]
	v_mov_b32_e32 v7, 0x80
	s_mov_b32 s7, exec_lo
	s_delay_alu instid0(VALU_DEP_2) | instskip(NEXT) | instid1(VALU_DEP_1)
	v_and_b32_e32 v3, 0x7fffffff, v2
	v_cmpx_gt_u32_e32 0x43800000, v3
	s_cbranch_execz .LBB6_1595
; %bb.1590:
	v_cmp_lt_u32_e32 vcc_lo, 0x3bffffff, v3
	s_mov_b32 s8, 0
                                        ; implicit-def: $vgpr3
	s_and_saveexec_b32 s9, vcc_lo
	s_delay_alu instid0(SALU_CYCLE_1)
	s_xor_b32 s9, exec_lo, s9
	s_cbranch_execz .LBB6_2045
; %bb.1591:
	v_bfe_u32 v3, v2, 20, 1
	s_mov_b32 s8, exec_lo
	s_delay_alu instid0(VALU_DEP_1) | instskip(NEXT) | instid1(VALU_DEP_1)
	v_add3_u32 v3, v2, v3, 0x487ffff
	v_lshrrev_b32_e32 v3, 20, v3
	s_and_not1_saveexec_b32 s9, s9
	s_cbranch_execnz .LBB6_2046
.LBB6_1592:
	s_or_b32 exec_lo, exec_lo, s9
	v_mov_b32_e32 v7, 0
	s_and_saveexec_b32 s9, s8
.LBB6_1593:
	v_lshrrev_b32_e32 v2, 24, v2
	s_delay_alu instid0(VALU_DEP_1)
	v_and_or_b32 v7, 0x80, v2, v3
.LBB6_1594:
	s_or_b32 exec_lo, exec_lo, s9
.LBB6_1595:
	s_delay_alu instid0(SALU_CYCLE_1)
	s_or_b32 exec_lo, exec_lo, s7
	global_store_b8 v[12:13], v7, off
.LBB6_1596:
	s_mov_b32 s7, -1
.LBB6_1597:
	s_mov_b32 s8, 0
.LBB6_1598:
	s_delay_alu instid0(SALU_CYCLE_1)
	s_and_b32 vcc_lo, exec_lo, s8
	s_cbranch_vccz .LBB6_1638
; %bb.1599:
	s_cmp_gt_i32 s3, 22
	s_mov_b32 s6, -1
	s_cbranch_scc0 .LBB6_1631
; %bb.1600:
	s_cmp_lt_i32 s3, 24
	s_cbranch_scc1 .LBB6_1620
; %bb.1601:
	s_cmp_gt_i32 s3, 24
	s_cbranch_scc0 .LBB6_1609
; %bb.1602:
	s_wait_xcnt 0x0
	v_cvt_f32_f64_e32 v2, v[0:1]
	v_mov_b32_e32 v7, 0x80
	s_mov_b32 s6, exec_lo
	s_delay_alu instid0(VALU_DEP_2) | instskip(NEXT) | instid1(VALU_DEP_1)
	v_and_b32_e32 v3, 0x7fffffff, v2
	v_cmpx_gt_u32_e32 0x47800000, v3
	s_cbranch_execz .LBB6_1608
; %bb.1603:
	v_cmp_lt_u32_e32 vcc_lo, 0x37ffffff, v3
	s_mov_b32 s7, 0
                                        ; implicit-def: $vgpr3
	s_and_saveexec_b32 s8, vcc_lo
	s_delay_alu instid0(SALU_CYCLE_1)
	s_xor_b32 s8, exec_lo, s8
	s_cbranch_execz .LBB6_2048
; %bb.1604:
	v_bfe_u32 v3, v2, 21, 1
	s_mov_b32 s7, exec_lo
	s_delay_alu instid0(VALU_DEP_1) | instskip(NEXT) | instid1(VALU_DEP_1)
	v_add3_u32 v3, v2, v3, 0x88fffff
	v_lshrrev_b32_e32 v3, 21, v3
	s_and_not1_saveexec_b32 s8, s8
	s_cbranch_execnz .LBB6_2049
.LBB6_1605:
	s_or_b32 exec_lo, exec_lo, s8
	v_mov_b32_e32 v7, 0
	s_and_saveexec_b32 s8, s7
.LBB6_1606:
	v_lshrrev_b32_e32 v2, 24, v2
	s_delay_alu instid0(VALU_DEP_1)
	v_and_or_b32 v7, 0x80, v2, v3
.LBB6_1607:
	s_or_b32 exec_lo, exec_lo, s8
.LBB6_1608:
	s_delay_alu instid0(SALU_CYCLE_1)
	s_or_b32 exec_lo, exec_lo, s6
	s_mov_b32 s6, 0
	global_store_b8 v[12:13], v7, off
.LBB6_1609:
	s_and_b32 vcc_lo, exec_lo, s6
	s_cbranch_vccz .LBB6_1619
; %bb.1610:
	s_wait_xcnt 0x0
	v_cvt_f32_f64_e32 v2, v[0:1]
	s_mov_b32 s6, exec_lo
                                        ; implicit-def: $vgpr3
	s_delay_alu instid0(VALU_DEP_1) | instskip(NEXT) | instid1(VALU_DEP_1)
	v_and_b32_e32 v7, 0x7fffffff, v2
	v_cmpx_gt_u32_e32 0x43f00000, v7
	s_xor_b32 s6, exec_lo, s6
	s_cbranch_execz .LBB6_1616
; %bb.1611:
	s_mov_b32 s7, exec_lo
                                        ; implicit-def: $vgpr3
	v_cmpx_lt_u32_e32 0x3c7fffff, v7
	s_xor_b32 s7, exec_lo, s7
; %bb.1612:
	v_bfe_u32 v3, v2, 20, 1
	s_delay_alu instid0(VALU_DEP_1) | instskip(NEXT) | instid1(VALU_DEP_1)
	v_add3_u32 v3, v2, v3, 0x407ffff
	v_and_b32_e32 v7, 0xff00000, v3
	v_lshrrev_b32_e32 v3, 20, v3
	s_delay_alu instid0(VALU_DEP_2) | instskip(NEXT) | instid1(VALU_DEP_2)
	v_cmp_ne_u32_e32 vcc_lo, 0x7f00000, v7
	v_cndmask_b32_e32 v3, 0x7e, v3, vcc_lo
; %bb.1613:
	s_and_not1_saveexec_b32 s7, s7
; %bb.1614:
	v_add_f32_e64 v3, 0x46800000, |v2|
; %bb.1615:
	s_or_b32 exec_lo, exec_lo, s7
                                        ; implicit-def: $vgpr7
.LBB6_1616:
	s_and_not1_saveexec_b32 s6, s6
; %bb.1617:
	v_mov_b32_e32 v3, 0x7f
	v_cmp_lt_u32_e32 vcc_lo, 0x7f800000, v7
	s_delay_alu instid0(VALU_DEP_2)
	v_cndmask_b32_e32 v3, 0x7e, v3, vcc_lo
; %bb.1618:
	s_or_b32 exec_lo, exec_lo, s6
	v_lshrrev_b32_e32 v2, 24, v2
	s_delay_alu instid0(VALU_DEP_1)
	v_and_or_b32 v2, 0x80, v2, v3
	global_store_b8 v[12:13], v2, off
.LBB6_1619:
	s_mov_b32 s6, 0
.LBB6_1620:
	s_delay_alu instid0(SALU_CYCLE_1)
	s_and_not1_b32 vcc_lo, exec_lo, s6
	s_cbranch_vccnz .LBB6_1630
; %bb.1621:
	s_wait_xcnt 0x0
	v_cvt_f32_f64_e32 v2, v[0:1]
	s_mov_b32 s6, exec_lo
                                        ; implicit-def: $vgpr3
	s_delay_alu instid0(VALU_DEP_1) | instskip(NEXT) | instid1(VALU_DEP_1)
	v_and_b32_e32 v7, 0x7fffffff, v2
	v_cmpx_gt_u32_e32 0x47800000, v7
	s_xor_b32 s6, exec_lo, s6
	s_cbranch_execz .LBB6_1627
; %bb.1622:
	s_mov_b32 s7, exec_lo
                                        ; implicit-def: $vgpr3
	v_cmpx_lt_u32_e32 0x387fffff, v7
	s_xor_b32 s7, exec_lo, s7
; %bb.1623:
	v_bfe_u32 v3, v2, 21, 1
	s_delay_alu instid0(VALU_DEP_1) | instskip(NEXT) | instid1(VALU_DEP_1)
	v_add3_u32 v3, v2, v3, 0x80fffff
	v_lshrrev_b32_e32 v3, 21, v3
; %bb.1624:
	s_and_not1_saveexec_b32 s7, s7
; %bb.1625:
	v_add_f32_e64 v3, 0x43000000, |v2|
; %bb.1626:
	s_or_b32 exec_lo, exec_lo, s7
                                        ; implicit-def: $vgpr7
.LBB6_1627:
	s_and_not1_saveexec_b32 s6, s6
; %bb.1628:
	v_mov_b32_e32 v3, 0x7f
	v_cmp_lt_u32_e32 vcc_lo, 0x7f800000, v7
	s_delay_alu instid0(VALU_DEP_2)
	v_cndmask_b32_e32 v3, 0x7c, v3, vcc_lo
; %bb.1629:
	s_or_b32 exec_lo, exec_lo, s6
	v_lshrrev_b32_e32 v2, 24, v2
	s_delay_alu instid0(VALU_DEP_1)
	v_and_or_b32 v2, 0x80, v2, v3
	global_store_b8 v[12:13], v2, off
.LBB6_1630:
	s_mov_b32 s6, 0
	s_mov_b32 s7, -1
.LBB6_1631:
	s_and_not1_b32 vcc_lo, exec_lo, s6
	s_mov_b32 s6, 0
	s_cbranch_vccnz .LBB6_1638
; %bb.1632:
	s_cmp_gt_i32 s3, 14
	s_mov_b32 s6, -1
	s_cbranch_scc0 .LBB6_1636
; %bb.1633:
	s_cmp_eq_u32 s3, 15
	s_mov_b32 s0, -1
	s_cbranch_scc0 .LBB6_1635
; %bb.1634:
	s_wait_xcnt 0x0
	v_cvt_f32_f64_e32 v2, v[0:1]
	s_mov_b32 s0, 0
	s_mov_b32 s7, -1
	s_delay_alu instid0(VALU_DEP_1) | instskip(SKIP_1) | instid1(VALU_DEP_2)
	v_bfe_u32 v3, v2, 16, 1
	v_cmp_o_f32_e32 vcc_lo, v2, v2
	v_add3_u32 v3, v2, v3, 0x7fff
	s_delay_alu instid0(VALU_DEP_1) | instskip(NEXT) | instid1(VALU_DEP_1)
	v_lshrrev_b32_e32 v3, 16, v3
	v_cndmask_b32_e32 v2, 0x7fc0, v3, vcc_lo
	global_store_b16 v[12:13], v2, off
.LBB6_1635:
	s_mov_b32 s6, 0
.LBB6_1636:
	s_delay_alu instid0(SALU_CYCLE_1)
	s_and_b32 vcc_lo, exec_lo, s6
	s_mov_b32 s6, 0
	s_cbranch_vccz .LBB6_1638
; %bb.1637:
	s_cmp_lg_u32 s3, 11
	s_mov_b32 s6, -1
	s_cselect_b32 s0, -1, 0
.LBB6_1638:
	s_delay_alu instid0(SALU_CYCLE_1)
	s_and_b32 vcc_lo, exec_lo, s0
	s_cbranch_vccnz .LBB6_2047
; %bb.1639:
	s_and_not1_b32 vcc_lo, exec_lo, s6
	s_cbranch_vccnz .LBB6_1641
.LBB6_1640:
	v_cmp_neq_f64_e32 vcc_lo, 0, v[0:1]
	s_mov_b32 s7, -1
	s_wait_xcnt 0x0
	v_cndmask_b32_e64 v2, 0, 1, vcc_lo
	global_store_b8 v[12:13], v2, off
.LBB6_1641:
	s_mov_b32 s0, 0
	s_branch .LBB6_1688
.LBB6_1642:
	s_mov_b32 s0, 0
	s_mov_b32 s3, 0
                                        ; implicit-def: $sgpr1
                                        ; implicit-def: $vgpr0_vgpr1
                                        ; implicit-def: $vgpr8_vgpr9
.LBB6_1643:
	s_and_not1_b32 s2, s16, exec_lo
	s_and_b32 s4, s13, exec_lo
	s_and_b32 s0, s0, exec_lo
	;; [unrolled: 1-line block ×3, first 2 shown]
	s_or_b32 s16, s2, s4
.LBB6_1644:
	s_wait_xcnt 0x0
	s_or_b32 exec_lo, exec_lo, s15
	s_and_saveexec_b32 s2, s16
	s_cbranch_execz .LBB6_1647
; %bb.1645:
	; divergent unreachable
	s_or_b32 exec_lo, exec_lo, s2
	s_and_saveexec_b32 s2, s13
	s_delay_alu instid0(SALU_CYCLE_1)
	s_xor_b32 s2, exec_lo, s2
	s_cbranch_execnz .LBB6_1648
.LBB6_1646:
	s_or_b32 exec_lo, exec_lo, s2
	s_and_saveexec_b32 s2, s0
	s_cbranch_execnz .LBB6_1649
	s_branch .LBB6_1686
.LBB6_1647:
	s_or_b32 exec_lo, exec_lo, s2
	s_and_saveexec_b32 s2, s13
	s_delay_alu instid0(SALU_CYCLE_1)
	s_xor_b32 s2, exec_lo, s2
	s_cbranch_execz .LBB6_1646
.LBB6_1648:
	s_wait_loadcnt 0x0
	s_delay_alu instid0(VALU_DEP_1)
	v_cmp_neq_f64_e32 vcc_lo, 0, v[8:9]
	v_cndmask_b32_e64 v2, 0, 1, vcc_lo
	global_store_b8 v[0:1], v2, off
	s_wait_xcnt 0x0
	s_or_b32 exec_lo, exec_lo, s2
	s_and_saveexec_b32 s2, s0
	s_cbranch_execz .LBB6_1686
.LBB6_1649:
	s_sext_i32_i16 s2, s1
	s_mov_b32 s0, -1
	s_cmp_lt_i32 s2, 5
	s_cbranch_scc1 .LBB6_1670
; %bb.1650:
	s_cmp_lt_i32 s2, 8
	s_cbranch_scc1 .LBB6_1660
; %bb.1651:
	;; [unrolled: 3-line block ×3, first 2 shown]
	s_cmp_gt_i32 s2, 9
	s_cbranch_scc0 .LBB6_1654
; %bb.1653:
	s_wait_loadcnt 0x0
	v_mov_b32_e32 v10, 0
	s_mov_b32 s0, 0
	s_delay_alu instid0(VALU_DEP_1)
	v_mov_b32_e32 v11, v10
	global_store_b128 v[0:1], v[8:11], off
.LBB6_1654:
	s_and_not1_b32 vcc_lo, exec_lo, s0
	s_cbranch_vccnz .LBB6_1656
; %bb.1655:
	s_wait_loadcnt 0x0
	v_cvt_f32_f64_e32 v2, v[8:9]
	v_mov_b32_e32 v3, 0
	global_store_b64 v[0:1], v[2:3], off
.LBB6_1656:
	s_mov_b32 s0, 0
.LBB6_1657:
	s_delay_alu instid0(SALU_CYCLE_1)
	s_and_not1_b32 vcc_lo, exec_lo, s0
	s_cbranch_vccnz .LBB6_1659
; %bb.1658:
	s_wait_loadcnt 0x0
	v_and_or_b32 v2, 0x1ff, v9, v8
	v_lshrrev_b32_e32 v3, 8, v9
	v_bfe_u32 v4, v9, 20, 11
	s_delay_alu instid0(VALU_DEP_3) | instskip(NEXT) | instid1(VALU_DEP_2)
	v_cmp_ne_u32_e32 vcc_lo, 0, v2
	v_sub_nc_u32_e32 v5, 0x3f1, v4
	v_add_nc_u32_e32 v4, 0xfffffc10, v4
	v_cndmask_b32_e64 v2, 0, 1, vcc_lo
	s_delay_alu instid0(VALU_DEP_1) | instskip(NEXT) | instid1(VALU_DEP_4)
	v_and_or_b32 v2, 0xffe, v3, v2
	v_med3_i32 v3, v5, 0, 13
	s_delay_alu instid0(VALU_DEP_2) | instskip(NEXT) | instid1(VALU_DEP_1)
	v_or_b32_e32 v5, 0x1000, v2
	v_lshrrev_b32_e32 v6, v3, v5
	s_delay_alu instid0(VALU_DEP_1) | instskip(NEXT) | instid1(VALU_DEP_1)
	v_lshlrev_b32_e32 v3, v3, v6
	v_cmp_ne_u32_e32 vcc_lo, v3, v5
	v_lshl_or_b32 v5, v4, 12, v2
	v_cndmask_b32_e64 v3, 0, 1, vcc_lo
	v_cmp_gt_i32_e32 vcc_lo, 1, v4
	s_delay_alu instid0(VALU_DEP_2) | instskip(NEXT) | instid1(VALU_DEP_1)
	v_or_b32_e32 v3, v6, v3
	v_cndmask_b32_e32 v3, v5, v3, vcc_lo
	s_delay_alu instid0(VALU_DEP_1) | instskip(NEXT) | instid1(VALU_DEP_1)
	v_dual_lshrrev_b32 v3, 2, v3 :: v_dual_bitop2_b32 v5, 7, v3 bitop3:0x40
	v_cmp_lt_i32_e32 vcc_lo, 5, v5
	v_cndmask_b32_e64 v6, 0, 1, vcc_lo
	v_cmp_eq_u32_e32 vcc_lo, 3, v5
	v_cndmask_b32_e64 v5, 0, 1, vcc_lo
	v_cmp_ne_u32_e32 vcc_lo, 0, v2
	s_delay_alu instid0(VALU_DEP_2) | instskip(NEXT) | instid1(VALU_DEP_1)
	v_or_b32_e32 v5, v5, v6
	v_dual_mov_b32 v6, 0x7e00 :: v_dual_add_nc_u32 v3, v3, v5
	s_delay_alu instid0(VALU_DEP_1) | instskip(SKIP_2) | instid1(VALU_DEP_4)
	v_cndmask_b32_e32 v2, 0x7c00, v6, vcc_lo
	v_cmp_gt_i32_e32 vcc_lo, 31, v4
	v_lshrrev_b32_e32 v5, 16, v9
	v_cndmask_b32_e32 v3, 0x7c00, v3, vcc_lo
	v_cmp_eq_u32_e32 vcc_lo, 0x40f, v4
	s_delay_alu instid0(VALU_DEP_2) | instskip(NEXT) | instid1(VALU_DEP_4)
	v_cndmask_b32_e32 v2, v3, v2, vcc_lo
	v_and_b32_e32 v3, 0x8000, v5
	s_delay_alu instid0(VALU_DEP_1)
	v_bitop3_b32 v2, v3, 0xffff, v2 bitop3:0xc8
	global_store_b32 v[0:1], v2, off
.LBB6_1659:
	s_mov_b32 s0, 0
.LBB6_1660:
	s_delay_alu instid0(SALU_CYCLE_1)
	s_and_not1_b32 vcc_lo, exec_lo, s0
	s_cbranch_vccnz .LBB6_1669
; %bb.1661:
	s_sext_i32_i16 s2, s1
	s_mov_b32 s0, -1
	s_cmp_lt_i32 s2, 6
	s_cbranch_scc1 .LBB6_1667
; %bb.1662:
	s_cmp_gt_i32 s2, 6
	s_cbranch_scc0 .LBB6_1664
; %bb.1663:
	s_mov_b32 s0, 0
	s_wait_loadcnt 0x0
	global_store_b64 v[0:1], v[8:9], off
.LBB6_1664:
	s_and_not1_b32 vcc_lo, exec_lo, s0
	s_cbranch_vccnz .LBB6_1666
; %bb.1665:
	s_wait_loadcnt 0x0
	v_cvt_f32_f64_e32 v2, v[8:9]
	global_store_b32 v[0:1], v2, off
.LBB6_1666:
	s_mov_b32 s0, 0
.LBB6_1667:
	s_delay_alu instid0(SALU_CYCLE_1)
	s_and_not1_b32 vcc_lo, exec_lo, s0
	s_cbranch_vccnz .LBB6_1669
; %bb.1668:
	s_wait_loadcnt 0x0
	v_and_or_b32 v2, 0x1ff, v9, v8
	v_lshrrev_b32_e32 v3, 8, v9
	v_bfe_u32 v4, v9, 20, 11
	s_delay_alu instid0(VALU_DEP_3) | instskip(NEXT) | instid1(VALU_DEP_2)
	v_cmp_ne_u32_e32 vcc_lo, 0, v2
	v_sub_nc_u32_e32 v5, 0x3f1, v4
	v_add_nc_u32_e32 v4, 0xfffffc10, v4
	v_cndmask_b32_e64 v2, 0, 1, vcc_lo
	s_delay_alu instid0(VALU_DEP_1) | instskip(NEXT) | instid1(VALU_DEP_4)
	v_and_or_b32 v2, 0xffe, v3, v2
	v_med3_i32 v3, v5, 0, 13
	s_delay_alu instid0(VALU_DEP_2) | instskip(NEXT) | instid1(VALU_DEP_1)
	v_or_b32_e32 v5, 0x1000, v2
	v_lshrrev_b32_e32 v6, v3, v5
	s_delay_alu instid0(VALU_DEP_1) | instskip(NEXT) | instid1(VALU_DEP_1)
	v_lshlrev_b32_e32 v3, v3, v6
	v_cmp_ne_u32_e32 vcc_lo, v3, v5
	v_lshl_or_b32 v5, v4, 12, v2
	v_cndmask_b32_e64 v3, 0, 1, vcc_lo
	v_cmp_gt_i32_e32 vcc_lo, 1, v4
	s_delay_alu instid0(VALU_DEP_2) | instskip(NEXT) | instid1(VALU_DEP_1)
	v_or_b32_e32 v3, v6, v3
	v_cndmask_b32_e32 v3, v5, v3, vcc_lo
	s_delay_alu instid0(VALU_DEP_1) | instskip(NEXT) | instid1(VALU_DEP_1)
	v_dual_lshrrev_b32 v3, 2, v3 :: v_dual_bitop2_b32 v5, 7, v3 bitop3:0x40
	v_cmp_lt_i32_e32 vcc_lo, 5, v5
	v_cndmask_b32_e64 v6, 0, 1, vcc_lo
	v_cmp_eq_u32_e32 vcc_lo, 3, v5
	v_cndmask_b32_e64 v5, 0, 1, vcc_lo
	v_cmp_ne_u32_e32 vcc_lo, 0, v2
	s_delay_alu instid0(VALU_DEP_2) | instskip(NEXT) | instid1(VALU_DEP_1)
	v_or_b32_e32 v5, v5, v6
	v_dual_mov_b32 v6, 0x7e00 :: v_dual_add_nc_u32 v3, v3, v5
	s_delay_alu instid0(VALU_DEP_1) | instskip(SKIP_1) | instid1(VALU_DEP_3)
	v_cndmask_b32_e32 v2, 0x7c00, v6, vcc_lo
	v_cmp_gt_i32_e32 vcc_lo, 31, v4
	v_cndmask_b32_e32 v3, 0x7c00, v3, vcc_lo
	v_cmp_eq_u32_e32 vcc_lo, 0x40f, v4
	s_delay_alu instid0(VALU_DEP_2) | instskip(NEXT) | instid1(VALU_DEP_1)
	v_dual_cndmask_b32 v2, v3, v2 :: v_dual_lshrrev_b32 v3, 16, v9
	v_and_or_b32 v2, 0x8000, v3, v2
	global_store_b16 v[0:1], v2, off
.LBB6_1669:
	s_mov_b32 s0, 0
.LBB6_1670:
	s_delay_alu instid0(SALU_CYCLE_1)
	s_and_not1_b32 vcc_lo, exec_lo, s0
	s_cbranch_vccnz .LBB6_1686
; %bb.1671:
	s_sext_i32_i16 s2, s1
	s_mov_b32 s0, -1
	s_cmp_lt_i32 s2, 2
	s_cbranch_scc1 .LBB6_1681
; %bb.1672:
	s_cmp_lt_i32 s2, 3
	s_cbranch_scc1 .LBB6_1678
; %bb.1673:
	s_cmp_gt_i32 s2, 3
	s_cbranch_scc0 .LBB6_1675
; %bb.1674:
	s_wait_loadcnt 0x0
	v_trunc_f64_e32 v[2:3], v[8:9]
	s_mov_b32 s0, 0
	s_delay_alu instid0(VALU_DEP_1) | instskip(NEXT) | instid1(VALU_DEP_1)
	v_ldexp_f64 v[4:5], v[2:3], 0xffffffe0
	v_floor_f64_e32 v[4:5], v[4:5]
	s_delay_alu instid0(VALU_DEP_1) | instskip(SKIP_1) | instid1(VALU_DEP_2)
	v_fmamk_f64 v[2:3], v[4:5], 0xc1f00000, v[2:3]
	v_cvt_i32_f64_e32 v5, v[4:5]
	v_cvt_u32_f64_e32 v4, v[2:3]
	global_store_b64 v[0:1], v[4:5], off
.LBB6_1675:
	s_and_not1_b32 vcc_lo, exec_lo, s0
	s_cbranch_vccnz .LBB6_1677
; %bb.1676:
	s_wait_loadcnt 0x0
	v_cvt_i32_f64_e32 v2, v[8:9]
	global_store_b32 v[0:1], v2, off
.LBB6_1677:
	s_mov_b32 s0, 0
.LBB6_1678:
	s_delay_alu instid0(SALU_CYCLE_1)
	s_and_not1_b32 vcc_lo, exec_lo, s0
	s_cbranch_vccnz .LBB6_1680
; %bb.1679:
	s_wait_loadcnt 0x0
	v_cvt_i32_f64_e32 v2, v[8:9]
	global_store_b16 v[0:1], v2, off
.LBB6_1680:
	s_mov_b32 s0, 0
.LBB6_1681:
	s_delay_alu instid0(SALU_CYCLE_1)
	s_and_not1_b32 vcc_lo, exec_lo, s0
	s_cbranch_vccnz .LBB6_1686
; %bb.1682:
	s_sext_i32_i16 s0, s1
	s_delay_alu instid0(SALU_CYCLE_1)
	s_cmp_gt_i32 s0, 0
	s_mov_b32 s0, -1
	s_cbranch_scc0 .LBB6_1684
; %bb.1683:
	s_wait_loadcnt 0x0
	v_cvt_i32_f64_e32 v2, v[8:9]
	s_mov_b32 s0, 0
	global_store_b8 v[0:1], v2, off
.LBB6_1684:
	s_and_not1_b32 vcc_lo, exec_lo, s0
	s_cbranch_vccnz .LBB6_1686
; %bb.1685:
	s_wait_loadcnt 0x0
	v_trunc_f64_e32 v[2:3], v[8:9]
	s_delay_alu instid0(VALU_DEP_1) | instskip(NEXT) | instid1(VALU_DEP_1)
	v_ldexp_f64 v[4:5], v[2:3], 0xffffffe0
	v_floor_f64_e32 v[4:5], v[4:5]
	s_delay_alu instid0(VALU_DEP_1) | instskip(NEXT) | instid1(VALU_DEP_1)
	v_fmamk_f64 v[2:3], v[4:5], 0xc1f00000, v[2:3]
	v_cvt_u32_f64_e32 v2, v[2:3]
	global_store_b8 v[0:1], v2, off
	s_endpgm
.LBB6_1686:
	s_endpgm
.LBB6_1687:
	s_mov_b32 s0, -1
	s_mov_b32 s7, 0
.LBB6_1688:
	s_and_b32 vcc_lo, exec_lo, s0
	s_cbranch_vccz .LBB6_1727
; %bb.1689:
	s_and_b32 s0, 0xffff, s1
	s_mov_b32 s3, -1
	s_cmp_lt_i32 s0, 5
	s_cbranch_scc1 .LBB6_1710
; %bb.1690:
	s_cmp_lt_i32 s0, 8
	s_cbranch_scc1 .LBB6_1700
; %bb.1691:
	;; [unrolled: 3-line block ×3, first 2 shown]
	s_cmp_gt_i32 s0, 9
	s_cbranch_scc0 .LBB6_1694
; %bb.1693:
	s_wait_xcnt 0x0
	v_mov_b32_e32 v2, 0
	s_mov_b32 s3, 0
	s_delay_alu instid0(VALU_DEP_1)
	v_mov_b32_e32 v3, v2
	global_store_b128 v[12:13], v[0:3], off
.LBB6_1694:
	s_and_not1_b32 vcc_lo, exec_lo, s3
	s_cbranch_vccnz .LBB6_1696
; %bb.1695:
	s_wait_xcnt 0x0
	v_cvt_f32_f64_e32 v2, v[0:1]
	v_mov_b32_e32 v3, 0
	global_store_b64 v[12:13], v[2:3], off
.LBB6_1696:
	s_mov_b32 s3, 0
.LBB6_1697:
	s_delay_alu instid0(SALU_CYCLE_1)
	s_and_not1_b32 vcc_lo, exec_lo, s3
	s_cbranch_vccnz .LBB6_1699
; %bb.1698:
	s_wait_xcnt 0x0
	v_and_or_b32 v2, 0x1ff, v1, v0
	v_lshrrev_b32_e32 v3, 8, v1
	v_bfe_u32 v7, v1, 20, 11
	s_delay_alu instid0(VALU_DEP_3) | instskip(NEXT) | instid1(VALU_DEP_2)
	v_cmp_ne_u32_e32 vcc_lo, 0, v2
	v_sub_nc_u32_e32 v14, 0x3f1, v7
	v_add_nc_u32_e32 v7, 0xfffffc10, v7
	v_cndmask_b32_e64 v2, 0, 1, vcc_lo
	s_delay_alu instid0(VALU_DEP_1) | instskip(NEXT) | instid1(VALU_DEP_4)
	v_and_or_b32 v2, 0xffe, v3, v2
	v_med3_i32 v3, v14, 0, 13
	s_delay_alu instid0(VALU_DEP_2) | instskip(NEXT) | instid1(VALU_DEP_1)
	v_or_b32_e32 v14, 0x1000, v2
	v_lshrrev_b32_e32 v15, v3, v14
	s_delay_alu instid0(VALU_DEP_1) | instskip(NEXT) | instid1(VALU_DEP_1)
	v_lshlrev_b32_e32 v3, v3, v15
	v_cmp_ne_u32_e32 vcc_lo, v3, v14
	v_lshl_or_b32 v14, v7, 12, v2
	v_cndmask_b32_e64 v3, 0, 1, vcc_lo
	v_cmp_gt_i32_e32 vcc_lo, 1, v7
	s_delay_alu instid0(VALU_DEP_2) | instskip(NEXT) | instid1(VALU_DEP_1)
	v_or_b32_e32 v3, v15, v3
	v_cndmask_b32_e32 v3, v14, v3, vcc_lo
	s_delay_alu instid0(VALU_DEP_1) | instskip(NEXT) | instid1(VALU_DEP_1)
	v_dual_lshrrev_b32 v3, 2, v3 :: v_dual_bitop2_b32 v14, 7, v3 bitop3:0x40
	v_cmp_lt_i32_e32 vcc_lo, 5, v14
	v_cndmask_b32_e64 v15, 0, 1, vcc_lo
	v_cmp_eq_u32_e32 vcc_lo, 3, v14
	v_cndmask_b32_e64 v14, 0, 1, vcc_lo
	v_cmp_ne_u32_e32 vcc_lo, 0, v2
	s_delay_alu instid0(VALU_DEP_2) | instskip(SKIP_1) | instid1(VALU_DEP_1)
	v_or_b32_e32 v14, v14, v15
	v_mov_b32_e32 v15, 0x7e00
	v_dual_cndmask_b32 v2, 0x7c00, v15 :: v_dual_add_nc_u32 v3, v3, v14
	v_cmp_gt_i32_e32 vcc_lo, 31, v7
	s_delay_alu instid0(VALU_DEP_2) | instskip(SKIP_1) | instid1(VALU_DEP_2)
	v_dual_cndmask_b32 v3, 0x7c00, v3 :: v_dual_lshrrev_b32 v14, 16, v1
	v_cmp_eq_u32_e32 vcc_lo, 0x40f, v7
	v_cndmask_b32_e32 v2, v3, v2, vcc_lo
	s_delay_alu instid0(VALU_DEP_3) | instskip(NEXT) | instid1(VALU_DEP_1)
	v_and_b32_e32 v3, 0x8000, v14
	v_bitop3_b32 v2, v3, 0xffff, v2 bitop3:0xc8
	global_store_b32 v[12:13], v2, off
.LBB6_1699:
	s_mov_b32 s3, 0
.LBB6_1700:
	s_delay_alu instid0(SALU_CYCLE_1)
	s_and_not1_b32 vcc_lo, exec_lo, s3
	s_cbranch_vccnz .LBB6_1709
; %bb.1701:
	s_cmp_lt_i32 s0, 6
	s_mov_b32 s3, -1
	s_cbranch_scc1 .LBB6_1707
; %bb.1702:
	s_cmp_gt_i32 s0, 6
	s_cbranch_scc0 .LBB6_1704
; %bb.1703:
	s_mov_b32 s3, 0
	global_store_b64 v[12:13], v[0:1], off
.LBB6_1704:
	s_and_not1_b32 vcc_lo, exec_lo, s3
	s_cbranch_vccnz .LBB6_1706
; %bb.1705:
	s_wait_xcnt 0x0
	v_cvt_f32_f64_e32 v2, v[0:1]
	global_store_b32 v[12:13], v2, off
.LBB6_1706:
	s_mov_b32 s3, 0
.LBB6_1707:
	s_delay_alu instid0(SALU_CYCLE_1)
	s_and_not1_b32 vcc_lo, exec_lo, s3
	s_cbranch_vccnz .LBB6_1709
; %bb.1708:
	s_wait_xcnt 0x0
	v_and_or_b32 v2, 0x1ff, v1, v0
	v_lshrrev_b32_e32 v3, 8, v1
	v_bfe_u32 v7, v1, 20, 11
	s_delay_alu instid0(VALU_DEP_3) | instskip(NEXT) | instid1(VALU_DEP_2)
	v_cmp_ne_u32_e32 vcc_lo, 0, v2
	v_sub_nc_u32_e32 v14, 0x3f1, v7
	v_add_nc_u32_e32 v7, 0xfffffc10, v7
	v_cndmask_b32_e64 v2, 0, 1, vcc_lo
	s_delay_alu instid0(VALU_DEP_1) | instskip(NEXT) | instid1(VALU_DEP_4)
	v_and_or_b32 v2, 0xffe, v3, v2
	v_med3_i32 v3, v14, 0, 13
	s_delay_alu instid0(VALU_DEP_2) | instskip(NEXT) | instid1(VALU_DEP_1)
	v_or_b32_e32 v14, 0x1000, v2
	v_lshrrev_b32_e32 v15, v3, v14
	s_delay_alu instid0(VALU_DEP_1) | instskip(NEXT) | instid1(VALU_DEP_1)
	v_lshlrev_b32_e32 v3, v3, v15
	v_cmp_ne_u32_e32 vcc_lo, v3, v14
	v_lshl_or_b32 v14, v7, 12, v2
	v_cndmask_b32_e64 v3, 0, 1, vcc_lo
	v_cmp_gt_i32_e32 vcc_lo, 1, v7
	s_delay_alu instid0(VALU_DEP_2) | instskip(NEXT) | instid1(VALU_DEP_1)
	v_or_b32_e32 v3, v15, v3
	v_cndmask_b32_e32 v3, v14, v3, vcc_lo
	s_delay_alu instid0(VALU_DEP_1) | instskip(NEXT) | instid1(VALU_DEP_1)
	v_dual_lshrrev_b32 v3, 2, v3 :: v_dual_bitop2_b32 v14, 7, v3 bitop3:0x40
	v_cmp_lt_i32_e32 vcc_lo, 5, v14
	v_cndmask_b32_e64 v15, 0, 1, vcc_lo
	v_cmp_eq_u32_e32 vcc_lo, 3, v14
	v_cndmask_b32_e64 v14, 0, 1, vcc_lo
	v_cmp_ne_u32_e32 vcc_lo, 0, v2
	s_delay_alu instid0(VALU_DEP_2) | instskip(SKIP_1) | instid1(VALU_DEP_1)
	v_or_b32_e32 v14, v14, v15
	v_mov_b32_e32 v15, 0x7e00
	v_dual_cndmask_b32 v2, 0x7c00, v15 :: v_dual_add_nc_u32 v3, v3, v14
	v_cmp_gt_i32_e32 vcc_lo, 31, v7
	s_delay_alu instid0(VALU_DEP_2) | instskip(SKIP_1) | instid1(VALU_DEP_2)
	v_cndmask_b32_e32 v3, 0x7c00, v3, vcc_lo
	v_cmp_eq_u32_e32 vcc_lo, 0x40f, v7
	v_dual_cndmask_b32 v2, v3, v2 :: v_dual_lshrrev_b32 v3, 16, v1
	s_delay_alu instid0(VALU_DEP_1)
	v_and_or_b32 v2, 0x8000, v3, v2
	global_store_b16 v[12:13], v2, off
.LBB6_1709:
	s_mov_b32 s3, 0
.LBB6_1710:
	s_delay_alu instid0(SALU_CYCLE_1)
	s_and_not1_b32 vcc_lo, exec_lo, s3
	s_cbranch_vccnz .LBB6_1726
; %bb.1711:
	s_cmp_lt_i32 s0, 2
	s_mov_b32 s3, -1
	s_cbranch_scc1 .LBB6_1721
; %bb.1712:
	s_cmp_lt_i32 s0, 3
	s_cbranch_scc1 .LBB6_1718
; %bb.1713:
	s_cmp_gt_i32 s0, 3
	s_cbranch_scc0 .LBB6_1715
; %bb.1714:
	s_wait_xcnt 0x0
	v_trunc_f64_e32 v[2:3], v[0:1]
	s_mov_b32 s3, 0
	s_delay_alu instid0(VALU_DEP_1) | instskip(NEXT) | instid1(VALU_DEP_1)
	v_ldexp_f64 v[14:15], v[2:3], 0xffffffe0
	v_floor_f64_e32 v[14:15], v[14:15]
	s_delay_alu instid0(VALU_DEP_1) | instskip(SKIP_1) | instid1(VALU_DEP_2)
	v_fmamk_f64 v[2:3], v[14:15], 0xc1f00000, v[2:3]
	v_cvt_i32_f64_e32 v15, v[14:15]
	v_cvt_u32_f64_e32 v14, v[2:3]
	global_store_b64 v[12:13], v[14:15], off
.LBB6_1715:
	s_and_not1_b32 vcc_lo, exec_lo, s3
	s_cbranch_vccnz .LBB6_1717
; %bb.1716:
	s_wait_xcnt 0x0
	v_cvt_i32_f64_e32 v2, v[0:1]
	global_store_b32 v[12:13], v2, off
.LBB6_1717:
	s_mov_b32 s3, 0
.LBB6_1718:
	s_delay_alu instid0(SALU_CYCLE_1)
	s_and_not1_b32 vcc_lo, exec_lo, s3
	s_cbranch_vccnz .LBB6_1720
; %bb.1719:
	s_wait_xcnt 0x0
	v_cvt_i32_f64_e32 v2, v[0:1]
	global_store_b16 v[12:13], v2, off
.LBB6_1720:
	s_mov_b32 s3, 0
.LBB6_1721:
	s_delay_alu instid0(SALU_CYCLE_1)
	s_and_not1_b32 vcc_lo, exec_lo, s3
	s_cbranch_vccnz .LBB6_1726
; %bb.1722:
	s_cmp_gt_i32 s0, 0
	s_mov_b32 s0, -1
	s_cbranch_scc0 .LBB6_1724
; %bb.1723:
	s_wait_xcnt 0x0
	v_cvt_i32_f64_e32 v2, v[0:1]
	s_mov_b32 s0, 0
	global_store_b8 v[12:13], v2, off
.LBB6_1724:
	s_and_not1_b32 vcc_lo, exec_lo, s0
	s_cbranch_vccnz .LBB6_1726
; %bb.1725:
	s_wait_xcnt 0x0
	v_trunc_f64_e32 v[0:1], v[0:1]
	s_delay_alu instid0(VALU_DEP_1) | instskip(NEXT) | instid1(VALU_DEP_1)
	v_ldexp_f64 v[2:3], v[0:1], 0xffffffe0
	v_floor_f64_e32 v[2:3], v[2:3]
	s_delay_alu instid0(VALU_DEP_1) | instskip(NEXT) | instid1(VALU_DEP_1)
	v_fmamk_f64 v[0:1], v[2:3], 0xc1f00000, v[0:1]
	v_cvt_u32_f64_e32 v0, v[0:1]
	global_store_b8 v[12:13], v0, off
.LBB6_1726:
	s_mov_b32 s7, -1
.LBB6_1727:
	s_delay_alu instid0(SALU_CYCLE_1)
	s_and_not1_b32 vcc_lo, exec_lo, s7
	s_cbranch_vccnz .LBB6_2042
; %bb.1728:
	s_lshl_b32 s2, s2, 7
	s_cmp_lt_i32 s1, 11
	s_wait_xcnt 0x0
	v_add_nc_u32_e32 v0, s2, v6
	s_delay_alu instid0(VALU_DEP_1) | instskip(NEXT) | instid1(VALU_DEP_1)
	v_ashrrev_i32_e32 v1, 31, v0
	v_add_nc_u64_e32 v[2:3], s[4:5], v[0:1]
	s_cbranch_scc1 .LBB6_1806
; %bb.1729:
	s_and_b32 s3, 0xffff, s1
	s_mov_b32 s8, -1
	s_mov_b32 s6, 0
	s_cmp_gt_i32 s3, 25
	s_mov_b32 s7, 0
	s_mov_b32 s0, 0
	s_cbranch_scc0 .LBB6_1762
; %bb.1730:
	s_cmp_gt_i32 s3, 28
	s_cbranch_scc0 .LBB6_1745
; %bb.1731:
	s_cmp_gt_i32 s3, 43
	;; [unrolled: 3-line block ×3, first 2 shown]
	s_cbranch_scc0 .LBB6_1735
; %bb.1733:
	s_mov_b32 s0, -1
	s_mov_b32 s8, 0
	s_cmp_eq_u32 s3, 46
	s_cbranch_scc0 .LBB6_1735
; %bb.1734:
	v_cvt_f32_f64_e32 v1, v[4:5]
	s_mov_b32 s0, 0
	s_mov_b32 s7, -1
	s_delay_alu instid0(VALU_DEP_1) | instskip(SKIP_1) | instid1(VALU_DEP_2)
	v_bfe_u32 v6, v1, 16, 1
	v_cmp_o_f32_e32 vcc_lo, v1, v1
	v_add3_u32 v6, v1, v6, 0x7fff
	s_delay_alu instid0(VALU_DEP_1) | instskip(NEXT) | instid1(VALU_DEP_1)
	v_lshrrev_b32_e32 v6, 16, v6
	v_cndmask_b32_e32 v1, 0x7fc0, v6, vcc_lo
	global_store_b32 v[2:3], v1, off
.LBB6_1735:
	s_and_b32 vcc_lo, exec_lo, s8
	s_cbranch_vccz .LBB6_1740
; %bb.1736:
	s_cmp_eq_u32 s3, 44
	s_mov_b32 s0, -1
	s_cbranch_scc0 .LBB6_1740
; %bb.1737:
	s_wait_xcnt 0x0
	v_cvt_f32_f64_e32 v1, v[4:5]
	v_mov_b32_e32 v6, 0xff
	s_mov_b32 s7, exec_lo
	s_delay_alu instid0(VALU_DEP_2) | instskip(NEXT) | instid1(VALU_DEP_1)
	v_bfe_u32 v7, v1, 23, 8
	v_cmpx_ne_u32_e32 0xff, v7
	s_cbranch_execz .LBB6_1739
; %bb.1738:
	v_and_b32_e32 v6, 0x400000, v1
	v_and_or_b32 v7, 0x3fffff, v1, v7
	v_lshrrev_b32_e32 v1, 23, v1
	s_delay_alu instid0(VALU_DEP_3) | instskip(NEXT) | instid1(VALU_DEP_3)
	v_cmp_ne_u32_e32 vcc_lo, 0, v6
	v_cmp_ne_u32_e64 s0, 0, v7
	s_and_b32 s0, vcc_lo, s0
	s_delay_alu instid0(SALU_CYCLE_1) | instskip(NEXT) | instid1(VALU_DEP_1)
	v_cndmask_b32_e64 v6, 0, 1, s0
	v_add_nc_u32_e32 v6, v1, v6
.LBB6_1739:
	s_or_b32 exec_lo, exec_lo, s7
	s_mov_b32 s0, 0
	s_mov_b32 s7, -1
	global_store_b8 v[2:3], v6, off
.LBB6_1740:
	s_mov_b32 s8, 0
.LBB6_1741:
	s_delay_alu instid0(SALU_CYCLE_1)
	s_and_b32 vcc_lo, exec_lo, s8
	s_cbranch_vccz .LBB6_1744
; %bb.1742:
	s_cmp_eq_u32 s3, 29
	s_mov_b32 s0, -1
	s_cbranch_scc0 .LBB6_1744
; %bb.1743:
	s_wait_xcnt 0x0
	v_trunc_f64_e32 v[6:7], v[4:5]
	s_mov_b32 s0, 0
	s_mov_b32 s7, -1
	s_delay_alu instid0(VALU_DEP_1) | instskip(NEXT) | instid1(VALU_DEP_1)
	v_ldexp_f64 v[12:13], v[6:7], 0xffffffe0
	v_floor_f64_e32 v[12:13], v[12:13]
	s_delay_alu instid0(VALU_DEP_1) | instskip(SKIP_1) | instid1(VALU_DEP_2)
	v_fmamk_f64 v[6:7], v[12:13], 0xc1f00000, v[6:7]
	v_cvt_u32_f64_e32 v13, v[12:13]
	v_cvt_u32_f64_e32 v12, v[6:7]
	global_store_b64 v[2:3], v[12:13], off
.LBB6_1744:
	s_mov_b32 s8, 0
.LBB6_1745:
	s_delay_alu instid0(SALU_CYCLE_1)
	s_and_b32 vcc_lo, exec_lo, s8
	s_cbranch_vccz .LBB6_1761
; %bb.1746:
	s_cmp_lt_i32 s3, 27
	s_mov_b32 s7, -1
	s_cbranch_scc1 .LBB6_1752
; %bb.1747:
	s_wait_xcnt 0x0
	v_cvt_u32_f64_e32 v1, v[4:5]
	s_cmp_gt_i32 s3, 27
	s_cbranch_scc0 .LBB6_1749
; %bb.1748:
	s_mov_b32 s7, 0
	global_store_b32 v[2:3], v1, off
.LBB6_1749:
	s_and_not1_b32 vcc_lo, exec_lo, s7
	s_cbranch_vccnz .LBB6_1751
; %bb.1750:
	global_store_b16 v[2:3], v1, off
.LBB6_1751:
	s_mov_b32 s7, 0
.LBB6_1752:
	s_delay_alu instid0(SALU_CYCLE_1)
	s_and_not1_b32 vcc_lo, exec_lo, s7
	s_cbranch_vccnz .LBB6_1760
; %bb.1753:
	s_wait_xcnt 0x0
	v_cvt_f32_f64_e32 v1, v[4:5]
	v_mov_b32_e32 v7, 0x80
	s_mov_b32 s7, exec_lo
	s_delay_alu instid0(VALU_DEP_2) | instskip(NEXT) | instid1(VALU_DEP_1)
	v_and_b32_e32 v6, 0x7fffffff, v1
	v_cmpx_gt_u32_e32 0x43800000, v6
	s_cbranch_execz .LBB6_1759
; %bb.1754:
	v_cmp_lt_u32_e32 vcc_lo, 0x3bffffff, v6
	s_mov_b32 s8, 0
                                        ; implicit-def: $vgpr6
	s_and_saveexec_b32 s9, vcc_lo
	s_delay_alu instid0(SALU_CYCLE_1)
	s_xor_b32 s9, exec_lo, s9
	s_cbranch_execz .LBB6_2050
; %bb.1755:
	v_bfe_u32 v6, v1, 20, 1
	s_mov_b32 s8, exec_lo
	s_delay_alu instid0(VALU_DEP_1) | instskip(NEXT) | instid1(VALU_DEP_1)
	v_add3_u32 v6, v1, v6, 0x487ffff
	v_lshrrev_b32_e32 v6, 20, v6
	s_and_not1_saveexec_b32 s9, s9
	s_cbranch_execnz .LBB6_2051
.LBB6_1756:
	s_or_b32 exec_lo, exec_lo, s9
	v_mov_b32_e32 v7, 0
	s_and_saveexec_b32 s9, s8
.LBB6_1757:
	v_lshrrev_b32_e32 v1, 24, v1
	s_delay_alu instid0(VALU_DEP_1)
	v_and_or_b32 v7, 0x80, v1, v6
.LBB6_1758:
	s_or_b32 exec_lo, exec_lo, s9
.LBB6_1759:
	s_delay_alu instid0(SALU_CYCLE_1)
	s_or_b32 exec_lo, exec_lo, s7
	global_store_b8 v[2:3], v7, off
.LBB6_1760:
	s_mov_b32 s7, -1
.LBB6_1761:
	s_mov_b32 s8, 0
.LBB6_1762:
	s_delay_alu instid0(SALU_CYCLE_1)
	s_and_b32 vcc_lo, exec_lo, s8
	s_cbranch_vccz .LBB6_1802
; %bb.1763:
	s_cmp_gt_i32 s3, 22
	s_mov_b32 s6, -1
	s_cbranch_scc0 .LBB6_1795
; %bb.1764:
	s_cmp_lt_i32 s3, 24
	s_cbranch_scc1 .LBB6_1784
; %bb.1765:
	s_cmp_gt_i32 s3, 24
	s_cbranch_scc0 .LBB6_1773
; %bb.1766:
	s_wait_xcnt 0x0
	v_cvt_f32_f64_e32 v1, v[4:5]
	v_mov_b32_e32 v7, 0x80
	s_mov_b32 s6, exec_lo
	s_delay_alu instid0(VALU_DEP_2) | instskip(NEXT) | instid1(VALU_DEP_1)
	v_and_b32_e32 v6, 0x7fffffff, v1
	v_cmpx_gt_u32_e32 0x47800000, v6
	s_cbranch_execz .LBB6_1772
; %bb.1767:
	v_cmp_lt_u32_e32 vcc_lo, 0x37ffffff, v6
	s_mov_b32 s7, 0
                                        ; implicit-def: $vgpr6
	s_and_saveexec_b32 s8, vcc_lo
	s_delay_alu instid0(SALU_CYCLE_1)
	s_xor_b32 s8, exec_lo, s8
	s_cbranch_execz .LBB6_2053
; %bb.1768:
	v_bfe_u32 v6, v1, 21, 1
	s_mov_b32 s7, exec_lo
	s_delay_alu instid0(VALU_DEP_1) | instskip(NEXT) | instid1(VALU_DEP_1)
	v_add3_u32 v6, v1, v6, 0x88fffff
	v_lshrrev_b32_e32 v6, 21, v6
	s_and_not1_saveexec_b32 s8, s8
	s_cbranch_execnz .LBB6_2054
.LBB6_1769:
	s_or_b32 exec_lo, exec_lo, s8
	v_mov_b32_e32 v7, 0
	s_and_saveexec_b32 s8, s7
.LBB6_1770:
	v_lshrrev_b32_e32 v1, 24, v1
	s_delay_alu instid0(VALU_DEP_1)
	v_and_or_b32 v7, 0x80, v1, v6
.LBB6_1771:
	s_or_b32 exec_lo, exec_lo, s8
.LBB6_1772:
	s_delay_alu instid0(SALU_CYCLE_1)
	s_or_b32 exec_lo, exec_lo, s6
	s_mov_b32 s6, 0
	global_store_b8 v[2:3], v7, off
.LBB6_1773:
	s_and_b32 vcc_lo, exec_lo, s6
	s_cbranch_vccz .LBB6_1783
; %bb.1774:
	s_wait_xcnt 0x0
	v_cvt_f32_f64_e32 v1, v[4:5]
	s_mov_b32 s6, exec_lo
                                        ; implicit-def: $vgpr6
	s_delay_alu instid0(VALU_DEP_1) | instskip(NEXT) | instid1(VALU_DEP_1)
	v_and_b32_e32 v7, 0x7fffffff, v1
	v_cmpx_gt_u32_e32 0x43f00000, v7
	s_xor_b32 s6, exec_lo, s6
	s_cbranch_execz .LBB6_1780
; %bb.1775:
	s_mov_b32 s7, exec_lo
                                        ; implicit-def: $vgpr6
	v_cmpx_lt_u32_e32 0x3c7fffff, v7
	s_xor_b32 s7, exec_lo, s7
; %bb.1776:
	v_bfe_u32 v6, v1, 20, 1
	s_delay_alu instid0(VALU_DEP_1) | instskip(NEXT) | instid1(VALU_DEP_1)
	v_add3_u32 v6, v1, v6, 0x407ffff
	v_and_b32_e32 v7, 0xff00000, v6
	v_lshrrev_b32_e32 v6, 20, v6
	s_delay_alu instid0(VALU_DEP_2) | instskip(NEXT) | instid1(VALU_DEP_2)
	v_cmp_ne_u32_e32 vcc_lo, 0x7f00000, v7
	v_cndmask_b32_e32 v6, 0x7e, v6, vcc_lo
; %bb.1777:
	s_and_not1_saveexec_b32 s7, s7
; %bb.1778:
	v_add_f32_e64 v6, 0x46800000, |v1|
; %bb.1779:
	s_or_b32 exec_lo, exec_lo, s7
                                        ; implicit-def: $vgpr7
.LBB6_1780:
	s_and_not1_saveexec_b32 s6, s6
; %bb.1781:
	v_mov_b32_e32 v6, 0x7f
	v_cmp_lt_u32_e32 vcc_lo, 0x7f800000, v7
	s_delay_alu instid0(VALU_DEP_2)
	v_cndmask_b32_e32 v6, 0x7e, v6, vcc_lo
; %bb.1782:
	s_or_b32 exec_lo, exec_lo, s6
	v_lshrrev_b32_e32 v1, 24, v1
	s_delay_alu instid0(VALU_DEP_1)
	v_and_or_b32 v1, 0x80, v1, v6
	global_store_b8 v[2:3], v1, off
.LBB6_1783:
	s_mov_b32 s6, 0
.LBB6_1784:
	s_delay_alu instid0(SALU_CYCLE_1)
	s_and_not1_b32 vcc_lo, exec_lo, s6
	s_cbranch_vccnz .LBB6_1794
; %bb.1785:
	s_wait_xcnt 0x0
	v_cvt_f32_f64_e32 v1, v[4:5]
	s_mov_b32 s6, exec_lo
                                        ; implicit-def: $vgpr6
	s_delay_alu instid0(VALU_DEP_1) | instskip(NEXT) | instid1(VALU_DEP_1)
	v_and_b32_e32 v7, 0x7fffffff, v1
	v_cmpx_gt_u32_e32 0x47800000, v7
	s_xor_b32 s6, exec_lo, s6
	s_cbranch_execz .LBB6_1791
; %bb.1786:
	s_mov_b32 s7, exec_lo
                                        ; implicit-def: $vgpr6
	v_cmpx_lt_u32_e32 0x387fffff, v7
	s_xor_b32 s7, exec_lo, s7
; %bb.1787:
	v_bfe_u32 v6, v1, 21, 1
	s_delay_alu instid0(VALU_DEP_1) | instskip(NEXT) | instid1(VALU_DEP_1)
	v_add3_u32 v6, v1, v6, 0x80fffff
	v_lshrrev_b32_e32 v6, 21, v6
; %bb.1788:
	s_and_not1_saveexec_b32 s7, s7
; %bb.1789:
	v_add_f32_e64 v6, 0x43000000, |v1|
; %bb.1790:
	s_or_b32 exec_lo, exec_lo, s7
                                        ; implicit-def: $vgpr7
.LBB6_1791:
	s_and_not1_saveexec_b32 s6, s6
; %bb.1792:
	v_mov_b32_e32 v6, 0x7f
	v_cmp_lt_u32_e32 vcc_lo, 0x7f800000, v7
	s_delay_alu instid0(VALU_DEP_2)
	v_cndmask_b32_e32 v6, 0x7c, v6, vcc_lo
; %bb.1793:
	s_or_b32 exec_lo, exec_lo, s6
	v_lshrrev_b32_e32 v1, 24, v1
	s_delay_alu instid0(VALU_DEP_1)
	v_and_or_b32 v1, 0x80, v1, v6
	global_store_b8 v[2:3], v1, off
.LBB6_1794:
	s_mov_b32 s6, 0
	s_mov_b32 s7, -1
.LBB6_1795:
	s_and_not1_b32 vcc_lo, exec_lo, s6
	s_mov_b32 s6, 0
	s_cbranch_vccnz .LBB6_1802
; %bb.1796:
	s_cmp_gt_i32 s3, 14
	s_mov_b32 s6, -1
	s_cbranch_scc0 .LBB6_1800
; %bb.1797:
	s_cmp_eq_u32 s3, 15
	s_mov_b32 s0, -1
	s_cbranch_scc0 .LBB6_1799
; %bb.1798:
	s_wait_xcnt 0x0
	v_cvt_f32_f64_e32 v1, v[4:5]
	s_mov_b32 s0, 0
	s_mov_b32 s7, -1
	s_delay_alu instid0(VALU_DEP_1) | instskip(SKIP_1) | instid1(VALU_DEP_2)
	v_bfe_u32 v6, v1, 16, 1
	v_cmp_o_f32_e32 vcc_lo, v1, v1
	v_add3_u32 v6, v1, v6, 0x7fff
	s_delay_alu instid0(VALU_DEP_1) | instskip(NEXT) | instid1(VALU_DEP_1)
	v_lshrrev_b32_e32 v6, 16, v6
	v_cndmask_b32_e32 v1, 0x7fc0, v6, vcc_lo
	global_store_b16 v[2:3], v1, off
.LBB6_1799:
	s_mov_b32 s6, 0
.LBB6_1800:
	s_delay_alu instid0(SALU_CYCLE_1)
	s_and_b32 vcc_lo, exec_lo, s6
	s_mov_b32 s6, 0
	s_cbranch_vccz .LBB6_1802
; %bb.1801:
	s_cmp_lg_u32 s3, 11
	s_mov_b32 s6, -1
	s_cselect_b32 s0, -1, 0
.LBB6_1802:
	s_delay_alu instid0(SALU_CYCLE_1)
	s_and_b32 vcc_lo, exec_lo, s0
	s_cbranch_vccnz .LBB6_2052
; %bb.1803:
	s_and_not1_b32 vcc_lo, exec_lo, s6
	s_cbranch_vccnz .LBB6_1805
.LBB6_1804:
	v_cmp_neq_f64_e32 vcc_lo, 0, v[4:5]
	s_mov_b32 s7, -1
	s_wait_xcnt 0x0
	v_cndmask_b32_e64 v1, 0, 1, vcc_lo
	global_store_b8 v[2:3], v1, off
.LBB6_1805:
	s_mov_b32 s0, 0
	s_branch .LBB6_1807
.LBB6_1806:
	s_mov_b32 s0, -1
	s_mov_b32 s7, 0
.LBB6_1807:
	s_and_b32 vcc_lo, exec_lo, s0
	s_cbranch_vccz .LBB6_1846
; %bb.1808:
	s_and_b32 s0, 0xffff, s1
	s_mov_b32 s3, -1
	s_cmp_lt_i32 s0, 5
	s_cbranch_scc1 .LBB6_1829
; %bb.1809:
	s_cmp_lt_i32 s0, 8
	s_cbranch_scc1 .LBB6_1819
; %bb.1810:
	;; [unrolled: 3-line block ×3, first 2 shown]
	s_cmp_gt_i32 s0, 9
	s_cbranch_scc0 .LBB6_1813
; %bb.1812:
	s_wait_xcnt 0x0
	v_mov_b32_e32 v6, 0
	s_mov_b32 s3, 0
	s_delay_alu instid0(VALU_DEP_1)
	v_mov_b32_e32 v7, v6
	global_store_b128 v[2:3], v[4:7], off
.LBB6_1813:
	s_and_not1_b32 vcc_lo, exec_lo, s3
	s_cbranch_vccnz .LBB6_1815
; %bb.1814:
	s_wait_xcnt 0x0
	v_cvt_f32_f64_e32 v6, v[4:5]
	v_mov_b32_e32 v7, 0
	global_store_b64 v[2:3], v[6:7], off
.LBB6_1815:
	s_mov_b32 s3, 0
.LBB6_1816:
	s_delay_alu instid0(SALU_CYCLE_1)
	s_and_not1_b32 vcc_lo, exec_lo, s3
	s_cbranch_vccnz .LBB6_1818
; %bb.1817:
	s_wait_xcnt 0x0
	v_and_or_b32 v1, 0x1ff, v5, v4
	v_lshrrev_b32_e32 v6, 8, v5
	v_bfe_u32 v7, v5, 20, 11
	s_delay_alu instid0(VALU_DEP_3) | instskip(NEXT) | instid1(VALU_DEP_2)
	v_cmp_ne_u32_e32 vcc_lo, 0, v1
	v_sub_nc_u32_e32 v12, 0x3f1, v7
	v_add_nc_u32_e32 v7, 0xfffffc10, v7
	v_cndmask_b32_e64 v1, 0, 1, vcc_lo
	s_delay_alu instid0(VALU_DEP_1) | instskip(NEXT) | instid1(VALU_DEP_4)
	v_and_or_b32 v1, 0xffe, v6, v1
	v_med3_i32 v6, v12, 0, 13
	s_delay_alu instid0(VALU_DEP_2) | instskip(NEXT) | instid1(VALU_DEP_1)
	v_or_b32_e32 v12, 0x1000, v1
	v_lshrrev_b32_e32 v13, v6, v12
	s_delay_alu instid0(VALU_DEP_1) | instskip(NEXT) | instid1(VALU_DEP_1)
	v_lshlrev_b32_e32 v6, v6, v13
	v_cmp_ne_u32_e32 vcc_lo, v6, v12
	v_lshl_or_b32 v12, v7, 12, v1
	v_cndmask_b32_e64 v6, 0, 1, vcc_lo
	v_cmp_gt_i32_e32 vcc_lo, 1, v7
	s_delay_alu instid0(VALU_DEP_2) | instskip(NEXT) | instid1(VALU_DEP_1)
	v_or_b32_e32 v6, v13, v6
	v_cndmask_b32_e32 v6, v12, v6, vcc_lo
	s_delay_alu instid0(VALU_DEP_1) | instskip(NEXT) | instid1(VALU_DEP_1)
	v_dual_lshrrev_b32 v6, 2, v6 :: v_dual_bitop2_b32 v12, 7, v6 bitop3:0x40
	v_cmp_lt_i32_e32 vcc_lo, 5, v12
	v_cndmask_b32_e64 v13, 0, 1, vcc_lo
	v_cmp_eq_u32_e32 vcc_lo, 3, v12
	v_cndmask_b32_e64 v12, 0, 1, vcc_lo
	v_cmp_ne_u32_e32 vcc_lo, 0, v1
	s_delay_alu instid0(VALU_DEP_2) | instskip(NEXT) | instid1(VALU_DEP_1)
	v_or_b32_e32 v12, v12, v13
	v_dual_mov_b32 v13, 0x7e00 :: v_dual_add_nc_u32 v6, v6, v12
	s_delay_alu instid0(VALU_DEP_1) | instskip(SKIP_2) | instid1(VALU_DEP_4)
	v_cndmask_b32_e32 v1, 0x7c00, v13, vcc_lo
	v_cmp_gt_i32_e32 vcc_lo, 31, v7
	v_lshrrev_b32_e32 v12, 16, v5
	v_cndmask_b32_e32 v6, 0x7c00, v6, vcc_lo
	v_cmp_eq_u32_e32 vcc_lo, 0x40f, v7
	s_delay_alu instid0(VALU_DEP_2) | instskip(NEXT) | instid1(VALU_DEP_4)
	v_cndmask_b32_e32 v1, v6, v1, vcc_lo
	v_and_b32_e32 v6, 0x8000, v12
	s_delay_alu instid0(VALU_DEP_1)
	v_bitop3_b32 v1, v6, 0xffff, v1 bitop3:0xc8
	global_store_b32 v[2:3], v1, off
.LBB6_1818:
	s_mov_b32 s3, 0
.LBB6_1819:
	s_delay_alu instid0(SALU_CYCLE_1)
	s_and_not1_b32 vcc_lo, exec_lo, s3
	s_cbranch_vccnz .LBB6_1828
; %bb.1820:
	s_cmp_lt_i32 s0, 6
	s_mov_b32 s3, -1
	s_cbranch_scc1 .LBB6_1826
; %bb.1821:
	s_cmp_gt_i32 s0, 6
	s_cbranch_scc0 .LBB6_1823
; %bb.1822:
	s_mov_b32 s3, 0
	global_store_b64 v[2:3], v[4:5], off
.LBB6_1823:
	s_and_not1_b32 vcc_lo, exec_lo, s3
	s_cbranch_vccnz .LBB6_1825
; %bb.1824:
	s_wait_xcnt 0x0
	v_cvt_f32_f64_e32 v1, v[4:5]
	global_store_b32 v[2:3], v1, off
.LBB6_1825:
	s_mov_b32 s3, 0
.LBB6_1826:
	s_delay_alu instid0(SALU_CYCLE_1)
	s_and_not1_b32 vcc_lo, exec_lo, s3
	s_cbranch_vccnz .LBB6_1828
; %bb.1827:
	s_wait_xcnt 0x0
	v_and_or_b32 v1, 0x1ff, v5, v4
	v_lshrrev_b32_e32 v6, 8, v5
	v_bfe_u32 v7, v5, 20, 11
	s_delay_alu instid0(VALU_DEP_3) | instskip(NEXT) | instid1(VALU_DEP_2)
	v_cmp_ne_u32_e32 vcc_lo, 0, v1
	v_sub_nc_u32_e32 v12, 0x3f1, v7
	v_add_nc_u32_e32 v7, 0xfffffc10, v7
	v_cndmask_b32_e64 v1, 0, 1, vcc_lo
	s_delay_alu instid0(VALU_DEP_1) | instskip(NEXT) | instid1(VALU_DEP_4)
	v_and_or_b32 v1, 0xffe, v6, v1
	v_med3_i32 v6, v12, 0, 13
	s_delay_alu instid0(VALU_DEP_2) | instskip(NEXT) | instid1(VALU_DEP_1)
	v_or_b32_e32 v12, 0x1000, v1
	v_lshrrev_b32_e32 v13, v6, v12
	s_delay_alu instid0(VALU_DEP_1) | instskip(NEXT) | instid1(VALU_DEP_1)
	v_lshlrev_b32_e32 v6, v6, v13
	v_cmp_ne_u32_e32 vcc_lo, v6, v12
	v_lshl_or_b32 v12, v7, 12, v1
	v_cndmask_b32_e64 v6, 0, 1, vcc_lo
	v_cmp_gt_i32_e32 vcc_lo, 1, v7
	s_delay_alu instid0(VALU_DEP_2) | instskip(NEXT) | instid1(VALU_DEP_1)
	v_or_b32_e32 v6, v13, v6
	v_cndmask_b32_e32 v6, v12, v6, vcc_lo
	s_delay_alu instid0(VALU_DEP_1) | instskip(NEXT) | instid1(VALU_DEP_1)
	v_dual_lshrrev_b32 v6, 2, v6 :: v_dual_bitop2_b32 v12, 7, v6 bitop3:0x40
	v_cmp_lt_i32_e32 vcc_lo, 5, v12
	v_cndmask_b32_e64 v13, 0, 1, vcc_lo
	v_cmp_eq_u32_e32 vcc_lo, 3, v12
	v_cndmask_b32_e64 v12, 0, 1, vcc_lo
	v_cmp_ne_u32_e32 vcc_lo, 0, v1
	s_delay_alu instid0(VALU_DEP_2) | instskip(NEXT) | instid1(VALU_DEP_1)
	v_or_b32_e32 v12, v12, v13
	v_dual_mov_b32 v13, 0x7e00 :: v_dual_add_nc_u32 v6, v6, v12
	s_delay_alu instid0(VALU_DEP_1) | instskip(SKIP_1) | instid1(VALU_DEP_3)
	v_cndmask_b32_e32 v1, 0x7c00, v13, vcc_lo
	v_cmp_gt_i32_e32 vcc_lo, 31, v7
	v_cndmask_b32_e32 v6, 0x7c00, v6, vcc_lo
	v_cmp_eq_u32_e32 vcc_lo, 0x40f, v7
	s_delay_alu instid0(VALU_DEP_2) | instskip(SKIP_1) | instid1(VALU_DEP_1)
	v_cndmask_b32_e32 v1, v6, v1, vcc_lo
	v_lshrrev_b32_e32 v6, 16, v5
	v_and_or_b32 v1, 0x8000, v6, v1
	global_store_b16 v[2:3], v1, off
.LBB6_1828:
	s_mov_b32 s3, 0
.LBB6_1829:
	s_delay_alu instid0(SALU_CYCLE_1)
	s_and_not1_b32 vcc_lo, exec_lo, s3
	s_cbranch_vccnz .LBB6_1845
; %bb.1830:
	s_cmp_lt_i32 s0, 2
	s_mov_b32 s3, -1
	s_cbranch_scc1 .LBB6_1840
; %bb.1831:
	s_cmp_lt_i32 s0, 3
	s_cbranch_scc1 .LBB6_1837
; %bb.1832:
	s_cmp_gt_i32 s0, 3
	s_cbranch_scc0 .LBB6_1834
; %bb.1833:
	s_wait_xcnt 0x0
	v_trunc_f64_e32 v[6:7], v[4:5]
	s_mov_b32 s3, 0
	s_delay_alu instid0(VALU_DEP_1) | instskip(NEXT) | instid1(VALU_DEP_1)
	v_ldexp_f64 v[12:13], v[6:7], 0xffffffe0
	v_floor_f64_e32 v[12:13], v[12:13]
	s_delay_alu instid0(VALU_DEP_1) | instskip(SKIP_1) | instid1(VALU_DEP_2)
	v_fmamk_f64 v[6:7], v[12:13], 0xc1f00000, v[6:7]
	v_cvt_i32_f64_e32 v13, v[12:13]
	v_cvt_u32_f64_e32 v12, v[6:7]
	global_store_b64 v[2:3], v[12:13], off
.LBB6_1834:
	s_and_not1_b32 vcc_lo, exec_lo, s3
	s_cbranch_vccnz .LBB6_1836
; %bb.1835:
	s_wait_xcnt 0x0
	v_cvt_i32_f64_e32 v1, v[4:5]
	global_store_b32 v[2:3], v1, off
.LBB6_1836:
	s_mov_b32 s3, 0
.LBB6_1837:
	s_delay_alu instid0(SALU_CYCLE_1)
	s_and_not1_b32 vcc_lo, exec_lo, s3
	s_cbranch_vccnz .LBB6_1839
; %bb.1838:
	s_wait_xcnt 0x0
	v_cvt_i32_f64_e32 v1, v[4:5]
	global_store_b16 v[2:3], v1, off
.LBB6_1839:
	s_mov_b32 s3, 0
.LBB6_1840:
	s_delay_alu instid0(SALU_CYCLE_1)
	s_and_not1_b32 vcc_lo, exec_lo, s3
	s_cbranch_vccnz .LBB6_1845
; %bb.1841:
	s_cmp_gt_i32 s0, 0
	s_mov_b32 s0, -1
	s_cbranch_scc0 .LBB6_1843
; %bb.1842:
	s_wait_xcnt 0x0
	v_cvt_i32_f64_e32 v1, v[4:5]
	s_mov_b32 s0, 0
	global_store_b8 v[2:3], v1, off
.LBB6_1843:
	s_and_not1_b32 vcc_lo, exec_lo, s0
	s_cbranch_vccnz .LBB6_1845
; %bb.1844:
	s_wait_xcnt 0x0
	v_trunc_f64_e32 v[4:5], v[4:5]
	s_delay_alu instid0(VALU_DEP_1) | instskip(NEXT) | instid1(VALU_DEP_1)
	v_ldexp_f64 v[6:7], v[4:5], 0xffffffe0
	v_floor_f64_e32 v[6:7], v[6:7]
	s_delay_alu instid0(VALU_DEP_1) | instskip(NEXT) | instid1(VALU_DEP_1)
	v_fmamk_f64 v[4:5], v[6:7], 0xc1f00000, v[4:5]
	v_cvt_u32_f64_e32 v1, v[4:5]
	global_store_b8 v[2:3], v1, off
.LBB6_1845:
	s_mov_b32 s7, -1
.LBB6_1846:
	s_delay_alu instid0(SALU_CYCLE_1)
	s_and_not1_b32 vcc_lo, exec_lo, s7
	s_cbranch_vccnz .LBB6_2042
; %bb.1847:
	v_add_nc_u32_e32 v0, s2, v0
	s_cmp_lt_i32 s1, 11
	s_wait_xcnt 0x0
	s_delay_alu instid0(VALU_DEP_1) | instskip(NEXT) | instid1(VALU_DEP_1)
	v_ashrrev_i32_e32 v1, 31, v0
	v_add_nc_u64_e32 v[2:3], s[4:5], v[0:1]
	s_cbranch_scc1 .LBB6_1925
; %bb.1848:
	s_and_b32 s3, 0xffff, s1
	s_mov_b32 s8, -1
	s_mov_b32 s6, 0
	s_cmp_gt_i32 s3, 25
	s_mov_b32 s7, 0
	s_mov_b32 s0, 0
	s_cbranch_scc0 .LBB6_1881
; %bb.1849:
	s_cmp_gt_i32 s3, 28
	s_cbranch_scc0 .LBB6_1864
; %bb.1850:
	s_cmp_gt_i32 s3, 43
	;; [unrolled: 3-line block ×3, first 2 shown]
	s_cbranch_scc0 .LBB6_1854
; %bb.1852:
	s_mov_b32 s0, -1
	s_mov_b32 s8, 0
	s_cmp_eq_u32 s3, 46
	s_cbranch_scc0 .LBB6_1854
; %bb.1853:
	v_cvt_f32_f64_e32 v1, v[10:11]
	s_mov_b32 s0, 0
	s_mov_b32 s7, -1
	s_delay_alu instid0(VALU_DEP_1) | instskip(SKIP_1) | instid1(VALU_DEP_2)
	v_bfe_u32 v4, v1, 16, 1
	v_cmp_o_f32_e32 vcc_lo, v1, v1
	v_add3_u32 v4, v1, v4, 0x7fff
	s_delay_alu instid0(VALU_DEP_1) | instskip(NEXT) | instid1(VALU_DEP_1)
	v_lshrrev_b32_e32 v4, 16, v4
	v_cndmask_b32_e32 v1, 0x7fc0, v4, vcc_lo
	global_store_b32 v[2:3], v1, off
.LBB6_1854:
	s_and_b32 vcc_lo, exec_lo, s8
	s_cbranch_vccz .LBB6_1859
; %bb.1855:
	s_cmp_eq_u32 s3, 44
	s_mov_b32 s0, -1
	s_cbranch_scc0 .LBB6_1859
; %bb.1856:
	s_wait_xcnt 0x0
	v_cvt_f32_f64_e32 v1, v[10:11]
	v_mov_b32_e32 v4, 0xff
	s_mov_b32 s7, exec_lo
	s_delay_alu instid0(VALU_DEP_2) | instskip(NEXT) | instid1(VALU_DEP_1)
	v_bfe_u32 v5, v1, 23, 8
	v_cmpx_ne_u32_e32 0xff, v5
	s_cbranch_execz .LBB6_1858
; %bb.1857:
	v_and_b32_e32 v4, 0x400000, v1
	v_and_or_b32 v5, 0x3fffff, v1, v5
	v_lshrrev_b32_e32 v1, 23, v1
	s_delay_alu instid0(VALU_DEP_3) | instskip(NEXT) | instid1(VALU_DEP_3)
	v_cmp_ne_u32_e32 vcc_lo, 0, v4
	v_cmp_ne_u32_e64 s0, 0, v5
	s_and_b32 s0, vcc_lo, s0
	s_delay_alu instid0(SALU_CYCLE_1) | instskip(NEXT) | instid1(VALU_DEP_1)
	v_cndmask_b32_e64 v4, 0, 1, s0
	v_add_nc_u32_e32 v4, v1, v4
.LBB6_1858:
	s_or_b32 exec_lo, exec_lo, s7
	s_mov_b32 s0, 0
	s_mov_b32 s7, -1
	global_store_b8 v[2:3], v4, off
.LBB6_1859:
	s_mov_b32 s8, 0
.LBB6_1860:
	s_delay_alu instid0(SALU_CYCLE_1)
	s_and_b32 vcc_lo, exec_lo, s8
	s_cbranch_vccz .LBB6_1863
; %bb.1861:
	s_cmp_eq_u32 s3, 29
	s_mov_b32 s0, -1
	s_cbranch_scc0 .LBB6_1863
; %bb.1862:
	s_wait_xcnt 0x0
	v_trunc_f64_e32 v[4:5], v[10:11]
	s_mov_b32 s0, 0
	s_mov_b32 s7, -1
	s_delay_alu instid0(VALU_DEP_1) | instskip(NEXT) | instid1(VALU_DEP_1)
	v_ldexp_f64 v[6:7], v[4:5], 0xffffffe0
	v_floor_f64_e32 v[6:7], v[6:7]
	s_delay_alu instid0(VALU_DEP_1) | instskip(SKIP_1) | instid1(VALU_DEP_2)
	v_fmamk_f64 v[4:5], v[6:7], 0xc1f00000, v[4:5]
	v_cvt_u32_f64_e32 v7, v[6:7]
	v_cvt_u32_f64_e32 v6, v[4:5]
	global_store_b64 v[2:3], v[6:7], off
.LBB6_1863:
	s_mov_b32 s8, 0
.LBB6_1864:
	s_delay_alu instid0(SALU_CYCLE_1)
	s_and_b32 vcc_lo, exec_lo, s8
	s_cbranch_vccz .LBB6_1880
; %bb.1865:
	s_cmp_lt_i32 s3, 27
	s_mov_b32 s7, -1
	s_cbranch_scc1 .LBB6_1871
; %bb.1866:
	s_wait_xcnt 0x0
	v_cvt_u32_f64_e32 v1, v[10:11]
	s_cmp_gt_i32 s3, 27
	s_cbranch_scc0 .LBB6_1868
; %bb.1867:
	s_mov_b32 s7, 0
	global_store_b32 v[2:3], v1, off
.LBB6_1868:
	s_and_not1_b32 vcc_lo, exec_lo, s7
	s_cbranch_vccnz .LBB6_1870
; %bb.1869:
	global_store_b16 v[2:3], v1, off
.LBB6_1870:
	s_mov_b32 s7, 0
.LBB6_1871:
	s_delay_alu instid0(SALU_CYCLE_1)
	s_and_not1_b32 vcc_lo, exec_lo, s7
	s_cbranch_vccnz .LBB6_1879
; %bb.1872:
	s_wait_xcnt 0x0
	v_cvt_f32_f64_e32 v1, v[10:11]
	v_mov_b32_e32 v5, 0x80
	s_mov_b32 s7, exec_lo
	s_delay_alu instid0(VALU_DEP_2) | instskip(NEXT) | instid1(VALU_DEP_1)
	v_and_b32_e32 v4, 0x7fffffff, v1
	v_cmpx_gt_u32_e32 0x43800000, v4
	s_cbranch_execz .LBB6_1878
; %bb.1873:
	v_cmp_lt_u32_e32 vcc_lo, 0x3bffffff, v4
	s_mov_b32 s8, 0
                                        ; implicit-def: $vgpr4
	s_and_saveexec_b32 s9, vcc_lo
	s_delay_alu instid0(SALU_CYCLE_1)
	s_xor_b32 s9, exec_lo, s9
	s_cbranch_execz .LBB6_2055
; %bb.1874:
	v_bfe_u32 v4, v1, 20, 1
	s_mov_b32 s8, exec_lo
	s_delay_alu instid0(VALU_DEP_1) | instskip(NEXT) | instid1(VALU_DEP_1)
	v_add3_u32 v4, v1, v4, 0x487ffff
	v_lshrrev_b32_e32 v4, 20, v4
	s_and_not1_saveexec_b32 s9, s9
	s_cbranch_execnz .LBB6_2056
.LBB6_1875:
	s_or_b32 exec_lo, exec_lo, s9
	v_mov_b32_e32 v5, 0
	s_and_saveexec_b32 s9, s8
.LBB6_1876:
	v_lshrrev_b32_e32 v1, 24, v1
	s_delay_alu instid0(VALU_DEP_1)
	v_and_or_b32 v5, 0x80, v1, v4
.LBB6_1877:
	s_or_b32 exec_lo, exec_lo, s9
.LBB6_1878:
	s_delay_alu instid0(SALU_CYCLE_1)
	s_or_b32 exec_lo, exec_lo, s7
	global_store_b8 v[2:3], v5, off
.LBB6_1879:
	s_mov_b32 s7, -1
.LBB6_1880:
	s_mov_b32 s8, 0
.LBB6_1881:
	s_delay_alu instid0(SALU_CYCLE_1)
	s_and_b32 vcc_lo, exec_lo, s8
	s_cbranch_vccz .LBB6_1921
; %bb.1882:
	s_cmp_gt_i32 s3, 22
	s_mov_b32 s6, -1
	s_cbranch_scc0 .LBB6_1914
; %bb.1883:
	s_cmp_lt_i32 s3, 24
	s_cbranch_scc1 .LBB6_1903
; %bb.1884:
	s_cmp_gt_i32 s3, 24
	s_cbranch_scc0 .LBB6_1892
; %bb.1885:
	s_wait_xcnt 0x0
	v_cvt_f32_f64_e32 v1, v[10:11]
	v_mov_b32_e32 v5, 0x80
	s_mov_b32 s6, exec_lo
	s_delay_alu instid0(VALU_DEP_2) | instskip(NEXT) | instid1(VALU_DEP_1)
	v_and_b32_e32 v4, 0x7fffffff, v1
	v_cmpx_gt_u32_e32 0x47800000, v4
	s_cbranch_execz .LBB6_1891
; %bb.1886:
	v_cmp_lt_u32_e32 vcc_lo, 0x37ffffff, v4
	s_mov_b32 s7, 0
                                        ; implicit-def: $vgpr4
	s_and_saveexec_b32 s8, vcc_lo
	s_delay_alu instid0(SALU_CYCLE_1)
	s_xor_b32 s8, exec_lo, s8
	s_cbranch_execz .LBB6_2058
; %bb.1887:
	v_bfe_u32 v4, v1, 21, 1
	s_mov_b32 s7, exec_lo
	s_delay_alu instid0(VALU_DEP_1) | instskip(NEXT) | instid1(VALU_DEP_1)
	v_add3_u32 v4, v1, v4, 0x88fffff
	v_lshrrev_b32_e32 v4, 21, v4
	s_and_not1_saveexec_b32 s8, s8
	s_cbranch_execnz .LBB6_2059
.LBB6_1888:
	s_or_b32 exec_lo, exec_lo, s8
	v_mov_b32_e32 v5, 0
	s_and_saveexec_b32 s8, s7
.LBB6_1889:
	v_lshrrev_b32_e32 v1, 24, v1
	s_delay_alu instid0(VALU_DEP_1)
	v_and_or_b32 v5, 0x80, v1, v4
.LBB6_1890:
	s_or_b32 exec_lo, exec_lo, s8
.LBB6_1891:
	s_delay_alu instid0(SALU_CYCLE_1)
	s_or_b32 exec_lo, exec_lo, s6
	s_mov_b32 s6, 0
	global_store_b8 v[2:3], v5, off
.LBB6_1892:
	s_and_b32 vcc_lo, exec_lo, s6
	s_cbranch_vccz .LBB6_1902
; %bb.1893:
	s_wait_xcnt 0x0
	v_cvt_f32_f64_e32 v1, v[10:11]
	s_mov_b32 s6, exec_lo
                                        ; implicit-def: $vgpr4
	s_delay_alu instid0(VALU_DEP_1) | instskip(NEXT) | instid1(VALU_DEP_1)
	v_and_b32_e32 v5, 0x7fffffff, v1
	v_cmpx_gt_u32_e32 0x43f00000, v5
	s_xor_b32 s6, exec_lo, s6
	s_cbranch_execz .LBB6_1899
; %bb.1894:
	s_mov_b32 s7, exec_lo
                                        ; implicit-def: $vgpr4
	v_cmpx_lt_u32_e32 0x3c7fffff, v5
	s_xor_b32 s7, exec_lo, s7
; %bb.1895:
	v_bfe_u32 v4, v1, 20, 1
	s_delay_alu instid0(VALU_DEP_1) | instskip(NEXT) | instid1(VALU_DEP_1)
	v_add3_u32 v4, v1, v4, 0x407ffff
	v_and_b32_e32 v5, 0xff00000, v4
	v_lshrrev_b32_e32 v4, 20, v4
	s_delay_alu instid0(VALU_DEP_2) | instskip(NEXT) | instid1(VALU_DEP_2)
	v_cmp_ne_u32_e32 vcc_lo, 0x7f00000, v5
	v_cndmask_b32_e32 v4, 0x7e, v4, vcc_lo
; %bb.1896:
	s_and_not1_saveexec_b32 s7, s7
; %bb.1897:
	v_add_f32_e64 v4, 0x46800000, |v1|
; %bb.1898:
	s_or_b32 exec_lo, exec_lo, s7
                                        ; implicit-def: $vgpr5
.LBB6_1899:
	s_and_not1_saveexec_b32 s6, s6
; %bb.1900:
	v_mov_b32_e32 v4, 0x7f
	v_cmp_lt_u32_e32 vcc_lo, 0x7f800000, v5
	s_delay_alu instid0(VALU_DEP_2)
	v_cndmask_b32_e32 v4, 0x7e, v4, vcc_lo
; %bb.1901:
	s_or_b32 exec_lo, exec_lo, s6
	v_lshrrev_b32_e32 v1, 24, v1
	s_delay_alu instid0(VALU_DEP_1)
	v_and_or_b32 v1, 0x80, v1, v4
	global_store_b8 v[2:3], v1, off
.LBB6_1902:
	s_mov_b32 s6, 0
.LBB6_1903:
	s_delay_alu instid0(SALU_CYCLE_1)
	s_and_not1_b32 vcc_lo, exec_lo, s6
	s_cbranch_vccnz .LBB6_1913
; %bb.1904:
	s_wait_xcnt 0x0
	v_cvt_f32_f64_e32 v1, v[10:11]
	s_mov_b32 s6, exec_lo
                                        ; implicit-def: $vgpr4
	s_delay_alu instid0(VALU_DEP_1) | instskip(NEXT) | instid1(VALU_DEP_1)
	v_and_b32_e32 v5, 0x7fffffff, v1
	v_cmpx_gt_u32_e32 0x47800000, v5
	s_xor_b32 s6, exec_lo, s6
	s_cbranch_execz .LBB6_1910
; %bb.1905:
	s_mov_b32 s7, exec_lo
                                        ; implicit-def: $vgpr4
	v_cmpx_lt_u32_e32 0x387fffff, v5
	s_xor_b32 s7, exec_lo, s7
; %bb.1906:
	v_bfe_u32 v4, v1, 21, 1
	s_delay_alu instid0(VALU_DEP_1) | instskip(NEXT) | instid1(VALU_DEP_1)
	v_add3_u32 v4, v1, v4, 0x80fffff
	v_lshrrev_b32_e32 v4, 21, v4
; %bb.1907:
	s_and_not1_saveexec_b32 s7, s7
; %bb.1908:
	v_add_f32_e64 v4, 0x43000000, |v1|
; %bb.1909:
	s_or_b32 exec_lo, exec_lo, s7
                                        ; implicit-def: $vgpr5
.LBB6_1910:
	s_and_not1_saveexec_b32 s6, s6
; %bb.1911:
	v_mov_b32_e32 v4, 0x7f
	v_cmp_lt_u32_e32 vcc_lo, 0x7f800000, v5
	s_delay_alu instid0(VALU_DEP_2)
	v_cndmask_b32_e32 v4, 0x7c, v4, vcc_lo
; %bb.1912:
	s_or_b32 exec_lo, exec_lo, s6
	v_lshrrev_b32_e32 v1, 24, v1
	s_delay_alu instid0(VALU_DEP_1)
	v_and_or_b32 v1, 0x80, v1, v4
	global_store_b8 v[2:3], v1, off
.LBB6_1913:
	s_mov_b32 s6, 0
	s_mov_b32 s7, -1
.LBB6_1914:
	s_and_not1_b32 vcc_lo, exec_lo, s6
	s_mov_b32 s6, 0
	s_cbranch_vccnz .LBB6_1921
; %bb.1915:
	s_cmp_gt_i32 s3, 14
	s_mov_b32 s6, -1
	s_cbranch_scc0 .LBB6_1919
; %bb.1916:
	s_cmp_eq_u32 s3, 15
	s_mov_b32 s0, -1
	s_cbranch_scc0 .LBB6_1918
; %bb.1917:
	s_wait_xcnt 0x0
	v_cvt_f32_f64_e32 v1, v[10:11]
	s_mov_b32 s0, 0
	s_mov_b32 s7, -1
	s_delay_alu instid0(VALU_DEP_1) | instskip(SKIP_1) | instid1(VALU_DEP_2)
	v_bfe_u32 v4, v1, 16, 1
	v_cmp_o_f32_e32 vcc_lo, v1, v1
	v_add3_u32 v4, v1, v4, 0x7fff
	s_delay_alu instid0(VALU_DEP_1) | instskip(NEXT) | instid1(VALU_DEP_1)
	v_lshrrev_b32_e32 v4, 16, v4
	v_cndmask_b32_e32 v1, 0x7fc0, v4, vcc_lo
	global_store_b16 v[2:3], v1, off
.LBB6_1918:
	s_mov_b32 s6, 0
.LBB6_1919:
	s_delay_alu instid0(SALU_CYCLE_1)
	s_and_b32 vcc_lo, exec_lo, s6
	s_mov_b32 s6, 0
	s_cbranch_vccz .LBB6_1921
; %bb.1920:
	s_cmp_lg_u32 s3, 11
	s_mov_b32 s6, -1
	s_cselect_b32 s0, -1, 0
.LBB6_1921:
	s_delay_alu instid0(SALU_CYCLE_1)
	s_and_b32 vcc_lo, exec_lo, s0
	s_cbranch_vccnz .LBB6_2057
; %bb.1922:
	s_and_not1_b32 vcc_lo, exec_lo, s6
	s_cbranch_vccnz .LBB6_1924
.LBB6_1923:
	v_cmp_neq_f64_e32 vcc_lo, 0, v[10:11]
	s_mov_b32 s7, -1
	s_wait_xcnt 0x0
	v_cndmask_b32_e64 v1, 0, 1, vcc_lo
	global_store_b8 v[2:3], v1, off
.LBB6_1924:
	s_mov_b32 s0, 0
	s_branch .LBB6_1926
.LBB6_1925:
	s_mov_b32 s0, -1
	s_mov_b32 s7, 0
.LBB6_1926:
	s_and_b32 vcc_lo, exec_lo, s0
	s_cbranch_vccz .LBB6_1965
; %bb.1927:
	s_and_b32 s0, 0xffff, s1
	s_mov_b32 s3, -1
	s_cmp_lt_i32 s0, 5
	s_cbranch_scc1 .LBB6_1948
; %bb.1928:
	s_cmp_lt_i32 s0, 8
	s_cbranch_scc1 .LBB6_1938
; %bb.1929:
	;; [unrolled: 3-line block ×3, first 2 shown]
	s_cmp_gt_i32 s0, 9
	s_cbranch_scc0 .LBB6_1932
; %bb.1931:
	v_mov_b32_e32 v12, 0
	s_mov_b32 s3, 0
	s_delay_alu instid0(VALU_DEP_1)
	v_mov_b32_e32 v13, v12
	global_store_b128 v[2:3], v[10:13], off
.LBB6_1932:
	s_and_not1_b32 vcc_lo, exec_lo, s3
	s_cbranch_vccnz .LBB6_1934
; %bb.1933:
	s_wait_xcnt 0x0
	v_cvt_f32_f64_e32 v4, v[10:11]
	v_mov_b32_e32 v5, 0
	global_store_b64 v[2:3], v[4:5], off
.LBB6_1934:
	s_mov_b32 s3, 0
.LBB6_1935:
	s_delay_alu instid0(SALU_CYCLE_1)
	s_and_not1_b32 vcc_lo, exec_lo, s3
	s_cbranch_vccnz .LBB6_1937
; %bb.1936:
	s_wait_xcnt 0x0
	v_and_or_b32 v1, 0x1ff, v11, v10
	v_lshrrev_b32_e32 v4, 8, v11
	v_bfe_u32 v5, v11, 20, 11
	s_delay_alu instid0(VALU_DEP_3) | instskip(NEXT) | instid1(VALU_DEP_2)
	v_cmp_ne_u32_e32 vcc_lo, 0, v1
	v_sub_nc_u32_e32 v6, 0x3f1, v5
	v_add_nc_u32_e32 v5, 0xfffffc10, v5
	v_cndmask_b32_e64 v1, 0, 1, vcc_lo
	s_delay_alu instid0(VALU_DEP_1) | instskip(NEXT) | instid1(VALU_DEP_4)
	v_and_or_b32 v1, 0xffe, v4, v1
	v_med3_i32 v4, v6, 0, 13
	s_delay_alu instid0(VALU_DEP_2) | instskip(NEXT) | instid1(VALU_DEP_1)
	v_or_b32_e32 v6, 0x1000, v1
	v_lshrrev_b32_e32 v7, v4, v6
	s_delay_alu instid0(VALU_DEP_1) | instskip(NEXT) | instid1(VALU_DEP_1)
	v_lshlrev_b32_e32 v4, v4, v7
	v_cmp_ne_u32_e32 vcc_lo, v4, v6
	v_lshl_or_b32 v6, v5, 12, v1
	v_cndmask_b32_e64 v4, 0, 1, vcc_lo
	v_cmp_gt_i32_e32 vcc_lo, 1, v5
	s_delay_alu instid0(VALU_DEP_2) | instskip(NEXT) | instid1(VALU_DEP_1)
	v_or_b32_e32 v4, v7, v4
	v_cndmask_b32_e32 v4, v6, v4, vcc_lo
	s_delay_alu instid0(VALU_DEP_1) | instskip(NEXT) | instid1(VALU_DEP_1)
	v_dual_lshrrev_b32 v4, 2, v4 :: v_dual_bitop2_b32 v6, 7, v4 bitop3:0x40
	v_cmp_lt_i32_e32 vcc_lo, 5, v6
	v_cndmask_b32_e64 v7, 0, 1, vcc_lo
	v_cmp_eq_u32_e32 vcc_lo, 3, v6
	v_cndmask_b32_e64 v6, 0, 1, vcc_lo
	v_cmp_ne_u32_e32 vcc_lo, 0, v1
	s_delay_alu instid0(VALU_DEP_2) | instskip(NEXT) | instid1(VALU_DEP_1)
	v_or_b32_e32 v6, v6, v7
	v_dual_mov_b32 v7, 0x7e00 :: v_dual_add_nc_u32 v4, v4, v6
	s_delay_alu instid0(VALU_DEP_1) | instskip(SKIP_2) | instid1(VALU_DEP_4)
	v_cndmask_b32_e32 v1, 0x7c00, v7, vcc_lo
	v_cmp_gt_i32_e32 vcc_lo, 31, v5
	v_lshrrev_b32_e32 v6, 16, v11
	v_cndmask_b32_e32 v4, 0x7c00, v4, vcc_lo
	v_cmp_eq_u32_e32 vcc_lo, 0x40f, v5
	s_delay_alu instid0(VALU_DEP_2) | instskip(NEXT) | instid1(VALU_DEP_4)
	v_cndmask_b32_e32 v1, v4, v1, vcc_lo
	v_and_b32_e32 v4, 0x8000, v6
	s_delay_alu instid0(VALU_DEP_1)
	v_bitop3_b32 v1, v4, 0xffff, v1 bitop3:0xc8
	global_store_b32 v[2:3], v1, off
.LBB6_1937:
	s_mov_b32 s3, 0
.LBB6_1938:
	s_delay_alu instid0(SALU_CYCLE_1)
	s_and_not1_b32 vcc_lo, exec_lo, s3
	s_cbranch_vccnz .LBB6_1947
; %bb.1939:
	s_cmp_lt_i32 s0, 6
	s_mov_b32 s3, -1
	s_cbranch_scc1 .LBB6_1945
; %bb.1940:
	s_cmp_gt_i32 s0, 6
	s_cbranch_scc0 .LBB6_1942
; %bb.1941:
	s_mov_b32 s3, 0
	global_store_b64 v[2:3], v[10:11], off
.LBB6_1942:
	s_and_not1_b32 vcc_lo, exec_lo, s3
	s_cbranch_vccnz .LBB6_1944
; %bb.1943:
	s_wait_xcnt 0x0
	v_cvt_f32_f64_e32 v1, v[10:11]
	global_store_b32 v[2:3], v1, off
.LBB6_1944:
	s_mov_b32 s3, 0
.LBB6_1945:
	s_delay_alu instid0(SALU_CYCLE_1)
	s_and_not1_b32 vcc_lo, exec_lo, s3
	s_cbranch_vccnz .LBB6_1947
; %bb.1946:
	s_wait_xcnt 0x0
	v_and_or_b32 v1, 0x1ff, v11, v10
	v_lshrrev_b32_e32 v4, 8, v11
	v_bfe_u32 v5, v11, 20, 11
	s_delay_alu instid0(VALU_DEP_3) | instskip(NEXT) | instid1(VALU_DEP_2)
	v_cmp_ne_u32_e32 vcc_lo, 0, v1
	v_sub_nc_u32_e32 v6, 0x3f1, v5
	v_add_nc_u32_e32 v5, 0xfffffc10, v5
	v_cndmask_b32_e64 v1, 0, 1, vcc_lo
	s_delay_alu instid0(VALU_DEP_1) | instskip(NEXT) | instid1(VALU_DEP_4)
	v_and_or_b32 v1, 0xffe, v4, v1
	v_med3_i32 v4, v6, 0, 13
	s_delay_alu instid0(VALU_DEP_2) | instskip(NEXT) | instid1(VALU_DEP_1)
	v_or_b32_e32 v6, 0x1000, v1
	v_lshrrev_b32_e32 v7, v4, v6
	s_delay_alu instid0(VALU_DEP_1) | instskip(NEXT) | instid1(VALU_DEP_1)
	v_lshlrev_b32_e32 v4, v4, v7
	v_cmp_ne_u32_e32 vcc_lo, v4, v6
	v_lshl_or_b32 v6, v5, 12, v1
	v_cndmask_b32_e64 v4, 0, 1, vcc_lo
	v_cmp_gt_i32_e32 vcc_lo, 1, v5
	s_delay_alu instid0(VALU_DEP_2) | instskip(NEXT) | instid1(VALU_DEP_1)
	v_or_b32_e32 v4, v7, v4
	v_cndmask_b32_e32 v4, v6, v4, vcc_lo
	s_delay_alu instid0(VALU_DEP_1) | instskip(NEXT) | instid1(VALU_DEP_1)
	v_dual_lshrrev_b32 v4, 2, v4 :: v_dual_bitop2_b32 v6, 7, v4 bitop3:0x40
	v_cmp_lt_i32_e32 vcc_lo, 5, v6
	v_cndmask_b32_e64 v7, 0, 1, vcc_lo
	v_cmp_eq_u32_e32 vcc_lo, 3, v6
	v_cndmask_b32_e64 v6, 0, 1, vcc_lo
	v_cmp_ne_u32_e32 vcc_lo, 0, v1
	s_delay_alu instid0(VALU_DEP_2) | instskip(NEXT) | instid1(VALU_DEP_1)
	v_or_b32_e32 v6, v6, v7
	v_dual_mov_b32 v7, 0x7e00 :: v_dual_add_nc_u32 v4, v4, v6
	s_delay_alu instid0(VALU_DEP_1) | instskip(SKIP_1) | instid1(VALU_DEP_3)
	v_cndmask_b32_e32 v1, 0x7c00, v7, vcc_lo
	v_cmp_gt_i32_e32 vcc_lo, 31, v5
	v_cndmask_b32_e32 v4, 0x7c00, v4, vcc_lo
	v_cmp_eq_u32_e32 vcc_lo, 0x40f, v5
	s_delay_alu instid0(VALU_DEP_2) | instskip(NEXT) | instid1(VALU_DEP_1)
	v_dual_cndmask_b32 v1, v4, v1 :: v_dual_lshrrev_b32 v4, 16, v11
	v_and_or_b32 v1, 0x8000, v4, v1
	global_store_b16 v[2:3], v1, off
.LBB6_1947:
	s_mov_b32 s3, 0
.LBB6_1948:
	s_delay_alu instid0(SALU_CYCLE_1)
	s_and_not1_b32 vcc_lo, exec_lo, s3
	s_cbranch_vccnz .LBB6_1964
; %bb.1949:
	s_cmp_lt_i32 s0, 2
	s_mov_b32 s3, -1
	s_cbranch_scc1 .LBB6_1959
; %bb.1950:
	s_cmp_lt_i32 s0, 3
	s_cbranch_scc1 .LBB6_1956
; %bb.1951:
	s_cmp_gt_i32 s0, 3
	s_cbranch_scc0 .LBB6_1953
; %bb.1952:
	s_wait_xcnt 0x0
	v_trunc_f64_e32 v[4:5], v[10:11]
	s_mov_b32 s3, 0
	s_delay_alu instid0(VALU_DEP_1) | instskip(NEXT) | instid1(VALU_DEP_1)
	v_ldexp_f64 v[6:7], v[4:5], 0xffffffe0
	v_floor_f64_e32 v[6:7], v[6:7]
	s_delay_alu instid0(VALU_DEP_1) | instskip(SKIP_1) | instid1(VALU_DEP_2)
	v_fmamk_f64 v[4:5], v[6:7], 0xc1f00000, v[4:5]
	v_cvt_i32_f64_e32 v7, v[6:7]
	v_cvt_u32_f64_e32 v6, v[4:5]
	global_store_b64 v[2:3], v[6:7], off
.LBB6_1953:
	s_and_not1_b32 vcc_lo, exec_lo, s3
	s_cbranch_vccnz .LBB6_1955
; %bb.1954:
	s_wait_xcnt 0x0
	v_cvt_i32_f64_e32 v1, v[10:11]
	global_store_b32 v[2:3], v1, off
.LBB6_1955:
	s_mov_b32 s3, 0
.LBB6_1956:
	s_delay_alu instid0(SALU_CYCLE_1)
	s_and_not1_b32 vcc_lo, exec_lo, s3
	s_cbranch_vccnz .LBB6_1958
; %bb.1957:
	s_wait_xcnt 0x0
	v_cvt_i32_f64_e32 v1, v[10:11]
	global_store_b16 v[2:3], v1, off
.LBB6_1958:
	s_mov_b32 s3, 0
.LBB6_1959:
	s_delay_alu instid0(SALU_CYCLE_1)
	s_and_not1_b32 vcc_lo, exec_lo, s3
	s_cbranch_vccnz .LBB6_1964
; %bb.1960:
	s_cmp_gt_i32 s0, 0
	s_mov_b32 s0, -1
	s_cbranch_scc0 .LBB6_1962
; %bb.1961:
	s_wait_xcnt 0x0
	v_cvt_i32_f64_e32 v1, v[10:11]
	s_mov_b32 s0, 0
	global_store_b8 v[2:3], v1, off
.LBB6_1962:
	s_and_not1_b32 vcc_lo, exec_lo, s0
	s_cbranch_vccnz .LBB6_1964
; %bb.1963:
	s_wait_xcnt 0x0
	v_trunc_f64_e32 v[4:5], v[10:11]
	s_delay_alu instid0(VALU_DEP_1) | instskip(NEXT) | instid1(VALU_DEP_1)
	v_ldexp_f64 v[6:7], v[4:5], 0xffffffe0
	v_floor_f64_e32 v[6:7], v[6:7]
	s_delay_alu instid0(VALU_DEP_1) | instskip(NEXT) | instid1(VALU_DEP_1)
	v_fmamk_f64 v[4:5], v[6:7], 0xc1f00000, v[4:5]
	v_cvt_u32_f64_e32 v1, v[4:5]
	global_store_b8 v[2:3], v1, off
.LBB6_1964:
	s_mov_b32 s7, -1
.LBB6_1965:
	s_delay_alu instid0(SALU_CYCLE_1)
	s_and_not1_b32 vcc_lo, exec_lo, s7
	s_cbranch_vccnz .LBB6_2042
; %bb.1966:
	v_add_nc_u32_e32 v0, s2, v0
	s_cmp_lt_i32 s1, 11
	s_wait_xcnt 0x0
	s_delay_alu instid0(VALU_DEP_1) | instskip(NEXT) | instid1(VALU_DEP_1)
	v_ashrrev_i32_e32 v1, 31, v0
	v_add_nc_u64_e32 v[0:1], s[4:5], v[0:1]
	s_cbranch_scc1 .LBB6_2043
; %bb.1967:
	s_and_b32 s2, 0xffff, s1
	s_mov_b32 s4, -1
	s_mov_b32 s3, 0
	s_cmp_gt_i32 s2, 25
	s_mov_b32 s0, 0
	s_cbranch_scc0 .LBB6_2000
; %bb.1968:
	s_cmp_gt_i32 s2, 28
	s_cbranch_scc0 .LBB6_1984
; %bb.1969:
	s_cmp_gt_i32 s2, 43
	;; [unrolled: 3-line block ×3, first 2 shown]
	s_cbranch_scc0 .LBB6_1974
; %bb.1971:
	s_cmp_eq_u32 s2, 46
	s_mov_b32 s0, -1
	s_cbranch_scc0 .LBB6_1973
; %bb.1972:
	v_cvt_f32_f64_e32 v2, v[8:9]
	s_mov_b32 s0, 0
	s_delay_alu instid0(VALU_DEP_1) | instskip(SKIP_1) | instid1(VALU_DEP_2)
	v_bfe_u32 v3, v2, 16, 1
	v_cmp_o_f32_e32 vcc_lo, v2, v2
	v_add3_u32 v3, v2, v3, 0x7fff
	s_delay_alu instid0(VALU_DEP_1) | instskip(NEXT) | instid1(VALU_DEP_1)
	v_lshrrev_b32_e32 v3, 16, v3
	v_cndmask_b32_e32 v2, 0x7fc0, v3, vcc_lo
	global_store_b32 v[0:1], v2, off
.LBB6_1973:
	s_mov_b32 s4, 0
.LBB6_1974:
	s_delay_alu instid0(SALU_CYCLE_1)
	s_and_b32 vcc_lo, exec_lo, s4
	s_cbranch_vccz .LBB6_1979
; %bb.1975:
	s_cmp_eq_u32 s2, 44
	s_mov_b32 s0, -1
	s_cbranch_scc0 .LBB6_1979
; %bb.1976:
	s_wait_xcnt 0x0
	v_cvt_f32_f64_e32 v2, v[8:9]
	v_mov_b32_e32 v3, 0xff
	s_mov_b32 s4, exec_lo
	s_delay_alu instid0(VALU_DEP_2) | instskip(NEXT) | instid1(VALU_DEP_1)
	v_bfe_u32 v4, v2, 23, 8
	v_cmpx_ne_u32_e32 0xff, v4
	s_cbranch_execz .LBB6_1978
; %bb.1977:
	v_and_b32_e32 v3, 0x400000, v2
	v_and_or_b32 v4, 0x3fffff, v2, v4
	v_lshrrev_b32_e32 v2, 23, v2
	s_delay_alu instid0(VALU_DEP_3) | instskip(NEXT) | instid1(VALU_DEP_3)
	v_cmp_ne_u32_e32 vcc_lo, 0, v3
	v_cmp_ne_u32_e64 s0, 0, v4
	s_and_b32 s0, vcc_lo, s0
	s_delay_alu instid0(SALU_CYCLE_1) | instskip(NEXT) | instid1(VALU_DEP_1)
	v_cndmask_b32_e64 v3, 0, 1, s0
	v_add_nc_u32_e32 v3, v2, v3
.LBB6_1978:
	s_or_b32 exec_lo, exec_lo, s4
	s_mov_b32 s0, 0
	global_store_b8 v[0:1], v3, off
.LBB6_1979:
	s_mov_b32 s4, 0
.LBB6_1980:
	s_delay_alu instid0(SALU_CYCLE_1)
	s_and_b32 vcc_lo, exec_lo, s4
	s_cbranch_vccz .LBB6_1983
; %bb.1981:
	s_cmp_eq_u32 s2, 29
	s_mov_b32 s0, -1
	s_cbranch_scc0 .LBB6_1983
; %bb.1982:
	s_wait_xcnt 0x0
	v_trunc_f64_e32 v[2:3], v[8:9]
	s_mov_b32 s0, 0
	s_delay_alu instid0(VALU_DEP_1) | instskip(NEXT) | instid1(VALU_DEP_1)
	v_ldexp_f64 v[4:5], v[2:3], 0xffffffe0
	v_floor_f64_e32 v[4:5], v[4:5]
	s_delay_alu instid0(VALU_DEP_1) | instskip(SKIP_1) | instid1(VALU_DEP_2)
	v_fmamk_f64 v[2:3], v[4:5], 0xc1f00000, v[2:3]
	v_cvt_u32_f64_e32 v5, v[4:5]
	v_cvt_u32_f64_e32 v4, v[2:3]
	global_store_b64 v[0:1], v[4:5], off
.LBB6_1983:
	s_mov_b32 s4, 0
.LBB6_1984:
	s_delay_alu instid0(SALU_CYCLE_1)
	s_and_b32 vcc_lo, exec_lo, s4
	s_cbranch_vccz .LBB6_1999
; %bb.1985:
	s_cmp_lt_i32 s2, 27
	s_mov_b32 s4, -1
	s_cbranch_scc1 .LBB6_1991
; %bb.1986:
	s_wait_xcnt 0x0
	v_cvt_u32_f64_e32 v2, v[8:9]
	s_cmp_gt_i32 s2, 27
	s_cbranch_scc0 .LBB6_1988
; %bb.1987:
	s_mov_b32 s4, 0
	global_store_b32 v[0:1], v2, off
.LBB6_1988:
	s_and_not1_b32 vcc_lo, exec_lo, s4
	s_cbranch_vccnz .LBB6_1990
; %bb.1989:
	global_store_b16 v[0:1], v2, off
.LBB6_1990:
	s_mov_b32 s4, 0
.LBB6_1991:
	s_delay_alu instid0(SALU_CYCLE_1)
	s_and_not1_b32 vcc_lo, exec_lo, s4
	s_cbranch_vccnz .LBB6_1999
; %bb.1992:
	s_wait_xcnt 0x0
	v_cvt_f32_f64_e32 v2, v[8:9]
	v_mov_b32_e32 v4, 0x80
	s_mov_b32 s4, exec_lo
	s_delay_alu instid0(VALU_DEP_2) | instskip(NEXT) | instid1(VALU_DEP_1)
	v_and_b32_e32 v3, 0x7fffffff, v2
	v_cmpx_gt_u32_e32 0x43800000, v3
	s_cbranch_execz .LBB6_1998
; %bb.1993:
	v_cmp_lt_u32_e32 vcc_lo, 0x3bffffff, v3
	s_mov_b32 s5, 0
                                        ; implicit-def: $vgpr3
	s_and_saveexec_b32 s6, vcc_lo
	s_delay_alu instid0(SALU_CYCLE_1)
	s_xor_b32 s6, exec_lo, s6
	s_cbranch_execz .LBB6_2060
; %bb.1994:
	v_bfe_u32 v3, v2, 20, 1
	s_mov_b32 s5, exec_lo
	s_delay_alu instid0(VALU_DEP_1) | instskip(NEXT) | instid1(VALU_DEP_1)
	v_add3_u32 v3, v2, v3, 0x487ffff
	v_lshrrev_b32_e32 v3, 20, v3
	s_and_not1_saveexec_b32 s6, s6
	s_cbranch_execnz .LBB6_2061
.LBB6_1995:
	s_or_b32 exec_lo, exec_lo, s6
	v_mov_b32_e32 v4, 0
	s_and_saveexec_b32 s6, s5
.LBB6_1996:
	v_lshrrev_b32_e32 v2, 24, v2
	s_delay_alu instid0(VALU_DEP_1)
	v_and_or_b32 v4, 0x80, v2, v3
.LBB6_1997:
	s_or_b32 exec_lo, exec_lo, s6
.LBB6_1998:
	s_delay_alu instid0(SALU_CYCLE_1)
	s_or_b32 exec_lo, exec_lo, s4
	global_store_b8 v[0:1], v4, off
.LBB6_1999:
	s_mov_b32 s4, 0
.LBB6_2000:
	s_delay_alu instid0(SALU_CYCLE_1)
	s_and_b32 vcc_lo, exec_lo, s4
	s_cbranch_vccz .LBB6_2040
; %bb.2001:
	s_cmp_gt_i32 s2, 22
	s_mov_b32 s3, -1
	s_cbranch_scc0 .LBB6_2033
; %bb.2002:
	s_cmp_lt_i32 s2, 24
	s_cbranch_scc1 .LBB6_2022
; %bb.2003:
	s_cmp_gt_i32 s2, 24
	s_cbranch_scc0 .LBB6_2011
; %bb.2004:
	s_wait_xcnt 0x0
	v_cvt_f32_f64_e32 v2, v[8:9]
	v_mov_b32_e32 v4, 0x80
	s_mov_b32 s3, exec_lo
	s_delay_alu instid0(VALU_DEP_2) | instskip(NEXT) | instid1(VALU_DEP_1)
	v_and_b32_e32 v3, 0x7fffffff, v2
	v_cmpx_gt_u32_e32 0x47800000, v3
	s_cbranch_execz .LBB6_2010
; %bb.2005:
	v_cmp_lt_u32_e32 vcc_lo, 0x37ffffff, v3
	s_mov_b32 s4, 0
                                        ; implicit-def: $vgpr3
	s_and_saveexec_b32 s5, vcc_lo
	s_delay_alu instid0(SALU_CYCLE_1)
	s_xor_b32 s5, exec_lo, s5
	s_cbranch_execz .LBB6_2063
; %bb.2006:
	v_bfe_u32 v3, v2, 21, 1
	s_mov_b32 s4, exec_lo
	s_delay_alu instid0(VALU_DEP_1) | instskip(NEXT) | instid1(VALU_DEP_1)
	v_add3_u32 v3, v2, v3, 0x88fffff
	v_lshrrev_b32_e32 v3, 21, v3
	s_and_not1_saveexec_b32 s5, s5
	s_cbranch_execnz .LBB6_2064
.LBB6_2007:
	s_or_b32 exec_lo, exec_lo, s5
	v_mov_b32_e32 v4, 0
	s_and_saveexec_b32 s5, s4
.LBB6_2008:
	v_lshrrev_b32_e32 v2, 24, v2
	s_delay_alu instid0(VALU_DEP_1)
	v_and_or_b32 v4, 0x80, v2, v3
.LBB6_2009:
	s_or_b32 exec_lo, exec_lo, s5
.LBB6_2010:
	s_delay_alu instid0(SALU_CYCLE_1)
	s_or_b32 exec_lo, exec_lo, s3
	s_mov_b32 s3, 0
	global_store_b8 v[0:1], v4, off
.LBB6_2011:
	s_and_b32 vcc_lo, exec_lo, s3
	s_cbranch_vccz .LBB6_2021
; %bb.2012:
	s_wait_xcnt 0x0
	v_cvt_f32_f64_e32 v2, v[8:9]
	s_mov_b32 s3, exec_lo
                                        ; implicit-def: $vgpr3
	s_delay_alu instid0(VALU_DEP_1) | instskip(NEXT) | instid1(VALU_DEP_1)
	v_and_b32_e32 v4, 0x7fffffff, v2
	v_cmpx_gt_u32_e32 0x43f00000, v4
	s_xor_b32 s3, exec_lo, s3
	s_cbranch_execz .LBB6_2018
; %bb.2013:
	s_mov_b32 s4, exec_lo
                                        ; implicit-def: $vgpr3
	v_cmpx_lt_u32_e32 0x3c7fffff, v4
	s_xor_b32 s4, exec_lo, s4
; %bb.2014:
	v_bfe_u32 v3, v2, 20, 1
	s_delay_alu instid0(VALU_DEP_1) | instskip(NEXT) | instid1(VALU_DEP_1)
	v_add3_u32 v3, v2, v3, 0x407ffff
	v_and_b32_e32 v4, 0xff00000, v3
	v_lshrrev_b32_e32 v3, 20, v3
	s_delay_alu instid0(VALU_DEP_2) | instskip(NEXT) | instid1(VALU_DEP_2)
	v_cmp_ne_u32_e32 vcc_lo, 0x7f00000, v4
	v_cndmask_b32_e32 v3, 0x7e, v3, vcc_lo
; %bb.2015:
	s_and_not1_saveexec_b32 s4, s4
; %bb.2016:
	v_add_f32_e64 v3, 0x46800000, |v2|
; %bb.2017:
	s_or_b32 exec_lo, exec_lo, s4
                                        ; implicit-def: $vgpr4
.LBB6_2018:
	s_and_not1_saveexec_b32 s3, s3
; %bb.2019:
	v_mov_b32_e32 v3, 0x7f
	v_cmp_lt_u32_e32 vcc_lo, 0x7f800000, v4
	s_delay_alu instid0(VALU_DEP_2)
	v_cndmask_b32_e32 v3, 0x7e, v3, vcc_lo
; %bb.2020:
	s_or_b32 exec_lo, exec_lo, s3
	v_lshrrev_b32_e32 v2, 24, v2
	s_delay_alu instid0(VALU_DEP_1)
	v_and_or_b32 v2, 0x80, v2, v3
	global_store_b8 v[0:1], v2, off
.LBB6_2021:
	s_mov_b32 s3, 0
.LBB6_2022:
	s_delay_alu instid0(SALU_CYCLE_1)
	s_and_not1_b32 vcc_lo, exec_lo, s3
	s_cbranch_vccnz .LBB6_2032
; %bb.2023:
	s_wait_xcnt 0x0
	v_cvt_f32_f64_e32 v2, v[8:9]
	s_mov_b32 s3, exec_lo
                                        ; implicit-def: $vgpr3
	s_delay_alu instid0(VALU_DEP_1) | instskip(NEXT) | instid1(VALU_DEP_1)
	v_and_b32_e32 v4, 0x7fffffff, v2
	v_cmpx_gt_u32_e32 0x47800000, v4
	s_xor_b32 s3, exec_lo, s3
	s_cbranch_execz .LBB6_2029
; %bb.2024:
	s_mov_b32 s4, exec_lo
                                        ; implicit-def: $vgpr3
	v_cmpx_lt_u32_e32 0x387fffff, v4
	s_xor_b32 s4, exec_lo, s4
; %bb.2025:
	v_bfe_u32 v3, v2, 21, 1
	s_delay_alu instid0(VALU_DEP_1) | instskip(NEXT) | instid1(VALU_DEP_1)
	v_add3_u32 v3, v2, v3, 0x80fffff
	v_lshrrev_b32_e32 v3, 21, v3
; %bb.2026:
	s_and_not1_saveexec_b32 s4, s4
; %bb.2027:
	v_add_f32_e64 v3, 0x43000000, |v2|
; %bb.2028:
	s_or_b32 exec_lo, exec_lo, s4
                                        ; implicit-def: $vgpr4
.LBB6_2029:
	s_and_not1_saveexec_b32 s3, s3
; %bb.2030:
	v_mov_b32_e32 v3, 0x7f
	v_cmp_lt_u32_e32 vcc_lo, 0x7f800000, v4
	s_delay_alu instid0(VALU_DEP_2)
	v_cndmask_b32_e32 v3, 0x7c, v3, vcc_lo
; %bb.2031:
	s_or_b32 exec_lo, exec_lo, s3
	v_lshrrev_b32_e32 v2, 24, v2
	s_delay_alu instid0(VALU_DEP_1)
	v_and_or_b32 v2, 0x80, v2, v3
	global_store_b8 v[0:1], v2, off
.LBB6_2032:
	s_mov_b32 s3, 0
.LBB6_2033:
	s_delay_alu instid0(SALU_CYCLE_1)
	s_and_not1_b32 vcc_lo, exec_lo, s3
	s_mov_b32 s3, 0
	s_cbranch_vccnz .LBB6_2040
; %bb.2034:
	s_cmp_gt_i32 s2, 14
	s_mov_b32 s3, -1
	s_cbranch_scc0 .LBB6_2038
; %bb.2035:
	s_cmp_eq_u32 s2, 15
	s_mov_b32 s0, -1
	s_cbranch_scc0 .LBB6_2037
; %bb.2036:
	s_wait_xcnt 0x0
	v_cvt_f32_f64_e32 v2, v[8:9]
	s_mov_b32 s0, 0
	s_delay_alu instid0(VALU_DEP_1) | instskip(SKIP_1) | instid1(VALU_DEP_2)
	v_bfe_u32 v3, v2, 16, 1
	v_cmp_o_f32_e32 vcc_lo, v2, v2
	v_add3_u32 v3, v2, v3, 0x7fff
	s_delay_alu instid0(VALU_DEP_1) | instskip(NEXT) | instid1(VALU_DEP_1)
	v_lshrrev_b32_e32 v3, 16, v3
	v_cndmask_b32_e32 v2, 0x7fc0, v3, vcc_lo
	global_store_b16 v[0:1], v2, off
.LBB6_2037:
	s_mov_b32 s3, 0
.LBB6_2038:
	s_delay_alu instid0(SALU_CYCLE_1)
	s_and_b32 vcc_lo, exec_lo, s3
	s_mov_b32 s3, 0
	s_cbranch_vccz .LBB6_2040
; %bb.2039:
	s_cmp_lg_u32 s2, 11
	s_mov_b32 s3, -1
	s_cselect_b32 s0, -1, 0
.LBB6_2040:
	s_delay_alu instid0(SALU_CYCLE_1)
	s_and_b32 vcc_lo, exec_lo, s0
	s_cbranch_vccnz .LBB6_2062
.LBB6_2041:
	s_mov_b32 s0, 0
	s_branch .LBB6_1643
.LBB6_2042:
	s_mov_b32 s0, 0
	s_mov_b32 s3, 0
                                        ; implicit-def: $sgpr1
                                        ; implicit-def: $vgpr0_vgpr1
	s_branch .LBB6_1643
.LBB6_2043:
	s_mov_b32 s3, 0
	s_mov_b32 s0, -1
	s_branch .LBB6_1643
.LBB6_2044:
	s_or_b32 s13, s13, exec_lo
	s_trap 2
	s_cbranch_execz .LBB6_1510
	s_branch .LBB6_1511
.LBB6_2045:
	s_and_not1_saveexec_b32 s9, s9
	s_cbranch_execz .LBB6_1592
.LBB6_2046:
	v_add_f32_e64 v3, 0x46000000, |v2|
	s_and_not1_b32 s8, s8, exec_lo
	s_delay_alu instid0(VALU_DEP_1) | instskip(NEXT) | instid1(VALU_DEP_1)
	v_and_b32_e32 v3, 0xff, v3
	v_cmp_ne_u32_e32 vcc_lo, 0, v3
	s_and_b32 s10, vcc_lo, exec_lo
	s_delay_alu instid0(SALU_CYCLE_1)
	s_or_b32 s8, s8, s10
	s_or_b32 exec_lo, exec_lo, s9
	v_mov_b32_e32 v7, 0
	s_and_saveexec_b32 s9, s8
	s_cbranch_execnz .LBB6_1593
	s_branch .LBB6_1594
.LBB6_2047:
	s_or_b32 s13, s13, exec_lo
	s_trap 2
	s_cbranch_execz .LBB6_1640
	s_branch .LBB6_1641
.LBB6_2048:
	s_and_not1_saveexec_b32 s8, s8
	s_cbranch_execz .LBB6_1605
.LBB6_2049:
	v_add_f32_e64 v3, 0x42800000, |v2|
	s_and_not1_b32 s7, s7, exec_lo
	s_delay_alu instid0(VALU_DEP_1) | instskip(NEXT) | instid1(VALU_DEP_1)
	v_and_b32_e32 v3, 0xff, v3
	v_cmp_ne_u32_e32 vcc_lo, 0, v3
	s_and_b32 s9, vcc_lo, exec_lo
	s_delay_alu instid0(SALU_CYCLE_1)
	s_or_b32 s7, s7, s9
	s_or_b32 exec_lo, exec_lo, s8
	v_mov_b32_e32 v7, 0
	s_and_saveexec_b32 s8, s7
	s_cbranch_execnz .LBB6_1606
	s_branch .LBB6_1607
.LBB6_2050:
	s_and_not1_saveexec_b32 s9, s9
	s_cbranch_execz .LBB6_1756
.LBB6_2051:
	v_add_f32_e64 v6, 0x46000000, |v1|
	s_and_not1_b32 s8, s8, exec_lo
	s_delay_alu instid0(VALU_DEP_1) | instskip(NEXT) | instid1(VALU_DEP_1)
	v_and_b32_e32 v6, 0xff, v6
	v_cmp_ne_u32_e32 vcc_lo, 0, v6
	s_and_b32 s10, vcc_lo, exec_lo
	s_delay_alu instid0(SALU_CYCLE_1)
	s_or_b32 s8, s8, s10
	s_or_b32 exec_lo, exec_lo, s9
	v_mov_b32_e32 v7, 0
	s_and_saveexec_b32 s9, s8
	s_cbranch_execnz .LBB6_1757
	s_branch .LBB6_1758
.LBB6_2052:
	s_or_b32 s13, s13, exec_lo
	s_trap 2
	s_cbranch_execz .LBB6_1804
	s_branch .LBB6_1805
.LBB6_2053:
	s_and_not1_saveexec_b32 s8, s8
	s_cbranch_execz .LBB6_1769
.LBB6_2054:
	v_add_f32_e64 v6, 0x42800000, |v1|
	s_and_not1_b32 s7, s7, exec_lo
	s_delay_alu instid0(VALU_DEP_1) | instskip(NEXT) | instid1(VALU_DEP_1)
	v_and_b32_e32 v6, 0xff, v6
	v_cmp_ne_u32_e32 vcc_lo, 0, v6
	s_and_b32 s9, vcc_lo, exec_lo
	s_delay_alu instid0(SALU_CYCLE_1)
	s_or_b32 s7, s7, s9
	s_or_b32 exec_lo, exec_lo, s8
	v_mov_b32_e32 v7, 0
	s_and_saveexec_b32 s8, s7
	s_cbranch_execnz .LBB6_1770
	s_branch .LBB6_1771
.LBB6_2055:
	s_and_not1_saveexec_b32 s9, s9
	s_cbranch_execz .LBB6_1875
.LBB6_2056:
	v_add_f32_e64 v4, 0x46000000, |v1|
	s_and_not1_b32 s8, s8, exec_lo
	s_delay_alu instid0(VALU_DEP_1) | instskip(NEXT) | instid1(VALU_DEP_1)
	v_and_b32_e32 v4, 0xff, v4
	v_cmp_ne_u32_e32 vcc_lo, 0, v4
	s_and_b32 s10, vcc_lo, exec_lo
	s_delay_alu instid0(SALU_CYCLE_1)
	s_or_b32 s8, s8, s10
	s_or_b32 exec_lo, exec_lo, s9
	v_mov_b32_e32 v5, 0
	s_and_saveexec_b32 s9, s8
	s_cbranch_execnz .LBB6_1876
	s_branch .LBB6_1877
.LBB6_2057:
	s_or_b32 s13, s13, exec_lo
	s_trap 2
	s_cbranch_execz .LBB6_1923
	s_branch .LBB6_1924
.LBB6_2058:
	s_and_not1_saveexec_b32 s8, s8
	s_cbranch_execz .LBB6_1888
.LBB6_2059:
	v_add_f32_e64 v4, 0x42800000, |v1|
	s_and_not1_b32 s7, s7, exec_lo
	s_delay_alu instid0(VALU_DEP_1) | instskip(NEXT) | instid1(VALU_DEP_1)
	v_and_b32_e32 v4, 0xff, v4
	v_cmp_ne_u32_e32 vcc_lo, 0, v4
	s_and_b32 s9, vcc_lo, exec_lo
	s_delay_alu instid0(SALU_CYCLE_1)
	s_or_b32 s7, s7, s9
	s_or_b32 exec_lo, exec_lo, s8
	v_mov_b32_e32 v5, 0
	s_and_saveexec_b32 s8, s7
	s_cbranch_execnz .LBB6_1889
	s_branch .LBB6_1890
.LBB6_2060:
	s_and_not1_saveexec_b32 s6, s6
	s_cbranch_execz .LBB6_1995
.LBB6_2061:
	v_add_f32_e64 v3, 0x46000000, |v2|
	s_and_not1_b32 s5, s5, exec_lo
	s_delay_alu instid0(VALU_DEP_1) | instskip(NEXT) | instid1(VALU_DEP_1)
	v_and_b32_e32 v3, 0xff, v3
	v_cmp_ne_u32_e32 vcc_lo, 0, v3
	s_and_b32 s7, vcc_lo, exec_lo
	s_delay_alu instid0(SALU_CYCLE_1)
	s_or_b32 s5, s5, s7
	s_or_b32 exec_lo, exec_lo, s6
	v_mov_b32_e32 v4, 0
	s_and_saveexec_b32 s6, s5
	s_cbranch_execnz .LBB6_1996
	s_branch .LBB6_1997
.LBB6_2062:
	s_mov_b32 s3, 0
	s_or_b32 s13, s13, exec_lo
	s_trap 2
	s_branch .LBB6_2041
.LBB6_2063:
	s_and_not1_saveexec_b32 s5, s5
	s_cbranch_execz .LBB6_2007
.LBB6_2064:
	v_add_f32_e64 v3, 0x42800000, |v2|
	s_and_not1_b32 s4, s4, exec_lo
	s_delay_alu instid0(VALU_DEP_1) | instskip(NEXT) | instid1(VALU_DEP_1)
	v_and_b32_e32 v3, 0xff, v3
	v_cmp_ne_u32_e32 vcc_lo, 0, v3
	s_and_b32 s6, vcc_lo, exec_lo
	s_delay_alu instid0(SALU_CYCLE_1)
	s_or_b32 s4, s4, s6
	s_or_b32 exec_lo, exec_lo, s5
	v_mov_b32_e32 v4, 0
	s_and_saveexec_b32 s5, s4
	s_cbranch_execnz .LBB6_2008
	s_branch .LBB6_2009
	.section	.rodata,"a",@progbits
	.p2align	6, 0x0
	.amdhsa_kernel _ZN2at6native32elementwise_kernel_manual_unrollILi128ELi4EZNS0_15gpu_kernel_implIZZZNS0_12_GLOBAL__N_115softplus_kernelERNS_18TensorIteratorBaseERKN3c106ScalarES9_ENKUlvE_clEvENKUlvE_clEvEUldE_EEvS5_RKT_EUlibE_EEviT1_
		.amdhsa_group_segment_fixed_size 0
		.amdhsa_private_segment_fixed_size 0
		.amdhsa_kernarg_size 56
		.amdhsa_user_sgpr_count 2
		.amdhsa_user_sgpr_dispatch_ptr 0
		.amdhsa_user_sgpr_queue_ptr 0
		.amdhsa_user_sgpr_kernarg_segment_ptr 1
		.amdhsa_user_sgpr_dispatch_id 0
		.amdhsa_user_sgpr_kernarg_preload_length 0
		.amdhsa_user_sgpr_kernarg_preload_offset 0
		.amdhsa_user_sgpr_private_segment_size 0
		.amdhsa_wavefront_size32 1
		.amdhsa_uses_dynamic_stack 0
		.amdhsa_enable_private_segment 0
		.amdhsa_system_sgpr_workgroup_id_x 1
		.amdhsa_system_sgpr_workgroup_id_y 0
		.amdhsa_system_sgpr_workgroup_id_z 0
		.amdhsa_system_sgpr_workgroup_info 0
		.amdhsa_system_vgpr_workitem_id 0
		.amdhsa_next_free_vgpr 32
		.amdhsa_next_free_sgpr 30
		.amdhsa_named_barrier_count 0
		.amdhsa_reserve_vcc 1
		.amdhsa_float_round_mode_32 0
		.amdhsa_float_round_mode_16_64 0
		.amdhsa_float_denorm_mode_32 3
		.amdhsa_float_denorm_mode_16_64 3
		.amdhsa_fp16_overflow 0
		.amdhsa_memory_ordered 1
		.amdhsa_forward_progress 1
		.amdhsa_inst_pref_size 255
		.amdhsa_round_robin_scheduling 0
		.amdhsa_exception_fp_ieee_invalid_op 0
		.amdhsa_exception_fp_denorm_src 0
		.amdhsa_exception_fp_ieee_div_zero 0
		.amdhsa_exception_fp_ieee_overflow 0
		.amdhsa_exception_fp_ieee_underflow 0
		.amdhsa_exception_fp_ieee_inexact 0
		.amdhsa_exception_int_div_zero 0
	.end_amdhsa_kernel
	.section	.text._ZN2at6native32elementwise_kernel_manual_unrollILi128ELi4EZNS0_15gpu_kernel_implIZZZNS0_12_GLOBAL__N_115softplus_kernelERNS_18TensorIteratorBaseERKN3c106ScalarES9_ENKUlvE_clEvENKUlvE_clEvEUldE_EEvS5_RKT_EUlibE_EEviT1_,"axG",@progbits,_ZN2at6native32elementwise_kernel_manual_unrollILi128ELi4EZNS0_15gpu_kernel_implIZZZNS0_12_GLOBAL__N_115softplus_kernelERNS_18TensorIteratorBaseERKN3c106ScalarES9_ENKUlvE_clEvENKUlvE_clEvEUldE_EEvS5_RKT_EUlibE_EEviT1_,comdat
.Lfunc_end6:
	.size	_ZN2at6native32elementwise_kernel_manual_unrollILi128ELi4EZNS0_15gpu_kernel_implIZZZNS0_12_GLOBAL__N_115softplus_kernelERNS_18TensorIteratorBaseERKN3c106ScalarES9_ENKUlvE_clEvENKUlvE_clEvEUldE_EEvS5_RKT_EUlibE_EEviT1_, .Lfunc_end6-_ZN2at6native32elementwise_kernel_manual_unrollILi128ELi4EZNS0_15gpu_kernel_implIZZZNS0_12_GLOBAL__N_115softplus_kernelERNS_18TensorIteratorBaseERKN3c106ScalarES9_ENKUlvE_clEvENKUlvE_clEvEUldE_EEvS5_RKT_EUlibE_EEviT1_
                                        ; -- End function
	.set _ZN2at6native32elementwise_kernel_manual_unrollILi128ELi4EZNS0_15gpu_kernel_implIZZZNS0_12_GLOBAL__N_115softplus_kernelERNS_18TensorIteratorBaseERKN3c106ScalarES9_ENKUlvE_clEvENKUlvE_clEvEUldE_EEvS5_RKT_EUlibE_EEviT1_.num_vgpr, 32
	.set _ZN2at6native32elementwise_kernel_manual_unrollILi128ELi4EZNS0_15gpu_kernel_implIZZZNS0_12_GLOBAL__N_115softplus_kernelERNS_18TensorIteratorBaseERKN3c106ScalarES9_ENKUlvE_clEvENKUlvE_clEvEUldE_EEvS5_RKT_EUlibE_EEviT1_.num_agpr, 0
	.set _ZN2at6native32elementwise_kernel_manual_unrollILi128ELi4EZNS0_15gpu_kernel_implIZZZNS0_12_GLOBAL__N_115softplus_kernelERNS_18TensorIteratorBaseERKN3c106ScalarES9_ENKUlvE_clEvENKUlvE_clEvEUldE_EEvS5_RKT_EUlibE_EEviT1_.numbered_sgpr, 30
	.set _ZN2at6native32elementwise_kernel_manual_unrollILi128ELi4EZNS0_15gpu_kernel_implIZZZNS0_12_GLOBAL__N_115softplus_kernelERNS_18TensorIteratorBaseERKN3c106ScalarES9_ENKUlvE_clEvENKUlvE_clEvEUldE_EEvS5_RKT_EUlibE_EEviT1_.num_named_barrier, 0
	.set _ZN2at6native32elementwise_kernel_manual_unrollILi128ELi4EZNS0_15gpu_kernel_implIZZZNS0_12_GLOBAL__N_115softplus_kernelERNS_18TensorIteratorBaseERKN3c106ScalarES9_ENKUlvE_clEvENKUlvE_clEvEUldE_EEvS5_RKT_EUlibE_EEviT1_.private_seg_size, 0
	.set _ZN2at6native32elementwise_kernel_manual_unrollILi128ELi4EZNS0_15gpu_kernel_implIZZZNS0_12_GLOBAL__N_115softplus_kernelERNS_18TensorIteratorBaseERKN3c106ScalarES9_ENKUlvE_clEvENKUlvE_clEvEUldE_EEvS5_RKT_EUlibE_EEviT1_.uses_vcc, 1
	.set _ZN2at6native32elementwise_kernel_manual_unrollILi128ELi4EZNS0_15gpu_kernel_implIZZZNS0_12_GLOBAL__N_115softplus_kernelERNS_18TensorIteratorBaseERKN3c106ScalarES9_ENKUlvE_clEvENKUlvE_clEvEUldE_EEvS5_RKT_EUlibE_EEviT1_.uses_flat_scratch, 0
	.set _ZN2at6native32elementwise_kernel_manual_unrollILi128ELi4EZNS0_15gpu_kernel_implIZZZNS0_12_GLOBAL__N_115softplus_kernelERNS_18TensorIteratorBaseERKN3c106ScalarES9_ENKUlvE_clEvENKUlvE_clEvEUldE_EEvS5_RKT_EUlibE_EEviT1_.has_dyn_sized_stack, 0
	.set _ZN2at6native32elementwise_kernel_manual_unrollILi128ELi4EZNS0_15gpu_kernel_implIZZZNS0_12_GLOBAL__N_115softplus_kernelERNS_18TensorIteratorBaseERKN3c106ScalarES9_ENKUlvE_clEvENKUlvE_clEvEUldE_EEvS5_RKT_EUlibE_EEviT1_.has_recursion, 0
	.set _ZN2at6native32elementwise_kernel_manual_unrollILi128ELi4EZNS0_15gpu_kernel_implIZZZNS0_12_GLOBAL__N_115softplus_kernelERNS_18TensorIteratorBaseERKN3c106ScalarES9_ENKUlvE_clEvENKUlvE_clEvEUldE_EEvS5_RKT_EUlibE_EEviT1_.has_indirect_call, 0
	.section	.AMDGPU.csdata,"",@progbits
; Kernel info:
; codeLenInByte = 52828
; TotalNumSgprs: 32
; NumVgprs: 32
; ScratchSize: 0
; MemoryBound: 1
; FloatMode: 240
; IeeeMode: 1
; LDSByteSize: 0 bytes/workgroup (compile time only)
; SGPRBlocks: 0
; VGPRBlocks: 1
; NumSGPRsForWavesPerEU: 32
; NumVGPRsForWavesPerEU: 32
; NamedBarCnt: 0
; Occupancy: 16
; WaveLimiterHint : 0
; COMPUTE_PGM_RSRC2:SCRATCH_EN: 0
; COMPUTE_PGM_RSRC2:USER_SGPR: 2
; COMPUTE_PGM_RSRC2:TRAP_HANDLER: 0
; COMPUTE_PGM_RSRC2:TGID_X_EN: 1
; COMPUTE_PGM_RSRC2:TGID_Y_EN: 0
; COMPUTE_PGM_RSRC2:TGID_Z_EN: 0
; COMPUTE_PGM_RSRC2:TIDIG_COMP_CNT: 0
	.section	.text._ZN2at6native32elementwise_kernel_manual_unrollILi128ELi4EZNS0_15gpu_kernel_implIZZZNS0_12_GLOBAL__N_115softplus_kernelERNS_18TensorIteratorBaseERKN3c106ScalarES9_ENKUlvE_clEvENKUlvE_clEvEUldE_EEvS5_RKT_EUlibE0_EEviT1_,"axG",@progbits,_ZN2at6native32elementwise_kernel_manual_unrollILi128ELi4EZNS0_15gpu_kernel_implIZZZNS0_12_GLOBAL__N_115softplus_kernelERNS_18TensorIteratorBaseERKN3c106ScalarES9_ENKUlvE_clEvENKUlvE_clEvEUldE_EEvS5_RKT_EUlibE0_EEviT1_,comdat
	.globl	_ZN2at6native32elementwise_kernel_manual_unrollILi128ELi4EZNS0_15gpu_kernel_implIZZZNS0_12_GLOBAL__N_115softplus_kernelERNS_18TensorIteratorBaseERKN3c106ScalarES9_ENKUlvE_clEvENKUlvE_clEvEUldE_EEvS5_RKT_EUlibE0_EEviT1_ ; -- Begin function _ZN2at6native32elementwise_kernel_manual_unrollILi128ELi4EZNS0_15gpu_kernel_implIZZZNS0_12_GLOBAL__N_115softplus_kernelERNS_18TensorIteratorBaseERKN3c106ScalarES9_ENKUlvE_clEvENKUlvE_clEvEUldE_EEvS5_RKT_EUlibE0_EEviT1_
	.p2align	8
	.type	_ZN2at6native32elementwise_kernel_manual_unrollILi128ELi4EZNS0_15gpu_kernel_implIZZZNS0_12_GLOBAL__N_115softplus_kernelERNS_18TensorIteratorBaseERKN3c106ScalarES9_ENKUlvE_clEvENKUlvE_clEvEUldE_EEvS5_RKT_EUlibE0_EEviT1_,@function
_ZN2at6native32elementwise_kernel_manual_unrollILi128ELi4EZNS0_15gpu_kernel_implIZZZNS0_12_GLOBAL__N_115softplus_kernelERNS_18TensorIteratorBaseERKN3c106ScalarES9_ENKUlvE_clEvENKUlvE_clEvEUldE_EEvS5_RKT_EUlibE0_EEviT1_: ; @_ZN2at6native32elementwise_kernel_manual_unrollILi128ELi4EZNS0_15gpu_kernel_implIZZZNS0_12_GLOBAL__N_115softplus_kernelERNS_18TensorIteratorBaseERKN3c106ScalarES9_ENKUlvE_clEvENKUlvE_clEvEUldE_EEvS5_RKT_EUlibE0_EEviT1_
; %bb.0:
	s_clause 0x1
	s_load_b32 s33, s[0:1], 0x8
	s_load_b32 s40, s[0:1], 0x0
	s_bfe_u32 s2, ttmp6, 0x4000c
	s_and_b32 s3, ttmp6, 15
	s_add_co_i32 s2, s2, 1
	s_getreg_b32 s4, hwreg(HW_REG_IB_STS2, 6, 4)
	s_mul_i32 s2, ttmp9, s2
	s_mov_b32 s35, 0
	s_add_co_i32 s3, s3, s2
	s_cmp_eq_u32 s4, 0
	s_mov_b32 s29, -1
	s_cselect_b32 s2, ttmp9, s3
	s_mov_b32 s12, 0
	v_lshl_or_b32 v4, s2, 9, v0
	s_add_nc_u64 s[2:3], s[0:1], 8
	s_wait_xcnt 0x0
	s_mov_b32 s0, exec_lo
	s_delay_alu instid0(VALU_DEP_1) | instskip(SKIP_2) | instid1(SALU_CYCLE_1)
	v_or_b32_e32 v5, 0x180, v4
	s_wait_kmcnt 0x0
	s_add_co_i32 s34, s33, -1
	s_cmp_gt_u32 s34, 1
	s_cselect_b32 s36, -1, 0
	v_cmpx_le_i32_e64 s40, v5
	s_xor_b32 s37, exec_lo, s0
	s_cbranch_execz .LBB7_1104
; %bb.1:
	s_clause 0x4
	s_load_b128 s[12:15], s[2:3], 0x4
	s_load_b64 s[22:23], s[2:3], 0x14
	s_load_b32 s38, s[2:3], 0x168
	s_load_b128 s[16:19], s[2:3], 0xc4
	s_load_b256 s[4:11], s[2:3], 0x148
	s_cmp_lg_u32 s33, 0
	s_mov_b32 s21, 0
	s_cselect_b32 s42, -1, 0
	s_min_u32 s41, s34, 15
	s_cmp_gt_u32 s33, 1
	s_add_nc_u64 s[26:27], s[2:3], 0xc4
	s_mov_b32 s25, s21
	s_mov_b32 s43, s21
	s_cselect_b32 s39, -1, 0
	s_mov_b32 s44, exec_lo
	s_wait_kmcnt 0x0
	s_mov_b32 s20, s13
	s_mov_b32 s24, s22
	s_bfe_u32 s13, s38, 0x80008
	s_mov_b32 s22, s21
	v_cmpx_gt_i32_e64 s40, v4
	s_cbranch_execz .LBB7_269
; %bb.2:
	s_and_not1_b32 vcc_lo, exec_lo, s36
	s_cbranch_vccnz .LBB7_8
; %bb.3:
	s_and_not1_b32 vcc_lo, exec_lo, s42
	s_cbranch_vccnz .LBB7_9
; %bb.4:
	s_add_co_i32 s1, s41, 1
	s_cmp_eq_u32 s34, 2
	s_cbranch_scc1 .LBB7_10
; %bb.5:
	v_dual_mov_b32 v2, 0 :: v_dual_mov_b32 v0, 0
	v_mov_b32_e32 v1, v4
	s_and_b32 s0, s1, 28
	s_mov_b32 s22, 0
	s_mov_b64 s[28:29], s[2:3]
	s_mov_b64 s[30:31], s[26:27]
.LBB7_6:                                ; =>This Inner Loop Header: Depth=1
	s_clause 0x1
	s_load_b256 s[48:55], s[28:29], 0x4
	s_load_b128 s[64:67], s[28:29], 0x24
	s_load_b256 s[56:63], s[30:31], 0x0
	s_add_co_i32 s22, s22, 4
	s_wait_xcnt 0x0
	s_add_nc_u64 s[28:29], s[28:29], 48
	s_cmp_lg_u32 s0, s22
	s_add_nc_u64 s[30:31], s[30:31], 32
	s_wait_kmcnt 0x0
	v_mul_hi_u32 v3, s49, v1
	s_delay_alu instid0(VALU_DEP_1) | instskip(NEXT) | instid1(VALU_DEP_1)
	v_add_nc_u32_e32 v3, v1, v3
	v_lshrrev_b32_e32 v3, s50, v3
	s_delay_alu instid0(VALU_DEP_1) | instskip(NEXT) | instid1(VALU_DEP_1)
	v_mul_hi_u32 v5, s52, v3
	v_add_nc_u32_e32 v5, v3, v5
	s_delay_alu instid0(VALU_DEP_1) | instskip(NEXT) | instid1(VALU_DEP_1)
	v_lshrrev_b32_e32 v5, s53, v5
	v_mul_hi_u32 v6, s55, v5
	s_delay_alu instid0(VALU_DEP_1) | instskip(SKIP_1) | instid1(VALU_DEP_1)
	v_add_nc_u32_e32 v6, v5, v6
	v_mul_lo_u32 v7, v3, s48
	v_sub_nc_u32_e32 v1, v1, v7
	v_mul_lo_u32 v7, v5, s51
	s_delay_alu instid0(VALU_DEP_4) | instskip(NEXT) | instid1(VALU_DEP_3)
	v_lshrrev_b32_e32 v6, s64, v6
	v_mad_u32 v0, v1, s57, v0
	v_mad_u32 v1, v1, s56, v2
	s_delay_alu instid0(VALU_DEP_4) | instskip(NEXT) | instid1(VALU_DEP_4)
	v_sub_nc_u32_e32 v2, v3, v7
	v_mul_hi_u32 v8, s66, v6
	v_mul_lo_u32 v3, v6, s54
	s_delay_alu instid0(VALU_DEP_3) | instskip(SKIP_1) | instid1(VALU_DEP_3)
	v_mad_u32 v0, v2, s59, v0
	v_mad_u32 v2, v2, s58, v1
	v_dual_add_nc_u32 v7, v6, v8 :: v_dual_sub_nc_u32 v3, v5, v3
	s_delay_alu instid0(VALU_DEP_1) | instskip(NEXT) | instid1(VALU_DEP_2)
	v_lshrrev_b32_e32 v1, s67, v7
	v_mad_u32 v0, v3, s61, v0
	s_delay_alu instid0(VALU_DEP_4) | instskip(NEXT) | instid1(VALU_DEP_3)
	v_mad_u32 v2, v3, s60, v2
	v_mul_lo_u32 v5, v1, s65
	s_delay_alu instid0(VALU_DEP_1) | instskip(NEXT) | instid1(VALU_DEP_1)
	v_sub_nc_u32_e32 v3, v6, v5
	v_mad_u32 v0, v3, s63, v0
	s_delay_alu instid0(VALU_DEP_4)
	v_mad_u32 v2, v3, s62, v2
	s_cbranch_scc1 .LBB7_6
; %bb.7:
	s_delay_alu instid0(VALU_DEP_2)
	v_mov_b32_e32 v3, v0
	s_and_b32 s22, s1, 3
	s_mov_b32 s1, 0
	s_cmp_eq_u32 s22, 0
	s_cbranch_scc0 .LBB7_11
	s_branch .LBB7_14
.LBB7_8:
                                        ; implicit-def: $vgpr0
                                        ; implicit-def: $vgpr2
	s_branch .LBB7_15
.LBB7_9:
	v_dual_mov_b32 v0, 0 :: v_dual_mov_b32 v2, 0
	s_branch .LBB7_14
.LBB7_10:
	v_mov_b64_e32 v[2:3], 0
	v_mov_b32_e32 v1, v4
	s_mov_b32 s0, 0
                                        ; implicit-def: $vgpr0
	s_and_b32 s22, s1, 3
	s_mov_b32 s1, 0
	s_cmp_eq_u32 s22, 0
	s_cbranch_scc1 .LBB7_14
.LBB7_11:
	s_lshl_b32 s28, s0, 3
	s_mov_b32 s29, s1
	s_mul_u64 s[30:31], s[0:1], 12
	s_add_nc_u64 s[28:29], s[2:3], s[28:29]
	s_delay_alu instid0(SALU_CYCLE_1)
	s_add_nc_u64 s[0:1], s[28:29], 0xc4
	s_add_nc_u64 s[28:29], s[2:3], s[30:31]
.LBB7_12:                               ; =>This Inner Loop Header: Depth=1
	s_load_b96 s[48:50], s[28:29], 0x4
	s_load_b64 s[30:31], s[0:1], 0x0
	s_add_co_i32 s22, s22, -1
	s_wait_xcnt 0x0
	s_add_nc_u64 s[28:29], s[28:29], 12
	s_cmp_lg_u32 s22, 0
	s_add_nc_u64 s[0:1], s[0:1], 8
	s_wait_kmcnt 0x0
	v_mul_hi_u32 v0, s49, v1
	s_delay_alu instid0(VALU_DEP_1) | instskip(NEXT) | instid1(VALU_DEP_1)
	v_add_nc_u32_e32 v0, v1, v0
	v_lshrrev_b32_e32 v0, s50, v0
	s_delay_alu instid0(VALU_DEP_1) | instskip(NEXT) | instid1(VALU_DEP_1)
	v_mul_lo_u32 v5, v0, s48
	v_sub_nc_u32_e32 v1, v1, v5
	s_delay_alu instid0(VALU_DEP_1)
	v_mad_u32 v3, v1, s31, v3
	v_mad_u32 v2, v1, s30, v2
	v_mov_b32_e32 v1, v0
	s_cbranch_scc1 .LBB7_12
; %bb.13:
	s_delay_alu instid0(VALU_DEP_3)
	v_mov_b32_e32 v0, v3
.LBB7_14:
	s_cbranch_execnz .LBB7_17
.LBB7_15:
	v_mov_b32_e32 v5, 0
	s_and_not1_b32 vcc_lo, exec_lo, s39
	s_delay_alu instid0(VALU_DEP_1) | instskip(NEXT) | instid1(VALU_DEP_1)
	v_mul_u64_e32 v[0:1], s[20:21], v[4:5]
	v_add_nc_u32_e32 v0, v4, v1
	s_delay_alu instid0(VALU_DEP_1) | instskip(NEXT) | instid1(VALU_DEP_1)
	v_lshrrev_b32_e32 v6, s14, v0
	v_mul_lo_u32 v0, v6, s12
	s_delay_alu instid0(VALU_DEP_1) | instskip(NEXT) | instid1(VALU_DEP_1)
	v_sub_nc_u32_e32 v1, v4, v0
	v_mul_lo_u32 v0, v1, s17
	v_mul_lo_u32 v2, v1, s16
	s_cbranch_vccnz .LBB7_17
; %bb.16:
	v_mov_b32_e32 v7, v5
	s_delay_alu instid0(VALU_DEP_1) | instskip(NEXT) | instid1(VALU_DEP_1)
	v_mul_u64_e32 v[8:9], s[24:25], v[6:7]
	v_add_nc_u32_e32 v1, v6, v9
	s_delay_alu instid0(VALU_DEP_1) | instskip(NEXT) | instid1(VALU_DEP_1)
	v_lshrrev_b32_e32 v1, s23, v1
	v_mul_lo_u32 v1, v1, s15
	s_delay_alu instid0(VALU_DEP_1) | instskip(NEXT) | instid1(VALU_DEP_1)
	v_sub_nc_u32_e32 v1, v6, v1
	v_mad_u32 v2, v1, s18, v2
	v_mad_u32 v0, v1, s19, v0
.LBB7_17:
	v_mov_b32_e32 v1, 0
	s_and_b32 s0, 0xffff, s13
	s_delay_alu instid0(SALU_CYCLE_1) | instskip(NEXT) | instid1(VALU_DEP_1)
	s_cmp_lt_i32 s0, 11
	v_add_nc_u64_e32 v[6:7], s[6:7], v[0:1]
	s_cbranch_scc1 .LBB7_24
; %bb.18:
	s_cmp_gt_i32 s0, 25
	s_cbranch_scc0 .LBB7_35
; %bb.19:
	s_cmp_gt_i32 s0, 28
	s_cbranch_scc0 .LBB7_38
	;; [unrolled: 3-line block ×4, first 2 shown]
; %bb.22:
	s_cmp_eq_u32 s0, 46
	s_mov_b32 s22, 0
	s_cbranch_scc0 .LBB7_44
; %bb.23:
	global_load_b32 v0, v[6:7], off
	s_mov_b32 s1, -1
	s_mov_b32 s28, 0
	s_wait_loadcnt 0x0
	v_lshlrev_b32_e32 v0, 16, v0
	s_delay_alu instid0(VALU_DEP_1)
	v_cvt_f64_f32_e32 v[0:1], v0
	s_branch .LBB7_46
.LBB7_24:
	s_mov_b32 s28, 0
	s_mov_b32 s1, 0
                                        ; implicit-def: $vgpr0_vgpr1
	s_cbranch_execnz .LBB7_219
.LBB7_25:
	s_and_not1_b32 vcc_lo, exec_lo, s1
	s_cbranch_vccnz .LBB7_266
.LBB7_26:
	s_wait_loadcnt 0x0
	s_delay_alu instid0(VALU_DEP_1) | instskip(SKIP_1) | instid1(VALU_DEP_1)
	v_mul_f64_e32 v[6:7], s[8:9], v[0:1]
	s_mov_b32 s22, exec_lo
	v_cmpx_nlt_f64_e32 s[10:11], v[6:7]
	s_cbranch_execz .LBB7_28
; %bb.27:
	v_mul_f64_e32 v[0:1], 0x3ff71547652b82fe, v[6:7]
	s_mov_b64 s[0:1], 0x3e5ade156a5dcb37
	v_cmp_nlt_f64_e32 vcc_lo, 0x40900000, v[6:7]
	s_delay_alu instid0(VALU_DEP_2) | instskip(NEXT) | instid1(VALU_DEP_1)
	v_rndne_f64_e32 v[0:1], v[0:1]
	v_fmamk_f64 v[8:9], v[0:1], 0xbfe62e42fefa39ef, v[6:7]
	v_cvt_i32_f64_e32 v3, v[0:1]
	s_delay_alu instid0(VALU_DEP_2) | instskip(NEXT) | instid1(VALU_DEP_1)
	v_fmamk_f64 v[8:9], v[0:1], 0xbc7abc9e3b39803f, v[8:9]
	v_fmaak_f64 v[10:11], s[0:1], v[8:9], 0x3e928af3fca7ab0c
	v_cmp_ngt_f64_e64 s0, 0xc090cc00, v[6:7]
	s_delay_alu instid0(VALU_DEP_2) | instskip(NEXT) | instid1(VALU_DEP_1)
	v_fmaak_f64 v[10:11], v[8:9], v[10:11], 0x3ec71dee623fde64
	v_fmaak_f64 v[10:11], v[8:9], v[10:11], 0x3efa01997c89e6b0
	s_delay_alu instid0(VALU_DEP_1) | instskip(NEXT) | instid1(VALU_DEP_1)
	v_fmaak_f64 v[10:11], v[8:9], v[10:11], 0x3f2a01a014761f6e
	v_fmaak_f64 v[10:11], v[8:9], v[10:11], 0x3f56c16c1852b7b0
	s_delay_alu instid0(VALU_DEP_1) | instskip(NEXT) | instid1(VALU_DEP_1)
	;; [unrolled: 3-line block ×4, first 2 shown]
	v_fma_f64 v[10:11], v[8:9], v[10:11], 1.0
	v_fma_f64 v[0:1], v[8:9], v[10:11], 1.0
	s_delay_alu instid0(VALU_DEP_1) | instskip(NEXT) | instid1(VALU_DEP_1)
	v_ldexp_f64 v[0:1], v[0:1], v3
	v_cndmask_b32_e32 v1, 0x7ff00000, v1, vcc_lo
	s_and_b32 vcc_lo, s0, vcc_lo
	s_delay_alu instid0(VALU_DEP_1) | instid1(SALU_CYCLE_1)
	v_dual_cndmask_b32 v0, 0, v0, vcc_lo :: v_dual_cndmask_b32 v1, 0, v1, s0
	s_mov_b64 s[0:1], 0x3fe5555555555555
	s_delay_alu instid0(VALU_DEP_1) | instskip(NEXT) | instid1(VALU_DEP_1)
	v_add_f64_e32 v[6:7], 1.0, v[0:1]
	v_frexp_mant_f64_e32 v[8:9], v[6:7]
	v_frexp_exp_i32_f64_e32 v3, v[6:7]
	s_delay_alu instid0(VALU_DEP_2) | instskip(SKIP_1) | instid1(VALU_DEP_2)
	v_cmp_gt_f64_e32 vcc_lo, s[0:1], v[8:9]
	s_mov_b64 s[0:1], 0x3fc3ab76bf559e2b
	v_subrev_co_ci_u32_e64 v3, null, 0, v3, vcc_lo
	v_cmp_nge_f64_e32 vcc_lo, -1.0, v[0:1]
	s_delay_alu instid0(VALU_DEP_2) | instskip(SKIP_1) | instid1(VALU_DEP_1)
	v_sub_nc_u32_e32 v5, 0, v3
	v_add_f64_e32 v[10:11], -1.0, v[6:7]
	v_add_f64_e64 v[8:9], v[10:11], -v[6:7]
	s_delay_alu instid0(VALU_DEP_3) | instskip(SKIP_1) | instid1(VALU_DEP_3)
	v_ldexp_f64 v[6:7], v[6:7], v5
	v_add_f64_e64 v[10:11], v[0:1], -v[10:11]
	v_add_f64_e32 v[8:9], 1.0, v[8:9]
	s_delay_alu instid0(VALU_DEP_3) | instskip(SKIP_1) | instid1(VALU_DEP_3)
	v_add_f64_e32 v[12:13], 1.0, v[6:7]
	v_add_f64_e32 v[18:19], -1.0, v[6:7]
	v_add_f64_e32 v[8:9], v[10:11], v[8:9]
	s_delay_alu instid0(VALU_DEP_3) | instskip(NEXT) | instid1(VALU_DEP_3)
	v_add_f64_e32 v[10:11], -1.0, v[12:13]
	v_add_f64_e32 v[20:21], 1.0, v[18:19]
	s_delay_alu instid0(VALU_DEP_3) | instskip(NEXT) | instid1(VALU_DEP_3)
	v_ldexp_f64 v[8:9], v[8:9], v5
	v_add_f64_e64 v[10:11], v[6:7], -v[10:11]
	s_delay_alu instid0(VALU_DEP_3) | instskip(NEXT) | instid1(VALU_DEP_2)
	v_add_f64_e64 v[6:7], v[6:7], -v[20:21]
	v_add_f64_e32 v[10:11], v[8:9], v[10:11]
	s_delay_alu instid0(VALU_DEP_2) | instskip(NEXT) | instid1(VALU_DEP_2)
	v_add_f64_e32 v[6:7], v[8:9], v[6:7]
	v_add_f64_e32 v[14:15], v[12:13], v[10:11]
	s_delay_alu instid0(VALU_DEP_2) | instskip(NEXT) | instid1(VALU_DEP_2)
	v_add_f64_e32 v[20:21], v[18:19], v[6:7]
	v_rcp_f64_e32 v[16:17], v[14:15]
	v_add_f64_e64 v[12:13], v[14:15], -v[12:13]
	s_delay_alu instid0(VALU_DEP_2) | instskip(NEXT) | instid1(VALU_DEP_2)
	v_add_f64_e64 v[18:19], v[20:21], -v[18:19]
	v_add_f64_e64 v[10:11], v[10:11], -v[12:13]
	s_delay_alu instid0(VALU_DEP_2) | instskip(NEXT) | instid1(TRANS32_DEP_1)
	v_add_f64_e64 v[6:7], v[6:7], -v[18:19]
	v_fma_f64 v[22:23], -v[14:15], v[16:17], 1.0
	s_delay_alu instid0(VALU_DEP_1) | instskip(NEXT) | instid1(VALU_DEP_1)
	v_fmac_f64_e32 v[16:17], v[22:23], v[16:17]
	v_fma_f64 v[8:9], -v[14:15], v[16:17], 1.0
	s_delay_alu instid0(VALU_DEP_1) | instskip(NEXT) | instid1(VALU_DEP_1)
	v_fmac_f64_e32 v[16:17], v[8:9], v[16:17]
	v_mul_f64_e32 v[8:9], v[20:21], v[16:17]
	s_delay_alu instid0(VALU_DEP_1) | instskip(NEXT) | instid1(VALU_DEP_1)
	v_mul_f64_e32 v[22:23], v[14:15], v[8:9]
	v_fma_f64 v[12:13], v[8:9], v[14:15], -v[22:23]
	s_delay_alu instid0(VALU_DEP_1) | instskip(NEXT) | instid1(VALU_DEP_1)
	v_fmac_f64_e32 v[12:13], v[8:9], v[10:11]
	v_add_f64_e32 v[24:25], v[22:23], v[12:13]
	s_delay_alu instid0(VALU_DEP_1) | instskip(SKIP_1) | instid1(VALU_DEP_2)
	v_add_f64_e64 v[26:27], v[20:21], -v[24:25]
	v_add_f64_e64 v[18:19], v[24:25], -v[22:23]
	;; [unrolled: 1-line block ×3, first 2 shown]
	s_delay_alu instid0(VALU_DEP_2) | instskip(NEXT) | instid1(VALU_DEP_2)
	v_add_f64_e64 v[12:13], v[18:19], -v[12:13]
	v_add_f64_e64 v[20:21], v[20:21], -v[24:25]
	s_delay_alu instid0(VALU_DEP_1) | instskip(NEXT) | instid1(VALU_DEP_1)
	v_add_f64_e32 v[6:7], v[6:7], v[20:21]
	v_add_f64_e32 v[6:7], v[12:13], v[6:7]
	s_delay_alu instid0(VALU_DEP_1) | instskip(NEXT) | instid1(VALU_DEP_1)
	v_add_f64_e32 v[12:13], v[26:27], v[6:7]
	v_mul_f64_e32 v[18:19], v[16:17], v[12:13]
	v_add_f64_e64 v[24:25], v[26:27], -v[12:13]
	s_delay_alu instid0(VALU_DEP_2) | instskip(NEXT) | instid1(VALU_DEP_2)
	v_mul_f64_e32 v[20:21], v[14:15], v[18:19]
	v_add_f64_e32 v[6:7], v[6:7], v[24:25]
	s_delay_alu instid0(VALU_DEP_2) | instskip(NEXT) | instid1(VALU_DEP_1)
	v_fma_f64 v[14:15], v[18:19], v[14:15], -v[20:21]
	v_fmac_f64_e32 v[14:15], v[18:19], v[10:11]
	s_delay_alu instid0(VALU_DEP_1) | instskip(NEXT) | instid1(VALU_DEP_1)
	v_add_f64_e32 v[10:11], v[20:21], v[14:15]
	v_add_f64_e64 v[22:23], v[12:13], -v[10:11]
	v_add_f64_e64 v[20:21], v[10:11], -v[20:21]
	s_delay_alu instid0(VALU_DEP_2) | instskip(NEXT) | instid1(VALU_DEP_1)
	v_add_f64_e64 v[12:13], v[12:13], -v[22:23]
	v_add_f64_e64 v[10:11], v[12:13], -v[10:11]
	s_delay_alu instid0(VALU_DEP_3) | instskip(NEXT) | instid1(VALU_DEP_2)
	v_add_f64_e64 v[12:13], v[20:21], -v[14:15]
	v_add_f64_e32 v[6:7], v[6:7], v[10:11]
	v_add_f64_e32 v[10:11], v[8:9], v[18:19]
	s_delay_alu instid0(VALU_DEP_2) | instskip(NEXT) | instid1(VALU_DEP_2)
	v_add_f64_e32 v[6:7], v[12:13], v[6:7]
	v_add_f64_e64 v[8:9], v[10:11], -v[8:9]
	s_delay_alu instid0(VALU_DEP_2) | instskip(NEXT) | instid1(VALU_DEP_2)
	v_add_f64_e32 v[6:7], v[22:23], v[6:7]
	v_add_f64_e64 v[8:9], v[18:19], -v[8:9]
	s_delay_alu instid0(VALU_DEP_2) | instskip(NEXT) | instid1(VALU_DEP_1)
	v_mul_f64_e32 v[6:7], v[16:17], v[6:7]
	v_add_f64_e32 v[6:7], v[8:9], v[6:7]
	s_delay_alu instid0(VALU_DEP_1) | instskip(NEXT) | instid1(VALU_DEP_1)
	v_add_f64_e32 v[8:9], v[10:11], v[6:7]
	v_mul_f64_e32 v[12:13], v[8:9], v[8:9]
	s_delay_alu instid0(VALU_DEP_1) | instskip(SKIP_2) | instid1(VALU_DEP_2)
	v_fmaak_f64 v[14:15], s[0:1], v[12:13], 0x3fc385386b47b09a
	v_mul_f64_e32 v[16:17], v[8:9], v[12:13]
	s_mov_b64 s[0:1], 0x3fe62e42fefa39ef
	v_fmaak_f64 v[14:15], v[12:13], v[14:15], 0x3fc7474dd7f4df2e
	s_delay_alu instid0(VALU_DEP_1) | instskip(NEXT) | instid1(VALU_DEP_1)
	v_fmaak_f64 v[14:15], v[12:13], v[14:15], 0x3fcc71c016291751
	v_fmaak_f64 v[14:15], v[12:13], v[14:15], 0x3fd249249b27acf1
	s_delay_alu instid0(VALU_DEP_1) | instskip(NEXT) | instid1(VALU_DEP_1)
	v_fmaak_f64 v[14:15], v[12:13], v[14:15], 0x3fd99999998ef7b6
	v_fmaak_f64 v[12:13], v[12:13], v[14:15], 0x3fe5555555555780
	v_ldexp_f64 v[14:15], v[8:9], 1
	v_add_f64_e64 v[8:9], v[8:9], -v[10:11]
	s_delay_alu instid0(VALU_DEP_3) | instskip(SKIP_1) | instid1(VALU_DEP_3)
	v_mul_f64_e32 v[12:13], v[16:17], v[12:13]
	v_cvt_f64_i32_e32 v[16:17], v3
	v_add_f64_e64 v[6:7], v[6:7], -v[8:9]
	s_delay_alu instid0(VALU_DEP_3) | instskip(NEXT) | instid1(VALU_DEP_2)
	v_add_f64_e32 v[10:11], v[14:15], v[12:13]
	v_ldexp_f64 v[6:7], v[6:7], 1
	s_delay_alu instid0(VALU_DEP_2) | instskip(SKIP_1) | instid1(VALU_DEP_2)
	v_add_f64_e64 v[8:9], v[10:11], -v[14:15]
	v_mul_f64_e32 v[14:15], 0x3fe62e42fefa39ef, v[16:17]
	v_add_f64_e64 v[8:9], v[12:13], -v[8:9]
	s_delay_alu instid0(VALU_DEP_2) | instskip(SKIP_2) | instid1(VALU_DEP_4)
	v_fma_f64 v[12:13], v[16:17], s[0:1], -v[14:15]
	v_cmp_neq_f64_e64 s0, 0x7ff00000, v[0:1]
	v_cmp_ngt_f64_e64 s1, -1.0, v[0:1]
	v_add_f64_e32 v[6:7], v[6:7], v[8:9]
	s_delay_alu instid0(VALU_DEP_4) | instskip(SKIP_1) | instid1(VALU_DEP_1)
	v_fmamk_f64 v[8:9], v[16:17], 0x3c7abc9e3b39803f, v[12:13]
	s_and_b32 vcc_lo, vcc_lo, s0
	v_add_f64_e32 v[12:13], v[14:15], v[8:9]
	s_delay_alu instid0(VALU_DEP_3) | instskip(NEXT) | instid1(VALU_DEP_2)
	v_add_f64_e32 v[16:17], v[10:11], v[6:7]
	v_add_f64_e64 v[14:15], v[12:13], -v[14:15]
	s_delay_alu instid0(VALU_DEP_2) | instskip(SKIP_1) | instid1(VALU_DEP_3)
	v_add_f64_e32 v[18:19], v[12:13], v[16:17]
	v_add_f64_e64 v[10:11], v[16:17], -v[10:11]
	v_add_f64_e64 v[8:9], v[8:9], -v[14:15]
	s_delay_alu instid0(VALU_DEP_3) | instskip(NEXT) | instid1(VALU_DEP_3)
	v_add_f64_e64 v[20:21], v[18:19], -v[12:13]
	v_add_f64_e64 v[6:7], v[6:7], -v[10:11]
	s_delay_alu instid0(VALU_DEP_2) | instskip(SKIP_1) | instid1(VALU_DEP_3)
	v_add_f64_e64 v[22:23], v[18:19], -v[20:21]
	v_add_f64_e64 v[10:11], v[16:17], -v[20:21]
	v_add_f64_e32 v[14:15], v[8:9], v[6:7]
	s_delay_alu instid0(VALU_DEP_3) | instskip(NEXT) | instid1(VALU_DEP_1)
	v_add_f64_e64 v[12:13], v[12:13], -v[22:23]
	v_add_f64_e32 v[10:11], v[10:11], v[12:13]
	s_delay_alu instid0(VALU_DEP_3) | instskip(NEXT) | instid1(VALU_DEP_2)
	v_add_f64_e64 v[12:13], v[14:15], -v[8:9]
	v_add_f64_e32 v[10:11], v[14:15], v[10:11]
	s_delay_alu instid0(VALU_DEP_2) | instskip(SKIP_1) | instid1(VALU_DEP_3)
	v_add_f64_e64 v[14:15], v[14:15], -v[12:13]
	v_add_f64_e64 v[6:7], v[6:7], -v[12:13]
	v_add_f64_e32 v[16:17], v[18:19], v[10:11]
	s_delay_alu instid0(VALU_DEP_3) | instskip(NEXT) | instid1(VALU_DEP_2)
	v_add_f64_e64 v[8:9], v[8:9], -v[14:15]
	v_add_f64_e64 v[12:13], v[16:17], -v[18:19]
	s_delay_alu instid0(VALU_DEP_2) | instskip(NEXT) | instid1(VALU_DEP_2)
	v_add_f64_e32 v[6:7], v[6:7], v[8:9]
	v_add_f64_e64 v[8:9], v[10:11], -v[12:13]
	s_delay_alu instid0(VALU_DEP_1) | instskip(NEXT) | instid1(VALU_DEP_1)
	v_add_f64_e32 v[6:7], v[6:7], v[8:9]
	v_add_f64_e32 v[6:7], v[16:17], v[6:7]
	s_delay_alu instid0(VALU_DEP_1) | instskip(SKIP_1) | instid1(VALU_DEP_3)
	v_cndmask_b32_e32 v6, 0, v6, vcc_lo
	v_cmp_neq_f64_e32 vcc_lo, -1.0, v[0:1]
	v_cndmask_b32_e64 v3, 0x7ff00000, v7, s0
	s_delay_alu instid0(VALU_DEP_1) | instskip(NEXT) | instid1(VALU_DEP_1)
	v_cndmask_b32_e64 v3, 0x7ff80000, v3, s1
	v_cndmask_b32_e32 v7, 0xfff00000, v3, vcc_lo
	s_delay_alu instid0(VALU_DEP_1) | instskip(NEXT) | instid1(VALU_DEP_1)
	v_div_scale_f64 v[0:1], null, s[8:9], s[8:9], v[6:7]
	v_rcp_f64_e32 v[8:9], v[0:1]
	v_nop
	s_delay_alu instid0(TRANS32_DEP_1) | instskip(NEXT) | instid1(VALU_DEP_1)
	v_fma_f64 v[10:11], -v[0:1], v[8:9], 1.0
	v_fmac_f64_e32 v[8:9], v[8:9], v[10:11]
	s_delay_alu instid0(VALU_DEP_1) | instskip(NEXT) | instid1(VALU_DEP_1)
	v_fma_f64 v[10:11], -v[0:1], v[8:9], 1.0
	v_fmac_f64_e32 v[8:9], v[8:9], v[10:11]
	v_div_scale_f64 v[10:11], vcc_lo, v[6:7], s[8:9], v[6:7]
	s_delay_alu instid0(VALU_DEP_1) | instskip(NEXT) | instid1(VALU_DEP_1)
	v_mul_f64_e32 v[12:13], v[10:11], v[8:9]
	v_fma_f64 v[0:1], -v[0:1], v[12:13], v[10:11]
	s_delay_alu instid0(VALU_DEP_1) | instskip(NEXT) | instid1(VALU_DEP_1)
	v_div_fmas_f64 v[0:1], v[0:1], v[8:9], v[12:13]
	v_div_fixup_f64 v[0:1], v[0:1], s[8:9], v[6:7]
.LBB7_28:
	s_or_b32 exec_lo, exec_lo, s22
	v_mov_b32_e32 v3, 0
	s_and_b32 s1, s38, 0xff
	s_delay_alu instid0(SALU_CYCLE_1) | instskip(NEXT) | instid1(VALU_DEP_1)
	s_cmp_lt_i32 s1, 11
	v_add_nc_u64_e32 v[6:7], s[4:5], v[2:3]
	s_cbranch_scc1 .LBB7_36
; %bb.29:
	s_and_b32 s22, 0xffff, s1
	s_delay_alu instid0(SALU_CYCLE_1)
	s_cmp_gt_i32 s22, 25
	s_cbranch_scc0 .LBB7_39
; %bb.30:
	s_cmp_gt_i32 s22, 28
	s_cbranch_scc0 .LBB7_41
; %bb.31:
	;; [unrolled: 3-line block ×4, first 2 shown]
	s_mov_b32 s30, 0
	s_mov_b32 s0, -1
	s_cmp_eq_u32 s22, 46
	s_mov_b32 s29, 0
	s_cbranch_scc0 .LBB7_50
; %bb.34:
	s_delay_alu instid0(VALU_DEP_3) | instskip(SKIP_2) | instid1(VALU_DEP_1)
	v_cvt_f32_f64_e32 v2, v[0:1]
	s_mov_b32 s29, -1
	s_mov_b32 s0, 0
	v_bfe_u32 v3, v2, 16, 1
	v_cmp_o_f32_e32 vcc_lo, v2, v2
	s_delay_alu instid0(VALU_DEP_2) | instskip(NEXT) | instid1(VALU_DEP_1)
	v_add3_u32 v3, v2, v3, 0x7fff
	v_lshrrev_b32_e32 v3, 16, v3
	s_delay_alu instid0(VALU_DEP_1)
	v_cndmask_b32_e32 v2, 0x7fc0, v3, vcc_lo
	global_store_b32 v[6:7], v2, off
	s_branch .LBB7_50
.LBB7_35:
	s_mov_b32 s28, 0
	s_mov_b32 s1, 0
                                        ; implicit-def: $vgpr0_vgpr1
	s_cbranch_execnz .LBB7_184
	s_branch .LBB7_218
.LBB7_36:
	s_mov_b32 s0, 0
	s_mov_b32 s29, 0
	s_cbranch_execnz .LBB7_119
.LBB7_37:
	s_and_not1_b32 vcc_lo, exec_lo, s29
	s_cbranch_vccz .LBB7_157
	s_branch .LBB7_267
.LBB7_38:
	s_mov_b32 s22, -1
	s_mov_b32 s28, 0
	s_mov_b32 s1, 0
                                        ; implicit-def: $vgpr0_vgpr1
	s_branch .LBB7_165
.LBB7_39:
	s_mov_b32 s30, -1
	s_mov_b32 s0, 0
	s_mov_b32 s29, 0
	s_branch .LBB7_77
.LBB7_40:
	s_mov_b32 s22, -1
	s_mov_b32 s28, 0
	s_mov_b32 s1, 0
                                        ; implicit-def: $vgpr0_vgpr1
	s_branch .LBB7_160
.LBB7_41:
	s_mov_b32 s30, -1
	s_mov_b32 s0, 0
	s_mov_b32 s29, 0
	s_branch .LBB7_60
.LBB7_42:
	s_mov_b32 s22, -1
	s_mov_b32 s28, 0
	s_branch .LBB7_45
.LBB7_43:
	s_mov_b32 s30, -1
	s_mov_b32 s0, 0
	s_mov_b32 s29, 0
	s_branch .LBB7_56
.LBB7_44:
	s_mov_b32 s28, -1
.LBB7_45:
	s_mov_b32 s1, 0
                                        ; implicit-def: $vgpr0_vgpr1
.LBB7_46:
	s_and_b32 vcc_lo, exec_lo, s22
	s_cbranch_vccz .LBB7_159
; %bb.47:
	s_cmp_eq_u32 s0, 44
	s_cbranch_scc0 .LBB7_158
; %bb.48:
	global_load_u8 v3, v[6:7], off
	s_mov_b32 s28, 0
	s_mov_b32 s1, -1
	s_wait_loadcnt 0x0
	v_cmp_ne_u32_e32 vcc_lo, 0xff, v3
	v_lshlrev_b32_e32 v0, 23, v3
	s_delay_alu instid0(VALU_DEP_1) | instskip(NEXT) | instid1(VALU_DEP_1)
	v_cvt_f64_f32_e32 v[0:1], v0
	v_cndmask_b32_e32 v0, 0x20000000, v0, vcc_lo
	s_delay_alu instid0(VALU_DEP_2) | instskip(SKIP_1) | instid1(VALU_DEP_2)
	v_cndmask_b32_e32 v1, 0x7ff80000, v1, vcc_lo
	v_cmp_ne_u32_e32 vcc_lo, 0, v3
	v_cndmask_b32_e32 v1, 0x38000000, v1, vcc_lo
	s_delay_alu instid0(VALU_DEP_4)
	v_cndmask_b32_e32 v0, 0, v0, vcc_lo
	s_branch .LBB7_159
.LBB7_49:
	s_mov_b32 s30, -1
	s_mov_b32 s0, 0
	s_mov_b32 s29, 0
.LBB7_50:
	s_and_b32 vcc_lo, exec_lo, s30
	s_cbranch_vccz .LBB7_55
; %bb.51:
	s_cmp_eq_u32 s22, 44
	s_mov_b32 s0, -1
	s_cbranch_scc0 .LBB7_55
; %bb.52:
	s_wait_xcnt 0x0
	s_delay_alu instid0(VALU_DEP_3) | instskip(SKIP_2) | instid1(VALU_DEP_2)
	v_cvt_f32_f64_e32 v2, v[0:1]
	v_mov_b32_e32 v3, 0xff
	s_mov_b32 s29, exec_lo
	v_bfe_u32 v5, v2, 23, 8
	s_delay_alu instid0(VALU_DEP_1)
	v_cmpx_ne_u32_e32 0xff, v5
	s_cbranch_execz .LBB7_54
; %bb.53:
	v_and_b32_e32 v3, 0x400000, v2
	v_and_or_b32 v5, 0x3fffff, v2, v5
	v_lshrrev_b32_e32 v2, 23, v2
	s_delay_alu instid0(VALU_DEP_3) | instskip(NEXT) | instid1(VALU_DEP_3)
	v_cmp_ne_u32_e32 vcc_lo, 0, v3
	v_cmp_ne_u32_e64 s0, 0, v5
	s_and_b32 s0, vcc_lo, s0
	s_delay_alu instid0(SALU_CYCLE_1) | instskip(NEXT) | instid1(VALU_DEP_1)
	v_cndmask_b32_e64 v3, 0, 1, s0
	v_add_nc_u32_e32 v3, v2, v3
.LBB7_54:
	s_or_b32 exec_lo, exec_lo, s29
	s_mov_b32 s29, -1
	s_mov_b32 s0, 0
	global_store_b8 v[6:7], v3, off
.LBB7_55:
	s_mov_b32 s30, 0
.LBB7_56:
	s_delay_alu instid0(SALU_CYCLE_1)
	s_and_b32 vcc_lo, exec_lo, s30
	s_cbranch_vccz .LBB7_59
; %bb.57:
	s_cmp_eq_u32 s22, 29
	s_mov_b32 s0, -1
	s_cbranch_scc0 .LBB7_59
; %bb.58:
	s_wait_xcnt 0x0
	s_delay_alu instid0(VALU_DEP_3) | instskip(SKIP_3) | instid1(VALU_DEP_1)
	v_trunc_f64_e32 v[2:3], v[0:1]
	s_mov_b32 s29, -1
	s_mov_b32 s0, 0
	s_mov_b32 s30, 0
	v_ldexp_f64 v[8:9], v[2:3], 0xffffffe0
	s_delay_alu instid0(VALU_DEP_1) | instskip(NEXT) | instid1(VALU_DEP_1)
	v_floor_f64_e32 v[8:9], v[8:9]
	v_fmamk_f64 v[2:3], v[8:9], 0xc1f00000, v[2:3]
	v_cvt_u32_f64_e32 v9, v[8:9]
	s_delay_alu instid0(VALU_DEP_2)
	v_cvt_u32_f64_e32 v8, v[2:3]
	global_store_b64 v[6:7], v[8:9], off
	s_branch .LBB7_60
.LBB7_59:
	s_mov_b32 s30, 0
.LBB7_60:
	s_delay_alu instid0(SALU_CYCLE_1)
	s_and_b32 vcc_lo, exec_lo, s30
	s_cbranch_vccz .LBB7_76
; %bb.61:
	s_cmp_lt_i32 s22, 27
	s_mov_b32 s29, -1
	s_cbranch_scc1 .LBB7_67
; %bb.62:
	s_wait_xcnt 0x0
	s_delay_alu instid0(VALU_DEP_3)
	v_cvt_u32_f64_e32 v2, v[0:1]
	s_cmp_gt_i32 s22, 27
	s_cbranch_scc0 .LBB7_64
; %bb.63:
	s_mov_b32 s29, 0
	global_store_b32 v[6:7], v2, off
.LBB7_64:
	s_and_not1_b32 vcc_lo, exec_lo, s29
	s_cbranch_vccnz .LBB7_66
; %bb.65:
	global_store_b16 v[6:7], v2, off
.LBB7_66:
	s_mov_b32 s29, 0
.LBB7_67:
	s_delay_alu instid0(SALU_CYCLE_1)
	s_and_not1_b32 vcc_lo, exec_lo, s29
	s_cbranch_vccnz .LBB7_75
; %bb.68:
	s_wait_xcnt 0x0
	s_delay_alu instid0(VALU_DEP_3) | instskip(SKIP_2) | instid1(VALU_DEP_2)
	v_cvt_f32_f64_e32 v2, v[0:1]
	v_mov_b32_e32 v5, 0x80
	s_mov_b32 s29, exec_lo
	v_and_b32_e32 v3, 0x7fffffff, v2
	s_delay_alu instid0(VALU_DEP_1)
	v_cmpx_gt_u32_e32 0x43800000, v3
	s_cbranch_execz .LBB7_74
; %bb.69:
	v_cmp_lt_u32_e32 vcc_lo, 0x3bffffff, v3
	s_mov_b32 s30, 0
                                        ; implicit-def: $vgpr3
	s_and_saveexec_b32 s31, vcc_lo
	s_delay_alu instid0(SALU_CYCLE_1)
	s_xor_b32 s31, exec_lo, s31
	s_cbranch_execz .LBB7_314
; %bb.70:
	v_bfe_u32 v3, v2, 20, 1
	s_mov_b32 s30, exec_lo
	s_delay_alu instid0(VALU_DEP_1) | instskip(NEXT) | instid1(VALU_DEP_1)
	v_add3_u32 v3, v2, v3, 0x487ffff
	v_lshrrev_b32_e32 v3, 20, v3
	s_and_not1_saveexec_b32 s31, s31
	s_cbranch_execnz .LBB7_315
.LBB7_71:
	s_or_b32 exec_lo, exec_lo, s31
	v_mov_b32_e32 v5, 0
	s_and_saveexec_b32 s31, s30
.LBB7_72:
	v_lshrrev_b32_e32 v2, 24, v2
	s_delay_alu instid0(VALU_DEP_1)
	v_and_or_b32 v5, 0x80, v2, v3
.LBB7_73:
	s_or_b32 exec_lo, exec_lo, s31
.LBB7_74:
	s_delay_alu instid0(SALU_CYCLE_1)
	s_or_b32 exec_lo, exec_lo, s29
	global_store_b8 v[6:7], v5, off
.LBB7_75:
	s_mov_b32 s29, -1
.LBB7_76:
	s_mov_b32 s30, 0
.LBB7_77:
	s_delay_alu instid0(SALU_CYCLE_1)
	s_and_b32 vcc_lo, exec_lo, s30
	s_cbranch_vccz .LBB7_118
; %bb.78:
	s_cmp_gt_i32 s22, 22
	s_mov_b32 s30, -1
	s_cbranch_scc0 .LBB7_110
; %bb.79:
	s_cmp_lt_i32 s22, 24
	s_mov_b32 s29, -1
	s_cbranch_scc1 .LBB7_99
; %bb.80:
	s_cmp_gt_i32 s22, 24
	s_cbranch_scc0 .LBB7_88
; %bb.81:
	s_wait_xcnt 0x0
	s_delay_alu instid0(VALU_DEP_3) | instskip(SKIP_2) | instid1(VALU_DEP_2)
	v_cvt_f32_f64_e32 v2, v[0:1]
	v_mov_b32_e32 v5, 0x80
	s_mov_b32 s29, exec_lo
	v_and_b32_e32 v3, 0x7fffffff, v2
	s_delay_alu instid0(VALU_DEP_1)
	v_cmpx_gt_u32_e32 0x47800000, v3
	s_cbranch_execz .LBB7_87
; %bb.82:
	v_cmp_lt_u32_e32 vcc_lo, 0x37ffffff, v3
	s_mov_b32 s30, 0
                                        ; implicit-def: $vgpr3
	s_and_saveexec_b32 s31, vcc_lo
	s_delay_alu instid0(SALU_CYCLE_1)
	s_xor_b32 s31, exec_lo, s31
	s_cbranch_execz .LBB7_318
; %bb.83:
	v_bfe_u32 v3, v2, 21, 1
	s_mov_b32 s30, exec_lo
	s_delay_alu instid0(VALU_DEP_1) | instskip(NEXT) | instid1(VALU_DEP_1)
	v_add3_u32 v3, v2, v3, 0x88fffff
	v_lshrrev_b32_e32 v3, 21, v3
	s_and_not1_saveexec_b32 s31, s31
	s_cbranch_execnz .LBB7_319
.LBB7_84:
	s_or_b32 exec_lo, exec_lo, s31
	v_mov_b32_e32 v5, 0
	s_and_saveexec_b32 s31, s30
.LBB7_85:
	v_lshrrev_b32_e32 v2, 24, v2
	s_delay_alu instid0(VALU_DEP_1)
	v_and_or_b32 v5, 0x80, v2, v3
.LBB7_86:
	s_or_b32 exec_lo, exec_lo, s31
.LBB7_87:
	s_delay_alu instid0(SALU_CYCLE_1)
	s_or_b32 exec_lo, exec_lo, s29
	s_mov_b32 s29, 0
	global_store_b8 v[6:7], v5, off
.LBB7_88:
	s_and_b32 vcc_lo, exec_lo, s29
	s_cbranch_vccz .LBB7_98
; %bb.89:
	s_wait_xcnt 0x0
	s_delay_alu instid0(VALU_DEP_3) | instskip(SKIP_1) | instid1(VALU_DEP_1)
	v_cvt_f32_f64_e32 v2, v[0:1]
	s_mov_b32 s29, exec_lo
                                        ; implicit-def: $vgpr3
	v_and_b32_e32 v5, 0x7fffffff, v2
	s_delay_alu instid0(VALU_DEP_1)
	v_cmpx_gt_u32_e32 0x43f00000, v5
	s_xor_b32 s29, exec_lo, s29
	s_cbranch_execz .LBB7_95
; %bb.90:
	s_mov_b32 s30, exec_lo
                                        ; implicit-def: $vgpr3
	v_cmpx_lt_u32_e32 0x3c7fffff, v5
	s_xor_b32 s30, exec_lo, s30
; %bb.91:
	v_bfe_u32 v3, v2, 20, 1
	s_delay_alu instid0(VALU_DEP_1) | instskip(NEXT) | instid1(VALU_DEP_1)
	v_add3_u32 v3, v2, v3, 0x407ffff
	v_and_b32_e32 v5, 0xff00000, v3
	v_lshrrev_b32_e32 v3, 20, v3
	s_delay_alu instid0(VALU_DEP_2) | instskip(NEXT) | instid1(VALU_DEP_2)
	v_cmp_ne_u32_e32 vcc_lo, 0x7f00000, v5
	v_cndmask_b32_e32 v3, 0x7e, v3, vcc_lo
; %bb.92:
	s_and_not1_saveexec_b32 s30, s30
; %bb.93:
	v_add_f32_e64 v3, 0x46800000, |v2|
; %bb.94:
	s_or_b32 exec_lo, exec_lo, s30
                                        ; implicit-def: $vgpr5
.LBB7_95:
	s_and_not1_saveexec_b32 s29, s29
; %bb.96:
	v_mov_b32_e32 v3, 0x7f
	v_cmp_lt_u32_e32 vcc_lo, 0x7f800000, v5
	s_delay_alu instid0(VALU_DEP_2)
	v_cndmask_b32_e32 v3, 0x7e, v3, vcc_lo
; %bb.97:
	s_or_b32 exec_lo, exec_lo, s29
	v_lshrrev_b32_e32 v2, 24, v2
	s_delay_alu instid0(VALU_DEP_1)
	v_and_or_b32 v2, 0x80, v2, v3
	global_store_b8 v[6:7], v2, off
.LBB7_98:
	s_mov_b32 s29, 0
.LBB7_99:
	s_delay_alu instid0(SALU_CYCLE_1)
	s_and_not1_b32 vcc_lo, exec_lo, s29
	s_cbranch_vccnz .LBB7_109
; %bb.100:
	s_wait_xcnt 0x0
	s_delay_alu instid0(VALU_DEP_3) | instskip(SKIP_1) | instid1(VALU_DEP_1)
	v_cvt_f32_f64_e32 v2, v[0:1]
	s_mov_b32 s29, exec_lo
                                        ; implicit-def: $vgpr3
	v_and_b32_e32 v5, 0x7fffffff, v2
	s_delay_alu instid0(VALU_DEP_1)
	v_cmpx_gt_u32_e32 0x47800000, v5
	s_xor_b32 s29, exec_lo, s29
	s_cbranch_execz .LBB7_106
; %bb.101:
	s_mov_b32 s30, exec_lo
                                        ; implicit-def: $vgpr3
	v_cmpx_lt_u32_e32 0x387fffff, v5
	s_xor_b32 s30, exec_lo, s30
; %bb.102:
	v_bfe_u32 v3, v2, 21, 1
	s_delay_alu instid0(VALU_DEP_1) | instskip(NEXT) | instid1(VALU_DEP_1)
	v_add3_u32 v3, v2, v3, 0x80fffff
	v_lshrrev_b32_e32 v3, 21, v3
; %bb.103:
	s_and_not1_saveexec_b32 s30, s30
; %bb.104:
	v_add_f32_e64 v3, 0x43000000, |v2|
; %bb.105:
	s_or_b32 exec_lo, exec_lo, s30
                                        ; implicit-def: $vgpr5
.LBB7_106:
	s_and_not1_saveexec_b32 s29, s29
; %bb.107:
	v_mov_b32_e32 v3, 0x7f
	v_cmp_lt_u32_e32 vcc_lo, 0x7f800000, v5
	s_delay_alu instid0(VALU_DEP_2)
	v_cndmask_b32_e32 v3, 0x7c, v3, vcc_lo
; %bb.108:
	s_or_b32 exec_lo, exec_lo, s29
	v_lshrrev_b32_e32 v2, 24, v2
	s_delay_alu instid0(VALU_DEP_1)
	v_and_or_b32 v2, 0x80, v2, v3
	global_store_b8 v[6:7], v2, off
.LBB7_109:
	s_mov_b32 s30, 0
	s_mov_b32 s29, -1
.LBB7_110:
	s_and_not1_b32 vcc_lo, exec_lo, s30
	s_cbranch_vccnz .LBB7_118
; %bb.111:
	s_cmp_gt_i32 s22, 14
	s_mov_b32 s30, -1
	s_cbranch_scc0 .LBB7_115
; %bb.112:
	s_cmp_eq_u32 s22, 15
	s_mov_b32 s0, -1
	s_cbranch_scc0 .LBB7_114
; %bb.113:
	s_wait_xcnt 0x0
	s_delay_alu instid0(VALU_DEP_3) | instskip(SKIP_2) | instid1(VALU_DEP_1)
	v_cvt_f32_f64_e32 v2, v[0:1]
	s_mov_b32 s29, -1
	s_mov_b32 s0, 0
	v_bfe_u32 v3, v2, 16, 1
	v_cmp_o_f32_e32 vcc_lo, v2, v2
	s_delay_alu instid0(VALU_DEP_2) | instskip(NEXT) | instid1(VALU_DEP_1)
	v_add3_u32 v3, v2, v3, 0x7fff
	v_lshrrev_b32_e32 v3, 16, v3
	s_delay_alu instid0(VALU_DEP_1)
	v_cndmask_b32_e32 v2, 0x7fc0, v3, vcc_lo
	global_store_b16 v[6:7], v2, off
.LBB7_114:
	s_mov_b32 s30, 0
.LBB7_115:
	s_delay_alu instid0(SALU_CYCLE_1)
	s_and_b32 vcc_lo, exec_lo, s30
	s_cbranch_vccz .LBB7_118
; %bb.116:
	s_cmp_eq_u32 s22, 11
	s_mov_b32 s0, -1
	s_cbranch_scc0 .LBB7_118
; %bb.117:
	s_delay_alu instid0(VALU_DEP_3)
	v_cmp_neq_f64_e32 vcc_lo, 0, v[0:1]
	s_mov_b32 s29, -1
	s_mov_b32 s0, 0
	s_wait_xcnt 0x0
	v_cndmask_b32_e64 v2, 0, 1, vcc_lo
	global_store_b8 v[6:7], v2, off
.LBB7_118:
	s_branch .LBB7_37
.LBB7_119:
	s_and_b32 s1, 0xffff, s1
	s_mov_b32 s22, -1
	s_cmp_lt_i32 s1, 5
	s_cbranch_scc1 .LBB7_140
; %bb.120:
	s_cmp_lt_i32 s1, 8
	s_cbranch_scc1 .LBB7_130
; %bb.121:
	;; [unrolled: 3-line block ×3, first 2 shown]
	s_cmp_gt_i32 s1, 9
	s_cbranch_scc0 .LBB7_124
; %bb.123:
	s_wait_xcnt 0x0
	v_mov_b32_e32 v2, 0
	s_mov_b32 s22, 0
	s_delay_alu instid0(VALU_DEP_1)
	v_mov_b32_e32 v3, v2
	global_store_b128 v[6:7], v[0:3], off
.LBB7_124:
	s_and_not1_b32 vcc_lo, exec_lo, s22
	s_cbranch_vccnz .LBB7_126
; %bb.125:
	s_wait_xcnt 0x0
	s_delay_alu instid0(VALU_DEP_3)
	v_cvt_f32_f64_e32 v2, v[0:1]
	v_mov_b32_e32 v3, 0
	global_store_b64 v[6:7], v[2:3], off
.LBB7_126:
	s_mov_b32 s22, 0
.LBB7_127:
	s_delay_alu instid0(SALU_CYCLE_1)
	s_and_not1_b32 vcc_lo, exec_lo, s22
	s_cbranch_vccnz .LBB7_129
; %bb.128:
	s_wait_xcnt 0x0
	s_delay_alu instid0(VALU_DEP_3) | instskip(SKIP_2) | instid1(VALU_DEP_3)
	v_and_or_b32 v2, 0x1ff, v1, v0
	v_lshrrev_b32_e32 v3, 8, v1
	v_bfe_u32 v5, v1, 20, 11
	v_cmp_ne_u32_e32 vcc_lo, 0, v2
	s_delay_alu instid0(VALU_DEP_2) | instskip(SKIP_2) | instid1(VALU_DEP_1)
	v_sub_nc_u32_e32 v8, 0x3f1, v5
	v_add_nc_u32_e32 v5, 0xfffffc10, v5
	v_cndmask_b32_e64 v2, 0, 1, vcc_lo
	v_and_or_b32 v2, 0xffe, v3, v2
	s_delay_alu instid0(VALU_DEP_4) | instskip(NEXT) | instid1(VALU_DEP_2)
	v_med3_i32 v3, v8, 0, 13
	v_or_b32_e32 v8, 0x1000, v2
	s_delay_alu instid0(VALU_DEP_1) | instskip(NEXT) | instid1(VALU_DEP_1)
	v_lshrrev_b32_e32 v9, v3, v8
	v_lshlrev_b32_e32 v3, v3, v9
	s_delay_alu instid0(VALU_DEP_1) | instskip(SKIP_3) | instid1(VALU_DEP_2)
	v_cmp_ne_u32_e32 vcc_lo, v3, v8
	v_lshl_or_b32 v8, v5, 12, v2
	v_cndmask_b32_e64 v3, 0, 1, vcc_lo
	v_cmp_gt_i32_e32 vcc_lo, 1, v5
	v_or_b32_e32 v3, v9, v3
	s_delay_alu instid0(VALU_DEP_1) | instskip(NEXT) | instid1(VALU_DEP_1)
	v_cndmask_b32_e32 v3, v8, v3, vcc_lo
	v_dual_lshrrev_b32 v3, 2, v3 :: v_dual_bitop2_b32 v8, 7, v3 bitop3:0x40
	s_delay_alu instid0(VALU_DEP_1) | instskip(SKIP_4) | instid1(VALU_DEP_2)
	v_cmp_lt_i32_e32 vcc_lo, 5, v8
	v_cndmask_b32_e64 v9, 0, 1, vcc_lo
	v_cmp_eq_u32_e32 vcc_lo, 3, v8
	v_cndmask_b32_e64 v8, 0, 1, vcc_lo
	v_cmp_ne_u32_e32 vcc_lo, 0, v2
	v_or_b32_e32 v8, v8, v9
	v_mov_b32_e32 v9, 0x7e00
	s_delay_alu instid0(VALU_DEP_1) | instskip(SKIP_1) | instid1(VALU_DEP_2)
	v_dual_cndmask_b32 v2, 0x7c00, v9 :: v_dual_add_nc_u32 v3, v3, v8
	v_cmp_gt_i32_e32 vcc_lo, 31, v5
	v_dual_cndmask_b32 v3, 0x7c00, v3 :: v_dual_lshrrev_b32 v8, 16, v1
	v_cmp_eq_u32_e32 vcc_lo, 0x40f, v5
	s_delay_alu instid0(VALU_DEP_2) | instskip(NEXT) | instid1(VALU_DEP_3)
	v_cndmask_b32_e32 v2, v3, v2, vcc_lo
	v_and_b32_e32 v3, 0x8000, v8
	s_delay_alu instid0(VALU_DEP_1)
	v_bitop3_b32 v2, v3, 0xffff, v2 bitop3:0xc8
	global_store_b32 v[6:7], v2, off
.LBB7_129:
	s_mov_b32 s22, 0
.LBB7_130:
	s_delay_alu instid0(SALU_CYCLE_1)
	s_and_not1_b32 vcc_lo, exec_lo, s22
	s_cbranch_vccnz .LBB7_139
; %bb.131:
	s_cmp_lt_i32 s1, 6
	s_mov_b32 s22, -1
	s_cbranch_scc1 .LBB7_137
; %bb.132:
	s_cmp_gt_i32 s1, 6
	s_cbranch_scc0 .LBB7_134
; %bb.133:
	s_mov_b32 s22, 0
	global_store_b64 v[6:7], v[0:1], off
.LBB7_134:
	s_and_not1_b32 vcc_lo, exec_lo, s22
	s_cbranch_vccnz .LBB7_136
; %bb.135:
	s_wait_xcnt 0x0
	s_delay_alu instid0(VALU_DEP_3)
	v_cvt_f32_f64_e32 v2, v[0:1]
	global_store_b32 v[6:7], v2, off
.LBB7_136:
	s_mov_b32 s22, 0
.LBB7_137:
	s_delay_alu instid0(SALU_CYCLE_1)
	s_and_not1_b32 vcc_lo, exec_lo, s22
	s_cbranch_vccnz .LBB7_139
; %bb.138:
	s_wait_xcnt 0x0
	s_delay_alu instid0(VALU_DEP_3) | instskip(SKIP_2) | instid1(VALU_DEP_3)
	v_and_or_b32 v2, 0x1ff, v1, v0
	v_lshrrev_b32_e32 v3, 8, v1
	v_bfe_u32 v5, v1, 20, 11
	v_cmp_ne_u32_e32 vcc_lo, 0, v2
	s_delay_alu instid0(VALU_DEP_2) | instskip(SKIP_2) | instid1(VALU_DEP_1)
	v_sub_nc_u32_e32 v8, 0x3f1, v5
	v_add_nc_u32_e32 v5, 0xfffffc10, v5
	v_cndmask_b32_e64 v2, 0, 1, vcc_lo
	v_and_or_b32 v2, 0xffe, v3, v2
	s_delay_alu instid0(VALU_DEP_4) | instskip(NEXT) | instid1(VALU_DEP_2)
	v_med3_i32 v3, v8, 0, 13
	v_or_b32_e32 v8, 0x1000, v2
	s_delay_alu instid0(VALU_DEP_1) | instskip(NEXT) | instid1(VALU_DEP_1)
	v_lshrrev_b32_e32 v9, v3, v8
	v_lshlrev_b32_e32 v3, v3, v9
	s_delay_alu instid0(VALU_DEP_1) | instskip(SKIP_3) | instid1(VALU_DEP_2)
	v_cmp_ne_u32_e32 vcc_lo, v3, v8
	v_lshl_or_b32 v8, v5, 12, v2
	v_cndmask_b32_e64 v3, 0, 1, vcc_lo
	v_cmp_gt_i32_e32 vcc_lo, 1, v5
	v_or_b32_e32 v3, v9, v3
	s_delay_alu instid0(VALU_DEP_1) | instskip(NEXT) | instid1(VALU_DEP_1)
	v_cndmask_b32_e32 v3, v8, v3, vcc_lo
	v_dual_lshrrev_b32 v3, 2, v3 :: v_dual_bitop2_b32 v8, 7, v3 bitop3:0x40
	s_delay_alu instid0(VALU_DEP_1) | instskip(SKIP_4) | instid1(VALU_DEP_2)
	v_cmp_lt_i32_e32 vcc_lo, 5, v8
	v_cndmask_b32_e64 v9, 0, 1, vcc_lo
	v_cmp_eq_u32_e32 vcc_lo, 3, v8
	v_cndmask_b32_e64 v8, 0, 1, vcc_lo
	v_cmp_ne_u32_e32 vcc_lo, 0, v2
	v_or_b32_e32 v8, v8, v9
	v_mov_b32_e32 v9, 0x7e00
	s_delay_alu instid0(VALU_DEP_1) | instskip(SKIP_1) | instid1(VALU_DEP_2)
	v_dual_cndmask_b32 v2, 0x7c00, v9 :: v_dual_add_nc_u32 v3, v3, v8
	v_cmp_gt_i32_e32 vcc_lo, 31, v5
	v_cndmask_b32_e32 v3, 0x7c00, v3, vcc_lo
	v_cmp_eq_u32_e32 vcc_lo, 0x40f, v5
	s_delay_alu instid0(VALU_DEP_2) | instskip(NEXT) | instid1(VALU_DEP_1)
	v_dual_cndmask_b32 v2, v3, v2 :: v_dual_lshrrev_b32 v3, 16, v1
	v_and_or_b32 v2, 0x8000, v3, v2
	global_store_b16 v[6:7], v2, off
.LBB7_139:
	s_mov_b32 s22, 0
.LBB7_140:
	s_delay_alu instid0(SALU_CYCLE_1)
	s_and_not1_b32 vcc_lo, exec_lo, s22
	s_cbranch_vccnz .LBB7_156
; %bb.141:
	s_cmp_lt_i32 s1, 2
	s_mov_b32 s22, -1
	s_cbranch_scc1 .LBB7_151
; %bb.142:
	s_cmp_lt_i32 s1, 3
	s_cbranch_scc1 .LBB7_148
; %bb.143:
	s_cmp_gt_i32 s1, 3
	s_cbranch_scc0 .LBB7_145
; %bb.144:
	s_wait_xcnt 0x0
	s_delay_alu instid0(VALU_DEP_3) | instskip(SKIP_1) | instid1(VALU_DEP_1)
	v_trunc_f64_e32 v[2:3], v[0:1]
	s_mov_b32 s22, 0
	v_ldexp_f64 v[8:9], v[2:3], 0xffffffe0
	s_delay_alu instid0(VALU_DEP_1) | instskip(NEXT) | instid1(VALU_DEP_1)
	v_floor_f64_e32 v[8:9], v[8:9]
	v_fmamk_f64 v[2:3], v[8:9], 0xc1f00000, v[2:3]
	v_cvt_i32_f64_e32 v9, v[8:9]
	s_delay_alu instid0(VALU_DEP_2)
	v_cvt_u32_f64_e32 v8, v[2:3]
	global_store_b64 v[6:7], v[8:9], off
.LBB7_145:
	s_and_not1_b32 vcc_lo, exec_lo, s22
	s_cbranch_vccnz .LBB7_147
; %bb.146:
	s_wait_xcnt 0x0
	s_delay_alu instid0(VALU_DEP_3)
	v_cvt_i32_f64_e32 v2, v[0:1]
	global_store_b32 v[6:7], v2, off
.LBB7_147:
	s_mov_b32 s22, 0
.LBB7_148:
	s_delay_alu instid0(SALU_CYCLE_1)
	s_and_not1_b32 vcc_lo, exec_lo, s22
	s_cbranch_vccnz .LBB7_150
; %bb.149:
	s_wait_xcnt 0x0
	s_delay_alu instid0(VALU_DEP_3)
	v_cvt_i32_f64_e32 v2, v[0:1]
	global_store_b16 v[6:7], v2, off
.LBB7_150:
	s_mov_b32 s22, 0
.LBB7_151:
	s_delay_alu instid0(SALU_CYCLE_1)
	s_and_not1_b32 vcc_lo, exec_lo, s22
	s_cbranch_vccnz .LBB7_156
; %bb.152:
	s_cmp_gt_i32 s1, 0
	s_mov_b32 s1, -1
	s_cbranch_scc0 .LBB7_154
; %bb.153:
	s_wait_xcnt 0x0
	s_delay_alu instid0(VALU_DEP_3)
	v_cvt_i32_f64_e32 v2, v[0:1]
	s_mov_b32 s1, 0
	global_store_b8 v[6:7], v2, off
.LBB7_154:
	s_and_not1_b32 vcc_lo, exec_lo, s1
	s_cbranch_vccnz .LBB7_156
; %bb.155:
	s_wait_xcnt 0x0
	s_delay_alu instid0(VALU_DEP_3) | instskip(NEXT) | instid1(VALU_DEP_1)
	v_trunc_f64_e32 v[0:1], v[0:1]
	v_ldexp_f64 v[2:3], v[0:1], 0xffffffe0
	s_delay_alu instid0(VALU_DEP_1) | instskip(NEXT) | instid1(VALU_DEP_1)
	v_floor_f64_e32 v[2:3], v[2:3]
	v_fmamk_f64 v[0:1], v[2:3], 0xc1f00000, v[0:1]
	s_delay_alu instid0(VALU_DEP_1)
	v_cvt_u32_f64_e32 v0, v[0:1]
	global_store_b8 v[6:7], v0, off
.LBB7_156:
.LBB7_157:
	v_add_nc_u32_e32 v4, 0x80, v4
	s_mov_b32 s1, -1
	s_branch .LBB7_268
.LBB7_158:
	s_mov_b32 s28, -1
                                        ; implicit-def: $vgpr0_vgpr1
.LBB7_159:
	s_mov_b32 s22, 0
.LBB7_160:
	s_delay_alu instid0(SALU_CYCLE_1)
	s_and_b32 vcc_lo, exec_lo, s22
	s_cbranch_vccz .LBB7_164
; %bb.161:
	s_cmp_eq_u32 s0, 29
	s_cbranch_scc0 .LBB7_163
; %bb.162:
	global_load_b64 v[0:1], v[6:7], off
	s_mov_b32 s1, -1
	s_mov_b32 s28, 0
	s_mov_b32 s22, 0
	s_wait_loadcnt 0x0
	v_cvt_f64_u32_e32 v[8:9], v1
	v_cvt_f64_u32_e32 v[0:1], v0
	s_delay_alu instid0(VALU_DEP_2) | instskip(NEXT) | instid1(VALU_DEP_1)
	v_ldexp_f64 v[8:9], v[8:9], 32
	v_add_f64_e32 v[0:1], v[8:9], v[0:1]
	s_branch .LBB7_165
.LBB7_163:
	s_mov_b32 s28, -1
                                        ; implicit-def: $vgpr0_vgpr1
.LBB7_164:
	s_mov_b32 s22, 0
.LBB7_165:
	s_delay_alu instid0(SALU_CYCLE_1)
	s_and_b32 vcc_lo, exec_lo, s22
	s_cbranch_vccz .LBB7_183
; %bb.166:
	s_cmp_lt_i32 s0, 27
	s_cbranch_scc1 .LBB7_169
; %bb.167:
	s_cmp_gt_i32 s0, 27
	s_cbranch_scc0 .LBB7_170
; %bb.168:
	global_load_b32 v0, v[6:7], off
	s_mov_b32 s1, 0
	s_wait_loadcnt 0x0
	v_cvt_f64_u32_e32 v[0:1], v0
	s_branch .LBB7_171
.LBB7_169:
	s_mov_b32 s1, -1
                                        ; implicit-def: $vgpr0_vgpr1
	s_branch .LBB7_174
.LBB7_170:
	s_mov_b32 s1, -1
                                        ; implicit-def: $vgpr0_vgpr1
.LBB7_171:
	s_delay_alu instid0(SALU_CYCLE_1)
	s_and_not1_b32 vcc_lo, exec_lo, s1
	s_cbranch_vccnz .LBB7_173
; %bb.172:
	global_load_u16 v0, v[6:7], off
	s_wait_loadcnt 0x0
	v_cvt_f64_u32_e32 v[0:1], v0
.LBB7_173:
	s_mov_b32 s1, 0
.LBB7_174:
	s_delay_alu instid0(SALU_CYCLE_1)
	s_and_not1_b32 vcc_lo, exec_lo, s1
	s_cbranch_vccnz .LBB7_182
; %bb.175:
	global_load_u8 v3, v[6:7], off
	s_mov_b32 s1, 0
	s_mov_b32 s22, exec_lo
	s_wait_loadcnt 0x0
	v_cmpx_lt_i16_e32 0x7f, v3
	s_xor_b32 s22, exec_lo, s22
	s_cbranch_execz .LBB7_195
; %bb.176:
	s_mov_b32 s1, -1
	s_mov_b32 s29, exec_lo
	v_cmpx_eq_u16_e32 0x80, v3
; %bb.177:
	s_xor_b32 s1, exec_lo, -1
; %bb.178:
	s_or_b32 exec_lo, exec_lo, s29
	s_delay_alu instid0(SALU_CYCLE_1)
	s_and_b32 s1, s1, exec_lo
	s_or_saveexec_b32 s22, s22
	v_mov_b64_e32 v[0:1], 0x7ff8000020000000
	s_xor_b32 exec_lo, exec_lo, s22
	s_cbranch_execnz .LBB7_196
.LBB7_179:
	s_or_b32 exec_lo, exec_lo, s22
	s_and_saveexec_b32 s22, s1
	s_cbranch_execz .LBB7_181
.LBB7_180:
	v_and_b32_e32 v0, 0xffff, v3
	s_delay_alu instid0(VALU_DEP_1) | instskip(SKIP_1) | instid1(VALU_DEP_2)
	v_and_b32_e32 v1, 7, v0
	v_bfe_u32 v9, v0, 3, 4
	v_clz_i32_u32_e32 v5, v1
	s_delay_alu instid0(VALU_DEP_2) | instskip(NEXT) | instid1(VALU_DEP_2)
	v_cmp_eq_u32_e32 vcc_lo, 0, v9
	v_min_u32_e32 v5, 32, v5
	s_delay_alu instid0(VALU_DEP_1) | instskip(NEXT) | instid1(VALU_DEP_1)
	v_subrev_nc_u32_e32 v8, 28, v5
	v_dual_lshlrev_b32 v0, v8, v0 :: v_dual_sub_nc_u32 v5, 29, v5
	s_delay_alu instid0(VALU_DEP_1) | instskip(NEXT) | instid1(VALU_DEP_2)
	v_dual_lshlrev_b32 v3, 24, v3 :: v_dual_bitop2_b32 v0, 7, v0 bitop3:0x40
	v_cndmask_b32_e32 v5, v9, v5, vcc_lo
	s_delay_alu instid0(VALU_DEP_2) | instskip(NEXT) | instid1(VALU_DEP_3)
	v_cndmask_b32_e32 v0, v1, v0, vcc_lo
	v_and_b32_e32 v1, 0x80000000, v3
	s_delay_alu instid0(VALU_DEP_3) | instskip(NEXT) | instid1(VALU_DEP_3)
	v_lshl_add_u32 v3, v5, 23, 0x3b800000
	v_lshlrev_b32_e32 v0, 20, v0
	s_delay_alu instid0(VALU_DEP_1) | instskip(NEXT) | instid1(VALU_DEP_1)
	v_or3_b32 v0, v1, v3, v0
	v_cvt_f64_f32_e32 v[0:1], v0
.LBB7_181:
	s_or_b32 exec_lo, exec_lo, s22
.LBB7_182:
	s_mov_b32 s1, -1
.LBB7_183:
	s_branch .LBB7_218
.LBB7_184:
	s_cmp_gt_i32 s0, 22
	s_cbranch_scc0 .LBB7_194
; %bb.185:
	s_cmp_lt_i32 s0, 24
	s_cbranch_scc1 .LBB7_197
; %bb.186:
	s_cmp_gt_i32 s0, 24
	s_cbranch_scc0 .LBB7_198
; %bb.187:
	global_load_u8 v3, v[6:7], off
	s_mov_b32 s1, 0
	s_mov_b32 s22, exec_lo
	s_wait_loadcnt 0x0
	v_cmpx_lt_i16_e32 0x7f, v3
	s_xor_b32 s22, exec_lo, s22
	s_cbranch_execz .LBB7_210
; %bb.188:
	s_mov_b32 s1, -1
	s_mov_b32 s29, exec_lo
	v_cmpx_eq_u16_e32 0x80, v3
; %bb.189:
	s_xor_b32 s1, exec_lo, -1
; %bb.190:
	s_or_b32 exec_lo, exec_lo, s29
	s_delay_alu instid0(SALU_CYCLE_1)
	s_and_b32 s1, s1, exec_lo
	s_or_saveexec_b32 s22, s22
	v_mov_b64_e32 v[0:1], 0x7ff8000020000000
	s_xor_b32 exec_lo, exec_lo, s22
	s_cbranch_execnz .LBB7_211
.LBB7_191:
	s_or_b32 exec_lo, exec_lo, s22
	s_and_saveexec_b32 s22, s1
	s_cbranch_execz .LBB7_193
.LBB7_192:
	v_and_b32_e32 v0, 0xffff, v3
	s_delay_alu instid0(VALU_DEP_1) | instskip(SKIP_1) | instid1(VALU_DEP_2)
	v_and_b32_e32 v1, 3, v0
	v_bfe_u32 v9, v0, 2, 5
	v_clz_i32_u32_e32 v5, v1
	s_delay_alu instid0(VALU_DEP_2) | instskip(NEXT) | instid1(VALU_DEP_2)
	v_cmp_eq_u32_e32 vcc_lo, 0, v9
	v_min_u32_e32 v5, 32, v5
	s_delay_alu instid0(VALU_DEP_1) | instskip(NEXT) | instid1(VALU_DEP_1)
	v_subrev_nc_u32_e32 v8, 29, v5
	v_dual_lshlrev_b32 v0, v8, v0 :: v_dual_sub_nc_u32 v5, 30, v5
	s_delay_alu instid0(VALU_DEP_1) | instskip(NEXT) | instid1(VALU_DEP_2)
	v_dual_lshlrev_b32 v3, 24, v3 :: v_dual_bitop2_b32 v0, 3, v0 bitop3:0x40
	v_cndmask_b32_e32 v5, v9, v5, vcc_lo
	s_delay_alu instid0(VALU_DEP_2) | instskip(NEXT) | instid1(VALU_DEP_3)
	v_cndmask_b32_e32 v0, v1, v0, vcc_lo
	v_and_b32_e32 v1, 0x80000000, v3
	s_delay_alu instid0(VALU_DEP_3) | instskip(NEXT) | instid1(VALU_DEP_3)
	v_lshl_add_u32 v3, v5, 23, 0x37800000
	v_lshlrev_b32_e32 v0, 21, v0
	s_delay_alu instid0(VALU_DEP_1) | instskip(NEXT) | instid1(VALU_DEP_1)
	v_or3_b32 v0, v1, v3, v0
	v_cvt_f64_f32_e32 v[0:1], v0
.LBB7_193:
	s_or_b32 exec_lo, exec_lo, s22
	s_mov_b32 s1, 0
	s_branch .LBB7_199
.LBB7_194:
	s_mov_b32 s22, -1
                                        ; implicit-def: $vgpr0_vgpr1
	s_branch .LBB7_205
.LBB7_195:
	s_or_saveexec_b32 s22, s22
	v_mov_b64_e32 v[0:1], 0x7ff8000020000000
	s_xor_b32 exec_lo, exec_lo, s22
	s_cbranch_execz .LBB7_179
.LBB7_196:
	v_cmp_ne_u16_e32 vcc_lo, 0, v3
	v_mov_b64_e32 v[0:1], 0
	s_and_not1_b32 s1, s1, exec_lo
	s_and_b32 s29, vcc_lo, exec_lo
	s_delay_alu instid0(SALU_CYCLE_1)
	s_or_b32 s1, s1, s29
	s_or_b32 exec_lo, exec_lo, s22
	s_and_saveexec_b32 s22, s1
	s_cbranch_execnz .LBB7_180
	s_branch .LBB7_181
.LBB7_197:
	s_mov_b32 s1, -1
                                        ; implicit-def: $vgpr0_vgpr1
	s_branch .LBB7_202
.LBB7_198:
	s_mov_b32 s1, -1
                                        ; implicit-def: $vgpr0_vgpr1
.LBB7_199:
	s_delay_alu instid0(SALU_CYCLE_1)
	s_and_b32 vcc_lo, exec_lo, s1
	s_cbranch_vccz .LBB7_201
; %bb.200:
	global_load_u8 v0, v[6:7], off
	s_wait_loadcnt 0x0
	v_lshlrev_b32_e32 v0, 24, v0
	s_delay_alu instid0(VALU_DEP_1) | instskip(NEXT) | instid1(VALU_DEP_1)
	v_and_b32_e32 v1, 0x7f000000, v0
	v_clz_i32_u32_e32 v3, v1
	v_cmp_ne_u32_e32 vcc_lo, 0, v1
	v_add_nc_u32_e32 v8, 0x1000000, v1
	s_delay_alu instid0(VALU_DEP_3) | instskip(NEXT) | instid1(VALU_DEP_1)
	v_min_u32_e32 v3, 32, v3
	v_sub_nc_u32_e64 v3, v3, 4 clamp
	s_delay_alu instid0(VALU_DEP_1) | instskip(NEXT) | instid1(VALU_DEP_1)
	v_dual_lshlrev_b32 v5, v3, v1 :: v_dual_lshlrev_b32 v3, 23, v3
	v_lshrrev_b32_e32 v5, 4, v5
	s_delay_alu instid0(VALU_DEP_1) | instskip(NEXT) | instid1(VALU_DEP_1)
	v_dual_sub_nc_u32 v3, v5, v3 :: v_dual_ashrrev_i32 v5, 8, v8
	v_add_nc_u32_e32 v3, 0x3c000000, v3
	s_delay_alu instid0(VALU_DEP_1) | instskip(NEXT) | instid1(VALU_DEP_1)
	v_and_or_b32 v3, 0x7f800000, v5, v3
	v_cndmask_b32_e32 v1, 0, v3, vcc_lo
	s_delay_alu instid0(VALU_DEP_1) | instskip(NEXT) | instid1(VALU_DEP_1)
	v_and_or_b32 v0, 0x80000000, v0, v1
	v_cvt_f64_f32_e32 v[0:1], v0
.LBB7_201:
	s_mov_b32 s1, 0
.LBB7_202:
	s_delay_alu instid0(SALU_CYCLE_1)
	s_and_not1_b32 vcc_lo, exec_lo, s1
	s_cbranch_vccnz .LBB7_204
; %bb.203:
	global_load_u8 v0, v[6:7], off
	s_wait_loadcnt 0x0
	v_lshlrev_b32_e32 v1, 25, v0
	v_lshlrev_b16 v0, 8, v0
	s_delay_alu instid0(VALU_DEP_1) | instskip(SKIP_1) | instid1(VALU_DEP_2)
	v_and_or_b32 v5, 0x7f00, v0, 0.5
	v_bfe_i32 v0, v0, 0, 16
	v_add_f32_e32 v5, -0.5, v5
	v_lshrrev_b32_e32 v3, 4, v1
	v_cmp_gt_u32_e32 vcc_lo, 0x8000000, v1
	s_delay_alu instid0(VALU_DEP_2) | instskip(NEXT) | instid1(VALU_DEP_1)
	v_or_b32_e32 v3, 0x70000000, v3
	v_mul_f32_e32 v3, 0x7800000, v3
	s_delay_alu instid0(VALU_DEP_1) | instskip(NEXT) | instid1(VALU_DEP_1)
	v_cndmask_b32_e32 v1, v3, v5, vcc_lo
	v_and_or_b32 v0, 0x80000000, v0, v1
	s_delay_alu instid0(VALU_DEP_1)
	v_cvt_f64_f32_e32 v[0:1], v0
.LBB7_204:
	s_mov_b32 s22, 0
	s_mov_b32 s1, -1
.LBB7_205:
	s_and_not1_b32 vcc_lo, exec_lo, s22
	s_cbranch_vccnz .LBB7_218
; %bb.206:
	s_cmp_gt_i32 s0, 14
	s_cbranch_scc0 .LBB7_209
; %bb.207:
	s_cmp_eq_u32 s0, 15
	s_cbranch_scc0 .LBB7_212
; %bb.208:
	global_load_u16 v0, v[6:7], off
	s_mov_b32 s1, -1
	s_mov_b32 s28, 0
	s_wait_loadcnt 0x0
	v_lshlrev_b32_e32 v0, 16, v0
	s_delay_alu instid0(VALU_DEP_1)
	v_cvt_f64_f32_e32 v[0:1], v0
	s_branch .LBB7_213
.LBB7_209:
	s_mov_b32 s22, -1
                                        ; implicit-def: $vgpr0_vgpr1
	s_branch .LBB7_214
.LBB7_210:
	s_or_saveexec_b32 s22, s22
	v_mov_b64_e32 v[0:1], 0x7ff8000020000000
	s_xor_b32 exec_lo, exec_lo, s22
	s_cbranch_execz .LBB7_191
.LBB7_211:
	v_cmp_ne_u16_e32 vcc_lo, 0, v3
	v_mov_b64_e32 v[0:1], 0
	s_and_not1_b32 s1, s1, exec_lo
	s_and_b32 s29, vcc_lo, exec_lo
	s_delay_alu instid0(SALU_CYCLE_1)
	s_or_b32 s1, s1, s29
	s_or_b32 exec_lo, exec_lo, s22
	s_and_saveexec_b32 s22, s1
	s_cbranch_execnz .LBB7_192
	s_branch .LBB7_193
.LBB7_212:
	s_mov_b32 s28, -1
                                        ; implicit-def: $vgpr0_vgpr1
.LBB7_213:
	s_mov_b32 s22, 0
.LBB7_214:
	s_delay_alu instid0(SALU_CYCLE_1)
	s_and_b32 vcc_lo, exec_lo, s22
	s_cbranch_vccz .LBB7_218
; %bb.215:
	s_cmp_eq_u32 s0, 11
	s_cbranch_scc0 .LBB7_217
; %bb.216:
	global_load_u8 v0, v[6:7], off
	s_mov_b32 s28, 0
	s_mov_b32 s1, -1
	s_wait_loadcnt 0x0
	v_cmp_ne_u16_e32 vcc_lo, 0, v0
	v_mov_b32_e32 v0, 0
	v_cndmask_b32_e64 v1, 0, 0x3ff00000, vcc_lo
	s_branch .LBB7_218
.LBB7_217:
	s_mov_b32 s28, -1
                                        ; implicit-def: $vgpr0_vgpr1
.LBB7_218:
	s_branch .LBB7_25
.LBB7_219:
	s_cmp_lt_i32 s0, 5
	s_cbranch_scc1 .LBB7_224
; %bb.220:
	s_cmp_lt_i32 s0, 8
	s_cbranch_scc1 .LBB7_225
; %bb.221:
	;; [unrolled: 3-line block ×3, first 2 shown]
	s_cmp_gt_i32 s0, 9
	s_cbranch_scc0 .LBB7_227
; %bb.223:
	global_load_b64 v[0:1], v[6:7], off
	s_mov_b32 s1, 0
	s_branch .LBB7_228
.LBB7_224:
                                        ; implicit-def: $vgpr0_vgpr1
	s_branch .LBB7_246
.LBB7_225:
	s_mov_b32 s1, -1
                                        ; implicit-def: $vgpr0_vgpr1
	s_branch .LBB7_234
.LBB7_226:
	s_mov_b32 s1, -1
                                        ; implicit-def: $vgpr0_vgpr1
	s_branch .LBB7_231
.LBB7_227:
	s_mov_b32 s1, -1
                                        ; implicit-def: $vgpr0_vgpr1
.LBB7_228:
	s_delay_alu instid0(SALU_CYCLE_1)
	s_and_not1_b32 vcc_lo, exec_lo, s1
	s_cbranch_vccnz .LBB7_230
; %bb.229:
	s_wait_loadcnt 0x0
	global_load_b32 v0, v[6:7], off
	s_wait_loadcnt 0x0
	v_cvt_f64_f32_e32 v[0:1], v0
.LBB7_230:
	s_mov_b32 s1, 0
.LBB7_231:
	s_delay_alu instid0(SALU_CYCLE_1)
	s_and_not1_b32 vcc_lo, exec_lo, s1
	s_cbranch_vccnz .LBB7_233
; %bb.232:
	s_wait_loadcnt 0x0
	global_load_b32 v0, v[6:7], off
	s_wait_loadcnt 0x0
	v_cvt_f32_f16_e32 v0, v0
	s_delay_alu instid0(VALU_DEP_1)
	v_cvt_f64_f32_e32 v[0:1], v0
.LBB7_233:
	s_mov_b32 s1, 0
.LBB7_234:
	s_delay_alu instid0(SALU_CYCLE_1)
	s_and_not1_b32 vcc_lo, exec_lo, s1
	s_cbranch_vccnz .LBB7_245
; %bb.235:
	s_cmp_lt_i32 s0, 6
	s_cbranch_scc1 .LBB7_238
; %bb.236:
	s_cmp_gt_i32 s0, 6
	s_cbranch_scc0 .LBB7_239
; %bb.237:
	s_wait_loadcnt 0x0
	global_load_b64 v[0:1], v[6:7], off
	s_mov_b32 s1, 0
	s_branch .LBB7_240
.LBB7_238:
	s_mov_b32 s1, -1
                                        ; implicit-def: $vgpr0_vgpr1
	s_branch .LBB7_243
.LBB7_239:
	s_mov_b32 s1, -1
                                        ; implicit-def: $vgpr0_vgpr1
.LBB7_240:
	s_delay_alu instid0(SALU_CYCLE_1)
	s_and_not1_b32 vcc_lo, exec_lo, s1
	s_cbranch_vccnz .LBB7_242
; %bb.241:
	s_wait_loadcnt 0x0
	global_load_b32 v0, v[6:7], off
	s_wait_loadcnt 0x0
	v_cvt_f64_f32_e32 v[0:1], v0
.LBB7_242:
	s_mov_b32 s1, 0
.LBB7_243:
	s_delay_alu instid0(SALU_CYCLE_1)
	s_and_not1_b32 vcc_lo, exec_lo, s1
	s_cbranch_vccnz .LBB7_245
; %bb.244:
	s_wait_loadcnt 0x0
	global_load_u16 v0, v[6:7], off
	s_wait_loadcnt 0x0
	v_cvt_f32_f16_e32 v0, v0
	s_delay_alu instid0(VALU_DEP_1)
	v_cvt_f64_f32_e32 v[0:1], v0
.LBB7_245:
	s_cbranch_execnz .LBB7_265
.LBB7_246:
	s_cmp_lt_i32 s0, 2
	s_cbranch_scc1 .LBB7_250
; %bb.247:
	s_cmp_lt_i32 s0, 3
	s_cbranch_scc1 .LBB7_251
; %bb.248:
	s_cmp_gt_i32 s0, 3
	s_cbranch_scc0 .LBB7_252
; %bb.249:
	s_wait_loadcnt 0x0
	global_load_b64 v[0:1], v[6:7], off
	s_mov_b32 s1, 0
	s_wait_loadcnt 0x0
	v_cvt_f64_i32_e32 v[8:9], v1
	v_cvt_f64_u32_e32 v[0:1], v0
	s_delay_alu instid0(VALU_DEP_2) | instskip(NEXT) | instid1(VALU_DEP_1)
	v_ldexp_f64 v[8:9], v[8:9], 32
	v_add_f64_e32 v[0:1], v[8:9], v[0:1]
	s_branch .LBB7_253
.LBB7_250:
	s_mov_b32 s1, -1
                                        ; implicit-def: $vgpr0_vgpr1
	s_branch .LBB7_259
.LBB7_251:
	s_mov_b32 s1, -1
                                        ; implicit-def: $vgpr0_vgpr1
	s_branch .LBB7_256
.LBB7_252:
	s_mov_b32 s1, -1
                                        ; implicit-def: $vgpr0_vgpr1
.LBB7_253:
	s_delay_alu instid0(SALU_CYCLE_1)
	s_and_not1_b32 vcc_lo, exec_lo, s1
	s_cbranch_vccnz .LBB7_255
; %bb.254:
	s_wait_loadcnt 0x0
	global_load_b32 v0, v[6:7], off
	s_wait_loadcnt 0x0
	v_cvt_f64_i32_e32 v[0:1], v0
.LBB7_255:
	s_mov_b32 s1, 0
.LBB7_256:
	s_delay_alu instid0(SALU_CYCLE_1)
	s_and_not1_b32 vcc_lo, exec_lo, s1
	s_cbranch_vccnz .LBB7_258
; %bb.257:
	s_wait_loadcnt 0x0
	global_load_i16 v0, v[6:7], off
	s_wait_loadcnt 0x0
	v_cvt_f64_i32_e32 v[0:1], v0
.LBB7_258:
	s_mov_b32 s1, 0
.LBB7_259:
	s_delay_alu instid0(SALU_CYCLE_1)
	s_and_not1_b32 vcc_lo, exec_lo, s1
	s_cbranch_vccnz .LBB7_265
; %bb.260:
	s_cmp_gt_i32 s0, 0
	s_mov_b32 s0, 0
	s_cbranch_scc0 .LBB7_262
; %bb.261:
	s_wait_loadcnt 0x0
	global_load_i8 v0, v[6:7], off
	s_wait_loadcnt 0x0
	v_cvt_f64_i32_e32 v[0:1], v0
	s_branch .LBB7_263
.LBB7_262:
	s_mov_b32 s0, -1
                                        ; implicit-def: $vgpr0_vgpr1
.LBB7_263:
	s_delay_alu instid0(SALU_CYCLE_1)
	s_and_not1_b32 vcc_lo, exec_lo, s0
	s_cbranch_vccnz .LBB7_265
; %bb.264:
	s_wait_loadcnt 0x0
	global_load_u8 v0, v[6:7], off
	s_wait_loadcnt 0x0
	v_cvt_f64_u32_e32 v[0:1], v0
.LBB7_265:
	s_branch .LBB7_26
.LBB7_266:
	s_mov_b32 s0, 0
.LBB7_267:
	s_mov_b32 s1, 0
                                        ; implicit-def: $vgpr4
.LBB7_268:
	s_and_b32 s22, s0, exec_lo
	s_and_b32 s43, s28, exec_lo
	s_or_not1_b32 s29, s1, exec_lo
.LBB7_269:
	s_wait_xcnt 0x0
	s_or_b32 exec_lo, exec_lo, s44
	s_mov_b32 s28, 0
	s_mov_b32 s0, 0
                                        ; implicit-def: $vgpr6_vgpr7
                                        ; implicit-def: $vgpr2
                                        ; implicit-def: $vgpr0_vgpr1
	s_and_saveexec_b32 s44, s29
	s_cbranch_execz .LBB7_277
; %bb.270:
	s_mov_b32 s0, -1
	s_mov_b32 s45, s43
	s_mov_b32 s46, s22
	s_mov_b32 s47, exec_lo
	v_cmpx_gt_i32_e64 s40, v4
	s_cbranch_execz .LBB7_550
; %bb.271:
	s_and_not1_b32 vcc_lo, exec_lo, s36
	s_cbranch_vccnz .LBB7_280
; %bb.272:
	s_and_not1_b32 vcc_lo, exec_lo, s42
	s_cbranch_vccnz .LBB7_281
; %bb.273:
	s_add_co_i32 s1, s41, 1
	s_cmp_eq_u32 s34, 2
	s_cbranch_scc1 .LBB7_282
; %bb.274:
	s_wait_loadcnt 0x0
	v_dual_mov_b32 v2, 0 :: v_dual_mov_b32 v0, 0
	v_mov_b32_e32 v1, v4
	s_and_b32 s0, s1, 28
	s_mov_b32 s45, 0
	s_mov_b64 s[28:29], s[2:3]
	s_mov_b64 s[30:31], s[26:27]
.LBB7_275:                              ; =>This Inner Loop Header: Depth=1
	s_clause 0x1
	s_load_b256 s[48:55], s[28:29], 0x4
	s_load_b128 s[64:67], s[28:29], 0x24
	s_load_b256 s[56:63], s[30:31], 0x0
	s_add_co_i32 s45, s45, 4
	s_wait_xcnt 0x0
	s_add_nc_u64 s[28:29], s[28:29], 48
	s_cmp_eq_u32 s0, s45
	s_add_nc_u64 s[30:31], s[30:31], 32
	s_wait_kmcnt 0x0
	v_mul_hi_u32 v3, s49, v1
	s_delay_alu instid0(VALU_DEP_1) | instskip(NEXT) | instid1(VALU_DEP_1)
	v_add_nc_u32_e32 v3, v1, v3
	v_lshrrev_b32_e32 v3, s50, v3
	s_delay_alu instid0(VALU_DEP_1) | instskip(NEXT) | instid1(VALU_DEP_1)
	v_mul_hi_u32 v5, s52, v3
	v_add_nc_u32_e32 v5, v3, v5
	s_delay_alu instid0(VALU_DEP_1) | instskip(NEXT) | instid1(VALU_DEP_1)
	v_lshrrev_b32_e32 v5, s53, v5
	v_mul_hi_u32 v6, s55, v5
	s_delay_alu instid0(VALU_DEP_1) | instskip(SKIP_1) | instid1(VALU_DEP_1)
	v_add_nc_u32_e32 v6, v5, v6
	v_mul_lo_u32 v7, v3, s48
	v_sub_nc_u32_e32 v1, v1, v7
	v_mul_lo_u32 v7, v5, s51
	s_delay_alu instid0(VALU_DEP_4) | instskip(NEXT) | instid1(VALU_DEP_3)
	v_lshrrev_b32_e32 v6, s64, v6
	v_mad_u32 v0, v1, s57, v0
	v_mad_u32 v1, v1, s56, v2
	s_delay_alu instid0(VALU_DEP_4) | instskip(NEXT) | instid1(VALU_DEP_4)
	v_sub_nc_u32_e32 v2, v3, v7
	v_mul_hi_u32 v8, s66, v6
	v_mul_lo_u32 v3, v6, s54
	s_delay_alu instid0(VALU_DEP_3) | instskip(SKIP_1) | instid1(VALU_DEP_3)
	v_mad_u32 v0, v2, s59, v0
	v_mad_u32 v2, v2, s58, v1
	v_dual_add_nc_u32 v7, v6, v8 :: v_dual_sub_nc_u32 v3, v5, v3
	s_delay_alu instid0(VALU_DEP_1) | instskip(NEXT) | instid1(VALU_DEP_2)
	v_lshrrev_b32_e32 v1, s67, v7
	v_mad_u32 v0, v3, s61, v0
	s_delay_alu instid0(VALU_DEP_4) | instskip(NEXT) | instid1(VALU_DEP_3)
	v_mad_u32 v2, v3, s60, v2
	v_mul_lo_u32 v5, v1, s65
	s_delay_alu instid0(VALU_DEP_1) | instskip(NEXT) | instid1(VALU_DEP_1)
	v_sub_nc_u32_e32 v3, v6, v5
	v_mad_u32 v0, v3, s63, v0
	s_delay_alu instid0(VALU_DEP_4)
	v_mad_u32 v2, v3, s62, v2
	s_cbranch_scc0 .LBB7_275
; %bb.276:
	s_delay_alu instid0(VALU_DEP_2)
	v_mov_b32_e32 v3, v0
	s_branch .LBB7_283
.LBB7_277:
	s_or_b32 exec_lo, exec_lo, s44
	s_mov_b32 s6, 0
	s_and_saveexec_b32 s1, s43
	s_cbranch_execnz .LBB7_934
.LBB7_278:
	s_or_b32 exec_lo, exec_lo, s1
	s_and_saveexec_b32 s1, s21
	s_delay_alu instid0(SALU_CYCLE_1)
	s_xor_b32 s1, exec_lo, s1
	s_cbranch_execz .LBB7_935
.LBB7_279:
	s_wait_loadcnt 0x0
	global_load_u8 v0, v[6:7], off
	s_or_b32 s0, s0, exec_lo
	s_wait_loadcnt 0x0
	v_cmp_ne_u16_e32 vcc_lo, 0, v0
	v_mov_b32_e32 v0, 0
	v_cndmask_b32_e64 v1, 0, 0x3ff00000, vcc_lo
	s_wait_xcnt 0x0
	s_or_b32 exec_lo, exec_lo, s1
	s_and_saveexec_b32 s1, s28
	s_cbranch_execz .LBB7_981
	s_branch .LBB7_936
.LBB7_280:
                                        ; implicit-def: $vgpr0
                                        ; implicit-def: $vgpr2
	s_and_not1_b32 vcc_lo, exec_lo, s0
	s_cbranch_vccnz .LBB7_290
	s_branch .LBB7_288
.LBB7_281:
	s_wait_loadcnt 0x0
	v_dual_mov_b32 v0, 0 :: v_dual_mov_b32 v2, 0
	s_branch .LBB7_287
.LBB7_282:
	v_mov_b64_e32 v[2:3], 0
	s_wait_loadcnt 0x0
	v_mov_b32_e32 v1, v4
	s_mov_b32 s0, 0
                                        ; implicit-def: $vgpr0
.LBB7_283:
	s_and_b32 s30, s1, 3
	s_mov_b32 s1, 0
	s_cmp_eq_u32 s30, 0
	s_cbranch_scc1 .LBB7_287
; %bb.284:
	s_lshl_b32 s28, s0, 3
	s_mov_b32 s29, s1
	s_mul_u64 s[48:49], s[0:1], 12
	s_add_nc_u64 s[28:29], s[2:3], s[28:29]
	s_delay_alu instid0(SALU_CYCLE_1)
	s_add_nc_u64 s[0:1], s[28:29], 0xc4
	s_add_nc_u64 s[28:29], s[2:3], s[48:49]
.LBB7_285:                              ; =>This Inner Loop Header: Depth=1
	s_load_b96 s[48:50], s[28:29], 0x4
	s_add_co_i32 s30, s30, -1
	s_wait_xcnt 0x0
	s_add_nc_u64 s[28:29], s[28:29], 12
	s_cmp_lg_u32 s30, 0
	s_wait_kmcnt 0x0
	v_mul_hi_u32 v0, s49, v1
	s_delay_alu instid0(VALU_DEP_1) | instskip(NEXT) | instid1(VALU_DEP_1)
	v_add_nc_u32_e32 v0, v1, v0
	v_lshrrev_b32_e32 v0, s50, v0
	s_load_b64 s[50:51], s[0:1], 0x0
	s_wait_xcnt 0x0
	s_add_nc_u64 s[0:1], s[0:1], 8
	s_delay_alu instid0(VALU_DEP_1) | instskip(NEXT) | instid1(VALU_DEP_1)
	v_mul_lo_u32 v5, v0, s48
	v_sub_nc_u32_e32 v1, v1, v5
	s_wait_kmcnt 0x0
	s_delay_alu instid0(VALU_DEP_1)
	v_mad_u32 v3, v1, s51, v3
	v_mad_u32 v2, v1, s50, v2
	v_mov_b32_e32 v1, v0
	s_cbranch_scc1 .LBB7_285
; %bb.286:
	s_delay_alu instid0(VALU_DEP_3)
	v_mov_b32_e32 v0, v3
.LBB7_287:
	s_cbranch_execnz .LBB7_290
.LBB7_288:
	v_mov_b32_e32 v5, 0
	s_and_not1_b32 vcc_lo, exec_lo, s39
	s_wait_loadcnt 0x0
	s_delay_alu instid0(VALU_DEP_1) | instskip(NEXT) | instid1(VALU_DEP_1)
	v_mul_u64_e32 v[0:1], s[20:21], v[4:5]
	v_add_nc_u32_e32 v0, v4, v1
	s_delay_alu instid0(VALU_DEP_1) | instskip(NEXT) | instid1(VALU_DEP_1)
	v_lshrrev_b32_e32 v6, s14, v0
	v_mul_lo_u32 v0, v6, s12
	s_delay_alu instid0(VALU_DEP_1) | instskip(NEXT) | instid1(VALU_DEP_1)
	v_sub_nc_u32_e32 v1, v4, v0
	v_mul_lo_u32 v0, v1, s17
	v_mul_lo_u32 v2, v1, s16
	s_cbranch_vccnz .LBB7_290
; %bb.289:
	v_mov_b32_e32 v7, v5
	s_delay_alu instid0(VALU_DEP_1) | instskip(NEXT) | instid1(VALU_DEP_1)
	v_mul_u64_e32 v[8:9], s[24:25], v[6:7]
	v_add_nc_u32_e32 v1, v6, v9
	s_delay_alu instid0(VALU_DEP_1) | instskip(NEXT) | instid1(VALU_DEP_1)
	v_lshrrev_b32_e32 v1, s23, v1
	v_mul_lo_u32 v1, v1, s15
	s_delay_alu instid0(VALU_DEP_1) | instskip(NEXT) | instid1(VALU_DEP_1)
	v_sub_nc_u32_e32 v1, v6, v1
	v_mad_u32 v2, v1, s18, v2
	v_mad_u32 v0, v1, s19, v0
.LBB7_290:
	s_wait_loadcnt 0x0
	v_mov_b32_e32 v1, 0
	s_and_b32 s0, 0xffff, s13
	s_delay_alu instid0(SALU_CYCLE_1) | instskip(NEXT) | instid1(VALU_DEP_1)
	s_cmp_lt_i32 s0, 11
	v_add_nc_u64_e32 v[6:7], s[6:7], v[0:1]
	s_cbranch_scc1 .LBB7_297
; %bb.291:
	s_cmp_gt_i32 s0, 25
	s_cbranch_scc0 .LBB7_308
; %bb.292:
	s_cmp_gt_i32 s0, 28
	s_cbranch_scc0 .LBB7_310
	;; [unrolled: 3-line block ×4, first 2 shown]
; %bb.295:
	s_cmp_eq_u32 s0, 46
	s_mov_b32 s29, 0
	s_cbranch_scc0 .LBB7_320
; %bb.296:
	global_load_b32 v0, v[6:7], off
	s_mov_b32 s1, -1
	s_mov_b32 s28, 0
	s_wait_loadcnt 0x0
	v_lshlrev_b32_e32 v0, 16, v0
	s_delay_alu instid0(VALU_DEP_1)
	v_cvt_f64_f32_e32 v[0:1], v0
	s_branch .LBB7_322
.LBB7_297:
	s_mov_b32 s1, 0
	s_mov_b32 s28, s43
                                        ; implicit-def: $vgpr0_vgpr1
	s_cbranch_execnz .LBB7_499
.LBB7_298:
	s_and_not1_b32 vcc_lo, exec_lo, s1
	s_cbranch_vccnz .LBB7_547
.LBB7_299:
	s_wait_loadcnt 0x0
	s_delay_alu instid0(VALU_DEP_1) | instskip(SKIP_1) | instid1(VALU_DEP_1)
	v_mul_f64_e32 v[6:7], s[8:9], v[0:1]
	s_mov_b32 s29, exec_lo
	v_cmpx_nlt_f64_e32 s[10:11], v[6:7]
	s_cbranch_execz .LBB7_301
; %bb.300:
	v_mul_f64_e32 v[0:1], 0x3ff71547652b82fe, v[6:7]
	s_mov_b64 s[0:1], 0x3e5ade156a5dcb37
	v_cmp_nlt_f64_e32 vcc_lo, 0x40900000, v[6:7]
	s_delay_alu instid0(VALU_DEP_2) | instskip(NEXT) | instid1(VALU_DEP_1)
	v_rndne_f64_e32 v[0:1], v[0:1]
	v_fmamk_f64 v[8:9], v[0:1], 0xbfe62e42fefa39ef, v[6:7]
	v_cvt_i32_f64_e32 v3, v[0:1]
	s_delay_alu instid0(VALU_DEP_2) | instskip(NEXT) | instid1(VALU_DEP_1)
	v_fmamk_f64 v[8:9], v[0:1], 0xbc7abc9e3b39803f, v[8:9]
	v_fmaak_f64 v[10:11], s[0:1], v[8:9], 0x3e928af3fca7ab0c
	v_cmp_ngt_f64_e64 s0, 0xc090cc00, v[6:7]
	s_delay_alu instid0(VALU_DEP_2) | instskip(NEXT) | instid1(VALU_DEP_1)
	v_fmaak_f64 v[10:11], v[8:9], v[10:11], 0x3ec71dee623fde64
	v_fmaak_f64 v[10:11], v[8:9], v[10:11], 0x3efa01997c89e6b0
	s_delay_alu instid0(VALU_DEP_1) | instskip(NEXT) | instid1(VALU_DEP_1)
	v_fmaak_f64 v[10:11], v[8:9], v[10:11], 0x3f2a01a014761f6e
	v_fmaak_f64 v[10:11], v[8:9], v[10:11], 0x3f56c16c1852b7b0
	s_delay_alu instid0(VALU_DEP_1) | instskip(NEXT) | instid1(VALU_DEP_1)
	;; [unrolled: 3-line block ×4, first 2 shown]
	v_fma_f64 v[10:11], v[8:9], v[10:11], 1.0
	v_fma_f64 v[0:1], v[8:9], v[10:11], 1.0
	s_delay_alu instid0(VALU_DEP_1) | instskip(NEXT) | instid1(VALU_DEP_1)
	v_ldexp_f64 v[0:1], v[0:1], v3
	v_cndmask_b32_e32 v1, 0x7ff00000, v1, vcc_lo
	s_and_b32 vcc_lo, s0, vcc_lo
	s_delay_alu instid0(VALU_DEP_1) | instid1(SALU_CYCLE_1)
	v_dual_cndmask_b32 v0, 0, v0, vcc_lo :: v_dual_cndmask_b32 v1, 0, v1, s0
	s_mov_b64 s[0:1], 0x3fe5555555555555
	s_delay_alu instid0(VALU_DEP_1) | instskip(NEXT) | instid1(VALU_DEP_1)
	v_add_f64_e32 v[6:7], 1.0, v[0:1]
	v_frexp_mant_f64_e32 v[8:9], v[6:7]
	v_frexp_exp_i32_f64_e32 v3, v[6:7]
	s_delay_alu instid0(VALU_DEP_2) | instskip(SKIP_1) | instid1(VALU_DEP_2)
	v_cmp_gt_f64_e32 vcc_lo, s[0:1], v[8:9]
	s_mov_b64 s[0:1], 0x3fc3ab76bf559e2b
	v_subrev_co_ci_u32_e64 v3, null, 0, v3, vcc_lo
	v_cmp_nge_f64_e32 vcc_lo, -1.0, v[0:1]
	s_delay_alu instid0(VALU_DEP_2) | instskip(SKIP_1) | instid1(VALU_DEP_1)
	v_sub_nc_u32_e32 v5, 0, v3
	v_add_f64_e32 v[10:11], -1.0, v[6:7]
	v_add_f64_e64 v[8:9], v[10:11], -v[6:7]
	s_delay_alu instid0(VALU_DEP_3) | instskip(SKIP_1) | instid1(VALU_DEP_3)
	v_ldexp_f64 v[6:7], v[6:7], v5
	v_add_f64_e64 v[10:11], v[0:1], -v[10:11]
	v_add_f64_e32 v[8:9], 1.0, v[8:9]
	s_delay_alu instid0(VALU_DEP_3) | instskip(SKIP_1) | instid1(VALU_DEP_3)
	v_add_f64_e32 v[12:13], 1.0, v[6:7]
	v_add_f64_e32 v[18:19], -1.0, v[6:7]
	v_add_f64_e32 v[8:9], v[10:11], v[8:9]
	s_delay_alu instid0(VALU_DEP_3) | instskip(NEXT) | instid1(VALU_DEP_3)
	v_add_f64_e32 v[10:11], -1.0, v[12:13]
	v_add_f64_e32 v[20:21], 1.0, v[18:19]
	s_delay_alu instid0(VALU_DEP_3) | instskip(NEXT) | instid1(VALU_DEP_3)
	v_ldexp_f64 v[8:9], v[8:9], v5
	v_add_f64_e64 v[10:11], v[6:7], -v[10:11]
	s_delay_alu instid0(VALU_DEP_3) | instskip(NEXT) | instid1(VALU_DEP_2)
	v_add_f64_e64 v[6:7], v[6:7], -v[20:21]
	v_add_f64_e32 v[10:11], v[8:9], v[10:11]
	s_delay_alu instid0(VALU_DEP_2) | instskip(NEXT) | instid1(VALU_DEP_2)
	v_add_f64_e32 v[6:7], v[8:9], v[6:7]
	v_add_f64_e32 v[14:15], v[12:13], v[10:11]
	s_delay_alu instid0(VALU_DEP_2) | instskip(NEXT) | instid1(VALU_DEP_2)
	v_add_f64_e32 v[20:21], v[18:19], v[6:7]
	v_rcp_f64_e32 v[16:17], v[14:15]
	v_add_f64_e64 v[12:13], v[14:15], -v[12:13]
	s_delay_alu instid0(VALU_DEP_2) | instskip(NEXT) | instid1(VALU_DEP_2)
	v_add_f64_e64 v[18:19], v[20:21], -v[18:19]
	v_add_f64_e64 v[10:11], v[10:11], -v[12:13]
	s_delay_alu instid0(VALU_DEP_2) | instskip(NEXT) | instid1(TRANS32_DEP_1)
	v_add_f64_e64 v[6:7], v[6:7], -v[18:19]
	v_fma_f64 v[22:23], -v[14:15], v[16:17], 1.0
	s_delay_alu instid0(VALU_DEP_1) | instskip(NEXT) | instid1(VALU_DEP_1)
	v_fmac_f64_e32 v[16:17], v[22:23], v[16:17]
	v_fma_f64 v[8:9], -v[14:15], v[16:17], 1.0
	s_delay_alu instid0(VALU_DEP_1) | instskip(NEXT) | instid1(VALU_DEP_1)
	v_fmac_f64_e32 v[16:17], v[8:9], v[16:17]
	v_mul_f64_e32 v[8:9], v[20:21], v[16:17]
	s_delay_alu instid0(VALU_DEP_1) | instskip(NEXT) | instid1(VALU_DEP_1)
	v_mul_f64_e32 v[22:23], v[14:15], v[8:9]
	v_fma_f64 v[12:13], v[8:9], v[14:15], -v[22:23]
	s_delay_alu instid0(VALU_DEP_1) | instskip(NEXT) | instid1(VALU_DEP_1)
	v_fmac_f64_e32 v[12:13], v[8:9], v[10:11]
	v_add_f64_e32 v[24:25], v[22:23], v[12:13]
	s_delay_alu instid0(VALU_DEP_1) | instskip(SKIP_1) | instid1(VALU_DEP_2)
	v_add_f64_e64 v[26:27], v[20:21], -v[24:25]
	v_add_f64_e64 v[18:19], v[24:25], -v[22:23]
	;; [unrolled: 1-line block ×3, first 2 shown]
	s_delay_alu instid0(VALU_DEP_2) | instskip(NEXT) | instid1(VALU_DEP_2)
	v_add_f64_e64 v[12:13], v[18:19], -v[12:13]
	v_add_f64_e64 v[20:21], v[20:21], -v[24:25]
	s_delay_alu instid0(VALU_DEP_1) | instskip(NEXT) | instid1(VALU_DEP_1)
	v_add_f64_e32 v[6:7], v[6:7], v[20:21]
	v_add_f64_e32 v[6:7], v[12:13], v[6:7]
	s_delay_alu instid0(VALU_DEP_1) | instskip(NEXT) | instid1(VALU_DEP_1)
	v_add_f64_e32 v[12:13], v[26:27], v[6:7]
	v_mul_f64_e32 v[18:19], v[16:17], v[12:13]
	v_add_f64_e64 v[24:25], v[26:27], -v[12:13]
	s_delay_alu instid0(VALU_DEP_2) | instskip(NEXT) | instid1(VALU_DEP_2)
	v_mul_f64_e32 v[20:21], v[14:15], v[18:19]
	v_add_f64_e32 v[6:7], v[6:7], v[24:25]
	s_delay_alu instid0(VALU_DEP_2) | instskip(NEXT) | instid1(VALU_DEP_1)
	v_fma_f64 v[14:15], v[18:19], v[14:15], -v[20:21]
	v_fmac_f64_e32 v[14:15], v[18:19], v[10:11]
	s_delay_alu instid0(VALU_DEP_1) | instskip(NEXT) | instid1(VALU_DEP_1)
	v_add_f64_e32 v[10:11], v[20:21], v[14:15]
	v_add_f64_e64 v[22:23], v[12:13], -v[10:11]
	v_add_f64_e64 v[20:21], v[10:11], -v[20:21]
	s_delay_alu instid0(VALU_DEP_2) | instskip(NEXT) | instid1(VALU_DEP_1)
	v_add_f64_e64 v[12:13], v[12:13], -v[22:23]
	v_add_f64_e64 v[10:11], v[12:13], -v[10:11]
	s_delay_alu instid0(VALU_DEP_3) | instskip(NEXT) | instid1(VALU_DEP_2)
	v_add_f64_e64 v[12:13], v[20:21], -v[14:15]
	v_add_f64_e32 v[6:7], v[6:7], v[10:11]
	v_add_f64_e32 v[10:11], v[8:9], v[18:19]
	s_delay_alu instid0(VALU_DEP_2) | instskip(NEXT) | instid1(VALU_DEP_2)
	v_add_f64_e32 v[6:7], v[12:13], v[6:7]
	v_add_f64_e64 v[8:9], v[10:11], -v[8:9]
	s_delay_alu instid0(VALU_DEP_2) | instskip(NEXT) | instid1(VALU_DEP_2)
	v_add_f64_e32 v[6:7], v[22:23], v[6:7]
	v_add_f64_e64 v[8:9], v[18:19], -v[8:9]
	s_delay_alu instid0(VALU_DEP_2) | instskip(NEXT) | instid1(VALU_DEP_1)
	v_mul_f64_e32 v[6:7], v[16:17], v[6:7]
	v_add_f64_e32 v[6:7], v[8:9], v[6:7]
	s_delay_alu instid0(VALU_DEP_1) | instskip(NEXT) | instid1(VALU_DEP_1)
	v_add_f64_e32 v[8:9], v[10:11], v[6:7]
	v_mul_f64_e32 v[12:13], v[8:9], v[8:9]
	s_delay_alu instid0(VALU_DEP_1) | instskip(SKIP_2) | instid1(VALU_DEP_2)
	v_fmaak_f64 v[14:15], s[0:1], v[12:13], 0x3fc385386b47b09a
	v_mul_f64_e32 v[16:17], v[8:9], v[12:13]
	s_mov_b64 s[0:1], 0x3fe62e42fefa39ef
	v_fmaak_f64 v[14:15], v[12:13], v[14:15], 0x3fc7474dd7f4df2e
	s_delay_alu instid0(VALU_DEP_1) | instskip(NEXT) | instid1(VALU_DEP_1)
	v_fmaak_f64 v[14:15], v[12:13], v[14:15], 0x3fcc71c016291751
	v_fmaak_f64 v[14:15], v[12:13], v[14:15], 0x3fd249249b27acf1
	s_delay_alu instid0(VALU_DEP_1) | instskip(NEXT) | instid1(VALU_DEP_1)
	v_fmaak_f64 v[14:15], v[12:13], v[14:15], 0x3fd99999998ef7b6
	v_fmaak_f64 v[12:13], v[12:13], v[14:15], 0x3fe5555555555780
	v_ldexp_f64 v[14:15], v[8:9], 1
	v_add_f64_e64 v[8:9], v[8:9], -v[10:11]
	s_delay_alu instid0(VALU_DEP_3) | instskip(SKIP_1) | instid1(VALU_DEP_3)
	v_mul_f64_e32 v[12:13], v[16:17], v[12:13]
	v_cvt_f64_i32_e32 v[16:17], v3
	v_add_f64_e64 v[6:7], v[6:7], -v[8:9]
	s_delay_alu instid0(VALU_DEP_3) | instskip(NEXT) | instid1(VALU_DEP_2)
	v_add_f64_e32 v[10:11], v[14:15], v[12:13]
	v_ldexp_f64 v[6:7], v[6:7], 1
	s_delay_alu instid0(VALU_DEP_2) | instskip(SKIP_1) | instid1(VALU_DEP_2)
	v_add_f64_e64 v[8:9], v[10:11], -v[14:15]
	v_mul_f64_e32 v[14:15], 0x3fe62e42fefa39ef, v[16:17]
	v_add_f64_e64 v[8:9], v[12:13], -v[8:9]
	s_delay_alu instid0(VALU_DEP_2) | instskip(SKIP_2) | instid1(VALU_DEP_4)
	v_fma_f64 v[12:13], v[16:17], s[0:1], -v[14:15]
	v_cmp_neq_f64_e64 s0, 0x7ff00000, v[0:1]
	v_cmp_ngt_f64_e64 s1, -1.0, v[0:1]
	v_add_f64_e32 v[6:7], v[6:7], v[8:9]
	s_delay_alu instid0(VALU_DEP_4) | instskip(SKIP_1) | instid1(VALU_DEP_1)
	v_fmamk_f64 v[8:9], v[16:17], 0x3c7abc9e3b39803f, v[12:13]
	s_and_b32 vcc_lo, vcc_lo, s0
	v_add_f64_e32 v[12:13], v[14:15], v[8:9]
	s_delay_alu instid0(VALU_DEP_3) | instskip(NEXT) | instid1(VALU_DEP_2)
	v_add_f64_e32 v[16:17], v[10:11], v[6:7]
	v_add_f64_e64 v[14:15], v[12:13], -v[14:15]
	s_delay_alu instid0(VALU_DEP_2) | instskip(SKIP_1) | instid1(VALU_DEP_3)
	v_add_f64_e32 v[18:19], v[12:13], v[16:17]
	v_add_f64_e64 v[10:11], v[16:17], -v[10:11]
	v_add_f64_e64 v[8:9], v[8:9], -v[14:15]
	s_delay_alu instid0(VALU_DEP_3) | instskip(NEXT) | instid1(VALU_DEP_3)
	v_add_f64_e64 v[20:21], v[18:19], -v[12:13]
	v_add_f64_e64 v[6:7], v[6:7], -v[10:11]
	s_delay_alu instid0(VALU_DEP_2) | instskip(SKIP_1) | instid1(VALU_DEP_3)
	v_add_f64_e64 v[22:23], v[18:19], -v[20:21]
	v_add_f64_e64 v[10:11], v[16:17], -v[20:21]
	v_add_f64_e32 v[14:15], v[8:9], v[6:7]
	s_delay_alu instid0(VALU_DEP_3) | instskip(NEXT) | instid1(VALU_DEP_1)
	v_add_f64_e64 v[12:13], v[12:13], -v[22:23]
	v_add_f64_e32 v[10:11], v[10:11], v[12:13]
	s_delay_alu instid0(VALU_DEP_3) | instskip(NEXT) | instid1(VALU_DEP_2)
	v_add_f64_e64 v[12:13], v[14:15], -v[8:9]
	v_add_f64_e32 v[10:11], v[14:15], v[10:11]
	s_delay_alu instid0(VALU_DEP_2) | instskip(SKIP_1) | instid1(VALU_DEP_3)
	v_add_f64_e64 v[14:15], v[14:15], -v[12:13]
	v_add_f64_e64 v[6:7], v[6:7], -v[12:13]
	v_add_f64_e32 v[16:17], v[18:19], v[10:11]
	s_delay_alu instid0(VALU_DEP_3) | instskip(NEXT) | instid1(VALU_DEP_2)
	v_add_f64_e64 v[8:9], v[8:9], -v[14:15]
	v_add_f64_e64 v[12:13], v[16:17], -v[18:19]
	s_delay_alu instid0(VALU_DEP_2) | instskip(NEXT) | instid1(VALU_DEP_2)
	v_add_f64_e32 v[6:7], v[6:7], v[8:9]
	v_add_f64_e64 v[8:9], v[10:11], -v[12:13]
	s_delay_alu instid0(VALU_DEP_1) | instskip(NEXT) | instid1(VALU_DEP_1)
	v_add_f64_e32 v[6:7], v[6:7], v[8:9]
	v_add_f64_e32 v[6:7], v[16:17], v[6:7]
	s_delay_alu instid0(VALU_DEP_1) | instskip(SKIP_1) | instid1(VALU_DEP_3)
	v_cndmask_b32_e32 v6, 0, v6, vcc_lo
	v_cmp_neq_f64_e32 vcc_lo, -1.0, v[0:1]
	v_cndmask_b32_e64 v3, 0x7ff00000, v7, s0
	s_delay_alu instid0(VALU_DEP_1) | instskip(NEXT) | instid1(VALU_DEP_1)
	v_cndmask_b32_e64 v3, 0x7ff80000, v3, s1
	v_cndmask_b32_e32 v7, 0xfff00000, v3, vcc_lo
	s_delay_alu instid0(VALU_DEP_1) | instskip(NEXT) | instid1(VALU_DEP_1)
	v_div_scale_f64 v[0:1], null, s[8:9], s[8:9], v[6:7]
	v_rcp_f64_e32 v[8:9], v[0:1]
	v_nop
	s_delay_alu instid0(TRANS32_DEP_1) | instskip(NEXT) | instid1(VALU_DEP_1)
	v_fma_f64 v[10:11], -v[0:1], v[8:9], 1.0
	v_fmac_f64_e32 v[8:9], v[8:9], v[10:11]
	s_delay_alu instid0(VALU_DEP_1) | instskip(NEXT) | instid1(VALU_DEP_1)
	v_fma_f64 v[10:11], -v[0:1], v[8:9], 1.0
	v_fmac_f64_e32 v[8:9], v[8:9], v[10:11]
	v_div_scale_f64 v[10:11], vcc_lo, v[6:7], s[8:9], v[6:7]
	s_delay_alu instid0(VALU_DEP_1) | instskip(NEXT) | instid1(VALU_DEP_1)
	v_mul_f64_e32 v[12:13], v[10:11], v[8:9]
	v_fma_f64 v[0:1], -v[0:1], v[12:13], v[10:11]
	s_delay_alu instid0(VALU_DEP_1) | instskip(NEXT) | instid1(VALU_DEP_1)
	v_div_fmas_f64 v[0:1], v[0:1], v[8:9], v[12:13]
	v_div_fixup_f64 v[0:1], v[0:1], s[8:9], v[6:7]
.LBB7_301:
	s_or_b32 exec_lo, exec_lo, s29
	v_mov_b32_e32 v3, 0
	s_and_b32 s1, s38, 0xff
	s_delay_alu instid0(SALU_CYCLE_1) | instskip(NEXT) | instid1(VALU_DEP_1)
	s_cmp_lt_i32 s1, 11
	v_add_nc_u64_e32 v[6:7], s[4:5], v[2:3]
	s_cbranch_scc1 .LBB7_309
; %bb.302:
	s_and_b32 s29, 0xffff, s1
	s_delay_alu instid0(SALU_CYCLE_1)
	s_cmp_gt_i32 s29, 25
	s_cbranch_scc0 .LBB7_311
; %bb.303:
	s_cmp_gt_i32 s29, 28
	s_cbranch_scc0 .LBB7_313
; %bb.304:
	;; [unrolled: 3-line block ×4, first 2 shown]
	s_mov_b32 s31, 0
	s_mov_b32 s0, -1
	s_cmp_eq_u32 s29, 46
	s_mov_b32 s30, 0
	s_cbranch_scc0 .LBB7_326
; %bb.307:
	s_delay_alu instid0(VALU_DEP_3) | instskip(SKIP_2) | instid1(VALU_DEP_1)
	v_cvt_f32_f64_e32 v2, v[0:1]
	s_mov_b32 s30, -1
	s_mov_b32 s0, 0
	v_bfe_u32 v3, v2, 16, 1
	v_cmp_o_f32_e32 vcc_lo, v2, v2
	s_delay_alu instid0(VALU_DEP_2) | instskip(NEXT) | instid1(VALU_DEP_1)
	v_add3_u32 v3, v2, v3, 0x7fff
	v_lshrrev_b32_e32 v3, 16, v3
	s_delay_alu instid0(VALU_DEP_1)
	v_cndmask_b32_e32 v2, 0x7fc0, v3, vcc_lo
	global_store_b32 v[6:7], v2, off
	s_branch .LBB7_326
.LBB7_308:
	s_mov_b32 s29, -1
	s_mov_b32 s1, 0
	s_mov_b32 s28, s43
                                        ; implicit-def: $vgpr0_vgpr1
	s_branch .LBB7_463
.LBB7_309:
	s_mov_b32 s29, -1
	s_mov_b32 s30, 0
	s_mov_b32 s0, s22
	s_branch .LBB7_395
.LBB7_310:
	s_mov_b32 s29, -1
	s_mov_b32 s1, 0
	s_mov_b32 s28, s43
                                        ; implicit-def: $vgpr0_vgpr1
	s_branch .LBB7_444
.LBB7_311:
	s_mov_b32 s31, -1
	s_mov_b32 s30, 0
	s_mov_b32 s0, s22
	s_branch .LBB7_353
.LBB7_312:
	s_mov_b32 s29, -1
	s_mov_b32 s1, 0
	s_mov_b32 s28, s43
                                        ; implicit-def: $vgpr0_vgpr1
	s_branch .LBB7_439
.LBB7_313:
	s_mov_b32 s31, -1
	s_mov_b32 s30, 0
	s_mov_b32 s0, s22
	s_branch .LBB7_336
.LBB7_314:
	s_and_not1_saveexec_b32 s31, s31
	s_cbranch_execz .LBB7_71
.LBB7_315:
	v_add_f32_e64 v3, 0x46000000, |v2|
	s_and_not1_b32 s30, s30, exec_lo
	s_delay_alu instid0(VALU_DEP_1) | instskip(NEXT) | instid1(VALU_DEP_1)
	v_and_b32_e32 v3, 0xff, v3
	v_cmp_ne_u32_e32 vcc_lo, 0, v3
	s_and_b32 s43, vcc_lo, exec_lo
	s_delay_alu instid0(SALU_CYCLE_1)
	s_or_b32 s30, s30, s43
	s_or_b32 exec_lo, exec_lo, s31
	v_mov_b32_e32 v5, 0
	s_and_saveexec_b32 s31, s30
	s_cbranch_execnz .LBB7_72
	s_branch .LBB7_73
.LBB7_316:
	s_mov_b32 s29, -1
	s_mov_b32 s1, 0
	s_mov_b32 s28, s43
	s_branch .LBB7_321
.LBB7_317:
	s_mov_b32 s31, -1
	s_mov_b32 s30, 0
	s_mov_b32 s0, s22
	s_branch .LBB7_332
.LBB7_318:
	s_and_not1_saveexec_b32 s31, s31
	s_cbranch_execz .LBB7_84
.LBB7_319:
	v_add_f32_e64 v3, 0x42800000, |v2|
	s_and_not1_b32 s30, s30, exec_lo
	s_delay_alu instid0(VALU_DEP_1) | instskip(NEXT) | instid1(VALU_DEP_1)
	v_and_b32_e32 v3, 0xff, v3
	v_cmp_ne_u32_e32 vcc_lo, 0, v3
	s_and_b32 s43, vcc_lo, exec_lo
	s_delay_alu instid0(SALU_CYCLE_1)
	s_or_b32 s30, s30, s43
	s_or_b32 exec_lo, exec_lo, s31
	v_mov_b32_e32 v5, 0
	s_and_saveexec_b32 s31, s30
	s_cbranch_execnz .LBB7_85
	s_branch .LBB7_86
.LBB7_320:
	s_mov_b32 s28, -1
	s_mov_b32 s1, 0
.LBB7_321:
                                        ; implicit-def: $vgpr0_vgpr1
.LBB7_322:
	s_and_b32 vcc_lo, exec_lo, s29
	s_cbranch_vccz .LBB7_438
; %bb.323:
	s_cmp_eq_u32 s0, 44
	s_cbranch_scc0 .LBB7_437
; %bb.324:
	global_load_u8 v3, v[6:7], off
	s_mov_b32 s28, 0
	s_mov_b32 s1, -1
	s_wait_loadcnt 0x0
	v_cmp_ne_u32_e32 vcc_lo, 0xff, v3
	v_lshlrev_b32_e32 v0, 23, v3
	s_delay_alu instid0(VALU_DEP_1) | instskip(NEXT) | instid1(VALU_DEP_1)
	v_cvt_f64_f32_e32 v[0:1], v0
	v_cndmask_b32_e32 v0, 0x20000000, v0, vcc_lo
	s_delay_alu instid0(VALU_DEP_2) | instskip(SKIP_1) | instid1(VALU_DEP_2)
	v_cndmask_b32_e32 v1, 0x7ff80000, v1, vcc_lo
	v_cmp_ne_u32_e32 vcc_lo, 0, v3
	v_cndmask_b32_e32 v1, 0x38000000, v1, vcc_lo
	s_delay_alu instid0(VALU_DEP_4)
	v_cndmask_b32_e32 v0, 0, v0, vcc_lo
	s_branch .LBB7_438
.LBB7_325:
	s_mov_b32 s31, -1
	s_mov_b32 s30, 0
	s_mov_b32 s0, s22
.LBB7_326:
	s_and_b32 vcc_lo, exec_lo, s31
	s_cbranch_vccz .LBB7_331
; %bb.327:
	s_cmp_eq_u32 s29, 44
	s_mov_b32 s0, -1
	s_cbranch_scc0 .LBB7_331
; %bb.328:
	s_wait_xcnt 0x0
	s_delay_alu instid0(VALU_DEP_3) | instskip(SKIP_2) | instid1(VALU_DEP_2)
	v_cvt_f32_f64_e32 v2, v[0:1]
	v_mov_b32_e32 v3, 0xff
	s_mov_b32 s30, exec_lo
	v_bfe_u32 v5, v2, 23, 8
	s_delay_alu instid0(VALU_DEP_1)
	v_cmpx_ne_u32_e32 0xff, v5
	s_cbranch_execz .LBB7_330
; %bb.329:
	v_and_b32_e32 v3, 0x400000, v2
	v_and_or_b32 v5, 0x3fffff, v2, v5
	v_lshrrev_b32_e32 v2, 23, v2
	s_delay_alu instid0(VALU_DEP_3) | instskip(NEXT) | instid1(VALU_DEP_3)
	v_cmp_ne_u32_e32 vcc_lo, 0, v3
	v_cmp_ne_u32_e64 s0, 0, v5
	s_and_b32 s0, vcc_lo, s0
	s_delay_alu instid0(SALU_CYCLE_1) | instskip(NEXT) | instid1(VALU_DEP_1)
	v_cndmask_b32_e64 v3, 0, 1, s0
	v_add_nc_u32_e32 v3, v2, v3
.LBB7_330:
	s_or_b32 exec_lo, exec_lo, s30
	s_mov_b32 s30, -1
	s_mov_b32 s0, 0
	global_store_b8 v[6:7], v3, off
.LBB7_331:
	s_mov_b32 s31, 0
.LBB7_332:
	s_delay_alu instid0(SALU_CYCLE_1)
	s_and_b32 vcc_lo, exec_lo, s31
	s_cbranch_vccz .LBB7_335
; %bb.333:
	s_cmp_eq_u32 s29, 29
	s_mov_b32 s0, -1
	s_cbranch_scc0 .LBB7_335
; %bb.334:
	s_wait_xcnt 0x0
	s_delay_alu instid0(VALU_DEP_3) | instskip(SKIP_3) | instid1(VALU_DEP_1)
	v_trunc_f64_e32 v[2:3], v[0:1]
	s_mov_b32 s30, -1
	s_mov_b32 s0, 0
	s_mov_b32 s31, 0
	v_ldexp_f64 v[8:9], v[2:3], 0xffffffe0
	s_delay_alu instid0(VALU_DEP_1) | instskip(NEXT) | instid1(VALU_DEP_1)
	v_floor_f64_e32 v[8:9], v[8:9]
	v_fmamk_f64 v[2:3], v[8:9], 0xc1f00000, v[2:3]
	v_cvt_u32_f64_e32 v9, v[8:9]
	s_delay_alu instid0(VALU_DEP_2)
	v_cvt_u32_f64_e32 v8, v[2:3]
	global_store_b64 v[6:7], v[8:9], off
	s_branch .LBB7_336
.LBB7_335:
	s_mov_b32 s31, 0
.LBB7_336:
	s_delay_alu instid0(SALU_CYCLE_1)
	s_and_b32 vcc_lo, exec_lo, s31
	s_cbranch_vccz .LBB7_352
; %bb.337:
	s_cmp_lt_i32 s29, 27
	s_mov_b32 s30, -1
	s_cbranch_scc1 .LBB7_343
; %bb.338:
	s_wait_xcnt 0x0
	s_delay_alu instid0(VALU_DEP_3)
	v_cvt_u32_f64_e32 v2, v[0:1]
	s_cmp_gt_i32 s29, 27
	s_cbranch_scc0 .LBB7_340
; %bb.339:
	s_mov_b32 s30, 0
	global_store_b32 v[6:7], v2, off
.LBB7_340:
	s_and_not1_b32 vcc_lo, exec_lo, s30
	s_cbranch_vccnz .LBB7_342
; %bb.341:
	global_store_b16 v[6:7], v2, off
.LBB7_342:
	s_mov_b32 s30, 0
.LBB7_343:
	s_delay_alu instid0(SALU_CYCLE_1)
	s_and_not1_b32 vcc_lo, exec_lo, s30
	s_cbranch_vccnz .LBB7_351
; %bb.344:
	s_wait_xcnt 0x0
	s_delay_alu instid0(VALU_DEP_3) | instskip(SKIP_2) | instid1(VALU_DEP_2)
	v_cvt_f32_f64_e32 v2, v[0:1]
	v_mov_b32_e32 v5, 0x80
	s_mov_b32 s30, exec_lo
	v_and_b32_e32 v3, 0x7fffffff, v2
	s_delay_alu instid0(VALU_DEP_1)
	v_cmpx_gt_u32_e32 0x43800000, v3
	s_cbranch_execz .LBB7_350
; %bb.345:
	v_cmp_lt_u32_e32 vcc_lo, 0x3bffffff, v3
	s_mov_b32 s31, 0
                                        ; implicit-def: $vgpr3
	s_and_saveexec_b32 s45, vcc_lo
	s_delay_alu instid0(SALU_CYCLE_1)
	s_xor_b32 s45, exec_lo, s45
	s_cbranch_execz .LBB7_580
; %bb.346:
	v_bfe_u32 v3, v2, 20, 1
	s_mov_b32 s31, exec_lo
	s_delay_alu instid0(VALU_DEP_1) | instskip(NEXT) | instid1(VALU_DEP_1)
	v_add3_u32 v3, v2, v3, 0x487ffff
	v_lshrrev_b32_e32 v3, 20, v3
	s_and_not1_saveexec_b32 s45, s45
	s_cbranch_execnz .LBB7_581
.LBB7_347:
	s_or_b32 exec_lo, exec_lo, s45
	v_mov_b32_e32 v5, 0
	s_and_saveexec_b32 s45, s31
.LBB7_348:
	v_lshrrev_b32_e32 v2, 24, v2
	s_delay_alu instid0(VALU_DEP_1)
	v_and_or_b32 v5, 0x80, v2, v3
.LBB7_349:
	s_or_b32 exec_lo, exec_lo, s45
.LBB7_350:
	s_delay_alu instid0(SALU_CYCLE_1)
	s_or_b32 exec_lo, exec_lo, s30
	global_store_b8 v[6:7], v5, off
.LBB7_351:
	s_mov_b32 s30, -1
.LBB7_352:
	s_mov_b32 s31, 0
.LBB7_353:
	s_delay_alu instid0(SALU_CYCLE_1)
	s_and_b32 vcc_lo, exec_lo, s31
	s_cbranch_vccz .LBB7_394
; %bb.354:
	s_cmp_gt_i32 s29, 22
	s_mov_b32 s31, -1
	s_cbranch_scc0 .LBB7_386
; %bb.355:
	s_cmp_lt_i32 s29, 24
	s_mov_b32 s30, -1
	s_cbranch_scc1 .LBB7_375
; %bb.356:
	s_cmp_gt_i32 s29, 24
	s_cbranch_scc0 .LBB7_364
; %bb.357:
	s_wait_xcnt 0x0
	s_delay_alu instid0(VALU_DEP_3) | instskip(SKIP_2) | instid1(VALU_DEP_2)
	v_cvt_f32_f64_e32 v2, v[0:1]
	v_mov_b32_e32 v5, 0x80
	s_mov_b32 s30, exec_lo
	v_and_b32_e32 v3, 0x7fffffff, v2
	s_delay_alu instid0(VALU_DEP_1)
	v_cmpx_gt_u32_e32 0x47800000, v3
	s_cbranch_execz .LBB7_363
; %bb.358:
	v_cmp_lt_u32_e32 vcc_lo, 0x37ffffff, v3
	s_mov_b32 s31, 0
                                        ; implicit-def: $vgpr3
	s_and_saveexec_b32 s45, vcc_lo
	s_delay_alu instid0(SALU_CYCLE_1)
	s_xor_b32 s45, exec_lo, s45
	s_cbranch_execz .LBB7_583
; %bb.359:
	v_bfe_u32 v3, v2, 21, 1
	s_mov_b32 s31, exec_lo
	s_delay_alu instid0(VALU_DEP_1) | instskip(NEXT) | instid1(VALU_DEP_1)
	v_add3_u32 v3, v2, v3, 0x88fffff
	v_lshrrev_b32_e32 v3, 21, v3
	s_and_not1_saveexec_b32 s45, s45
	s_cbranch_execnz .LBB7_584
.LBB7_360:
	s_or_b32 exec_lo, exec_lo, s45
	v_mov_b32_e32 v5, 0
	s_and_saveexec_b32 s45, s31
.LBB7_361:
	v_lshrrev_b32_e32 v2, 24, v2
	s_delay_alu instid0(VALU_DEP_1)
	v_and_or_b32 v5, 0x80, v2, v3
.LBB7_362:
	s_or_b32 exec_lo, exec_lo, s45
.LBB7_363:
	s_delay_alu instid0(SALU_CYCLE_1)
	s_or_b32 exec_lo, exec_lo, s30
	s_mov_b32 s30, 0
	global_store_b8 v[6:7], v5, off
.LBB7_364:
	s_and_b32 vcc_lo, exec_lo, s30
	s_cbranch_vccz .LBB7_374
; %bb.365:
	s_wait_xcnt 0x0
	s_delay_alu instid0(VALU_DEP_3) | instskip(SKIP_1) | instid1(VALU_DEP_1)
	v_cvt_f32_f64_e32 v2, v[0:1]
	s_mov_b32 s30, exec_lo
                                        ; implicit-def: $vgpr3
	v_and_b32_e32 v5, 0x7fffffff, v2
	s_delay_alu instid0(VALU_DEP_1)
	v_cmpx_gt_u32_e32 0x43f00000, v5
	s_xor_b32 s30, exec_lo, s30
	s_cbranch_execz .LBB7_371
; %bb.366:
	s_mov_b32 s31, exec_lo
                                        ; implicit-def: $vgpr3
	v_cmpx_lt_u32_e32 0x3c7fffff, v5
	s_xor_b32 s31, exec_lo, s31
; %bb.367:
	v_bfe_u32 v3, v2, 20, 1
	s_delay_alu instid0(VALU_DEP_1) | instskip(NEXT) | instid1(VALU_DEP_1)
	v_add3_u32 v3, v2, v3, 0x407ffff
	v_and_b32_e32 v5, 0xff00000, v3
	v_lshrrev_b32_e32 v3, 20, v3
	s_delay_alu instid0(VALU_DEP_2) | instskip(NEXT) | instid1(VALU_DEP_2)
	v_cmp_ne_u32_e32 vcc_lo, 0x7f00000, v5
	v_cndmask_b32_e32 v3, 0x7e, v3, vcc_lo
; %bb.368:
	s_and_not1_saveexec_b32 s31, s31
; %bb.369:
	v_add_f32_e64 v3, 0x46800000, |v2|
; %bb.370:
	s_or_b32 exec_lo, exec_lo, s31
                                        ; implicit-def: $vgpr5
.LBB7_371:
	s_and_not1_saveexec_b32 s30, s30
; %bb.372:
	v_mov_b32_e32 v3, 0x7f
	v_cmp_lt_u32_e32 vcc_lo, 0x7f800000, v5
	s_delay_alu instid0(VALU_DEP_2)
	v_cndmask_b32_e32 v3, 0x7e, v3, vcc_lo
; %bb.373:
	s_or_b32 exec_lo, exec_lo, s30
	v_lshrrev_b32_e32 v2, 24, v2
	s_delay_alu instid0(VALU_DEP_1)
	v_and_or_b32 v2, 0x80, v2, v3
	global_store_b8 v[6:7], v2, off
.LBB7_374:
	s_mov_b32 s30, 0
.LBB7_375:
	s_delay_alu instid0(SALU_CYCLE_1)
	s_and_not1_b32 vcc_lo, exec_lo, s30
	s_cbranch_vccnz .LBB7_385
; %bb.376:
	s_wait_xcnt 0x0
	s_delay_alu instid0(VALU_DEP_3) | instskip(SKIP_1) | instid1(VALU_DEP_1)
	v_cvt_f32_f64_e32 v2, v[0:1]
	s_mov_b32 s30, exec_lo
                                        ; implicit-def: $vgpr3
	v_and_b32_e32 v5, 0x7fffffff, v2
	s_delay_alu instid0(VALU_DEP_1)
	v_cmpx_gt_u32_e32 0x47800000, v5
	s_xor_b32 s30, exec_lo, s30
	s_cbranch_execz .LBB7_382
; %bb.377:
	s_mov_b32 s31, exec_lo
                                        ; implicit-def: $vgpr3
	v_cmpx_lt_u32_e32 0x387fffff, v5
	s_xor_b32 s31, exec_lo, s31
; %bb.378:
	v_bfe_u32 v3, v2, 21, 1
	s_delay_alu instid0(VALU_DEP_1) | instskip(NEXT) | instid1(VALU_DEP_1)
	v_add3_u32 v3, v2, v3, 0x80fffff
	v_lshrrev_b32_e32 v3, 21, v3
; %bb.379:
	s_and_not1_saveexec_b32 s31, s31
; %bb.380:
	v_add_f32_e64 v3, 0x43000000, |v2|
; %bb.381:
	s_or_b32 exec_lo, exec_lo, s31
                                        ; implicit-def: $vgpr5
.LBB7_382:
	s_and_not1_saveexec_b32 s30, s30
; %bb.383:
	v_mov_b32_e32 v3, 0x7f
	v_cmp_lt_u32_e32 vcc_lo, 0x7f800000, v5
	s_delay_alu instid0(VALU_DEP_2)
	v_cndmask_b32_e32 v3, 0x7c, v3, vcc_lo
; %bb.384:
	s_or_b32 exec_lo, exec_lo, s30
	v_lshrrev_b32_e32 v2, 24, v2
	s_delay_alu instid0(VALU_DEP_1)
	v_and_or_b32 v2, 0x80, v2, v3
	global_store_b8 v[6:7], v2, off
.LBB7_385:
	s_mov_b32 s31, 0
	s_mov_b32 s30, -1
.LBB7_386:
	s_and_not1_b32 vcc_lo, exec_lo, s31
	s_cbranch_vccnz .LBB7_394
; %bb.387:
	s_cmp_gt_i32 s29, 14
	s_mov_b32 s31, -1
	s_cbranch_scc0 .LBB7_391
; %bb.388:
	s_cmp_eq_u32 s29, 15
	s_mov_b32 s0, -1
	s_cbranch_scc0 .LBB7_390
; %bb.389:
	s_wait_xcnt 0x0
	s_delay_alu instid0(VALU_DEP_3) | instskip(SKIP_2) | instid1(VALU_DEP_1)
	v_cvt_f32_f64_e32 v2, v[0:1]
	s_mov_b32 s30, -1
	s_mov_b32 s0, 0
	v_bfe_u32 v3, v2, 16, 1
	v_cmp_o_f32_e32 vcc_lo, v2, v2
	s_delay_alu instid0(VALU_DEP_2) | instskip(NEXT) | instid1(VALU_DEP_1)
	v_add3_u32 v3, v2, v3, 0x7fff
	v_lshrrev_b32_e32 v3, 16, v3
	s_delay_alu instid0(VALU_DEP_1)
	v_cndmask_b32_e32 v2, 0x7fc0, v3, vcc_lo
	global_store_b16 v[6:7], v2, off
.LBB7_390:
	s_mov_b32 s31, 0
.LBB7_391:
	s_delay_alu instid0(SALU_CYCLE_1)
	s_and_b32 vcc_lo, exec_lo, s31
	s_cbranch_vccz .LBB7_394
; %bb.392:
	s_cmp_eq_u32 s29, 11
	s_mov_b32 s0, -1
	s_cbranch_scc0 .LBB7_394
; %bb.393:
	s_delay_alu instid0(VALU_DEP_3)
	v_cmp_neq_f64_e32 vcc_lo, 0, v[0:1]
	s_mov_b32 s30, -1
	s_mov_b32 s0, 0
	s_wait_xcnt 0x0
	v_cndmask_b32_e64 v2, 0, 1, vcc_lo
	global_store_b8 v[6:7], v2, off
.LBB7_394:
	s_mov_b32 s29, 0
.LBB7_395:
	s_delay_alu instid0(SALU_CYCLE_1)
	s_and_b32 vcc_lo, exec_lo, s29
	s_cbranch_vccz .LBB7_434
; %bb.396:
	s_and_b32 s1, 0xffff, s1
	s_mov_b32 s29, -1
	s_cmp_lt_i32 s1, 5
	s_cbranch_scc1 .LBB7_417
; %bb.397:
	s_cmp_lt_i32 s1, 8
	s_cbranch_scc1 .LBB7_407
; %bb.398:
	;; [unrolled: 3-line block ×3, first 2 shown]
	s_cmp_gt_i32 s1, 9
	s_cbranch_scc0 .LBB7_401
; %bb.400:
	s_wait_xcnt 0x0
	v_mov_b32_e32 v2, 0
	s_mov_b32 s29, 0
	s_delay_alu instid0(VALU_DEP_1)
	v_mov_b32_e32 v3, v2
	global_store_b128 v[6:7], v[0:3], off
.LBB7_401:
	s_and_not1_b32 vcc_lo, exec_lo, s29
	s_cbranch_vccnz .LBB7_403
; %bb.402:
	s_wait_xcnt 0x0
	s_delay_alu instid0(VALU_DEP_3)
	v_cvt_f32_f64_e32 v2, v[0:1]
	v_mov_b32_e32 v3, 0
	global_store_b64 v[6:7], v[2:3], off
.LBB7_403:
	s_mov_b32 s29, 0
.LBB7_404:
	s_delay_alu instid0(SALU_CYCLE_1)
	s_and_not1_b32 vcc_lo, exec_lo, s29
	s_cbranch_vccnz .LBB7_406
; %bb.405:
	s_wait_xcnt 0x0
	s_delay_alu instid0(VALU_DEP_3) | instskip(SKIP_2) | instid1(VALU_DEP_3)
	v_and_or_b32 v2, 0x1ff, v1, v0
	v_lshrrev_b32_e32 v3, 8, v1
	v_bfe_u32 v5, v1, 20, 11
	v_cmp_ne_u32_e32 vcc_lo, 0, v2
	s_delay_alu instid0(VALU_DEP_2) | instskip(SKIP_2) | instid1(VALU_DEP_1)
	v_sub_nc_u32_e32 v8, 0x3f1, v5
	v_add_nc_u32_e32 v5, 0xfffffc10, v5
	v_cndmask_b32_e64 v2, 0, 1, vcc_lo
	v_and_or_b32 v2, 0xffe, v3, v2
	s_delay_alu instid0(VALU_DEP_4) | instskip(NEXT) | instid1(VALU_DEP_2)
	v_med3_i32 v3, v8, 0, 13
	v_or_b32_e32 v8, 0x1000, v2
	s_delay_alu instid0(VALU_DEP_1) | instskip(NEXT) | instid1(VALU_DEP_1)
	v_lshrrev_b32_e32 v9, v3, v8
	v_lshlrev_b32_e32 v3, v3, v9
	s_delay_alu instid0(VALU_DEP_1) | instskip(SKIP_3) | instid1(VALU_DEP_2)
	v_cmp_ne_u32_e32 vcc_lo, v3, v8
	v_lshl_or_b32 v8, v5, 12, v2
	v_cndmask_b32_e64 v3, 0, 1, vcc_lo
	v_cmp_gt_i32_e32 vcc_lo, 1, v5
	v_or_b32_e32 v3, v9, v3
	s_delay_alu instid0(VALU_DEP_1) | instskip(NEXT) | instid1(VALU_DEP_1)
	v_cndmask_b32_e32 v3, v8, v3, vcc_lo
	v_dual_lshrrev_b32 v3, 2, v3 :: v_dual_bitop2_b32 v8, 7, v3 bitop3:0x40
	s_delay_alu instid0(VALU_DEP_1) | instskip(SKIP_4) | instid1(VALU_DEP_2)
	v_cmp_lt_i32_e32 vcc_lo, 5, v8
	v_cndmask_b32_e64 v9, 0, 1, vcc_lo
	v_cmp_eq_u32_e32 vcc_lo, 3, v8
	v_cndmask_b32_e64 v8, 0, 1, vcc_lo
	v_cmp_ne_u32_e32 vcc_lo, 0, v2
	v_or_b32_e32 v8, v8, v9
	v_mov_b32_e32 v9, 0x7e00
	s_delay_alu instid0(VALU_DEP_1) | instskip(SKIP_1) | instid1(VALU_DEP_2)
	v_dual_cndmask_b32 v2, 0x7c00, v9 :: v_dual_add_nc_u32 v3, v3, v8
	v_cmp_gt_i32_e32 vcc_lo, 31, v5
	v_dual_cndmask_b32 v3, 0x7c00, v3 :: v_dual_lshrrev_b32 v8, 16, v1
	v_cmp_eq_u32_e32 vcc_lo, 0x40f, v5
	s_delay_alu instid0(VALU_DEP_2) | instskip(NEXT) | instid1(VALU_DEP_3)
	v_cndmask_b32_e32 v2, v3, v2, vcc_lo
	v_and_b32_e32 v3, 0x8000, v8
	s_delay_alu instid0(VALU_DEP_1)
	v_bitop3_b32 v2, v3, 0xffff, v2 bitop3:0xc8
	global_store_b32 v[6:7], v2, off
.LBB7_406:
	s_mov_b32 s29, 0
.LBB7_407:
	s_delay_alu instid0(SALU_CYCLE_1)
	s_and_not1_b32 vcc_lo, exec_lo, s29
	s_cbranch_vccnz .LBB7_416
; %bb.408:
	s_cmp_lt_i32 s1, 6
	s_mov_b32 s29, -1
	s_cbranch_scc1 .LBB7_414
; %bb.409:
	s_cmp_gt_i32 s1, 6
	s_cbranch_scc0 .LBB7_411
; %bb.410:
	s_mov_b32 s29, 0
	global_store_b64 v[6:7], v[0:1], off
.LBB7_411:
	s_and_not1_b32 vcc_lo, exec_lo, s29
	s_cbranch_vccnz .LBB7_413
; %bb.412:
	s_wait_xcnt 0x0
	s_delay_alu instid0(VALU_DEP_3)
	v_cvt_f32_f64_e32 v2, v[0:1]
	global_store_b32 v[6:7], v2, off
.LBB7_413:
	s_mov_b32 s29, 0
.LBB7_414:
	s_delay_alu instid0(SALU_CYCLE_1)
	s_and_not1_b32 vcc_lo, exec_lo, s29
	s_cbranch_vccnz .LBB7_416
; %bb.415:
	s_wait_xcnt 0x0
	s_delay_alu instid0(VALU_DEP_3) | instskip(SKIP_2) | instid1(VALU_DEP_3)
	v_and_or_b32 v2, 0x1ff, v1, v0
	v_lshrrev_b32_e32 v3, 8, v1
	v_bfe_u32 v5, v1, 20, 11
	v_cmp_ne_u32_e32 vcc_lo, 0, v2
	s_delay_alu instid0(VALU_DEP_2) | instskip(SKIP_2) | instid1(VALU_DEP_1)
	v_sub_nc_u32_e32 v8, 0x3f1, v5
	v_add_nc_u32_e32 v5, 0xfffffc10, v5
	v_cndmask_b32_e64 v2, 0, 1, vcc_lo
	v_and_or_b32 v2, 0xffe, v3, v2
	s_delay_alu instid0(VALU_DEP_4) | instskip(NEXT) | instid1(VALU_DEP_2)
	v_med3_i32 v3, v8, 0, 13
	v_or_b32_e32 v8, 0x1000, v2
	s_delay_alu instid0(VALU_DEP_1) | instskip(NEXT) | instid1(VALU_DEP_1)
	v_lshrrev_b32_e32 v9, v3, v8
	v_lshlrev_b32_e32 v3, v3, v9
	s_delay_alu instid0(VALU_DEP_1) | instskip(SKIP_3) | instid1(VALU_DEP_2)
	v_cmp_ne_u32_e32 vcc_lo, v3, v8
	v_lshl_or_b32 v8, v5, 12, v2
	v_cndmask_b32_e64 v3, 0, 1, vcc_lo
	v_cmp_gt_i32_e32 vcc_lo, 1, v5
	v_or_b32_e32 v3, v9, v3
	s_delay_alu instid0(VALU_DEP_1) | instskip(NEXT) | instid1(VALU_DEP_1)
	v_cndmask_b32_e32 v3, v8, v3, vcc_lo
	v_dual_lshrrev_b32 v3, 2, v3 :: v_dual_bitop2_b32 v8, 7, v3 bitop3:0x40
	s_delay_alu instid0(VALU_DEP_1) | instskip(SKIP_4) | instid1(VALU_DEP_2)
	v_cmp_lt_i32_e32 vcc_lo, 5, v8
	v_cndmask_b32_e64 v9, 0, 1, vcc_lo
	v_cmp_eq_u32_e32 vcc_lo, 3, v8
	v_cndmask_b32_e64 v8, 0, 1, vcc_lo
	v_cmp_ne_u32_e32 vcc_lo, 0, v2
	v_or_b32_e32 v8, v8, v9
	v_mov_b32_e32 v9, 0x7e00
	s_delay_alu instid0(VALU_DEP_1) | instskip(SKIP_1) | instid1(VALU_DEP_2)
	v_dual_cndmask_b32 v2, 0x7c00, v9 :: v_dual_add_nc_u32 v3, v3, v8
	v_cmp_gt_i32_e32 vcc_lo, 31, v5
	v_cndmask_b32_e32 v3, 0x7c00, v3, vcc_lo
	v_cmp_eq_u32_e32 vcc_lo, 0x40f, v5
	s_delay_alu instid0(VALU_DEP_2) | instskip(NEXT) | instid1(VALU_DEP_1)
	v_dual_cndmask_b32 v2, v3, v2 :: v_dual_lshrrev_b32 v3, 16, v1
	v_and_or_b32 v2, 0x8000, v3, v2
	global_store_b16 v[6:7], v2, off
.LBB7_416:
	s_mov_b32 s29, 0
.LBB7_417:
	s_delay_alu instid0(SALU_CYCLE_1)
	s_and_not1_b32 vcc_lo, exec_lo, s29
	s_cbranch_vccnz .LBB7_433
; %bb.418:
	s_cmp_lt_i32 s1, 2
	s_mov_b32 s29, -1
	s_cbranch_scc1 .LBB7_428
; %bb.419:
	s_cmp_lt_i32 s1, 3
	s_cbranch_scc1 .LBB7_425
; %bb.420:
	s_cmp_gt_i32 s1, 3
	s_cbranch_scc0 .LBB7_422
; %bb.421:
	s_wait_xcnt 0x0
	s_delay_alu instid0(VALU_DEP_3) | instskip(SKIP_1) | instid1(VALU_DEP_1)
	v_trunc_f64_e32 v[2:3], v[0:1]
	s_mov_b32 s29, 0
	v_ldexp_f64 v[8:9], v[2:3], 0xffffffe0
	s_delay_alu instid0(VALU_DEP_1) | instskip(NEXT) | instid1(VALU_DEP_1)
	v_floor_f64_e32 v[8:9], v[8:9]
	v_fmamk_f64 v[2:3], v[8:9], 0xc1f00000, v[2:3]
	v_cvt_i32_f64_e32 v9, v[8:9]
	s_delay_alu instid0(VALU_DEP_2)
	v_cvt_u32_f64_e32 v8, v[2:3]
	global_store_b64 v[6:7], v[8:9], off
.LBB7_422:
	s_and_not1_b32 vcc_lo, exec_lo, s29
	s_cbranch_vccnz .LBB7_424
; %bb.423:
	s_wait_xcnt 0x0
	s_delay_alu instid0(VALU_DEP_3)
	v_cvt_i32_f64_e32 v2, v[0:1]
	global_store_b32 v[6:7], v2, off
.LBB7_424:
	s_mov_b32 s29, 0
.LBB7_425:
	s_delay_alu instid0(SALU_CYCLE_1)
	s_and_not1_b32 vcc_lo, exec_lo, s29
	s_cbranch_vccnz .LBB7_427
; %bb.426:
	s_wait_xcnt 0x0
	s_delay_alu instid0(VALU_DEP_3)
	v_cvt_i32_f64_e32 v2, v[0:1]
	global_store_b16 v[6:7], v2, off
.LBB7_427:
	s_mov_b32 s29, 0
.LBB7_428:
	s_delay_alu instid0(SALU_CYCLE_1)
	s_and_not1_b32 vcc_lo, exec_lo, s29
	s_cbranch_vccnz .LBB7_433
; %bb.429:
	s_cmp_gt_i32 s1, 0
	s_mov_b32 s1, -1
	s_cbranch_scc0 .LBB7_431
; %bb.430:
	s_wait_xcnt 0x0
	s_delay_alu instid0(VALU_DEP_3)
	v_cvt_i32_f64_e32 v2, v[0:1]
	s_mov_b32 s1, 0
	global_store_b8 v[6:7], v2, off
.LBB7_431:
	s_and_not1_b32 vcc_lo, exec_lo, s1
	s_cbranch_vccnz .LBB7_433
; %bb.432:
	s_wait_xcnt 0x0
	s_delay_alu instid0(VALU_DEP_3) | instskip(NEXT) | instid1(VALU_DEP_1)
	v_trunc_f64_e32 v[0:1], v[0:1]
	v_ldexp_f64 v[2:3], v[0:1], 0xffffffe0
	s_delay_alu instid0(VALU_DEP_1) | instskip(NEXT) | instid1(VALU_DEP_1)
	v_floor_f64_e32 v[2:3], v[2:3]
	v_fmamk_f64 v[0:1], v[2:3], 0xc1f00000, v[0:1]
	s_delay_alu instid0(VALU_DEP_1)
	v_cvt_u32_f64_e32 v0, v[0:1]
	global_store_b8 v[6:7], v0, off
.LBB7_433:
	s_mov_b32 s30, -1
.LBB7_434:
	s_delay_alu instid0(SALU_CYCLE_1)
	s_and_not1_b32 vcc_lo, exec_lo, s30
	s_cbranch_vccnz .LBB7_436
; %bb.435:
	v_add_nc_u32_e32 v4, 0x80, v4
	s_mov_b32 s1, -1
	s_branch .LBB7_549
.LBB7_436:
	s_mov_b32 s1, 0
	s_branch .LBB7_548
.LBB7_437:
	s_mov_b32 s28, -1
                                        ; implicit-def: $vgpr0_vgpr1
.LBB7_438:
	s_mov_b32 s29, 0
.LBB7_439:
	s_delay_alu instid0(SALU_CYCLE_1)
	s_and_b32 vcc_lo, exec_lo, s29
	s_cbranch_vccz .LBB7_443
; %bb.440:
	s_cmp_eq_u32 s0, 29
	s_cbranch_scc0 .LBB7_442
; %bb.441:
	global_load_b64 v[0:1], v[6:7], off
	s_mov_b32 s1, -1
	s_mov_b32 s28, 0
	s_mov_b32 s29, 0
	s_wait_loadcnt 0x0
	v_cvt_f64_u32_e32 v[8:9], v1
	v_cvt_f64_u32_e32 v[0:1], v0
	s_delay_alu instid0(VALU_DEP_2) | instskip(NEXT) | instid1(VALU_DEP_1)
	v_ldexp_f64 v[8:9], v[8:9], 32
	v_add_f64_e32 v[0:1], v[8:9], v[0:1]
	s_branch .LBB7_444
.LBB7_442:
	s_mov_b32 s28, -1
                                        ; implicit-def: $vgpr0_vgpr1
.LBB7_443:
	s_mov_b32 s29, 0
.LBB7_444:
	s_delay_alu instid0(SALU_CYCLE_1)
	s_and_b32 vcc_lo, exec_lo, s29
	s_cbranch_vccz .LBB7_462
; %bb.445:
	s_cmp_lt_i32 s0, 27
	s_cbranch_scc1 .LBB7_448
; %bb.446:
	s_cmp_gt_i32 s0, 27
	s_cbranch_scc0 .LBB7_449
; %bb.447:
	global_load_b32 v0, v[6:7], off
	s_mov_b32 s1, 0
	s_wait_loadcnt 0x0
	v_cvt_f64_u32_e32 v[0:1], v0
	s_branch .LBB7_450
.LBB7_448:
	s_mov_b32 s1, -1
                                        ; implicit-def: $vgpr0_vgpr1
	s_branch .LBB7_453
.LBB7_449:
	s_mov_b32 s1, -1
                                        ; implicit-def: $vgpr0_vgpr1
.LBB7_450:
	s_delay_alu instid0(SALU_CYCLE_1)
	s_and_not1_b32 vcc_lo, exec_lo, s1
	s_cbranch_vccnz .LBB7_452
; %bb.451:
	global_load_u16 v0, v[6:7], off
	s_wait_loadcnt 0x0
	v_cvt_f64_u32_e32 v[0:1], v0
.LBB7_452:
	s_mov_b32 s1, 0
.LBB7_453:
	s_delay_alu instid0(SALU_CYCLE_1)
	s_and_not1_b32 vcc_lo, exec_lo, s1
	s_cbranch_vccnz .LBB7_461
; %bb.454:
	global_load_u8 v3, v[6:7], off
	s_mov_b32 s1, 0
	s_mov_b32 s29, exec_lo
	s_wait_loadcnt 0x0
	v_cmpx_lt_i16_e32 0x7f, v3
	s_xor_b32 s29, exec_lo, s29
	s_cbranch_execz .LBB7_475
; %bb.455:
	s_mov_b32 s1, -1
	s_mov_b32 s30, exec_lo
	v_cmpx_eq_u16_e32 0x80, v3
; %bb.456:
	s_xor_b32 s1, exec_lo, -1
; %bb.457:
	s_or_b32 exec_lo, exec_lo, s30
	s_delay_alu instid0(SALU_CYCLE_1)
	s_and_b32 s1, s1, exec_lo
	s_or_saveexec_b32 s29, s29
	v_mov_b64_e32 v[0:1], 0x7ff8000020000000
	s_xor_b32 exec_lo, exec_lo, s29
	s_cbranch_execnz .LBB7_476
.LBB7_458:
	s_or_b32 exec_lo, exec_lo, s29
	s_and_saveexec_b32 s29, s1
	s_cbranch_execz .LBB7_460
.LBB7_459:
	v_and_b32_e32 v0, 0xffff, v3
	s_delay_alu instid0(VALU_DEP_1) | instskip(SKIP_1) | instid1(VALU_DEP_2)
	v_and_b32_e32 v1, 7, v0
	v_bfe_u32 v9, v0, 3, 4
	v_clz_i32_u32_e32 v5, v1
	s_delay_alu instid0(VALU_DEP_2) | instskip(NEXT) | instid1(VALU_DEP_2)
	v_cmp_eq_u32_e32 vcc_lo, 0, v9
	v_min_u32_e32 v5, 32, v5
	s_delay_alu instid0(VALU_DEP_1) | instskip(NEXT) | instid1(VALU_DEP_1)
	v_subrev_nc_u32_e32 v8, 28, v5
	v_dual_lshlrev_b32 v0, v8, v0 :: v_dual_sub_nc_u32 v5, 29, v5
	s_delay_alu instid0(VALU_DEP_1) | instskip(NEXT) | instid1(VALU_DEP_2)
	v_dual_lshlrev_b32 v3, 24, v3 :: v_dual_bitop2_b32 v0, 7, v0 bitop3:0x40
	v_cndmask_b32_e32 v5, v9, v5, vcc_lo
	s_delay_alu instid0(VALU_DEP_2) | instskip(NEXT) | instid1(VALU_DEP_3)
	v_cndmask_b32_e32 v0, v1, v0, vcc_lo
	v_and_b32_e32 v1, 0x80000000, v3
	s_delay_alu instid0(VALU_DEP_3) | instskip(NEXT) | instid1(VALU_DEP_3)
	v_lshl_add_u32 v3, v5, 23, 0x3b800000
	v_lshlrev_b32_e32 v0, 20, v0
	s_delay_alu instid0(VALU_DEP_1) | instskip(NEXT) | instid1(VALU_DEP_1)
	v_or3_b32 v0, v1, v3, v0
	v_cvt_f64_f32_e32 v[0:1], v0
.LBB7_460:
	s_or_b32 exec_lo, exec_lo, s29
.LBB7_461:
	s_mov_b32 s1, -1
.LBB7_462:
	s_mov_b32 s29, 0
.LBB7_463:
	s_delay_alu instid0(SALU_CYCLE_1)
	s_and_b32 vcc_lo, exec_lo, s29
	s_cbranch_vccz .LBB7_498
; %bb.464:
	s_cmp_gt_i32 s0, 22
	s_cbranch_scc0 .LBB7_474
; %bb.465:
	s_cmp_lt_i32 s0, 24
	s_cbranch_scc1 .LBB7_477
; %bb.466:
	s_cmp_gt_i32 s0, 24
	s_cbranch_scc0 .LBB7_478
; %bb.467:
	global_load_u8 v3, v[6:7], off
	s_mov_b32 s1, 0
	s_mov_b32 s29, exec_lo
	s_wait_loadcnt 0x0
	v_cmpx_lt_i16_e32 0x7f, v3
	s_xor_b32 s29, exec_lo, s29
	s_cbranch_execz .LBB7_490
; %bb.468:
	s_mov_b32 s1, -1
	s_mov_b32 s30, exec_lo
	v_cmpx_eq_u16_e32 0x80, v3
; %bb.469:
	s_xor_b32 s1, exec_lo, -1
; %bb.470:
	s_or_b32 exec_lo, exec_lo, s30
	s_delay_alu instid0(SALU_CYCLE_1)
	s_and_b32 s1, s1, exec_lo
	s_or_saveexec_b32 s29, s29
	v_mov_b64_e32 v[0:1], 0x7ff8000020000000
	s_xor_b32 exec_lo, exec_lo, s29
	s_cbranch_execnz .LBB7_491
.LBB7_471:
	s_or_b32 exec_lo, exec_lo, s29
	s_and_saveexec_b32 s29, s1
	s_cbranch_execz .LBB7_473
.LBB7_472:
	v_and_b32_e32 v0, 0xffff, v3
	s_delay_alu instid0(VALU_DEP_1) | instskip(SKIP_1) | instid1(VALU_DEP_2)
	v_and_b32_e32 v1, 3, v0
	v_bfe_u32 v9, v0, 2, 5
	v_clz_i32_u32_e32 v5, v1
	s_delay_alu instid0(VALU_DEP_2) | instskip(NEXT) | instid1(VALU_DEP_2)
	v_cmp_eq_u32_e32 vcc_lo, 0, v9
	v_min_u32_e32 v5, 32, v5
	s_delay_alu instid0(VALU_DEP_1) | instskip(NEXT) | instid1(VALU_DEP_1)
	v_subrev_nc_u32_e32 v8, 29, v5
	v_dual_lshlrev_b32 v0, v8, v0 :: v_dual_sub_nc_u32 v5, 30, v5
	s_delay_alu instid0(VALU_DEP_1) | instskip(NEXT) | instid1(VALU_DEP_2)
	v_dual_lshlrev_b32 v3, 24, v3 :: v_dual_bitop2_b32 v0, 3, v0 bitop3:0x40
	v_cndmask_b32_e32 v5, v9, v5, vcc_lo
	s_delay_alu instid0(VALU_DEP_2) | instskip(NEXT) | instid1(VALU_DEP_3)
	v_cndmask_b32_e32 v0, v1, v0, vcc_lo
	v_and_b32_e32 v1, 0x80000000, v3
	s_delay_alu instid0(VALU_DEP_3) | instskip(NEXT) | instid1(VALU_DEP_3)
	v_lshl_add_u32 v3, v5, 23, 0x37800000
	v_lshlrev_b32_e32 v0, 21, v0
	s_delay_alu instid0(VALU_DEP_1) | instskip(NEXT) | instid1(VALU_DEP_1)
	v_or3_b32 v0, v1, v3, v0
	v_cvt_f64_f32_e32 v[0:1], v0
.LBB7_473:
	s_or_b32 exec_lo, exec_lo, s29
	s_mov_b32 s1, 0
	s_branch .LBB7_479
.LBB7_474:
	s_mov_b32 s29, -1
                                        ; implicit-def: $vgpr0_vgpr1
	s_branch .LBB7_485
.LBB7_475:
	s_or_saveexec_b32 s29, s29
	v_mov_b64_e32 v[0:1], 0x7ff8000020000000
	s_xor_b32 exec_lo, exec_lo, s29
	s_cbranch_execz .LBB7_458
.LBB7_476:
	v_cmp_ne_u16_e32 vcc_lo, 0, v3
	v_mov_b64_e32 v[0:1], 0
	s_and_not1_b32 s1, s1, exec_lo
	s_and_b32 s30, vcc_lo, exec_lo
	s_delay_alu instid0(SALU_CYCLE_1)
	s_or_b32 s1, s1, s30
	s_or_b32 exec_lo, exec_lo, s29
	s_and_saveexec_b32 s29, s1
	s_cbranch_execnz .LBB7_459
	s_branch .LBB7_460
.LBB7_477:
	s_mov_b32 s1, -1
                                        ; implicit-def: $vgpr0_vgpr1
	s_branch .LBB7_482
.LBB7_478:
	s_mov_b32 s1, -1
                                        ; implicit-def: $vgpr0_vgpr1
.LBB7_479:
	s_delay_alu instid0(SALU_CYCLE_1)
	s_and_b32 vcc_lo, exec_lo, s1
	s_cbranch_vccz .LBB7_481
; %bb.480:
	global_load_u8 v0, v[6:7], off
	s_wait_loadcnt 0x0
	v_lshlrev_b32_e32 v0, 24, v0
	s_delay_alu instid0(VALU_DEP_1) | instskip(NEXT) | instid1(VALU_DEP_1)
	v_and_b32_e32 v1, 0x7f000000, v0
	v_clz_i32_u32_e32 v3, v1
	v_cmp_ne_u32_e32 vcc_lo, 0, v1
	v_add_nc_u32_e32 v8, 0x1000000, v1
	s_delay_alu instid0(VALU_DEP_3) | instskip(NEXT) | instid1(VALU_DEP_1)
	v_min_u32_e32 v3, 32, v3
	v_sub_nc_u32_e64 v3, v3, 4 clamp
	s_delay_alu instid0(VALU_DEP_1) | instskip(NEXT) | instid1(VALU_DEP_1)
	v_dual_lshlrev_b32 v5, v3, v1 :: v_dual_lshlrev_b32 v3, 23, v3
	v_lshrrev_b32_e32 v5, 4, v5
	s_delay_alu instid0(VALU_DEP_1) | instskip(NEXT) | instid1(VALU_DEP_1)
	v_dual_sub_nc_u32 v3, v5, v3 :: v_dual_ashrrev_i32 v5, 8, v8
	v_add_nc_u32_e32 v3, 0x3c000000, v3
	s_delay_alu instid0(VALU_DEP_1) | instskip(NEXT) | instid1(VALU_DEP_1)
	v_and_or_b32 v3, 0x7f800000, v5, v3
	v_cndmask_b32_e32 v1, 0, v3, vcc_lo
	s_delay_alu instid0(VALU_DEP_1) | instskip(NEXT) | instid1(VALU_DEP_1)
	v_and_or_b32 v0, 0x80000000, v0, v1
	v_cvt_f64_f32_e32 v[0:1], v0
.LBB7_481:
	s_mov_b32 s1, 0
.LBB7_482:
	s_delay_alu instid0(SALU_CYCLE_1)
	s_and_not1_b32 vcc_lo, exec_lo, s1
	s_cbranch_vccnz .LBB7_484
; %bb.483:
	global_load_u8 v0, v[6:7], off
	s_wait_loadcnt 0x0
	v_lshlrev_b32_e32 v1, 25, v0
	v_lshlrev_b16 v0, 8, v0
	s_delay_alu instid0(VALU_DEP_1) | instskip(SKIP_1) | instid1(VALU_DEP_2)
	v_and_or_b32 v5, 0x7f00, v0, 0.5
	v_bfe_i32 v0, v0, 0, 16
	v_add_f32_e32 v5, -0.5, v5
	v_lshrrev_b32_e32 v3, 4, v1
	v_cmp_gt_u32_e32 vcc_lo, 0x8000000, v1
	s_delay_alu instid0(VALU_DEP_2) | instskip(NEXT) | instid1(VALU_DEP_1)
	v_or_b32_e32 v3, 0x70000000, v3
	v_mul_f32_e32 v3, 0x7800000, v3
	s_delay_alu instid0(VALU_DEP_1) | instskip(NEXT) | instid1(VALU_DEP_1)
	v_cndmask_b32_e32 v1, v3, v5, vcc_lo
	v_and_or_b32 v0, 0x80000000, v0, v1
	s_delay_alu instid0(VALU_DEP_1)
	v_cvt_f64_f32_e32 v[0:1], v0
.LBB7_484:
	s_mov_b32 s29, 0
	s_mov_b32 s1, -1
.LBB7_485:
	s_and_not1_b32 vcc_lo, exec_lo, s29
	s_cbranch_vccnz .LBB7_498
; %bb.486:
	s_cmp_gt_i32 s0, 14
	s_cbranch_scc0 .LBB7_489
; %bb.487:
	s_cmp_eq_u32 s0, 15
	s_cbranch_scc0 .LBB7_492
; %bb.488:
	global_load_u16 v0, v[6:7], off
	s_mov_b32 s1, -1
	s_mov_b32 s28, 0
	s_wait_loadcnt 0x0
	v_lshlrev_b32_e32 v0, 16, v0
	s_delay_alu instid0(VALU_DEP_1)
	v_cvt_f64_f32_e32 v[0:1], v0
	s_branch .LBB7_493
.LBB7_489:
	s_mov_b32 s29, -1
                                        ; implicit-def: $vgpr0_vgpr1
	s_branch .LBB7_494
.LBB7_490:
	s_or_saveexec_b32 s29, s29
	v_mov_b64_e32 v[0:1], 0x7ff8000020000000
	s_xor_b32 exec_lo, exec_lo, s29
	s_cbranch_execz .LBB7_471
.LBB7_491:
	v_cmp_ne_u16_e32 vcc_lo, 0, v3
	v_mov_b64_e32 v[0:1], 0
	s_and_not1_b32 s1, s1, exec_lo
	s_and_b32 s30, vcc_lo, exec_lo
	s_delay_alu instid0(SALU_CYCLE_1)
	s_or_b32 s1, s1, s30
	s_or_b32 exec_lo, exec_lo, s29
	s_and_saveexec_b32 s29, s1
	s_cbranch_execnz .LBB7_472
	s_branch .LBB7_473
.LBB7_492:
	s_mov_b32 s28, -1
                                        ; implicit-def: $vgpr0_vgpr1
.LBB7_493:
	s_mov_b32 s29, 0
.LBB7_494:
	s_delay_alu instid0(SALU_CYCLE_1)
	s_and_b32 vcc_lo, exec_lo, s29
	s_cbranch_vccz .LBB7_498
; %bb.495:
	s_cmp_eq_u32 s0, 11
	s_cbranch_scc0 .LBB7_497
; %bb.496:
	global_load_u8 v0, v[6:7], off
	s_mov_b32 s28, 0
	s_mov_b32 s1, -1
	s_wait_loadcnt 0x0
	v_cmp_ne_u16_e32 vcc_lo, 0, v0
	v_mov_b32_e32 v0, 0
	v_cndmask_b32_e64 v1, 0, 0x3ff00000, vcc_lo
	s_branch .LBB7_498
.LBB7_497:
	s_mov_b32 s28, -1
                                        ; implicit-def: $vgpr0_vgpr1
.LBB7_498:
	s_branch .LBB7_298
.LBB7_499:
	s_cmp_lt_i32 s0, 5
	s_cbranch_scc1 .LBB7_504
; %bb.500:
	s_cmp_lt_i32 s0, 8
	s_cbranch_scc1 .LBB7_505
; %bb.501:
	;; [unrolled: 3-line block ×3, first 2 shown]
	s_cmp_gt_i32 s0, 9
	s_cbranch_scc0 .LBB7_507
; %bb.503:
	global_load_b64 v[0:1], v[6:7], off
	s_mov_b32 s1, 0
	s_branch .LBB7_508
.LBB7_504:
	s_mov_b32 s1, -1
                                        ; implicit-def: $vgpr0_vgpr1
	s_branch .LBB7_526
.LBB7_505:
	s_mov_b32 s1, -1
                                        ; implicit-def: $vgpr0_vgpr1
	s_branch .LBB7_514
.LBB7_506:
	s_mov_b32 s1, -1
                                        ; implicit-def: $vgpr0_vgpr1
	s_branch .LBB7_511
.LBB7_507:
	s_mov_b32 s1, -1
                                        ; implicit-def: $vgpr0_vgpr1
.LBB7_508:
	s_delay_alu instid0(SALU_CYCLE_1)
	s_and_not1_b32 vcc_lo, exec_lo, s1
	s_cbranch_vccnz .LBB7_510
; %bb.509:
	s_wait_loadcnt 0x0
	global_load_b32 v0, v[6:7], off
	s_wait_loadcnt 0x0
	v_cvt_f64_f32_e32 v[0:1], v0
.LBB7_510:
	s_mov_b32 s1, 0
.LBB7_511:
	s_delay_alu instid0(SALU_CYCLE_1)
	s_and_not1_b32 vcc_lo, exec_lo, s1
	s_cbranch_vccnz .LBB7_513
; %bb.512:
	s_wait_loadcnt 0x0
	global_load_b32 v0, v[6:7], off
	s_wait_loadcnt 0x0
	v_cvt_f32_f16_e32 v0, v0
	s_delay_alu instid0(VALU_DEP_1)
	v_cvt_f64_f32_e32 v[0:1], v0
.LBB7_513:
	s_mov_b32 s1, 0
.LBB7_514:
	s_delay_alu instid0(SALU_CYCLE_1)
	s_and_not1_b32 vcc_lo, exec_lo, s1
	s_cbranch_vccnz .LBB7_525
; %bb.515:
	s_cmp_lt_i32 s0, 6
	s_cbranch_scc1 .LBB7_518
; %bb.516:
	s_cmp_gt_i32 s0, 6
	s_cbranch_scc0 .LBB7_519
; %bb.517:
	s_wait_loadcnt 0x0
	global_load_b64 v[0:1], v[6:7], off
	s_mov_b32 s1, 0
	s_branch .LBB7_520
.LBB7_518:
	s_mov_b32 s1, -1
                                        ; implicit-def: $vgpr0_vgpr1
	s_branch .LBB7_523
.LBB7_519:
	s_mov_b32 s1, -1
                                        ; implicit-def: $vgpr0_vgpr1
.LBB7_520:
	s_delay_alu instid0(SALU_CYCLE_1)
	s_and_not1_b32 vcc_lo, exec_lo, s1
	s_cbranch_vccnz .LBB7_522
; %bb.521:
	s_wait_loadcnt 0x0
	global_load_b32 v0, v[6:7], off
	s_wait_loadcnt 0x0
	v_cvt_f64_f32_e32 v[0:1], v0
.LBB7_522:
	s_mov_b32 s1, 0
.LBB7_523:
	s_delay_alu instid0(SALU_CYCLE_1)
	s_and_not1_b32 vcc_lo, exec_lo, s1
	s_cbranch_vccnz .LBB7_525
; %bb.524:
	s_wait_loadcnt 0x0
	global_load_u16 v0, v[6:7], off
	s_wait_loadcnt 0x0
	v_cvt_f32_f16_e32 v0, v0
	s_delay_alu instid0(VALU_DEP_1)
	v_cvt_f64_f32_e32 v[0:1], v0
.LBB7_525:
	s_mov_b32 s1, 0
.LBB7_526:
	s_delay_alu instid0(SALU_CYCLE_1)
	s_and_not1_b32 vcc_lo, exec_lo, s1
	s_cbranch_vccnz .LBB7_546
; %bb.527:
	s_cmp_lt_i32 s0, 2
	s_cbranch_scc1 .LBB7_531
; %bb.528:
	s_cmp_lt_i32 s0, 3
	s_cbranch_scc1 .LBB7_532
; %bb.529:
	s_cmp_gt_i32 s0, 3
	s_cbranch_scc0 .LBB7_533
; %bb.530:
	s_wait_loadcnt 0x0
	global_load_b64 v[0:1], v[6:7], off
	s_mov_b32 s1, 0
	s_wait_loadcnt 0x0
	v_cvt_f64_i32_e32 v[8:9], v1
	v_cvt_f64_u32_e32 v[0:1], v0
	s_delay_alu instid0(VALU_DEP_2) | instskip(NEXT) | instid1(VALU_DEP_1)
	v_ldexp_f64 v[8:9], v[8:9], 32
	v_add_f64_e32 v[0:1], v[8:9], v[0:1]
	s_branch .LBB7_534
.LBB7_531:
	s_mov_b32 s1, -1
                                        ; implicit-def: $vgpr0_vgpr1
	s_branch .LBB7_540
.LBB7_532:
	s_mov_b32 s1, -1
                                        ; implicit-def: $vgpr0_vgpr1
	s_branch .LBB7_537
.LBB7_533:
	s_mov_b32 s1, -1
                                        ; implicit-def: $vgpr0_vgpr1
.LBB7_534:
	s_delay_alu instid0(SALU_CYCLE_1)
	s_and_not1_b32 vcc_lo, exec_lo, s1
	s_cbranch_vccnz .LBB7_536
; %bb.535:
	s_wait_loadcnt 0x0
	global_load_b32 v0, v[6:7], off
	s_wait_loadcnt 0x0
	v_cvt_f64_i32_e32 v[0:1], v0
.LBB7_536:
	s_mov_b32 s1, 0
.LBB7_537:
	s_delay_alu instid0(SALU_CYCLE_1)
	s_and_not1_b32 vcc_lo, exec_lo, s1
	s_cbranch_vccnz .LBB7_539
; %bb.538:
	s_wait_loadcnt 0x0
	global_load_i16 v0, v[6:7], off
	s_wait_loadcnt 0x0
	v_cvt_f64_i32_e32 v[0:1], v0
.LBB7_539:
	s_mov_b32 s1, 0
.LBB7_540:
	s_delay_alu instid0(SALU_CYCLE_1)
	s_and_not1_b32 vcc_lo, exec_lo, s1
	s_cbranch_vccnz .LBB7_546
; %bb.541:
	s_cmp_gt_i32 s0, 0
	s_mov_b32 s0, 0
	s_cbranch_scc0 .LBB7_543
; %bb.542:
	s_wait_loadcnt 0x0
	global_load_i8 v0, v[6:7], off
	s_wait_loadcnt 0x0
	v_cvt_f64_i32_e32 v[0:1], v0
	s_branch .LBB7_544
.LBB7_543:
	s_mov_b32 s0, -1
                                        ; implicit-def: $vgpr0_vgpr1
.LBB7_544:
	s_delay_alu instid0(SALU_CYCLE_1)
	s_and_not1_b32 vcc_lo, exec_lo, s0
	s_cbranch_vccnz .LBB7_546
; %bb.545:
	s_wait_loadcnt 0x0
	global_load_u8 v0, v[6:7], off
	s_wait_loadcnt 0x0
	v_cvt_f64_u32_e32 v[0:1], v0
.LBB7_546:
	s_branch .LBB7_299
.LBB7_547:
	s_mov_b32 s1, 0
	s_mov_b32 s0, s22
.LBB7_548:
                                        ; implicit-def: $vgpr4
.LBB7_549:
	s_and_not1_b32 s29, s22, exec_lo
	s_and_b32 s0, s0, exec_lo
	s_and_not1_b32 s30, s43, exec_lo
	s_and_b32 s28, s28, exec_lo
	s_or_b32 s46, s29, s0
	s_or_b32 s45, s30, s28
	s_or_not1_b32 s0, s1, exec_lo
.LBB7_550:
	s_wait_xcnt 0x0
	s_or_b32 exec_lo, exec_lo, s47
	s_mov_b32 s1, 0
	s_mov_b32 s28, 0
	;; [unrolled: 1-line block ×3, first 2 shown]
                                        ; implicit-def: $vgpr6_vgpr7
                                        ; implicit-def: $vgpr2
                                        ; implicit-def: $vgpr0_vgpr1
	s_and_saveexec_b32 s47, s0
	s_cbranch_execz .LBB7_933
; %bb.551:
	s_mov_b32 s29, -1
	s_mov_b32 s30, s45
	s_mov_b32 s31, s46
	s_mov_b32 s48, exec_lo
	v_cmpx_gt_i32_e64 s40, v4
	s_cbranch_execz .LBB7_830
; %bb.552:
	s_and_not1_b32 vcc_lo, exec_lo, s36
	s_cbranch_vccnz .LBB7_558
; %bb.553:
	s_and_not1_b32 vcc_lo, exec_lo, s42
	s_cbranch_vccnz .LBB7_559
; %bb.554:
	s_add_co_i32 s1, s41, 1
	s_cmp_eq_u32 s34, 2
	s_cbranch_scc1 .LBB7_560
; %bb.555:
	s_wait_loadcnt 0x0
	v_dual_mov_b32 v2, 0 :: v_dual_mov_b32 v0, 0
	v_mov_b32_e32 v1, v4
	s_and_b32 s0, s1, 28
	s_mov_b32 s49, 0
	s_mov_b64 s[28:29], s[2:3]
	s_mov_b64 s[30:31], s[26:27]
.LBB7_556:                              ; =>This Inner Loop Header: Depth=1
	s_clause 0x1
	s_load_b256 s[52:59], s[28:29], 0x4
	s_load_b128 s[68:71], s[28:29], 0x24
	s_load_b256 s[60:67], s[30:31], 0x0
	s_add_co_i32 s49, s49, 4
	s_wait_xcnt 0x0
	s_add_nc_u64 s[28:29], s[28:29], 48
	s_cmp_eq_u32 s0, s49
	s_add_nc_u64 s[30:31], s[30:31], 32
	s_wait_kmcnt 0x0
	v_mul_hi_u32 v3, s53, v1
	s_delay_alu instid0(VALU_DEP_1) | instskip(NEXT) | instid1(VALU_DEP_1)
	v_add_nc_u32_e32 v3, v1, v3
	v_lshrrev_b32_e32 v3, s54, v3
	s_delay_alu instid0(VALU_DEP_1) | instskip(NEXT) | instid1(VALU_DEP_1)
	v_mul_hi_u32 v5, s56, v3
	v_add_nc_u32_e32 v5, v3, v5
	s_delay_alu instid0(VALU_DEP_1) | instskip(NEXT) | instid1(VALU_DEP_1)
	v_lshrrev_b32_e32 v5, s57, v5
	v_mul_hi_u32 v6, s59, v5
	s_delay_alu instid0(VALU_DEP_1) | instskip(SKIP_1) | instid1(VALU_DEP_1)
	v_add_nc_u32_e32 v6, v5, v6
	v_mul_lo_u32 v7, v3, s52
	v_sub_nc_u32_e32 v1, v1, v7
	v_mul_lo_u32 v7, v5, s55
	s_delay_alu instid0(VALU_DEP_4) | instskip(NEXT) | instid1(VALU_DEP_3)
	v_lshrrev_b32_e32 v6, s68, v6
	v_mad_u32 v0, v1, s61, v0
	v_mad_u32 v1, v1, s60, v2
	s_delay_alu instid0(VALU_DEP_4) | instskip(NEXT) | instid1(VALU_DEP_4)
	v_sub_nc_u32_e32 v2, v3, v7
	v_mul_hi_u32 v8, s70, v6
	v_mul_lo_u32 v3, v6, s58
	s_delay_alu instid0(VALU_DEP_3) | instskip(SKIP_1) | instid1(VALU_DEP_3)
	v_mad_u32 v0, v2, s63, v0
	v_mad_u32 v2, v2, s62, v1
	v_dual_add_nc_u32 v7, v6, v8 :: v_dual_sub_nc_u32 v3, v5, v3
	s_delay_alu instid0(VALU_DEP_1) | instskip(NEXT) | instid1(VALU_DEP_2)
	v_lshrrev_b32_e32 v1, s71, v7
	v_mad_u32 v0, v3, s65, v0
	s_delay_alu instid0(VALU_DEP_4) | instskip(NEXT) | instid1(VALU_DEP_3)
	v_mad_u32 v2, v3, s64, v2
	v_mul_lo_u32 v5, v1, s69
	s_delay_alu instid0(VALU_DEP_1) | instskip(NEXT) | instid1(VALU_DEP_1)
	v_sub_nc_u32_e32 v3, v6, v5
	v_mad_u32 v0, v3, s67, v0
	s_delay_alu instid0(VALU_DEP_4)
	v_mad_u32 v2, v3, s66, v2
	s_cbranch_scc0 .LBB7_556
; %bb.557:
	s_delay_alu instid0(VALU_DEP_2)
	v_mov_b32_e32 v3, v0
	s_branch .LBB7_561
.LBB7_558:
	s_mov_b32 s0, -1
                                        ; implicit-def: $vgpr0
                                        ; implicit-def: $vgpr2
	s_branch .LBB7_566
.LBB7_559:
	s_wait_loadcnt 0x0
	v_dual_mov_b32 v0, 0 :: v_dual_mov_b32 v2, 0
	s_branch .LBB7_565
.LBB7_560:
	v_mov_b64_e32 v[2:3], 0
	s_wait_loadcnt 0x0
	v_mov_b32_e32 v1, v4
	s_mov_b32 s0, 0
                                        ; implicit-def: $vgpr0
.LBB7_561:
	s_and_b32 s30, s1, 3
	s_mov_b32 s1, 0
	s_cmp_eq_u32 s30, 0
	s_cbranch_scc1 .LBB7_565
; %bb.562:
	s_lshl_b32 s28, s0, 3
	s_mov_b32 s29, s1
	s_mul_u64 s[50:51], s[0:1], 12
	s_add_nc_u64 s[28:29], s[2:3], s[28:29]
	s_delay_alu instid0(SALU_CYCLE_1)
	s_add_nc_u64 s[0:1], s[28:29], 0xc4
	s_add_nc_u64 s[28:29], s[2:3], s[50:51]
.LBB7_563:                              ; =>This Inner Loop Header: Depth=1
	s_load_b96 s[52:54], s[28:29], 0x4
	s_load_b64 s[50:51], s[0:1], 0x0
	s_add_co_i32 s30, s30, -1
	s_wait_xcnt 0x0
	s_add_nc_u64 s[28:29], s[28:29], 12
	s_cmp_lg_u32 s30, 0
	s_add_nc_u64 s[0:1], s[0:1], 8
	s_wait_kmcnt 0x0
	v_mul_hi_u32 v0, s53, v1
	s_delay_alu instid0(VALU_DEP_1) | instskip(NEXT) | instid1(VALU_DEP_1)
	v_add_nc_u32_e32 v0, v1, v0
	v_lshrrev_b32_e32 v0, s54, v0
	s_delay_alu instid0(VALU_DEP_1) | instskip(NEXT) | instid1(VALU_DEP_1)
	v_mul_lo_u32 v5, v0, s52
	v_sub_nc_u32_e32 v1, v1, v5
	s_delay_alu instid0(VALU_DEP_1)
	v_mad_u32 v3, v1, s51, v3
	v_mad_u32 v2, v1, s50, v2
	v_mov_b32_e32 v1, v0
	s_cbranch_scc1 .LBB7_563
; %bb.564:
	s_delay_alu instid0(VALU_DEP_3)
	v_mov_b32_e32 v0, v3
.LBB7_565:
	s_mov_b32 s0, 0
.LBB7_566:
	s_delay_alu instid0(SALU_CYCLE_1)
	s_and_not1_b32 vcc_lo, exec_lo, s0
	s_cbranch_vccnz .LBB7_569
; %bb.567:
	v_mov_b32_e32 v5, 0
	s_and_not1_b32 vcc_lo, exec_lo, s39
	s_wait_loadcnt 0x0
	s_delay_alu instid0(VALU_DEP_1) | instskip(NEXT) | instid1(VALU_DEP_1)
	v_mul_u64_e32 v[0:1], s[20:21], v[4:5]
	v_add_nc_u32_e32 v0, v4, v1
	s_delay_alu instid0(VALU_DEP_1) | instskip(NEXT) | instid1(VALU_DEP_1)
	v_lshrrev_b32_e32 v6, s14, v0
	v_mul_lo_u32 v0, v6, s12
	s_delay_alu instid0(VALU_DEP_1) | instskip(NEXT) | instid1(VALU_DEP_1)
	v_sub_nc_u32_e32 v1, v4, v0
	v_mul_lo_u32 v0, v1, s17
	v_mul_lo_u32 v2, v1, s16
	s_cbranch_vccnz .LBB7_569
; %bb.568:
	v_mov_b32_e32 v7, v5
	s_delay_alu instid0(VALU_DEP_1) | instskip(NEXT) | instid1(VALU_DEP_1)
	v_mul_u64_e32 v[8:9], s[24:25], v[6:7]
	v_add_nc_u32_e32 v1, v6, v9
	s_delay_alu instid0(VALU_DEP_1) | instskip(NEXT) | instid1(VALU_DEP_1)
	v_lshrrev_b32_e32 v1, s23, v1
	v_mul_lo_u32 v1, v1, s15
	s_delay_alu instid0(VALU_DEP_1) | instskip(NEXT) | instid1(VALU_DEP_1)
	v_sub_nc_u32_e32 v1, v6, v1
	v_mad_u32 v2, v1, s18, v2
	v_mad_u32 v0, v1, s19, v0
.LBB7_569:
	s_wait_loadcnt 0x0
	v_mov_b32_e32 v1, 0
	s_and_b32 s0, 0xffff, s13
	s_delay_alu instid0(SALU_CYCLE_1) | instskip(NEXT) | instid1(VALU_DEP_1)
	s_cmp_lt_i32 s0, 11
	v_add_nc_u64_e32 v[6:7], s[6:7], v[0:1]
	s_cbranch_scc1 .LBB7_576
; %bb.570:
	s_cmp_gt_i32 s0, 25
	s_cbranch_scc0 .LBB7_577
; %bb.571:
	s_cmp_gt_i32 s0, 28
	s_cbranch_scc0 .LBB7_578
	;; [unrolled: 3-line block ×4, first 2 shown]
; %bb.574:
	s_cmp_eq_u32 s0, 46
	s_mov_b32 s29, 0
	s_cbranch_scc0 .LBB7_585
; %bb.575:
	global_load_b32 v0, v[6:7], off
	s_mov_b32 s1, -1
	s_mov_b32 s28, 0
	s_wait_loadcnt 0x0
	v_lshlrev_b32_e32 v0, 16, v0
	s_delay_alu instid0(VALU_DEP_1)
	v_cvt_f64_f32_e32 v[0:1], v0
	s_branch .LBB7_587
.LBB7_576:
	s_mov_b32 s29, -1
	s_mov_b32 s1, 0
	s_mov_b32 s28, s45
                                        ; implicit-def: $vgpr0_vgpr1
	s_branch .LBB7_652
.LBB7_577:
	s_mov_b32 s29, -1
	s_mov_b32 s1, 0
	s_mov_b32 s28, s45
                                        ; implicit-def: $vgpr0_vgpr1
	s_branch .LBB7_616
.LBB7_578:
	s_mov_b32 s29, -1
	s_mov_b32 s1, 0
	s_mov_b32 s28, s45
                                        ; implicit-def: $vgpr0_vgpr1
	s_branch .LBB7_597
.LBB7_579:
	s_mov_b32 s29, -1
	s_mov_b32 s1, 0
	s_mov_b32 s28, s45
                                        ; implicit-def: $vgpr0_vgpr1
	s_branch .LBB7_592
.LBB7_580:
	s_and_not1_saveexec_b32 s45, s45
	s_cbranch_execz .LBB7_347
.LBB7_581:
	v_add_f32_e64 v3, 0x46000000, |v2|
	s_and_not1_b32 s31, s31, exec_lo
	s_delay_alu instid0(VALU_DEP_1) | instskip(NEXT) | instid1(VALU_DEP_1)
	v_and_b32_e32 v3, 0xff, v3
	v_cmp_ne_u32_e32 vcc_lo, 0, v3
	s_and_b32 s46, vcc_lo, exec_lo
	s_delay_alu instid0(SALU_CYCLE_1)
	s_or_b32 s31, s31, s46
	s_or_b32 exec_lo, exec_lo, s45
	v_mov_b32_e32 v5, 0
	s_and_saveexec_b32 s45, s31
	s_cbranch_execnz .LBB7_348
	s_branch .LBB7_349
.LBB7_582:
	s_mov_b32 s29, -1
	s_mov_b32 s1, 0
	s_mov_b32 s28, s45
	s_branch .LBB7_586
.LBB7_583:
	s_and_not1_saveexec_b32 s45, s45
	s_cbranch_execz .LBB7_360
.LBB7_584:
	v_add_f32_e64 v3, 0x42800000, |v2|
	s_and_not1_b32 s31, s31, exec_lo
	s_delay_alu instid0(VALU_DEP_1) | instskip(NEXT) | instid1(VALU_DEP_1)
	v_and_b32_e32 v3, 0xff, v3
	v_cmp_ne_u32_e32 vcc_lo, 0, v3
	s_and_b32 s46, vcc_lo, exec_lo
	s_delay_alu instid0(SALU_CYCLE_1)
	s_or_b32 s31, s31, s46
	s_or_b32 exec_lo, exec_lo, s45
	v_mov_b32_e32 v5, 0
	s_and_saveexec_b32 s45, s31
	s_cbranch_execnz .LBB7_361
	s_branch .LBB7_362
.LBB7_585:
	s_mov_b32 s28, -1
	s_mov_b32 s1, 0
.LBB7_586:
                                        ; implicit-def: $vgpr0_vgpr1
.LBB7_587:
	s_and_b32 vcc_lo, exec_lo, s29
	s_cbranch_vccz .LBB7_591
; %bb.588:
	s_cmp_eq_u32 s0, 44
	s_cbranch_scc0 .LBB7_590
; %bb.589:
	global_load_u8 v3, v[6:7], off
	s_mov_b32 s28, 0
	s_mov_b32 s1, -1
	s_wait_loadcnt 0x0
	v_cmp_ne_u32_e32 vcc_lo, 0xff, v3
	v_lshlrev_b32_e32 v0, 23, v3
	s_delay_alu instid0(VALU_DEP_1) | instskip(NEXT) | instid1(VALU_DEP_1)
	v_cvt_f64_f32_e32 v[0:1], v0
	v_cndmask_b32_e32 v0, 0x20000000, v0, vcc_lo
	s_delay_alu instid0(VALU_DEP_2) | instskip(SKIP_1) | instid1(VALU_DEP_2)
	v_cndmask_b32_e32 v1, 0x7ff80000, v1, vcc_lo
	v_cmp_ne_u32_e32 vcc_lo, 0, v3
	v_cndmask_b32_e32 v1, 0x38000000, v1, vcc_lo
	s_delay_alu instid0(VALU_DEP_4)
	v_cndmask_b32_e32 v0, 0, v0, vcc_lo
	s_branch .LBB7_591
.LBB7_590:
	s_mov_b32 s28, -1
                                        ; implicit-def: $vgpr0_vgpr1
.LBB7_591:
	s_mov_b32 s29, 0
.LBB7_592:
	s_delay_alu instid0(SALU_CYCLE_1)
	s_and_b32 vcc_lo, exec_lo, s29
	s_cbranch_vccz .LBB7_596
; %bb.593:
	s_cmp_eq_u32 s0, 29
	s_cbranch_scc0 .LBB7_595
; %bb.594:
	global_load_b64 v[0:1], v[6:7], off
	s_mov_b32 s1, -1
	s_mov_b32 s28, 0
	s_mov_b32 s29, 0
	s_wait_loadcnt 0x0
	v_cvt_f64_u32_e32 v[8:9], v1
	v_cvt_f64_u32_e32 v[0:1], v0
	s_delay_alu instid0(VALU_DEP_2) | instskip(NEXT) | instid1(VALU_DEP_1)
	v_ldexp_f64 v[8:9], v[8:9], 32
	v_add_f64_e32 v[0:1], v[8:9], v[0:1]
	s_branch .LBB7_597
.LBB7_595:
	s_mov_b32 s28, -1
                                        ; implicit-def: $vgpr0_vgpr1
.LBB7_596:
	s_mov_b32 s29, 0
.LBB7_597:
	s_delay_alu instid0(SALU_CYCLE_1)
	s_and_b32 vcc_lo, exec_lo, s29
	s_cbranch_vccz .LBB7_615
; %bb.598:
	s_cmp_lt_i32 s0, 27
	s_cbranch_scc1 .LBB7_601
; %bb.599:
	s_cmp_gt_i32 s0, 27
	s_cbranch_scc0 .LBB7_602
; %bb.600:
	global_load_b32 v0, v[6:7], off
	s_mov_b32 s1, 0
	s_wait_loadcnt 0x0
	v_cvt_f64_u32_e32 v[0:1], v0
	s_branch .LBB7_603
.LBB7_601:
	s_mov_b32 s1, -1
                                        ; implicit-def: $vgpr0_vgpr1
	s_branch .LBB7_606
.LBB7_602:
	s_mov_b32 s1, -1
                                        ; implicit-def: $vgpr0_vgpr1
.LBB7_603:
	s_delay_alu instid0(SALU_CYCLE_1)
	s_and_not1_b32 vcc_lo, exec_lo, s1
	s_cbranch_vccnz .LBB7_605
; %bb.604:
	global_load_u16 v0, v[6:7], off
	s_wait_loadcnt 0x0
	v_cvt_f64_u32_e32 v[0:1], v0
.LBB7_605:
	s_mov_b32 s1, 0
.LBB7_606:
	s_delay_alu instid0(SALU_CYCLE_1)
	s_and_not1_b32 vcc_lo, exec_lo, s1
	s_cbranch_vccnz .LBB7_614
; %bb.607:
	global_load_u8 v3, v[6:7], off
	s_mov_b32 s1, 0
	s_mov_b32 s29, exec_lo
	s_wait_loadcnt 0x0
	v_cmpx_lt_i16_e32 0x7f, v3
	s_xor_b32 s29, exec_lo, s29
	s_cbranch_execz .LBB7_628
; %bb.608:
	s_mov_b32 s1, -1
	s_mov_b32 s30, exec_lo
	v_cmpx_eq_u16_e32 0x80, v3
; %bb.609:
	s_xor_b32 s1, exec_lo, -1
; %bb.610:
	s_or_b32 exec_lo, exec_lo, s30
	s_delay_alu instid0(SALU_CYCLE_1)
	s_and_b32 s1, s1, exec_lo
	s_or_saveexec_b32 s29, s29
	v_mov_b64_e32 v[0:1], 0x7ff8000020000000
	s_xor_b32 exec_lo, exec_lo, s29
	s_cbranch_execnz .LBB7_629
.LBB7_611:
	s_or_b32 exec_lo, exec_lo, s29
	s_and_saveexec_b32 s29, s1
	s_cbranch_execz .LBB7_613
.LBB7_612:
	v_and_b32_e32 v0, 0xffff, v3
	s_delay_alu instid0(VALU_DEP_1) | instskip(SKIP_1) | instid1(VALU_DEP_2)
	v_and_b32_e32 v1, 7, v0
	v_bfe_u32 v9, v0, 3, 4
	v_clz_i32_u32_e32 v5, v1
	s_delay_alu instid0(VALU_DEP_2) | instskip(NEXT) | instid1(VALU_DEP_2)
	v_cmp_eq_u32_e32 vcc_lo, 0, v9
	v_min_u32_e32 v5, 32, v5
	s_delay_alu instid0(VALU_DEP_1) | instskip(NEXT) | instid1(VALU_DEP_1)
	v_subrev_nc_u32_e32 v8, 28, v5
	v_dual_lshlrev_b32 v0, v8, v0 :: v_dual_sub_nc_u32 v5, 29, v5
	s_delay_alu instid0(VALU_DEP_1) | instskip(NEXT) | instid1(VALU_DEP_2)
	v_dual_lshlrev_b32 v3, 24, v3 :: v_dual_bitop2_b32 v0, 7, v0 bitop3:0x40
	v_cndmask_b32_e32 v5, v9, v5, vcc_lo
	s_delay_alu instid0(VALU_DEP_2) | instskip(NEXT) | instid1(VALU_DEP_3)
	v_cndmask_b32_e32 v0, v1, v0, vcc_lo
	v_and_b32_e32 v1, 0x80000000, v3
	s_delay_alu instid0(VALU_DEP_3) | instskip(NEXT) | instid1(VALU_DEP_3)
	v_lshl_add_u32 v3, v5, 23, 0x3b800000
	v_lshlrev_b32_e32 v0, 20, v0
	s_delay_alu instid0(VALU_DEP_1) | instskip(NEXT) | instid1(VALU_DEP_1)
	v_or3_b32 v0, v1, v3, v0
	v_cvt_f64_f32_e32 v[0:1], v0
.LBB7_613:
	s_or_b32 exec_lo, exec_lo, s29
.LBB7_614:
	s_mov_b32 s1, -1
.LBB7_615:
	s_mov_b32 s29, 0
.LBB7_616:
	s_delay_alu instid0(SALU_CYCLE_1)
	s_and_b32 vcc_lo, exec_lo, s29
	s_cbranch_vccz .LBB7_651
; %bb.617:
	s_cmp_gt_i32 s0, 22
	s_cbranch_scc0 .LBB7_627
; %bb.618:
	s_cmp_lt_i32 s0, 24
	s_cbranch_scc1 .LBB7_630
; %bb.619:
	s_cmp_gt_i32 s0, 24
	s_cbranch_scc0 .LBB7_631
; %bb.620:
	global_load_u8 v3, v[6:7], off
	s_mov_b32 s1, 0
	s_mov_b32 s29, exec_lo
	s_wait_loadcnt 0x0
	v_cmpx_lt_i16_e32 0x7f, v3
	s_xor_b32 s29, exec_lo, s29
	s_cbranch_execz .LBB7_643
; %bb.621:
	s_mov_b32 s1, -1
	s_mov_b32 s30, exec_lo
	v_cmpx_eq_u16_e32 0x80, v3
; %bb.622:
	s_xor_b32 s1, exec_lo, -1
; %bb.623:
	s_or_b32 exec_lo, exec_lo, s30
	s_delay_alu instid0(SALU_CYCLE_1)
	s_and_b32 s1, s1, exec_lo
	s_or_saveexec_b32 s29, s29
	v_mov_b64_e32 v[0:1], 0x7ff8000020000000
	s_xor_b32 exec_lo, exec_lo, s29
	s_cbranch_execnz .LBB7_644
.LBB7_624:
	s_or_b32 exec_lo, exec_lo, s29
	s_and_saveexec_b32 s29, s1
	s_cbranch_execz .LBB7_626
.LBB7_625:
	v_and_b32_e32 v0, 0xffff, v3
	s_delay_alu instid0(VALU_DEP_1) | instskip(SKIP_1) | instid1(VALU_DEP_2)
	v_and_b32_e32 v1, 3, v0
	v_bfe_u32 v9, v0, 2, 5
	v_clz_i32_u32_e32 v5, v1
	s_delay_alu instid0(VALU_DEP_2) | instskip(NEXT) | instid1(VALU_DEP_2)
	v_cmp_eq_u32_e32 vcc_lo, 0, v9
	v_min_u32_e32 v5, 32, v5
	s_delay_alu instid0(VALU_DEP_1) | instskip(NEXT) | instid1(VALU_DEP_1)
	v_subrev_nc_u32_e32 v8, 29, v5
	v_dual_lshlrev_b32 v0, v8, v0 :: v_dual_sub_nc_u32 v5, 30, v5
	s_delay_alu instid0(VALU_DEP_1) | instskip(NEXT) | instid1(VALU_DEP_2)
	v_dual_lshlrev_b32 v3, 24, v3 :: v_dual_bitop2_b32 v0, 3, v0 bitop3:0x40
	v_cndmask_b32_e32 v5, v9, v5, vcc_lo
	s_delay_alu instid0(VALU_DEP_2) | instskip(NEXT) | instid1(VALU_DEP_3)
	v_cndmask_b32_e32 v0, v1, v0, vcc_lo
	v_and_b32_e32 v1, 0x80000000, v3
	s_delay_alu instid0(VALU_DEP_3) | instskip(NEXT) | instid1(VALU_DEP_3)
	v_lshl_add_u32 v3, v5, 23, 0x37800000
	v_lshlrev_b32_e32 v0, 21, v0
	s_delay_alu instid0(VALU_DEP_1) | instskip(NEXT) | instid1(VALU_DEP_1)
	v_or3_b32 v0, v1, v3, v0
	v_cvt_f64_f32_e32 v[0:1], v0
.LBB7_626:
	s_or_b32 exec_lo, exec_lo, s29
	s_mov_b32 s1, 0
	s_branch .LBB7_632
.LBB7_627:
	s_mov_b32 s29, -1
                                        ; implicit-def: $vgpr0_vgpr1
	s_branch .LBB7_638
.LBB7_628:
	s_or_saveexec_b32 s29, s29
	v_mov_b64_e32 v[0:1], 0x7ff8000020000000
	s_xor_b32 exec_lo, exec_lo, s29
	s_cbranch_execz .LBB7_611
.LBB7_629:
	v_cmp_ne_u16_e32 vcc_lo, 0, v3
	v_mov_b64_e32 v[0:1], 0
	s_and_not1_b32 s1, s1, exec_lo
	s_and_b32 s30, vcc_lo, exec_lo
	s_delay_alu instid0(SALU_CYCLE_1)
	s_or_b32 s1, s1, s30
	s_or_b32 exec_lo, exec_lo, s29
	s_and_saveexec_b32 s29, s1
	s_cbranch_execnz .LBB7_612
	s_branch .LBB7_613
.LBB7_630:
	s_mov_b32 s1, -1
                                        ; implicit-def: $vgpr0_vgpr1
	s_branch .LBB7_635
.LBB7_631:
	s_mov_b32 s1, -1
                                        ; implicit-def: $vgpr0_vgpr1
.LBB7_632:
	s_delay_alu instid0(SALU_CYCLE_1)
	s_and_b32 vcc_lo, exec_lo, s1
	s_cbranch_vccz .LBB7_634
; %bb.633:
	global_load_u8 v0, v[6:7], off
	s_wait_loadcnt 0x0
	v_lshlrev_b32_e32 v0, 24, v0
	s_delay_alu instid0(VALU_DEP_1) | instskip(NEXT) | instid1(VALU_DEP_1)
	v_and_b32_e32 v1, 0x7f000000, v0
	v_clz_i32_u32_e32 v3, v1
	v_cmp_ne_u32_e32 vcc_lo, 0, v1
	v_add_nc_u32_e32 v8, 0x1000000, v1
	s_delay_alu instid0(VALU_DEP_3) | instskip(NEXT) | instid1(VALU_DEP_1)
	v_min_u32_e32 v3, 32, v3
	v_sub_nc_u32_e64 v3, v3, 4 clamp
	s_delay_alu instid0(VALU_DEP_1) | instskip(NEXT) | instid1(VALU_DEP_1)
	v_dual_lshlrev_b32 v5, v3, v1 :: v_dual_lshlrev_b32 v3, 23, v3
	v_lshrrev_b32_e32 v5, 4, v5
	s_delay_alu instid0(VALU_DEP_1) | instskip(NEXT) | instid1(VALU_DEP_1)
	v_dual_sub_nc_u32 v3, v5, v3 :: v_dual_ashrrev_i32 v5, 8, v8
	v_add_nc_u32_e32 v3, 0x3c000000, v3
	s_delay_alu instid0(VALU_DEP_1) | instskip(NEXT) | instid1(VALU_DEP_1)
	v_and_or_b32 v3, 0x7f800000, v5, v3
	v_cndmask_b32_e32 v1, 0, v3, vcc_lo
	s_delay_alu instid0(VALU_DEP_1) | instskip(NEXT) | instid1(VALU_DEP_1)
	v_and_or_b32 v0, 0x80000000, v0, v1
	v_cvt_f64_f32_e32 v[0:1], v0
.LBB7_634:
	s_mov_b32 s1, 0
.LBB7_635:
	s_delay_alu instid0(SALU_CYCLE_1)
	s_and_not1_b32 vcc_lo, exec_lo, s1
	s_cbranch_vccnz .LBB7_637
; %bb.636:
	global_load_u8 v0, v[6:7], off
	s_wait_loadcnt 0x0
	v_lshlrev_b32_e32 v1, 25, v0
	v_lshlrev_b16 v0, 8, v0
	s_delay_alu instid0(VALU_DEP_1) | instskip(SKIP_1) | instid1(VALU_DEP_2)
	v_and_or_b32 v5, 0x7f00, v0, 0.5
	v_bfe_i32 v0, v0, 0, 16
	v_add_f32_e32 v5, -0.5, v5
	v_lshrrev_b32_e32 v3, 4, v1
	v_cmp_gt_u32_e32 vcc_lo, 0x8000000, v1
	s_delay_alu instid0(VALU_DEP_2) | instskip(NEXT) | instid1(VALU_DEP_1)
	v_or_b32_e32 v3, 0x70000000, v3
	v_mul_f32_e32 v3, 0x7800000, v3
	s_delay_alu instid0(VALU_DEP_1) | instskip(NEXT) | instid1(VALU_DEP_1)
	v_cndmask_b32_e32 v1, v3, v5, vcc_lo
	v_and_or_b32 v0, 0x80000000, v0, v1
	s_delay_alu instid0(VALU_DEP_1)
	v_cvt_f64_f32_e32 v[0:1], v0
.LBB7_637:
	s_mov_b32 s29, 0
	s_mov_b32 s1, -1
.LBB7_638:
	s_and_not1_b32 vcc_lo, exec_lo, s29
	s_cbranch_vccnz .LBB7_651
; %bb.639:
	s_cmp_gt_i32 s0, 14
	s_cbranch_scc0 .LBB7_642
; %bb.640:
	s_cmp_eq_u32 s0, 15
	s_cbranch_scc0 .LBB7_645
; %bb.641:
	global_load_u16 v0, v[6:7], off
	s_mov_b32 s1, -1
	s_mov_b32 s28, 0
	s_wait_loadcnt 0x0
	v_lshlrev_b32_e32 v0, 16, v0
	s_delay_alu instid0(VALU_DEP_1)
	v_cvt_f64_f32_e32 v[0:1], v0
	s_branch .LBB7_646
.LBB7_642:
	s_mov_b32 s29, -1
                                        ; implicit-def: $vgpr0_vgpr1
	s_branch .LBB7_647
.LBB7_643:
	s_or_saveexec_b32 s29, s29
	v_mov_b64_e32 v[0:1], 0x7ff8000020000000
	s_xor_b32 exec_lo, exec_lo, s29
	s_cbranch_execz .LBB7_624
.LBB7_644:
	v_cmp_ne_u16_e32 vcc_lo, 0, v3
	v_mov_b64_e32 v[0:1], 0
	s_and_not1_b32 s1, s1, exec_lo
	s_and_b32 s30, vcc_lo, exec_lo
	s_delay_alu instid0(SALU_CYCLE_1)
	s_or_b32 s1, s1, s30
	s_or_b32 exec_lo, exec_lo, s29
	s_and_saveexec_b32 s29, s1
	s_cbranch_execnz .LBB7_625
	s_branch .LBB7_626
.LBB7_645:
	s_mov_b32 s28, -1
                                        ; implicit-def: $vgpr0_vgpr1
.LBB7_646:
	s_mov_b32 s29, 0
.LBB7_647:
	s_delay_alu instid0(SALU_CYCLE_1)
	s_and_b32 vcc_lo, exec_lo, s29
	s_cbranch_vccz .LBB7_651
; %bb.648:
	s_cmp_eq_u32 s0, 11
	s_cbranch_scc0 .LBB7_650
; %bb.649:
	global_load_u8 v0, v[6:7], off
	s_mov_b32 s28, 0
	s_mov_b32 s1, -1
	s_wait_loadcnt 0x0
	v_cmp_ne_u16_e32 vcc_lo, 0, v0
	v_mov_b32_e32 v0, 0
	v_cndmask_b32_e64 v1, 0, 0x3ff00000, vcc_lo
	s_branch .LBB7_651
.LBB7_650:
	s_mov_b32 s28, -1
                                        ; implicit-def: $vgpr0_vgpr1
.LBB7_651:
	s_mov_b32 s29, 0
.LBB7_652:
	s_delay_alu instid0(SALU_CYCLE_1)
	s_and_b32 vcc_lo, exec_lo, s29
	s_cbranch_vccz .LBB7_701
; %bb.653:
	s_cmp_lt_i32 s0, 5
	s_cbranch_scc1 .LBB7_658
; %bb.654:
	s_cmp_lt_i32 s0, 8
	s_cbranch_scc1 .LBB7_659
	;; [unrolled: 3-line block ×3, first 2 shown]
; %bb.656:
	s_cmp_gt_i32 s0, 9
	s_cbranch_scc0 .LBB7_661
; %bb.657:
	global_load_b64 v[0:1], v[6:7], off
	s_mov_b32 s1, 0
	s_branch .LBB7_662
.LBB7_658:
	s_mov_b32 s1, -1
                                        ; implicit-def: $vgpr0_vgpr1
	s_branch .LBB7_680
.LBB7_659:
	s_mov_b32 s1, -1
                                        ; implicit-def: $vgpr0_vgpr1
	s_branch .LBB7_668
.LBB7_660:
	s_mov_b32 s1, -1
                                        ; implicit-def: $vgpr0_vgpr1
	s_branch .LBB7_665
.LBB7_661:
	s_mov_b32 s1, -1
                                        ; implicit-def: $vgpr0_vgpr1
.LBB7_662:
	s_delay_alu instid0(SALU_CYCLE_1)
	s_and_not1_b32 vcc_lo, exec_lo, s1
	s_cbranch_vccnz .LBB7_664
; %bb.663:
	s_wait_loadcnt 0x0
	global_load_b32 v0, v[6:7], off
	s_wait_loadcnt 0x0
	v_cvt_f64_f32_e32 v[0:1], v0
.LBB7_664:
	s_mov_b32 s1, 0
.LBB7_665:
	s_delay_alu instid0(SALU_CYCLE_1)
	s_and_not1_b32 vcc_lo, exec_lo, s1
	s_cbranch_vccnz .LBB7_667
; %bb.666:
	s_wait_loadcnt 0x0
	global_load_b32 v0, v[6:7], off
	s_wait_loadcnt 0x0
	v_cvt_f32_f16_e32 v0, v0
	s_delay_alu instid0(VALU_DEP_1)
	v_cvt_f64_f32_e32 v[0:1], v0
.LBB7_667:
	s_mov_b32 s1, 0
.LBB7_668:
	s_delay_alu instid0(SALU_CYCLE_1)
	s_and_not1_b32 vcc_lo, exec_lo, s1
	s_cbranch_vccnz .LBB7_679
; %bb.669:
	s_cmp_lt_i32 s0, 6
	s_cbranch_scc1 .LBB7_672
; %bb.670:
	s_cmp_gt_i32 s0, 6
	s_cbranch_scc0 .LBB7_673
; %bb.671:
	s_wait_loadcnt 0x0
	global_load_b64 v[0:1], v[6:7], off
	s_mov_b32 s1, 0
	s_branch .LBB7_674
.LBB7_672:
	s_mov_b32 s1, -1
                                        ; implicit-def: $vgpr0_vgpr1
	s_branch .LBB7_677
.LBB7_673:
	s_mov_b32 s1, -1
                                        ; implicit-def: $vgpr0_vgpr1
.LBB7_674:
	s_delay_alu instid0(SALU_CYCLE_1)
	s_and_not1_b32 vcc_lo, exec_lo, s1
	s_cbranch_vccnz .LBB7_676
; %bb.675:
	s_wait_loadcnt 0x0
	global_load_b32 v0, v[6:7], off
	s_wait_loadcnt 0x0
	v_cvt_f64_f32_e32 v[0:1], v0
.LBB7_676:
	s_mov_b32 s1, 0
.LBB7_677:
	s_delay_alu instid0(SALU_CYCLE_1)
	s_and_not1_b32 vcc_lo, exec_lo, s1
	s_cbranch_vccnz .LBB7_679
; %bb.678:
	s_wait_loadcnt 0x0
	global_load_u16 v0, v[6:7], off
	s_wait_loadcnt 0x0
	v_cvt_f32_f16_e32 v0, v0
	s_delay_alu instid0(VALU_DEP_1)
	v_cvt_f64_f32_e32 v[0:1], v0
.LBB7_679:
	s_mov_b32 s1, 0
.LBB7_680:
	s_delay_alu instid0(SALU_CYCLE_1)
	s_and_not1_b32 vcc_lo, exec_lo, s1
	s_cbranch_vccnz .LBB7_700
; %bb.681:
	s_cmp_lt_i32 s0, 2
	s_cbranch_scc1 .LBB7_685
; %bb.682:
	s_cmp_lt_i32 s0, 3
	s_cbranch_scc1 .LBB7_686
; %bb.683:
	s_cmp_gt_i32 s0, 3
	s_cbranch_scc0 .LBB7_687
; %bb.684:
	s_wait_loadcnt 0x0
	global_load_b64 v[0:1], v[6:7], off
	s_mov_b32 s1, 0
	s_wait_loadcnt 0x0
	v_cvt_f64_i32_e32 v[8:9], v1
	v_cvt_f64_u32_e32 v[0:1], v0
	s_delay_alu instid0(VALU_DEP_2) | instskip(NEXT) | instid1(VALU_DEP_1)
	v_ldexp_f64 v[8:9], v[8:9], 32
	v_add_f64_e32 v[0:1], v[8:9], v[0:1]
	s_branch .LBB7_688
.LBB7_685:
	s_mov_b32 s1, -1
                                        ; implicit-def: $vgpr0_vgpr1
	s_branch .LBB7_694
.LBB7_686:
	s_mov_b32 s1, -1
                                        ; implicit-def: $vgpr0_vgpr1
	s_branch .LBB7_691
.LBB7_687:
	s_mov_b32 s1, -1
                                        ; implicit-def: $vgpr0_vgpr1
.LBB7_688:
	s_delay_alu instid0(SALU_CYCLE_1)
	s_and_not1_b32 vcc_lo, exec_lo, s1
	s_cbranch_vccnz .LBB7_690
; %bb.689:
	s_wait_loadcnt 0x0
	global_load_b32 v0, v[6:7], off
	s_wait_loadcnt 0x0
	v_cvt_f64_i32_e32 v[0:1], v0
.LBB7_690:
	s_mov_b32 s1, 0
.LBB7_691:
	s_delay_alu instid0(SALU_CYCLE_1)
	s_and_not1_b32 vcc_lo, exec_lo, s1
	s_cbranch_vccnz .LBB7_693
; %bb.692:
	s_wait_loadcnt 0x0
	global_load_i16 v0, v[6:7], off
	s_wait_loadcnt 0x0
	v_cvt_f64_i32_e32 v[0:1], v0
.LBB7_693:
	s_mov_b32 s1, 0
.LBB7_694:
	s_delay_alu instid0(SALU_CYCLE_1)
	s_and_not1_b32 vcc_lo, exec_lo, s1
	s_cbranch_vccnz .LBB7_700
; %bb.695:
	s_cmp_gt_i32 s0, 0
	s_mov_b32 s0, 0
	s_cbranch_scc0 .LBB7_697
; %bb.696:
	s_wait_loadcnt 0x0
	global_load_i8 v0, v[6:7], off
	s_wait_loadcnt 0x0
	v_cvt_f64_i32_e32 v[0:1], v0
	s_branch .LBB7_698
.LBB7_697:
	s_mov_b32 s0, -1
                                        ; implicit-def: $vgpr0_vgpr1
.LBB7_698:
	s_delay_alu instid0(SALU_CYCLE_1)
	s_and_not1_b32 vcc_lo, exec_lo, s0
	s_cbranch_vccnz .LBB7_700
; %bb.699:
	s_wait_loadcnt 0x0
	global_load_u8 v0, v[6:7], off
	s_wait_loadcnt 0x0
	v_cvt_f64_u32_e32 v[0:1], v0
.LBB7_700:
	s_mov_b32 s1, -1
.LBB7_701:
	s_delay_alu instid0(SALU_CYCLE_1)
	s_and_not1_b32 vcc_lo, exec_lo, s1
	s_cbranch_vccnz .LBB7_711
; %bb.702:
	s_wait_loadcnt 0x0
	s_delay_alu instid0(VALU_DEP_1) | instskip(SKIP_1) | instid1(VALU_DEP_1)
	v_mul_f64_e32 v[6:7], s[8:9], v[0:1]
	s_mov_b32 s29, exec_lo
	v_cmpx_nlt_f64_e32 s[10:11], v[6:7]
	s_cbranch_execz .LBB7_704
; %bb.703:
	v_mul_f64_e32 v[0:1], 0x3ff71547652b82fe, v[6:7]
	s_mov_b64 s[0:1], 0x3e5ade156a5dcb37
	v_cmp_nlt_f64_e32 vcc_lo, 0x40900000, v[6:7]
	s_delay_alu instid0(VALU_DEP_2) | instskip(NEXT) | instid1(VALU_DEP_1)
	v_rndne_f64_e32 v[0:1], v[0:1]
	v_fmamk_f64 v[8:9], v[0:1], 0xbfe62e42fefa39ef, v[6:7]
	v_cvt_i32_f64_e32 v3, v[0:1]
	s_delay_alu instid0(VALU_DEP_2) | instskip(NEXT) | instid1(VALU_DEP_1)
	v_fmamk_f64 v[8:9], v[0:1], 0xbc7abc9e3b39803f, v[8:9]
	v_fmaak_f64 v[10:11], s[0:1], v[8:9], 0x3e928af3fca7ab0c
	v_cmp_ngt_f64_e64 s0, 0xc090cc00, v[6:7]
	s_delay_alu instid0(VALU_DEP_2) | instskip(NEXT) | instid1(VALU_DEP_1)
	v_fmaak_f64 v[10:11], v[8:9], v[10:11], 0x3ec71dee623fde64
	v_fmaak_f64 v[10:11], v[8:9], v[10:11], 0x3efa01997c89e6b0
	s_delay_alu instid0(VALU_DEP_1) | instskip(NEXT) | instid1(VALU_DEP_1)
	v_fmaak_f64 v[10:11], v[8:9], v[10:11], 0x3f2a01a014761f6e
	v_fmaak_f64 v[10:11], v[8:9], v[10:11], 0x3f56c16c1852b7b0
	s_delay_alu instid0(VALU_DEP_1) | instskip(NEXT) | instid1(VALU_DEP_1)
	;; [unrolled: 3-line block ×4, first 2 shown]
	v_fma_f64 v[10:11], v[8:9], v[10:11], 1.0
	v_fma_f64 v[0:1], v[8:9], v[10:11], 1.0
	s_delay_alu instid0(VALU_DEP_1) | instskip(NEXT) | instid1(VALU_DEP_1)
	v_ldexp_f64 v[0:1], v[0:1], v3
	v_cndmask_b32_e32 v1, 0x7ff00000, v1, vcc_lo
	s_and_b32 vcc_lo, s0, vcc_lo
	s_delay_alu instid0(VALU_DEP_1) | instid1(SALU_CYCLE_1)
	v_dual_cndmask_b32 v0, 0, v0, vcc_lo :: v_dual_cndmask_b32 v1, 0, v1, s0
	s_mov_b64 s[0:1], 0x3fe5555555555555
	s_delay_alu instid0(VALU_DEP_1) | instskip(NEXT) | instid1(VALU_DEP_1)
	v_add_f64_e32 v[6:7], 1.0, v[0:1]
	v_frexp_mant_f64_e32 v[8:9], v[6:7]
	v_frexp_exp_i32_f64_e32 v3, v[6:7]
	s_delay_alu instid0(VALU_DEP_2) | instskip(SKIP_1) | instid1(VALU_DEP_2)
	v_cmp_gt_f64_e32 vcc_lo, s[0:1], v[8:9]
	s_mov_b64 s[0:1], 0x3fc3ab76bf559e2b
	v_subrev_co_ci_u32_e64 v3, null, 0, v3, vcc_lo
	v_cmp_nge_f64_e32 vcc_lo, -1.0, v[0:1]
	s_delay_alu instid0(VALU_DEP_2) | instskip(SKIP_1) | instid1(VALU_DEP_1)
	v_sub_nc_u32_e32 v5, 0, v3
	v_add_f64_e32 v[10:11], -1.0, v[6:7]
	v_add_f64_e64 v[8:9], v[10:11], -v[6:7]
	s_delay_alu instid0(VALU_DEP_3) | instskip(SKIP_1) | instid1(VALU_DEP_3)
	v_ldexp_f64 v[6:7], v[6:7], v5
	v_add_f64_e64 v[10:11], v[0:1], -v[10:11]
	v_add_f64_e32 v[8:9], 1.0, v[8:9]
	s_delay_alu instid0(VALU_DEP_3) | instskip(SKIP_1) | instid1(VALU_DEP_3)
	v_add_f64_e32 v[12:13], 1.0, v[6:7]
	v_add_f64_e32 v[18:19], -1.0, v[6:7]
	v_add_f64_e32 v[8:9], v[10:11], v[8:9]
	s_delay_alu instid0(VALU_DEP_3) | instskip(NEXT) | instid1(VALU_DEP_3)
	v_add_f64_e32 v[10:11], -1.0, v[12:13]
	v_add_f64_e32 v[20:21], 1.0, v[18:19]
	s_delay_alu instid0(VALU_DEP_3) | instskip(NEXT) | instid1(VALU_DEP_3)
	v_ldexp_f64 v[8:9], v[8:9], v5
	v_add_f64_e64 v[10:11], v[6:7], -v[10:11]
	s_delay_alu instid0(VALU_DEP_3) | instskip(NEXT) | instid1(VALU_DEP_2)
	v_add_f64_e64 v[6:7], v[6:7], -v[20:21]
	v_add_f64_e32 v[10:11], v[8:9], v[10:11]
	s_delay_alu instid0(VALU_DEP_2) | instskip(NEXT) | instid1(VALU_DEP_2)
	v_add_f64_e32 v[6:7], v[8:9], v[6:7]
	v_add_f64_e32 v[14:15], v[12:13], v[10:11]
	s_delay_alu instid0(VALU_DEP_2) | instskip(NEXT) | instid1(VALU_DEP_2)
	v_add_f64_e32 v[20:21], v[18:19], v[6:7]
	v_rcp_f64_e32 v[16:17], v[14:15]
	v_add_f64_e64 v[12:13], v[14:15], -v[12:13]
	s_delay_alu instid0(VALU_DEP_2) | instskip(NEXT) | instid1(VALU_DEP_2)
	v_add_f64_e64 v[18:19], v[20:21], -v[18:19]
	v_add_f64_e64 v[10:11], v[10:11], -v[12:13]
	s_delay_alu instid0(VALU_DEP_2) | instskip(NEXT) | instid1(TRANS32_DEP_1)
	v_add_f64_e64 v[6:7], v[6:7], -v[18:19]
	v_fma_f64 v[22:23], -v[14:15], v[16:17], 1.0
	s_delay_alu instid0(VALU_DEP_1) | instskip(NEXT) | instid1(VALU_DEP_1)
	v_fmac_f64_e32 v[16:17], v[22:23], v[16:17]
	v_fma_f64 v[8:9], -v[14:15], v[16:17], 1.0
	s_delay_alu instid0(VALU_DEP_1) | instskip(NEXT) | instid1(VALU_DEP_1)
	v_fmac_f64_e32 v[16:17], v[8:9], v[16:17]
	v_mul_f64_e32 v[8:9], v[20:21], v[16:17]
	s_delay_alu instid0(VALU_DEP_1) | instskip(NEXT) | instid1(VALU_DEP_1)
	v_mul_f64_e32 v[22:23], v[14:15], v[8:9]
	v_fma_f64 v[12:13], v[8:9], v[14:15], -v[22:23]
	s_delay_alu instid0(VALU_DEP_1) | instskip(NEXT) | instid1(VALU_DEP_1)
	v_fmac_f64_e32 v[12:13], v[8:9], v[10:11]
	v_add_f64_e32 v[24:25], v[22:23], v[12:13]
	s_delay_alu instid0(VALU_DEP_1) | instskip(SKIP_1) | instid1(VALU_DEP_2)
	v_add_f64_e64 v[26:27], v[20:21], -v[24:25]
	v_add_f64_e64 v[18:19], v[24:25], -v[22:23]
	;; [unrolled: 1-line block ×3, first 2 shown]
	s_delay_alu instid0(VALU_DEP_2) | instskip(NEXT) | instid1(VALU_DEP_2)
	v_add_f64_e64 v[12:13], v[18:19], -v[12:13]
	v_add_f64_e64 v[20:21], v[20:21], -v[24:25]
	s_delay_alu instid0(VALU_DEP_1) | instskip(NEXT) | instid1(VALU_DEP_1)
	v_add_f64_e32 v[6:7], v[6:7], v[20:21]
	v_add_f64_e32 v[6:7], v[12:13], v[6:7]
	s_delay_alu instid0(VALU_DEP_1) | instskip(NEXT) | instid1(VALU_DEP_1)
	v_add_f64_e32 v[12:13], v[26:27], v[6:7]
	v_mul_f64_e32 v[18:19], v[16:17], v[12:13]
	v_add_f64_e64 v[24:25], v[26:27], -v[12:13]
	s_delay_alu instid0(VALU_DEP_2) | instskip(NEXT) | instid1(VALU_DEP_2)
	v_mul_f64_e32 v[20:21], v[14:15], v[18:19]
	v_add_f64_e32 v[6:7], v[6:7], v[24:25]
	s_delay_alu instid0(VALU_DEP_2) | instskip(NEXT) | instid1(VALU_DEP_1)
	v_fma_f64 v[14:15], v[18:19], v[14:15], -v[20:21]
	v_fmac_f64_e32 v[14:15], v[18:19], v[10:11]
	s_delay_alu instid0(VALU_DEP_1) | instskip(NEXT) | instid1(VALU_DEP_1)
	v_add_f64_e32 v[10:11], v[20:21], v[14:15]
	v_add_f64_e64 v[22:23], v[12:13], -v[10:11]
	v_add_f64_e64 v[20:21], v[10:11], -v[20:21]
	s_delay_alu instid0(VALU_DEP_2) | instskip(NEXT) | instid1(VALU_DEP_1)
	v_add_f64_e64 v[12:13], v[12:13], -v[22:23]
	v_add_f64_e64 v[10:11], v[12:13], -v[10:11]
	s_delay_alu instid0(VALU_DEP_3) | instskip(NEXT) | instid1(VALU_DEP_2)
	v_add_f64_e64 v[12:13], v[20:21], -v[14:15]
	v_add_f64_e32 v[6:7], v[6:7], v[10:11]
	v_add_f64_e32 v[10:11], v[8:9], v[18:19]
	s_delay_alu instid0(VALU_DEP_2) | instskip(NEXT) | instid1(VALU_DEP_2)
	v_add_f64_e32 v[6:7], v[12:13], v[6:7]
	v_add_f64_e64 v[8:9], v[10:11], -v[8:9]
	s_delay_alu instid0(VALU_DEP_2) | instskip(NEXT) | instid1(VALU_DEP_2)
	v_add_f64_e32 v[6:7], v[22:23], v[6:7]
	v_add_f64_e64 v[8:9], v[18:19], -v[8:9]
	s_delay_alu instid0(VALU_DEP_2) | instskip(NEXT) | instid1(VALU_DEP_1)
	v_mul_f64_e32 v[6:7], v[16:17], v[6:7]
	v_add_f64_e32 v[6:7], v[8:9], v[6:7]
	s_delay_alu instid0(VALU_DEP_1) | instskip(NEXT) | instid1(VALU_DEP_1)
	v_add_f64_e32 v[8:9], v[10:11], v[6:7]
	v_mul_f64_e32 v[12:13], v[8:9], v[8:9]
	s_delay_alu instid0(VALU_DEP_1) | instskip(SKIP_2) | instid1(VALU_DEP_2)
	v_fmaak_f64 v[14:15], s[0:1], v[12:13], 0x3fc385386b47b09a
	v_mul_f64_e32 v[16:17], v[8:9], v[12:13]
	s_mov_b64 s[0:1], 0x3fe62e42fefa39ef
	v_fmaak_f64 v[14:15], v[12:13], v[14:15], 0x3fc7474dd7f4df2e
	s_delay_alu instid0(VALU_DEP_1) | instskip(NEXT) | instid1(VALU_DEP_1)
	v_fmaak_f64 v[14:15], v[12:13], v[14:15], 0x3fcc71c016291751
	v_fmaak_f64 v[14:15], v[12:13], v[14:15], 0x3fd249249b27acf1
	s_delay_alu instid0(VALU_DEP_1) | instskip(NEXT) | instid1(VALU_DEP_1)
	v_fmaak_f64 v[14:15], v[12:13], v[14:15], 0x3fd99999998ef7b6
	v_fmaak_f64 v[12:13], v[12:13], v[14:15], 0x3fe5555555555780
	v_ldexp_f64 v[14:15], v[8:9], 1
	v_add_f64_e64 v[8:9], v[8:9], -v[10:11]
	s_delay_alu instid0(VALU_DEP_3) | instskip(SKIP_1) | instid1(VALU_DEP_3)
	v_mul_f64_e32 v[12:13], v[16:17], v[12:13]
	v_cvt_f64_i32_e32 v[16:17], v3
	v_add_f64_e64 v[6:7], v[6:7], -v[8:9]
	s_delay_alu instid0(VALU_DEP_3) | instskip(NEXT) | instid1(VALU_DEP_2)
	v_add_f64_e32 v[10:11], v[14:15], v[12:13]
	v_ldexp_f64 v[6:7], v[6:7], 1
	s_delay_alu instid0(VALU_DEP_2) | instskip(SKIP_1) | instid1(VALU_DEP_2)
	v_add_f64_e64 v[8:9], v[10:11], -v[14:15]
	v_mul_f64_e32 v[14:15], 0x3fe62e42fefa39ef, v[16:17]
	v_add_f64_e64 v[8:9], v[12:13], -v[8:9]
	s_delay_alu instid0(VALU_DEP_2) | instskip(SKIP_2) | instid1(VALU_DEP_4)
	v_fma_f64 v[12:13], v[16:17], s[0:1], -v[14:15]
	v_cmp_neq_f64_e64 s0, 0x7ff00000, v[0:1]
	v_cmp_ngt_f64_e64 s1, -1.0, v[0:1]
	v_add_f64_e32 v[6:7], v[6:7], v[8:9]
	s_delay_alu instid0(VALU_DEP_4) | instskip(SKIP_1) | instid1(VALU_DEP_1)
	v_fmamk_f64 v[8:9], v[16:17], 0x3c7abc9e3b39803f, v[12:13]
	s_and_b32 vcc_lo, vcc_lo, s0
	v_add_f64_e32 v[12:13], v[14:15], v[8:9]
	s_delay_alu instid0(VALU_DEP_3) | instskip(NEXT) | instid1(VALU_DEP_2)
	v_add_f64_e32 v[16:17], v[10:11], v[6:7]
	v_add_f64_e64 v[14:15], v[12:13], -v[14:15]
	s_delay_alu instid0(VALU_DEP_2) | instskip(SKIP_1) | instid1(VALU_DEP_3)
	v_add_f64_e32 v[18:19], v[12:13], v[16:17]
	v_add_f64_e64 v[10:11], v[16:17], -v[10:11]
	v_add_f64_e64 v[8:9], v[8:9], -v[14:15]
	s_delay_alu instid0(VALU_DEP_3) | instskip(NEXT) | instid1(VALU_DEP_3)
	v_add_f64_e64 v[20:21], v[18:19], -v[12:13]
	v_add_f64_e64 v[6:7], v[6:7], -v[10:11]
	s_delay_alu instid0(VALU_DEP_2) | instskip(SKIP_1) | instid1(VALU_DEP_3)
	v_add_f64_e64 v[22:23], v[18:19], -v[20:21]
	v_add_f64_e64 v[10:11], v[16:17], -v[20:21]
	v_add_f64_e32 v[14:15], v[8:9], v[6:7]
	s_delay_alu instid0(VALU_DEP_3) | instskip(NEXT) | instid1(VALU_DEP_1)
	v_add_f64_e64 v[12:13], v[12:13], -v[22:23]
	v_add_f64_e32 v[10:11], v[10:11], v[12:13]
	s_delay_alu instid0(VALU_DEP_3) | instskip(NEXT) | instid1(VALU_DEP_2)
	v_add_f64_e64 v[12:13], v[14:15], -v[8:9]
	v_add_f64_e32 v[10:11], v[14:15], v[10:11]
	s_delay_alu instid0(VALU_DEP_2) | instskip(SKIP_1) | instid1(VALU_DEP_3)
	v_add_f64_e64 v[14:15], v[14:15], -v[12:13]
	v_add_f64_e64 v[6:7], v[6:7], -v[12:13]
	v_add_f64_e32 v[16:17], v[18:19], v[10:11]
	s_delay_alu instid0(VALU_DEP_3) | instskip(NEXT) | instid1(VALU_DEP_2)
	v_add_f64_e64 v[8:9], v[8:9], -v[14:15]
	v_add_f64_e64 v[12:13], v[16:17], -v[18:19]
	s_delay_alu instid0(VALU_DEP_2) | instskip(NEXT) | instid1(VALU_DEP_2)
	v_add_f64_e32 v[6:7], v[6:7], v[8:9]
	v_add_f64_e64 v[8:9], v[10:11], -v[12:13]
	s_delay_alu instid0(VALU_DEP_1) | instskip(NEXT) | instid1(VALU_DEP_1)
	v_add_f64_e32 v[6:7], v[6:7], v[8:9]
	v_add_f64_e32 v[6:7], v[16:17], v[6:7]
	s_delay_alu instid0(VALU_DEP_1) | instskip(SKIP_1) | instid1(VALU_DEP_3)
	v_cndmask_b32_e32 v6, 0, v6, vcc_lo
	v_cmp_neq_f64_e32 vcc_lo, -1.0, v[0:1]
	v_cndmask_b32_e64 v3, 0x7ff00000, v7, s0
	s_delay_alu instid0(VALU_DEP_1) | instskip(NEXT) | instid1(VALU_DEP_1)
	v_cndmask_b32_e64 v3, 0x7ff80000, v3, s1
	v_cndmask_b32_e32 v7, 0xfff00000, v3, vcc_lo
	s_delay_alu instid0(VALU_DEP_1) | instskip(NEXT) | instid1(VALU_DEP_1)
	v_div_scale_f64 v[0:1], null, s[8:9], s[8:9], v[6:7]
	v_rcp_f64_e32 v[8:9], v[0:1]
	v_nop
	s_delay_alu instid0(TRANS32_DEP_1) | instskip(NEXT) | instid1(VALU_DEP_1)
	v_fma_f64 v[10:11], -v[0:1], v[8:9], 1.0
	v_fmac_f64_e32 v[8:9], v[8:9], v[10:11]
	s_delay_alu instid0(VALU_DEP_1) | instskip(NEXT) | instid1(VALU_DEP_1)
	v_fma_f64 v[10:11], -v[0:1], v[8:9], 1.0
	v_fmac_f64_e32 v[8:9], v[8:9], v[10:11]
	v_div_scale_f64 v[10:11], vcc_lo, v[6:7], s[8:9], v[6:7]
	s_delay_alu instid0(VALU_DEP_1) | instskip(NEXT) | instid1(VALU_DEP_1)
	v_mul_f64_e32 v[12:13], v[10:11], v[8:9]
	v_fma_f64 v[0:1], -v[0:1], v[12:13], v[10:11]
	s_delay_alu instid0(VALU_DEP_1) | instskip(NEXT) | instid1(VALU_DEP_1)
	v_div_fmas_f64 v[0:1], v[0:1], v[8:9], v[12:13]
	v_div_fixup_f64 v[0:1], v[0:1], s[8:9], v[6:7]
.LBB7_704:
	s_or_b32 exec_lo, exec_lo, s29
	v_mov_b32_e32 v3, 0
	s_and_b32 s1, s38, 0xff
	s_delay_alu instid0(SALU_CYCLE_1) | instskip(NEXT) | instid1(VALU_DEP_1)
	s_cmp_lt_i32 s1, 11
	v_add_nc_u64_e32 v[6:7], s[4:5], v[2:3]
	s_cbranch_scc1 .LBB7_712
; %bb.705:
	s_and_b32 s29, 0xffff, s1
	s_delay_alu instid0(SALU_CYCLE_1)
	s_cmp_gt_i32 s29, 25
	s_cbranch_scc0 .LBB7_713
; %bb.706:
	s_cmp_gt_i32 s29, 28
	s_cbranch_scc0 .LBB7_714
; %bb.707:
	;; [unrolled: 3-line block ×4, first 2 shown]
	s_mov_b32 s31, 0
	s_mov_b32 s0, -1
	s_cmp_eq_u32 s29, 46
	s_mov_b32 s30, 0
	s_cbranch_scc0 .LBB7_717
; %bb.710:
	s_delay_alu instid0(VALU_DEP_3) | instskip(SKIP_2) | instid1(VALU_DEP_1)
	v_cvt_f32_f64_e32 v2, v[0:1]
	s_mov_b32 s30, -1
	s_mov_b32 s0, 0
	v_bfe_u32 v3, v2, 16, 1
	v_cmp_o_f32_e32 vcc_lo, v2, v2
	s_delay_alu instid0(VALU_DEP_2) | instskip(NEXT) | instid1(VALU_DEP_1)
	v_add3_u32 v3, v2, v3, 0x7fff
	v_lshrrev_b32_e32 v3, 16, v3
	s_delay_alu instid0(VALU_DEP_1)
	v_cndmask_b32_e32 v2, 0x7fc0, v3, vcc_lo
	global_store_b32 v[6:7], v2, off
	s_branch .LBB7_717
.LBB7_711:
	s_mov_b32 s1, 0
	s_mov_b32 s0, s46
	s_branch .LBB7_828
.LBB7_712:
	s_mov_b32 s29, -1
	s_mov_b32 s30, 0
	s_mov_b32 s0, s46
	s_branch .LBB7_786
.LBB7_713:
	s_mov_b32 s31, -1
	s_mov_b32 s30, 0
	s_mov_b32 s0, s46
	s_branch .LBB7_744
.LBB7_714:
	s_mov_b32 s31, -1
	s_mov_b32 s30, 0
	s_mov_b32 s0, s46
	s_branch .LBB7_727
.LBB7_715:
	s_mov_b32 s31, -1
	s_mov_b32 s30, 0
	s_mov_b32 s0, s46
	s_branch .LBB7_723
.LBB7_716:
	s_mov_b32 s31, -1
	s_mov_b32 s30, 0
	s_mov_b32 s0, s46
.LBB7_717:
	s_and_b32 vcc_lo, exec_lo, s31
	s_cbranch_vccz .LBB7_722
; %bb.718:
	s_cmp_eq_u32 s29, 44
	s_mov_b32 s0, -1
	s_cbranch_scc0 .LBB7_722
; %bb.719:
	s_wait_xcnt 0x0
	s_delay_alu instid0(VALU_DEP_3) | instskip(SKIP_2) | instid1(VALU_DEP_2)
	v_cvt_f32_f64_e32 v2, v[0:1]
	v_mov_b32_e32 v3, 0xff
	s_mov_b32 s30, exec_lo
	v_bfe_u32 v5, v2, 23, 8
	s_delay_alu instid0(VALU_DEP_1)
	v_cmpx_ne_u32_e32 0xff, v5
	s_cbranch_execz .LBB7_721
; %bb.720:
	v_and_b32_e32 v3, 0x400000, v2
	v_and_or_b32 v5, 0x3fffff, v2, v5
	v_lshrrev_b32_e32 v2, 23, v2
	s_delay_alu instid0(VALU_DEP_3) | instskip(NEXT) | instid1(VALU_DEP_3)
	v_cmp_ne_u32_e32 vcc_lo, 0, v3
	v_cmp_ne_u32_e64 s0, 0, v5
	s_and_b32 s0, vcc_lo, s0
	s_delay_alu instid0(SALU_CYCLE_1) | instskip(NEXT) | instid1(VALU_DEP_1)
	v_cndmask_b32_e64 v3, 0, 1, s0
	v_add_nc_u32_e32 v3, v2, v3
.LBB7_721:
	s_or_b32 exec_lo, exec_lo, s30
	s_mov_b32 s30, -1
	s_mov_b32 s0, 0
	global_store_b8 v[6:7], v3, off
.LBB7_722:
	s_mov_b32 s31, 0
.LBB7_723:
	s_delay_alu instid0(SALU_CYCLE_1)
	s_and_b32 vcc_lo, exec_lo, s31
	s_cbranch_vccz .LBB7_726
; %bb.724:
	s_cmp_eq_u32 s29, 29
	s_mov_b32 s0, -1
	s_cbranch_scc0 .LBB7_726
; %bb.725:
	s_wait_xcnt 0x0
	s_delay_alu instid0(VALU_DEP_3) | instskip(SKIP_3) | instid1(VALU_DEP_1)
	v_trunc_f64_e32 v[2:3], v[0:1]
	s_mov_b32 s30, -1
	s_mov_b32 s0, 0
	s_mov_b32 s31, 0
	v_ldexp_f64 v[8:9], v[2:3], 0xffffffe0
	s_delay_alu instid0(VALU_DEP_1) | instskip(NEXT) | instid1(VALU_DEP_1)
	v_floor_f64_e32 v[8:9], v[8:9]
	v_fmamk_f64 v[2:3], v[8:9], 0xc1f00000, v[2:3]
	v_cvt_u32_f64_e32 v9, v[8:9]
	s_delay_alu instid0(VALU_DEP_2)
	v_cvt_u32_f64_e32 v8, v[2:3]
	global_store_b64 v[6:7], v[8:9], off
	s_branch .LBB7_727
.LBB7_726:
	s_mov_b32 s31, 0
.LBB7_727:
	s_delay_alu instid0(SALU_CYCLE_1)
	s_and_b32 vcc_lo, exec_lo, s31
	s_cbranch_vccz .LBB7_743
; %bb.728:
	s_cmp_lt_i32 s29, 27
	s_mov_b32 s30, -1
	s_cbranch_scc1 .LBB7_734
; %bb.729:
	s_wait_xcnt 0x0
	s_delay_alu instid0(VALU_DEP_3)
	v_cvt_u32_f64_e32 v2, v[0:1]
	s_cmp_gt_i32 s29, 27
	s_cbranch_scc0 .LBB7_731
; %bb.730:
	s_mov_b32 s30, 0
	global_store_b32 v[6:7], v2, off
.LBB7_731:
	s_and_not1_b32 vcc_lo, exec_lo, s30
	s_cbranch_vccnz .LBB7_733
; %bb.732:
	global_store_b16 v[6:7], v2, off
.LBB7_733:
	s_mov_b32 s30, 0
.LBB7_734:
	s_delay_alu instid0(SALU_CYCLE_1)
	s_and_not1_b32 vcc_lo, exec_lo, s30
	s_cbranch_vccnz .LBB7_742
; %bb.735:
	s_wait_xcnt 0x0
	s_delay_alu instid0(VALU_DEP_3) | instskip(SKIP_2) | instid1(VALU_DEP_2)
	v_cvt_f32_f64_e32 v2, v[0:1]
	v_mov_b32_e32 v5, 0x80
	s_mov_b32 s30, exec_lo
	v_and_b32_e32 v3, 0x7fffffff, v2
	s_delay_alu instid0(VALU_DEP_1)
	v_cmpx_gt_u32_e32 0x43800000, v3
	s_cbranch_execz .LBB7_741
; %bb.736:
	v_cmp_lt_u32_e32 vcc_lo, 0x3bffffff, v3
	s_mov_b32 s31, 0
                                        ; implicit-def: $vgpr3
	s_and_saveexec_b32 s49, vcc_lo
	s_delay_alu instid0(SALU_CYCLE_1)
	s_xor_b32 s49, exec_lo, s49
	s_cbranch_execz .LBB7_860
; %bb.737:
	v_bfe_u32 v3, v2, 20, 1
	s_mov_b32 s31, exec_lo
	s_delay_alu instid0(VALU_DEP_1) | instskip(NEXT) | instid1(VALU_DEP_1)
	v_add3_u32 v3, v2, v3, 0x487ffff
	v_lshrrev_b32_e32 v3, 20, v3
	s_and_not1_saveexec_b32 s49, s49
	s_cbranch_execnz .LBB7_861
.LBB7_738:
	s_or_b32 exec_lo, exec_lo, s49
	v_mov_b32_e32 v5, 0
	s_and_saveexec_b32 s49, s31
.LBB7_739:
	v_lshrrev_b32_e32 v2, 24, v2
	s_delay_alu instid0(VALU_DEP_1)
	v_and_or_b32 v5, 0x80, v2, v3
.LBB7_740:
	s_or_b32 exec_lo, exec_lo, s49
.LBB7_741:
	s_delay_alu instid0(SALU_CYCLE_1)
	s_or_b32 exec_lo, exec_lo, s30
	global_store_b8 v[6:7], v5, off
.LBB7_742:
	s_mov_b32 s30, -1
.LBB7_743:
	s_mov_b32 s31, 0
.LBB7_744:
	s_delay_alu instid0(SALU_CYCLE_1)
	s_and_b32 vcc_lo, exec_lo, s31
	s_cbranch_vccz .LBB7_785
; %bb.745:
	s_cmp_gt_i32 s29, 22
	s_mov_b32 s31, -1
	s_cbranch_scc0 .LBB7_777
; %bb.746:
	s_cmp_lt_i32 s29, 24
	s_mov_b32 s30, -1
	s_cbranch_scc1 .LBB7_766
; %bb.747:
	s_cmp_gt_i32 s29, 24
	s_cbranch_scc0 .LBB7_755
; %bb.748:
	s_wait_xcnt 0x0
	s_delay_alu instid0(VALU_DEP_3) | instskip(SKIP_2) | instid1(VALU_DEP_2)
	v_cvt_f32_f64_e32 v2, v[0:1]
	v_mov_b32_e32 v5, 0x80
	s_mov_b32 s30, exec_lo
	v_and_b32_e32 v3, 0x7fffffff, v2
	s_delay_alu instid0(VALU_DEP_1)
	v_cmpx_gt_u32_e32 0x47800000, v3
	s_cbranch_execz .LBB7_754
; %bb.749:
	v_cmp_lt_u32_e32 vcc_lo, 0x37ffffff, v3
	s_mov_b32 s31, 0
                                        ; implicit-def: $vgpr3
	s_and_saveexec_b32 s49, vcc_lo
	s_delay_alu instid0(SALU_CYCLE_1)
	s_xor_b32 s49, exec_lo, s49
	s_cbranch_execz .LBB7_863
; %bb.750:
	v_bfe_u32 v3, v2, 21, 1
	s_mov_b32 s31, exec_lo
	s_delay_alu instid0(VALU_DEP_1) | instskip(NEXT) | instid1(VALU_DEP_1)
	v_add3_u32 v3, v2, v3, 0x88fffff
	v_lshrrev_b32_e32 v3, 21, v3
	s_and_not1_saveexec_b32 s49, s49
	s_cbranch_execnz .LBB7_864
.LBB7_751:
	s_or_b32 exec_lo, exec_lo, s49
	v_mov_b32_e32 v5, 0
	s_and_saveexec_b32 s49, s31
.LBB7_752:
	v_lshrrev_b32_e32 v2, 24, v2
	s_delay_alu instid0(VALU_DEP_1)
	v_and_or_b32 v5, 0x80, v2, v3
.LBB7_753:
	s_or_b32 exec_lo, exec_lo, s49
.LBB7_754:
	s_delay_alu instid0(SALU_CYCLE_1)
	s_or_b32 exec_lo, exec_lo, s30
	s_mov_b32 s30, 0
	global_store_b8 v[6:7], v5, off
.LBB7_755:
	s_and_b32 vcc_lo, exec_lo, s30
	s_cbranch_vccz .LBB7_765
; %bb.756:
	s_wait_xcnt 0x0
	s_delay_alu instid0(VALU_DEP_3) | instskip(SKIP_1) | instid1(VALU_DEP_1)
	v_cvt_f32_f64_e32 v2, v[0:1]
	s_mov_b32 s30, exec_lo
                                        ; implicit-def: $vgpr3
	v_and_b32_e32 v5, 0x7fffffff, v2
	s_delay_alu instid0(VALU_DEP_1)
	v_cmpx_gt_u32_e32 0x43f00000, v5
	s_xor_b32 s30, exec_lo, s30
	s_cbranch_execz .LBB7_762
; %bb.757:
	s_mov_b32 s31, exec_lo
                                        ; implicit-def: $vgpr3
	v_cmpx_lt_u32_e32 0x3c7fffff, v5
	s_xor_b32 s31, exec_lo, s31
; %bb.758:
	v_bfe_u32 v3, v2, 20, 1
	s_delay_alu instid0(VALU_DEP_1) | instskip(NEXT) | instid1(VALU_DEP_1)
	v_add3_u32 v3, v2, v3, 0x407ffff
	v_and_b32_e32 v5, 0xff00000, v3
	v_lshrrev_b32_e32 v3, 20, v3
	s_delay_alu instid0(VALU_DEP_2) | instskip(NEXT) | instid1(VALU_DEP_2)
	v_cmp_ne_u32_e32 vcc_lo, 0x7f00000, v5
	v_cndmask_b32_e32 v3, 0x7e, v3, vcc_lo
; %bb.759:
	s_and_not1_saveexec_b32 s31, s31
; %bb.760:
	v_add_f32_e64 v3, 0x46800000, |v2|
; %bb.761:
	s_or_b32 exec_lo, exec_lo, s31
                                        ; implicit-def: $vgpr5
.LBB7_762:
	s_and_not1_saveexec_b32 s30, s30
; %bb.763:
	v_mov_b32_e32 v3, 0x7f
	v_cmp_lt_u32_e32 vcc_lo, 0x7f800000, v5
	s_delay_alu instid0(VALU_DEP_2)
	v_cndmask_b32_e32 v3, 0x7e, v3, vcc_lo
; %bb.764:
	s_or_b32 exec_lo, exec_lo, s30
	v_lshrrev_b32_e32 v2, 24, v2
	s_delay_alu instid0(VALU_DEP_1)
	v_and_or_b32 v2, 0x80, v2, v3
	global_store_b8 v[6:7], v2, off
.LBB7_765:
	s_mov_b32 s30, 0
.LBB7_766:
	s_delay_alu instid0(SALU_CYCLE_1)
	s_and_not1_b32 vcc_lo, exec_lo, s30
	s_cbranch_vccnz .LBB7_776
; %bb.767:
	s_wait_xcnt 0x0
	s_delay_alu instid0(VALU_DEP_3) | instskip(SKIP_1) | instid1(VALU_DEP_1)
	v_cvt_f32_f64_e32 v2, v[0:1]
	s_mov_b32 s30, exec_lo
                                        ; implicit-def: $vgpr3
	v_and_b32_e32 v5, 0x7fffffff, v2
	s_delay_alu instid0(VALU_DEP_1)
	v_cmpx_gt_u32_e32 0x47800000, v5
	s_xor_b32 s30, exec_lo, s30
	s_cbranch_execz .LBB7_773
; %bb.768:
	s_mov_b32 s31, exec_lo
                                        ; implicit-def: $vgpr3
	v_cmpx_lt_u32_e32 0x387fffff, v5
	s_xor_b32 s31, exec_lo, s31
; %bb.769:
	v_bfe_u32 v3, v2, 21, 1
	s_delay_alu instid0(VALU_DEP_1) | instskip(NEXT) | instid1(VALU_DEP_1)
	v_add3_u32 v3, v2, v3, 0x80fffff
	v_lshrrev_b32_e32 v3, 21, v3
; %bb.770:
	s_and_not1_saveexec_b32 s31, s31
; %bb.771:
	v_add_f32_e64 v3, 0x43000000, |v2|
; %bb.772:
	s_or_b32 exec_lo, exec_lo, s31
                                        ; implicit-def: $vgpr5
.LBB7_773:
	s_and_not1_saveexec_b32 s30, s30
; %bb.774:
	v_mov_b32_e32 v3, 0x7f
	v_cmp_lt_u32_e32 vcc_lo, 0x7f800000, v5
	s_delay_alu instid0(VALU_DEP_2)
	v_cndmask_b32_e32 v3, 0x7c, v3, vcc_lo
; %bb.775:
	s_or_b32 exec_lo, exec_lo, s30
	v_lshrrev_b32_e32 v2, 24, v2
	s_delay_alu instid0(VALU_DEP_1)
	v_and_or_b32 v2, 0x80, v2, v3
	global_store_b8 v[6:7], v2, off
.LBB7_776:
	s_mov_b32 s31, 0
	s_mov_b32 s30, -1
.LBB7_777:
	s_and_not1_b32 vcc_lo, exec_lo, s31
	s_cbranch_vccnz .LBB7_785
; %bb.778:
	s_cmp_gt_i32 s29, 14
	s_mov_b32 s31, -1
	s_cbranch_scc0 .LBB7_782
; %bb.779:
	s_cmp_eq_u32 s29, 15
	s_mov_b32 s0, -1
	s_cbranch_scc0 .LBB7_781
; %bb.780:
	s_wait_xcnt 0x0
	s_delay_alu instid0(VALU_DEP_3) | instskip(SKIP_2) | instid1(VALU_DEP_1)
	v_cvt_f32_f64_e32 v2, v[0:1]
	s_mov_b32 s30, -1
	s_mov_b32 s0, 0
	v_bfe_u32 v3, v2, 16, 1
	v_cmp_o_f32_e32 vcc_lo, v2, v2
	s_delay_alu instid0(VALU_DEP_2) | instskip(NEXT) | instid1(VALU_DEP_1)
	v_add3_u32 v3, v2, v3, 0x7fff
	v_lshrrev_b32_e32 v3, 16, v3
	s_delay_alu instid0(VALU_DEP_1)
	v_cndmask_b32_e32 v2, 0x7fc0, v3, vcc_lo
	global_store_b16 v[6:7], v2, off
.LBB7_781:
	s_mov_b32 s31, 0
.LBB7_782:
	s_delay_alu instid0(SALU_CYCLE_1)
	s_and_b32 vcc_lo, exec_lo, s31
	s_cbranch_vccz .LBB7_785
; %bb.783:
	s_cmp_eq_u32 s29, 11
	s_mov_b32 s0, -1
	s_cbranch_scc0 .LBB7_785
; %bb.784:
	s_delay_alu instid0(VALU_DEP_3)
	v_cmp_neq_f64_e32 vcc_lo, 0, v[0:1]
	s_mov_b32 s30, -1
	s_mov_b32 s0, 0
	s_wait_xcnt 0x0
	v_cndmask_b32_e64 v2, 0, 1, vcc_lo
	global_store_b8 v[6:7], v2, off
.LBB7_785:
	s_mov_b32 s29, 0
.LBB7_786:
	s_delay_alu instid0(SALU_CYCLE_1)
	s_and_b32 vcc_lo, exec_lo, s29
	s_cbranch_vccz .LBB7_825
; %bb.787:
	s_and_b32 s1, 0xffff, s1
	s_mov_b32 s29, -1
	s_cmp_lt_i32 s1, 5
	s_cbranch_scc1 .LBB7_808
; %bb.788:
	s_cmp_lt_i32 s1, 8
	s_cbranch_scc1 .LBB7_798
; %bb.789:
	;; [unrolled: 3-line block ×3, first 2 shown]
	s_cmp_gt_i32 s1, 9
	s_cbranch_scc0 .LBB7_792
; %bb.791:
	s_wait_xcnt 0x0
	v_mov_b32_e32 v2, 0
	s_mov_b32 s29, 0
	s_delay_alu instid0(VALU_DEP_1)
	v_mov_b32_e32 v3, v2
	global_store_b128 v[6:7], v[0:3], off
.LBB7_792:
	s_and_not1_b32 vcc_lo, exec_lo, s29
	s_cbranch_vccnz .LBB7_794
; %bb.793:
	s_wait_xcnt 0x0
	s_delay_alu instid0(VALU_DEP_3)
	v_cvt_f32_f64_e32 v2, v[0:1]
	v_mov_b32_e32 v3, 0
	global_store_b64 v[6:7], v[2:3], off
.LBB7_794:
	s_mov_b32 s29, 0
.LBB7_795:
	s_delay_alu instid0(SALU_CYCLE_1)
	s_and_not1_b32 vcc_lo, exec_lo, s29
	s_cbranch_vccnz .LBB7_797
; %bb.796:
	s_wait_xcnt 0x0
	s_delay_alu instid0(VALU_DEP_3) | instskip(SKIP_2) | instid1(VALU_DEP_3)
	v_and_or_b32 v2, 0x1ff, v1, v0
	v_lshrrev_b32_e32 v3, 8, v1
	v_bfe_u32 v5, v1, 20, 11
	v_cmp_ne_u32_e32 vcc_lo, 0, v2
	s_delay_alu instid0(VALU_DEP_2) | instskip(SKIP_2) | instid1(VALU_DEP_1)
	v_sub_nc_u32_e32 v8, 0x3f1, v5
	v_add_nc_u32_e32 v5, 0xfffffc10, v5
	v_cndmask_b32_e64 v2, 0, 1, vcc_lo
	v_and_or_b32 v2, 0xffe, v3, v2
	s_delay_alu instid0(VALU_DEP_4) | instskip(NEXT) | instid1(VALU_DEP_2)
	v_med3_i32 v3, v8, 0, 13
	v_or_b32_e32 v8, 0x1000, v2
	s_delay_alu instid0(VALU_DEP_1) | instskip(NEXT) | instid1(VALU_DEP_1)
	v_lshrrev_b32_e32 v9, v3, v8
	v_lshlrev_b32_e32 v3, v3, v9
	s_delay_alu instid0(VALU_DEP_1) | instskip(SKIP_3) | instid1(VALU_DEP_2)
	v_cmp_ne_u32_e32 vcc_lo, v3, v8
	v_lshl_or_b32 v8, v5, 12, v2
	v_cndmask_b32_e64 v3, 0, 1, vcc_lo
	v_cmp_gt_i32_e32 vcc_lo, 1, v5
	v_or_b32_e32 v3, v9, v3
	s_delay_alu instid0(VALU_DEP_1) | instskip(NEXT) | instid1(VALU_DEP_1)
	v_cndmask_b32_e32 v3, v8, v3, vcc_lo
	v_dual_lshrrev_b32 v3, 2, v3 :: v_dual_bitop2_b32 v8, 7, v3 bitop3:0x40
	s_delay_alu instid0(VALU_DEP_1) | instskip(SKIP_4) | instid1(VALU_DEP_2)
	v_cmp_lt_i32_e32 vcc_lo, 5, v8
	v_cndmask_b32_e64 v9, 0, 1, vcc_lo
	v_cmp_eq_u32_e32 vcc_lo, 3, v8
	v_cndmask_b32_e64 v8, 0, 1, vcc_lo
	v_cmp_ne_u32_e32 vcc_lo, 0, v2
	v_or_b32_e32 v8, v8, v9
	v_mov_b32_e32 v9, 0x7e00
	s_delay_alu instid0(VALU_DEP_1) | instskip(SKIP_1) | instid1(VALU_DEP_2)
	v_dual_cndmask_b32 v2, 0x7c00, v9 :: v_dual_add_nc_u32 v3, v3, v8
	v_cmp_gt_i32_e32 vcc_lo, 31, v5
	v_dual_cndmask_b32 v3, 0x7c00, v3 :: v_dual_lshrrev_b32 v8, 16, v1
	v_cmp_eq_u32_e32 vcc_lo, 0x40f, v5
	s_delay_alu instid0(VALU_DEP_2) | instskip(NEXT) | instid1(VALU_DEP_3)
	v_cndmask_b32_e32 v2, v3, v2, vcc_lo
	v_and_b32_e32 v3, 0x8000, v8
	s_delay_alu instid0(VALU_DEP_1)
	v_bitop3_b32 v2, v3, 0xffff, v2 bitop3:0xc8
	global_store_b32 v[6:7], v2, off
.LBB7_797:
	s_mov_b32 s29, 0
.LBB7_798:
	s_delay_alu instid0(SALU_CYCLE_1)
	s_and_not1_b32 vcc_lo, exec_lo, s29
	s_cbranch_vccnz .LBB7_807
; %bb.799:
	s_cmp_lt_i32 s1, 6
	s_mov_b32 s29, -1
	s_cbranch_scc1 .LBB7_805
; %bb.800:
	s_cmp_gt_i32 s1, 6
	s_cbranch_scc0 .LBB7_802
; %bb.801:
	s_mov_b32 s29, 0
	global_store_b64 v[6:7], v[0:1], off
.LBB7_802:
	s_and_not1_b32 vcc_lo, exec_lo, s29
	s_cbranch_vccnz .LBB7_804
; %bb.803:
	s_wait_xcnt 0x0
	s_delay_alu instid0(VALU_DEP_3)
	v_cvt_f32_f64_e32 v2, v[0:1]
	global_store_b32 v[6:7], v2, off
.LBB7_804:
	s_mov_b32 s29, 0
.LBB7_805:
	s_delay_alu instid0(SALU_CYCLE_1)
	s_and_not1_b32 vcc_lo, exec_lo, s29
	s_cbranch_vccnz .LBB7_807
; %bb.806:
	s_wait_xcnt 0x0
	s_delay_alu instid0(VALU_DEP_3) | instskip(SKIP_2) | instid1(VALU_DEP_3)
	v_and_or_b32 v2, 0x1ff, v1, v0
	v_lshrrev_b32_e32 v3, 8, v1
	v_bfe_u32 v5, v1, 20, 11
	v_cmp_ne_u32_e32 vcc_lo, 0, v2
	s_delay_alu instid0(VALU_DEP_2) | instskip(SKIP_2) | instid1(VALU_DEP_1)
	v_sub_nc_u32_e32 v8, 0x3f1, v5
	v_add_nc_u32_e32 v5, 0xfffffc10, v5
	v_cndmask_b32_e64 v2, 0, 1, vcc_lo
	v_and_or_b32 v2, 0xffe, v3, v2
	s_delay_alu instid0(VALU_DEP_4) | instskip(NEXT) | instid1(VALU_DEP_2)
	v_med3_i32 v3, v8, 0, 13
	v_or_b32_e32 v8, 0x1000, v2
	s_delay_alu instid0(VALU_DEP_1) | instskip(NEXT) | instid1(VALU_DEP_1)
	v_lshrrev_b32_e32 v9, v3, v8
	v_lshlrev_b32_e32 v3, v3, v9
	s_delay_alu instid0(VALU_DEP_1) | instskip(SKIP_3) | instid1(VALU_DEP_2)
	v_cmp_ne_u32_e32 vcc_lo, v3, v8
	v_lshl_or_b32 v8, v5, 12, v2
	v_cndmask_b32_e64 v3, 0, 1, vcc_lo
	v_cmp_gt_i32_e32 vcc_lo, 1, v5
	v_or_b32_e32 v3, v9, v3
	s_delay_alu instid0(VALU_DEP_1) | instskip(NEXT) | instid1(VALU_DEP_1)
	v_cndmask_b32_e32 v3, v8, v3, vcc_lo
	v_dual_lshrrev_b32 v3, 2, v3 :: v_dual_bitop2_b32 v8, 7, v3 bitop3:0x40
	s_delay_alu instid0(VALU_DEP_1) | instskip(SKIP_4) | instid1(VALU_DEP_2)
	v_cmp_lt_i32_e32 vcc_lo, 5, v8
	v_cndmask_b32_e64 v9, 0, 1, vcc_lo
	v_cmp_eq_u32_e32 vcc_lo, 3, v8
	v_cndmask_b32_e64 v8, 0, 1, vcc_lo
	v_cmp_ne_u32_e32 vcc_lo, 0, v2
	v_or_b32_e32 v8, v8, v9
	v_mov_b32_e32 v9, 0x7e00
	s_delay_alu instid0(VALU_DEP_1) | instskip(SKIP_1) | instid1(VALU_DEP_2)
	v_dual_cndmask_b32 v2, 0x7c00, v9 :: v_dual_add_nc_u32 v3, v3, v8
	v_cmp_gt_i32_e32 vcc_lo, 31, v5
	v_cndmask_b32_e32 v3, 0x7c00, v3, vcc_lo
	v_cmp_eq_u32_e32 vcc_lo, 0x40f, v5
	s_delay_alu instid0(VALU_DEP_2) | instskip(NEXT) | instid1(VALU_DEP_1)
	v_dual_cndmask_b32 v2, v3, v2 :: v_dual_lshrrev_b32 v3, 16, v1
	v_and_or_b32 v2, 0x8000, v3, v2
	global_store_b16 v[6:7], v2, off
.LBB7_807:
	s_mov_b32 s29, 0
.LBB7_808:
	s_delay_alu instid0(SALU_CYCLE_1)
	s_and_not1_b32 vcc_lo, exec_lo, s29
	s_cbranch_vccnz .LBB7_824
; %bb.809:
	s_cmp_lt_i32 s1, 2
	s_mov_b32 s29, -1
	s_cbranch_scc1 .LBB7_819
; %bb.810:
	s_cmp_lt_i32 s1, 3
	s_cbranch_scc1 .LBB7_816
; %bb.811:
	s_cmp_gt_i32 s1, 3
	s_cbranch_scc0 .LBB7_813
; %bb.812:
	s_wait_xcnt 0x0
	s_delay_alu instid0(VALU_DEP_3) | instskip(SKIP_1) | instid1(VALU_DEP_1)
	v_trunc_f64_e32 v[2:3], v[0:1]
	s_mov_b32 s29, 0
	v_ldexp_f64 v[8:9], v[2:3], 0xffffffe0
	s_delay_alu instid0(VALU_DEP_1) | instskip(NEXT) | instid1(VALU_DEP_1)
	v_floor_f64_e32 v[8:9], v[8:9]
	v_fmamk_f64 v[2:3], v[8:9], 0xc1f00000, v[2:3]
	v_cvt_i32_f64_e32 v9, v[8:9]
	s_delay_alu instid0(VALU_DEP_2)
	v_cvt_u32_f64_e32 v8, v[2:3]
	global_store_b64 v[6:7], v[8:9], off
.LBB7_813:
	s_and_not1_b32 vcc_lo, exec_lo, s29
	s_cbranch_vccnz .LBB7_815
; %bb.814:
	s_wait_xcnt 0x0
	s_delay_alu instid0(VALU_DEP_3)
	v_cvt_i32_f64_e32 v2, v[0:1]
	global_store_b32 v[6:7], v2, off
.LBB7_815:
	s_mov_b32 s29, 0
.LBB7_816:
	s_delay_alu instid0(SALU_CYCLE_1)
	s_and_not1_b32 vcc_lo, exec_lo, s29
	s_cbranch_vccnz .LBB7_818
; %bb.817:
	s_wait_xcnt 0x0
	s_delay_alu instid0(VALU_DEP_3)
	v_cvt_i32_f64_e32 v2, v[0:1]
	global_store_b16 v[6:7], v2, off
.LBB7_818:
	s_mov_b32 s29, 0
.LBB7_819:
	s_delay_alu instid0(SALU_CYCLE_1)
	s_and_not1_b32 vcc_lo, exec_lo, s29
	s_cbranch_vccnz .LBB7_824
; %bb.820:
	s_cmp_gt_i32 s1, 0
	s_mov_b32 s1, -1
	s_cbranch_scc0 .LBB7_822
; %bb.821:
	s_wait_xcnt 0x0
	s_delay_alu instid0(VALU_DEP_3)
	v_cvt_i32_f64_e32 v2, v[0:1]
	s_mov_b32 s1, 0
	global_store_b8 v[6:7], v2, off
.LBB7_822:
	s_and_not1_b32 vcc_lo, exec_lo, s1
	s_cbranch_vccnz .LBB7_824
; %bb.823:
	s_wait_xcnt 0x0
	s_delay_alu instid0(VALU_DEP_3) | instskip(NEXT) | instid1(VALU_DEP_1)
	v_trunc_f64_e32 v[0:1], v[0:1]
	v_ldexp_f64 v[2:3], v[0:1], 0xffffffe0
	s_delay_alu instid0(VALU_DEP_1) | instskip(NEXT) | instid1(VALU_DEP_1)
	v_floor_f64_e32 v[2:3], v[2:3]
	v_fmamk_f64 v[0:1], v[2:3], 0xc1f00000, v[0:1]
	s_delay_alu instid0(VALU_DEP_1)
	v_cvt_u32_f64_e32 v0, v[0:1]
	global_store_b8 v[6:7], v0, off
.LBB7_824:
	s_mov_b32 s30, -1
.LBB7_825:
	s_delay_alu instid0(SALU_CYCLE_1)
	s_and_not1_b32 vcc_lo, exec_lo, s30
	s_cbranch_vccnz .LBB7_827
; %bb.826:
	v_add_nc_u32_e32 v4, 0x80, v4
	s_mov_b32 s1, -1
	s_branch .LBB7_829
.LBB7_827:
	s_mov_b32 s1, 0
.LBB7_828:
                                        ; implicit-def: $vgpr4
.LBB7_829:
	s_and_not1_b32 s29, s46, exec_lo
	s_and_b32 s0, s0, exec_lo
	s_and_not1_b32 s30, s45, exec_lo
	s_and_b32 s28, s28, exec_lo
	s_or_b32 s31, s29, s0
	s_or_b32 s30, s30, s28
	s_or_not1_b32 s29, s1, exec_lo
.LBB7_830:
	s_wait_xcnt 0x0
	s_or_b32 exec_lo, exec_lo, s48
	s_mov_b32 s0, 0
	s_mov_b32 s1, 0
	;; [unrolled: 1-line block ×3, first 2 shown]
                                        ; implicit-def: $vgpr6_vgpr7
                                        ; implicit-def: $vgpr2
                                        ; implicit-def: $vgpr0_vgpr1
	s_and_saveexec_b32 s48, s29
	s_cbranch_execz .LBB7_932
; %bb.831:
	v_cmp_gt_i32_e32 vcc_lo, s40, v4
	s_mov_b32 s49, s30
	s_mov_b32 s29, 0
                                        ; implicit-def: $vgpr6_vgpr7
                                        ; implicit-def: $vgpr2
                                        ; implicit-def: $vgpr0_vgpr1
	s_and_saveexec_b32 s40, vcc_lo
	s_cbranch_execz .LBB7_931
; %bb.832:
	s_and_not1_b32 vcc_lo, exec_lo, s36
	s_cbranch_vccnz .LBB7_838
; %bb.833:
	s_and_not1_b32 vcc_lo, exec_lo, s42
	s_cbranch_vccnz .LBB7_839
; %bb.834:
	s_add_co_i32 s41, s41, 1
	s_cmp_eq_u32 s34, 2
	s_cbranch_scc1 .LBB7_840
; %bb.835:
	s_wait_loadcnt 0x0
	v_dual_mov_b32 v2, 0 :: v_dual_mov_b32 v0, 0
	v_mov_b32_e32 v1, v4
	s_and_b32 s0, s41, 28
	s_mov_b64 s[28:29], s[2:3]
.LBB7_836:                              ; =>This Inner Loop Header: Depth=1
	s_clause 0x1
	s_load_b256 s[52:59], s[28:29], 0x4
	s_load_b128 s[68:71], s[28:29], 0x24
	s_load_b256 s[60:67], s[26:27], 0x0
	s_add_co_i32 s1, s1, 4
	s_wait_xcnt 0x0
	s_add_nc_u64 s[28:29], s[28:29], 48
	s_cmp_eq_u32 s0, s1
	s_add_nc_u64 s[26:27], s[26:27], 32
	s_wait_kmcnt 0x0
	v_mul_hi_u32 v3, s53, v1
	s_delay_alu instid0(VALU_DEP_1) | instskip(NEXT) | instid1(VALU_DEP_1)
	v_add_nc_u32_e32 v3, v1, v3
	v_lshrrev_b32_e32 v3, s54, v3
	s_delay_alu instid0(VALU_DEP_1) | instskip(NEXT) | instid1(VALU_DEP_1)
	v_mul_hi_u32 v5, s56, v3
	v_add_nc_u32_e32 v5, v3, v5
	s_delay_alu instid0(VALU_DEP_1) | instskip(NEXT) | instid1(VALU_DEP_1)
	v_lshrrev_b32_e32 v5, s57, v5
	v_mul_hi_u32 v6, s59, v5
	s_delay_alu instid0(VALU_DEP_1) | instskip(SKIP_1) | instid1(VALU_DEP_1)
	v_add_nc_u32_e32 v6, v5, v6
	v_mul_lo_u32 v7, v3, s52
	v_sub_nc_u32_e32 v1, v1, v7
	v_mul_lo_u32 v7, v5, s55
	s_delay_alu instid0(VALU_DEP_4) | instskip(NEXT) | instid1(VALU_DEP_3)
	v_lshrrev_b32_e32 v6, s68, v6
	v_mad_u32 v0, v1, s61, v0
	v_mad_u32 v1, v1, s60, v2
	s_delay_alu instid0(VALU_DEP_4) | instskip(NEXT) | instid1(VALU_DEP_4)
	v_sub_nc_u32_e32 v2, v3, v7
	v_mul_hi_u32 v8, s70, v6
	v_mul_lo_u32 v3, v6, s58
	s_delay_alu instid0(VALU_DEP_3) | instskip(SKIP_1) | instid1(VALU_DEP_3)
	v_mad_u32 v0, v2, s63, v0
	v_mad_u32 v2, v2, s62, v1
	v_dual_add_nc_u32 v7, v6, v8 :: v_dual_sub_nc_u32 v3, v5, v3
	s_delay_alu instid0(VALU_DEP_1) | instskip(NEXT) | instid1(VALU_DEP_2)
	v_lshrrev_b32_e32 v1, s71, v7
	v_mad_u32 v0, v3, s65, v0
	s_delay_alu instid0(VALU_DEP_4) | instskip(NEXT) | instid1(VALU_DEP_3)
	v_mad_u32 v2, v3, s64, v2
	v_mul_lo_u32 v5, v1, s69
	s_delay_alu instid0(VALU_DEP_1) | instskip(NEXT) | instid1(VALU_DEP_1)
	v_sub_nc_u32_e32 v3, v6, v5
	v_mad_u32 v0, v3, s67, v0
	s_delay_alu instid0(VALU_DEP_4)
	v_mad_u32 v2, v3, s66, v2
	s_cbranch_scc0 .LBB7_836
; %bb.837:
	s_delay_alu instid0(VALU_DEP_2)
	v_mov_b32_e32 v3, v0
	s_branch .LBB7_841
.LBB7_838:
	s_mov_b32 s0, -1
                                        ; implicit-def: $vgpr0
                                        ; implicit-def: $vgpr2
	s_branch .LBB7_846
.LBB7_839:
	s_wait_loadcnt 0x0
	v_dual_mov_b32 v0, 0 :: v_dual_mov_b32 v2, 0
	s_branch .LBB7_845
.LBB7_840:
	v_mov_b64_e32 v[2:3], 0
	s_wait_loadcnt 0x0
	v_mov_b32_e32 v1, v4
                                        ; implicit-def: $vgpr0
.LBB7_841:
	s_and_b32 s28, s41, 3
	s_mov_b32 s1, 0
	s_cmp_eq_u32 s28, 0
	s_cbranch_scc1 .LBB7_845
; %bb.842:
	s_lshl_b32 s26, s0, 3
	s_mov_b32 s27, s1
	s_mul_u64 s[50:51], s[0:1], 12
	s_add_nc_u64 s[26:27], s[2:3], s[26:27]
	s_delay_alu instid0(SALU_CYCLE_1)
	s_add_nc_u64 s[0:1], s[26:27], 0xc4
	s_add_nc_u64 s[26:27], s[2:3], s[50:51]
.LBB7_843:                              ; =>This Inner Loop Header: Depth=1
	s_load_b96 s[52:54], s[26:27], 0x4
	s_load_b64 s[50:51], s[0:1], 0x0
	s_add_co_i32 s28, s28, -1
	s_wait_xcnt 0x0
	s_add_nc_u64 s[26:27], s[26:27], 12
	s_cmp_lg_u32 s28, 0
	s_add_nc_u64 s[0:1], s[0:1], 8
	s_wait_kmcnt 0x0
	v_mul_hi_u32 v0, s53, v1
	s_delay_alu instid0(VALU_DEP_1) | instskip(NEXT) | instid1(VALU_DEP_1)
	v_add_nc_u32_e32 v0, v1, v0
	v_lshrrev_b32_e32 v0, s54, v0
	s_delay_alu instid0(VALU_DEP_1) | instskip(NEXT) | instid1(VALU_DEP_1)
	v_mul_lo_u32 v5, v0, s52
	v_sub_nc_u32_e32 v1, v1, v5
	s_delay_alu instid0(VALU_DEP_1)
	v_mad_u32 v3, v1, s51, v3
	v_mad_u32 v2, v1, s50, v2
	v_mov_b32_e32 v1, v0
	s_cbranch_scc1 .LBB7_843
; %bb.844:
	s_delay_alu instid0(VALU_DEP_3)
	v_mov_b32_e32 v0, v3
.LBB7_845:
	s_mov_b32 s0, 0
.LBB7_846:
	s_delay_alu instid0(SALU_CYCLE_1)
	s_and_not1_b32 vcc_lo, exec_lo, s0
	s_cbranch_vccnz .LBB7_849
; %bb.847:
	v_mov_b32_e32 v5, 0
	s_and_not1_b32 vcc_lo, exec_lo, s39
	s_wait_loadcnt 0x0
	s_delay_alu instid0(VALU_DEP_1) | instskip(NEXT) | instid1(VALU_DEP_1)
	v_mul_u64_e32 v[0:1], s[20:21], v[4:5]
	v_add_nc_u32_e32 v0, v4, v1
	s_delay_alu instid0(VALU_DEP_1) | instskip(NEXT) | instid1(VALU_DEP_1)
	v_lshrrev_b32_e32 v6, s14, v0
	v_mul_lo_u32 v0, v6, s12
	s_delay_alu instid0(VALU_DEP_1) | instskip(NEXT) | instid1(VALU_DEP_1)
	v_sub_nc_u32_e32 v1, v4, v0
	v_mul_lo_u32 v0, v1, s17
	v_mul_lo_u32 v2, v1, s16
	s_cbranch_vccnz .LBB7_849
; %bb.848:
	v_mov_b32_e32 v7, v5
	s_delay_alu instid0(VALU_DEP_1) | instskip(NEXT) | instid1(VALU_DEP_1)
	v_mul_u64_e32 v[4:5], s[24:25], v[6:7]
	v_add_nc_u32_e32 v1, v6, v5
	s_delay_alu instid0(VALU_DEP_1) | instskip(NEXT) | instid1(VALU_DEP_1)
	v_lshrrev_b32_e32 v1, s23, v1
	v_mul_lo_u32 v1, v1, s15
	s_delay_alu instid0(VALU_DEP_1) | instskip(NEXT) | instid1(VALU_DEP_1)
	v_sub_nc_u32_e32 v1, v6, v1
	v_mad_u32 v2, v1, s18, v2
	v_mad_u32 v0, v1, s19, v0
.LBB7_849:
	s_wait_loadcnt 0x0
	v_mov_b32_e32 v1, 0
	s_and_b32 s0, 0xffff, s13
	s_delay_alu instid0(SALU_CYCLE_1) | instskip(NEXT) | instid1(VALU_DEP_1)
	s_cmp_lt_i32 s0, 11
	v_add_nc_u64_e32 v[6:7], s[6:7], v[0:1]
	s_cbranch_scc1 .LBB7_856
; %bb.850:
	s_cmp_gt_i32 s0, 25
	s_mov_b32 s6, 0
	s_cbranch_scc0 .LBB7_857
; %bb.851:
	s_cmp_gt_i32 s0, 28
	s_cbranch_scc0 .LBB7_858
; %bb.852:
	s_cmp_gt_i32 s0, 43
	;; [unrolled: 3-line block ×3, first 2 shown]
	s_cbranch_scc0 .LBB7_862
; %bb.854:
	s_cmp_eq_u32 s0, 46
	s_mov_b32 s12, 0
	s_cbranch_scc0 .LBB7_865
; %bb.855:
	global_load_b32 v0, v[6:7], off
	s_mov_b32 s1, 0
	s_mov_b32 s7, -1
	s_wait_loadcnt 0x0
	v_lshlrev_b32_e32 v0, 16, v0
	s_delay_alu instid0(VALU_DEP_1)
	v_cvt_f64_f32_e32 v[0:1], v0
	s_branch .LBB7_867
.LBB7_856:
	s_mov_b32 s0, -1
	s_mov_b32 s7, 0
	s_mov_b32 s6, 0
	;; [unrolled: 1-line block ×3, first 2 shown]
                                        ; implicit-def: $vgpr0_vgpr1
	s_branch .LBB7_930
.LBB7_857:
	s_mov_b32 s12, -1
	s_mov_b32 s7, 0
	s_mov_b32 s1, s30
                                        ; implicit-def: $vgpr0_vgpr1
	s_branch .LBB7_896
.LBB7_858:
	s_mov_b32 s12, -1
	s_mov_b32 s7, 0
	s_mov_b32 s1, s30
                                        ; implicit-def: $vgpr0_vgpr1
	s_branch .LBB7_877
.LBB7_859:
	s_mov_b32 s12, -1
	s_mov_b32 s7, 0
	s_mov_b32 s1, s30
                                        ; implicit-def: $vgpr0_vgpr1
	s_branch .LBB7_872
.LBB7_860:
	s_and_not1_saveexec_b32 s49, s49
	s_cbranch_execz .LBB7_738
.LBB7_861:
	v_add_f32_e64 v3, 0x46000000, |v2|
	s_and_not1_b32 s31, s31, exec_lo
	s_delay_alu instid0(VALU_DEP_1) | instskip(NEXT) | instid1(VALU_DEP_1)
	v_and_b32_e32 v3, 0xff, v3
	v_cmp_ne_u32_e32 vcc_lo, 0, v3
	s_and_b32 s50, vcc_lo, exec_lo
	s_delay_alu instid0(SALU_CYCLE_1)
	s_or_b32 s31, s31, s50
	s_or_b32 exec_lo, exec_lo, s49
	v_mov_b32_e32 v5, 0
	s_and_saveexec_b32 s49, s31
	s_cbranch_execnz .LBB7_739
	s_branch .LBB7_740
.LBB7_862:
	s_mov_b32 s12, -1
	s_mov_b32 s7, 0
	s_mov_b32 s1, s30
	s_branch .LBB7_866
.LBB7_863:
	s_and_not1_saveexec_b32 s49, s49
	s_cbranch_execz .LBB7_751
.LBB7_864:
	v_add_f32_e64 v3, 0x42800000, |v2|
	s_and_not1_b32 s31, s31, exec_lo
	s_delay_alu instid0(VALU_DEP_1) | instskip(NEXT) | instid1(VALU_DEP_1)
	v_and_b32_e32 v3, 0xff, v3
	v_cmp_ne_u32_e32 vcc_lo, 0, v3
	s_and_b32 s50, vcc_lo, exec_lo
	s_delay_alu instid0(SALU_CYCLE_1)
	s_or_b32 s31, s31, s50
	s_or_b32 exec_lo, exec_lo, s49
	v_mov_b32_e32 v5, 0
	s_and_saveexec_b32 s49, s31
	s_cbranch_execnz .LBB7_752
	s_branch .LBB7_753
.LBB7_865:
	s_mov_b32 s1, -1
	s_mov_b32 s7, 0
.LBB7_866:
                                        ; implicit-def: $vgpr0_vgpr1
.LBB7_867:
	s_and_b32 vcc_lo, exec_lo, s12
	s_cbranch_vccz .LBB7_871
; %bb.868:
	s_cmp_eq_u32 s0, 44
	s_cbranch_scc0 .LBB7_870
; %bb.869:
	global_load_u8 v3, v[6:7], off
	s_mov_b32 s1, 0
	s_mov_b32 s7, -1
	s_wait_loadcnt 0x0
	v_cmp_ne_u32_e32 vcc_lo, 0xff, v3
	v_lshlrev_b32_e32 v0, 23, v3
	s_delay_alu instid0(VALU_DEP_1) | instskip(NEXT) | instid1(VALU_DEP_1)
	v_cvt_f64_f32_e32 v[0:1], v0
	v_cndmask_b32_e32 v0, 0x20000000, v0, vcc_lo
	s_delay_alu instid0(VALU_DEP_2) | instskip(SKIP_1) | instid1(VALU_DEP_2)
	v_cndmask_b32_e32 v1, 0x7ff80000, v1, vcc_lo
	v_cmp_ne_u32_e32 vcc_lo, 0, v3
	v_cndmask_b32_e32 v1, 0x38000000, v1, vcc_lo
	s_delay_alu instid0(VALU_DEP_4)
	v_cndmask_b32_e32 v0, 0, v0, vcc_lo
	s_branch .LBB7_871
.LBB7_870:
	s_mov_b32 s1, -1
                                        ; implicit-def: $vgpr0_vgpr1
.LBB7_871:
	s_mov_b32 s12, 0
.LBB7_872:
	s_delay_alu instid0(SALU_CYCLE_1)
	s_and_b32 vcc_lo, exec_lo, s12
	s_cbranch_vccz .LBB7_876
; %bb.873:
	s_cmp_eq_u32 s0, 29
	s_cbranch_scc0 .LBB7_875
; %bb.874:
	global_load_b64 v[0:1], v[6:7], off
	s_mov_b32 s1, 0
	s_mov_b32 s7, -1
	s_mov_b32 s12, 0
	s_wait_loadcnt 0x0
	v_cvt_f64_u32_e32 v[4:5], v1
	v_cvt_f64_u32_e32 v[0:1], v0
	s_delay_alu instid0(VALU_DEP_2) | instskip(NEXT) | instid1(VALU_DEP_1)
	v_ldexp_f64 v[4:5], v[4:5], 32
	v_add_f64_e32 v[0:1], v[4:5], v[0:1]
	s_branch .LBB7_877
.LBB7_875:
	s_mov_b32 s1, -1
                                        ; implicit-def: $vgpr0_vgpr1
.LBB7_876:
	s_mov_b32 s12, 0
.LBB7_877:
	s_delay_alu instid0(SALU_CYCLE_1)
	s_and_b32 vcc_lo, exec_lo, s12
	s_cbranch_vccz .LBB7_895
; %bb.878:
	s_cmp_lt_i32 s0, 27
	s_cbranch_scc1 .LBB7_881
; %bb.879:
	s_cmp_gt_i32 s0, 27
	s_cbranch_scc0 .LBB7_882
; %bb.880:
	global_load_b32 v0, v[6:7], off
	s_mov_b32 s7, 0
	s_wait_loadcnt 0x0
	v_cvt_f64_u32_e32 v[0:1], v0
	s_branch .LBB7_883
.LBB7_881:
	s_mov_b32 s7, -1
                                        ; implicit-def: $vgpr0_vgpr1
	s_branch .LBB7_886
.LBB7_882:
	s_mov_b32 s7, -1
                                        ; implicit-def: $vgpr0_vgpr1
.LBB7_883:
	s_delay_alu instid0(SALU_CYCLE_1)
	s_and_not1_b32 vcc_lo, exec_lo, s7
	s_cbranch_vccnz .LBB7_885
; %bb.884:
	global_load_u16 v0, v[6:7], off
	s_wait_loadcnt 0x0
	v_cvt_f64_u32_e32 v[0:1], v0
.LBB7_885:
	s_mov_b32 s7, 0
.LBB7_886:
	s_delay_alu instid0(SALU_CYCLE_1)
	s_and_not1_b32 vcc_lo, exec_lo, s7
	s_cbranch_vccnz .LBB7_894
; %bb.887:
	global_load_u8 v3, v[6:7], off
	s_mov_b32 s7, 0
	s_mov_b32 s12, exec_lo
	s_wait_loadcnt 0x0
	v_cmpx_lt_i16_e32 0x7f, v3
	s_xor_b32 s12, exec_lo, s12
	s_cbranch_execz .LBB7_908
; %bb.888:
	s_mov_b32 s7, -1
	s_mov_b32 s14, exec_lo
	v_cmpx_eq_u16_e32 0x80, v3
; %bb.889:
	s_xor_b32 s7, exec_lo, -1
; %bb.890:
	s_or_b32 exec_lo, exec_lo, s14
	s_delay_alu instid0(SALU_CYCLE_1)
	s_and_b32 s7, s7, exec_lo
	s_or_saveexec_b32 s12, s12
	v_mov_b64_e32 v[0:1], 0x7ff8000020000000
	s_xor_b32 exec_lo, exec_lo, s12
	s_cbranch_execnz .LBB7_909
.LBB7_891:
	s_or_b32 exec_lo, exec_lo, s12
	s_and_saveexec_b32 s12, s7
	s_cbranch_execz .LBB7_893
.LBB7_892:
	v_and_b32_e32 v0, 0xffff, v3
	s_delay_alu instid0(VALU_DEP_1) | instskip(SKIP_1) | instid1(VALU_DEP_2)
	v_dual_lshlrev_b32 v3, 24, v3 :: v_dual_bitop2_b32 v1, 7, v0 bitop3:0x40
	v_bfe_u32 v8, v0, 3, 4
	v_clz_i32_u32_e32 v4, v1
	s_delay_alu instid0(VALU_DEP_2) | instskip(NEXT) | instid1(VALU_DEP_2)
	v_cmp_eq_u32_e32 vcc_lo, 0, v8
	v_min_u32_e32 v4, 32, v4
	s_delay_alu instid0(VALU_DEP_1) | instskip(SKIP_1) | instid1(VALU_DEP_2)
	v_subrev_nc_u32_e32 v5, 28, v4
	v_sub_nc_u32_e32 v4, 29, v4
	v_lshlrev_b32_e32 v0, v5, v0
	s_delay_alu instid0(VALU_DEP_2) | instskip(NEXT) | instid1(VALU_DEP_2)
	v_cndmask_b32_e32 v4, v8, v4, vcc_lo
	v_and_b32_e32 v0, 7, v0
	s_delay_alu instid0(VALU_DEP_1) | instskip(SKIP_1) | instid1(VALU_DEP_4)
	v_cndmask_b32_e32 v0, v1, v0, vcc_lo
	v_and_b32_e32 v1, 0x80000000, v3
	v_lshl_add_u32 v3, v4, 23, 0x3b800000
	s_delay_alu instid0(VALU_DEP_3) | instskip(NEXT) | instid1(VALU_DEP_1)
	v_lshlrev_b32_e32 v0, 20, v0
	v_or3_b32 v0, v1, v3, v0
	s_delay_alu instid0(VALU_DEP_1)
	v_cvt_f64_f32_e32 v[0:1], v0
.LBB7_893:
	s_or_b32 exec_lo, exec_lo, s12
.LBB7_894:
	s_mov_b32 s7, -1
.LBB7_895:
	s_mov_b32 s12, 0
.LBB7_896:
	s_delay_alu instid0(SALU_CYCLE_1)
	s_and_b32 vcc_lo, exec_lo, s12
	s_cbranch_vccz .LBB7_929
; %bb.897:
	s_cmp_gt_i32 s0, 22
	s_cbranch_scc0 .LBB7_907
; %bb.898:
	s_cmp_lt_i32 s0, 24
	s_cbranch_scc1 .LBB7_910
; %bb.899:
	s_cmp_gt_i32 s0, 24
	s_cbranch_scc0 .LBB7_911
; %bb.900:
	global_load_u8 v3, v[6:7], off
	s_mov_b32 s7, exec_lo
	s_wait_loadcnt 0x0
	v_cmpx_lt_i16_e32 0x7f, v3
	s_xor_b32 s7, exec_lo, s7
	s_cbranch_execz .LBB7_923
; %bb.901:
	s_mov_b32 s6, -1
	s_mov_b32 s12, exec_lo
	v_cmpx_eq_u16_e32 0x80, v3
; %bb.902:
	s_xor_b32 s6, exec_lo, -1
; %bb.903:
	s_or_b32 exec_lo, exec_lo, s12
	s_delay_alu instid0(SALU_CYCLE_1)
	s_and_b32 s6, s6, exec_lo
	s_or_saveexec_b32 s7, s7
	v_mov_b64_e32 v[0:1], 0x7ff8000020000000
	s_xor_b32 exec_lo, exec_lo, s7
	s_cbranch_execnz .LBB7_924
.LBB7_904:
	s_or_b32 exec_lo, exec_lo, s7
	s_and_saveexec_b32 s7, s6
	s_cbranch_execz .LBB7_906
.LBB7_905:
	v_and_b32_e32 v0, 0xffff, v3
	s_delay_alu instid0(VALU_DEP_1) | instskip(SKIP_1) | instid1(VALU_DEP_2)
	v_dual_lshlrev_b32 v3, 24, v3 :: v_dual_bitop2_b32 v1, 3, v0 bitop3:0x40
	v_bfe_u32 v8, v0, 2, 5
	v_clz_i32_u32_e32 v4, v1
	s_delay_alu instid0(VALU_DEP_2) | instskip(NEXT) | instid1(VALU_DEP_2)
	v_cmp_eq_u32_e32 vcc_lo, 0, v8
	v_min_u32_e32 v4, 32, v4
	s_delay_alu instid0(VALU_DEP_1) | instskip(SKIP_1) | instid1(VALU_DEP_2)
	v_subrev_nc_u32_e32 v5, 29, v4
	v_sub_nc_u32_e32 v4, 30, v4
	v_lshlrev_b32_e32 v0, v5, v0
	s_delay_alu instid0(VALU_DEP_2) | instskip(NEXT) | instid1(VALU_DEP_2)
	v_cndmask_b32_e32 v4, v8, v4, vcc_lo
	v_and_b32_e32 v0, 3, v0
	s_delay_alu instid0(VALU_DEP_1) | instskip(SKIP_1) | instid1(VALU_DEP_4)
	v_cndmask_b32_e32 v0, v1, v0, vcc_lo
	v_and_b32_e32 v1, 0x80000000, v3
	v_lshl_add_u32 v3, v4, 23, 0x37800000
	s_delay_alu instid0(VALU_DEP_3) | instskip(NEXT) | instid1(VALU_DEP_1)
	v_lshlrev_b32_e32 v0, 21, v0
	v_or3_b32 v0, v1, v3, v0
	s_delay_alu instid0(VALU_DEP_1)
	v_cvt_f64_f32_e32 v[0:1], v0
.LBB7_906:
	s_or_b32 exec_lo, exec_lo, s7
	s_mov_b32 s6, 0
	s_branch .LBB7_912
.LBB7_907:
	s_mov_b32 s6, -1
                                        ; implicit-def: $vgpr0_vgpr1
	s_branch .LBB7_918
.LBB7_908:
	s_or_saveexec_b32 s12, s12
	v_mov_b64_e32 v[0:1], 0x7ff8000020000000
	s_xor_b32 exec_lo, exec_lo, s12
	s_cbranch_execz .LBB7_891
.LBB7_909:
	v_cmp_ne_u16_e32 vcc_lo, 0, v3
	v_mov_b64_e32 v[0:1], 0
	s_and_not1_b32 s7, s7, exec_lo
	s_and_b32 s14, vcc_lo, exec_lo
	s_delay_alu instid0(SALU_CYCLE_1)
	s_or_b32 s7, s7, s14
	s_or_b32 exec_lo, exec_lo, s12
	s_and_saveexec_b32 s12, s7
	s_cbranch_execnz .LBB7_892
	s_branch .LBB7_893
.LBB7_910:
	s_mov_b32 s6, -1
                                        ; implicit-def: $vgpr0_vgpr1
	s_branch .LBB7_915
.LBB7_911:
	s_mov_b32 s6, -1
                                        ; implicit-def: $vgpr0_vgpr1
.LBB7_912:
	s_delay_alu instid0(SALU_CYCLE_1)
	s_and_b32 vcc_lo, exec_lo, s6
	s_cbranch_vccz .LBB7_914
; %bb.913:
	global_load_u8 v0, v[6:7], off
	s_wait_loadcnt 0x0
	v_lshlrev_b32_e32 v0, 24, v0
	s_delay_alu instid0(VALU_DEP_1) | instskip(NEXT) | instid1(VALU_DEP_1)
	v_and_b32_e32 v1, 0x7f000000, v0
	v_clz_i32_u32_e32 v3, v1
	v_add_nc_u32_e32 v5, 0x1000000, v1
	v_cmp_ne_u32_e32 vcc_lo, 0, v1
	s_delay_alu instid0(VALU_DEP_3) | instskip(NEXT) | instid1(VALU_DEP_1)
	v_min_u32_e32 v3, 32, v3
	v_sub_nc_u32_e64 v3, v3, 4 clamp
	s_delay_alu instid0(VALU_DEP_1) | instskip(NEXT) | instid1(VALU_DEP_1)
	v_dual_lshlrev_b32 v4, v3, v1 :: v_dual_lshlrev_b32 v3, 23, v3
	v_lshrrev_b32_e32 v4, 4, v4
	s_delay_alu instid0(VALU_DEP_1) | instskip(NEXT) | instid1(VALU_DEP_1)
	v_dual_sub_nc_u32 v3, v4, v3 :: v_dual_ashrrev_i32 v4, 8, v5
	v_add_nc_u32_e32 v3, 0x3c000000, v3
	s_delay_alu instid0(VALU_DEP_1) | instskip(NEXT) | instid1(VALU_DEP_1)
	v_and_or_b32 v3, 0x7f800000, v4, v3
	v_cndmask_b32_e32 v1, 0, v3, vcc_lo
	s_delay_alu instid0(VALU_DEP_1) | instskip(NEXT) | instid1(VALU_DEP_1)
	v_and_or_b32 v0, 0x80000000, v0, v1
	v_cvt_f64_f32_e32 v[0:1], v0
.LBB7_914:
	s_mov_b32 s6, 0
.LBB7_915:
	s_delay_alu instid0(SALU_CYCLE_1)
	s_and_not1_b32 vcc_lo, exec_lo, s6
	s_cbranch_vccnz .LBB7_917
; %bb.916:
	global_load_u8 v0, v[6:7], off
	s_wait_loadcnt 0x0
	v_lshlrev_b32_e32 v1, 25, v0
	v_lshlrev_b16 v0, 8, v0
	s_delay_alu instid0(VALU_DEP_2) | instskip(NEXT) | instid1(VALU_DEP_2)
	v_cmp_gt_u32_e32 vcc_lo, 0x8000000, v1
	v_and_or_b32 v4, 0x7f00, v0, 0.5
	v_lshrrev_b32_e32 v3, 4, v1
	v_bfe_i32 v0, v0, 0, 16
	s_delay_alu instid0(VALU_DEP_3) | instskip(NEXT) | instid1(VALU_DEP_3)
	v_add_f32_e32 v4, -0.5, v4
	v_or_b32_e32 v3, 0x70000000, v3
	s_delay_alu instid0(VALU_DEP_1) | instskip(NEXT) | instid1(VALU_DEP_1)
	v_mul_f32_e32 v3, 0x7800000, v3
	v_cndmask_b32_e32 v1, v3, v4, vcc_lo
	s_delay_alu instid0(VALU_DEP_1) | instskip(NEXT) | instid1(VALU_DEP_1)
	v_and_or_b32 v0, 0x80000000, v0, v1
	v_cvt_f64_f32_e32 v[0:1], v0
.LBB7_917:
	s_mov_b32 s6, 0
	s_mov_b32 s7, -1
.LBB7_918:
	s_and_not1_b32 vcc_lo, exec_lo, s6
	s_mov_b32 s6, 0
	s_cbranch_vccnz .LBB7_929
; %bb.919:
	s_cmp_gt_i32 s0, 14
	s_cbranch_scc0 .LBB7_922
; %bb.920:
	s_cmp_eq_u32 s0, 15
	s_cbranch_scc0 .LBB7_925
; %bb.921:
	global_load_u16 v0, v[6:7], off
	s_mov_b32 s1, 0
	s_mov_b32 s7, -1
	s_wait_loadcnt 0x0
	v_lshlrev_b32_e32 v0, 16, v0
	s_delay_alu instid0(VALU_DEP_1)
	v_cvt_f64_f32_e32 v[0:1], v0
	s_branch .LBB7_927
.LBB7_922:
	s_mov_b32 s6, -1
	s_branch .LBB7_926
.LBB7_923:
	s_or_saveexec_b32 s7, s7
	v_mov_b64_e32 v[0:1], 0x7ff8000020000000
	s_xor_b32 exec_lo, exec_lo, s7
	s_cbranch_execz .LBB7_904
.LBB7_924:
	v_cmp_ne_u16_e32 vcc_lo, 0, v3
	v_mov_b64_e32 v[0:1], 0
	s_and_not1_b32 s6, s6, exec_lo
	s_and_b32 s12, vcc_lo, exec_lo
	s_delay_alu instid0(SALU_CYCLE_1)
	s_or_b32 s6, s6, s12
	s_or_b32 exec_lo, exec_lo, s7
	s_and_saveexec_b32 s7, s6
	s_cbranch_execnz .LBB7_905
	s_branch .LBB7_906
.LBB7_925:
	s_mov_b32 s1, -1
.LBB7_926:
                                        ; implicit-def: $vgpr0_vgpr1
.LBB7_927:
	s_and_b32 vcc_lo, exec_lo, s6
	s_mov_b32 s6, 0
	s_cbranch_vccz .LBB7_929
; %bb.928:
	s_cmp_lg_u32 s0, 11
	s_mov_b32 s6, -1
	s_cselect_b32 s0, -1, 0
	s_and_not1_b32 s1, s1, exec_lo
	s_and_b32 s0, s0, exec_lo
	s_delay_alu instid0(SALU_CYCLE_1)
	s_or_b32 s1, s1, s0
.LBB7_929:
	s_mov_b32 s0, 0
.LBB7_930:
	s_and_b32 s28, s7, exec_lo
	s_and_not1_b32 s7, s30, exec_lo
	s_and_b32 s1, s1, exec_lo
	s_and_b32 s29, s0, exec_lo
	;; [unrolled: 1-line block ×3, first 2 shown]
	s_or_b32 s49, s7, s1
.LBB7_931:
	s_wait_xcnt 0x0
	s_or_b32 exec_lo, exec_lo, s40
	s_delay_alu instid0(SALU_CYCLE_1)
	s_and_not1_b32 s6, s30, exec_lo
	s_and_b32 s7, s49, exec_lo
	s_and_b32 s28, s28, exec_lo
	;; [unrolled: 1-line block ×4, first 2 shown]
	s_or_b32 s30, s6, s7
.LBB7_932:
	s_or_b32 exec_lo, exec_lo, s48
	s_delay_alu instid0(SALU_CYCLE_1)
	s_and_not1_b32 s6, s46, exec_lo
	s_and_b32 s7, s31, exec_lo
	s_and_b32 s29, s28, exec_lo
	s_or_b32 s46, s6, s7
	s_and_not1_b32 s6, s45, exec_lo
	s_and_b32 s7, s30, exec_lo
	s_and_b32 s28, s1, exec_lo
	;; [unrolled: 1-line block ×3, first 2 shown]
	s_or_b32 s45, s6, s7
.LBB7_933:
	s_or_b32 exec_lo, exec_lo, s47
	s_delay_alu instid0(SALU_CYCLE_1)
	s_and_not1_b32 s0, s22, exec_lo
	s_and_b32 s6, s46, exec_lo
	s_and_b32 s7, s45, exec_lo
	s_or_b32 s22, s0, s6
	s_and_not1_b32 s6, s43, exec_lo
	s_and_b32 s0, s29, exec_lo
	s_and_b32 s28, s28, exec_lo
	;; [unrolled: 1-line block ×3, first 2 shown]
	s_or_b32 s43, s6, s7
	s_or_b32 exec_lo, exec_lo, s44
	s_mov_b32 s6, 0
	s_and_saveexec_b32 s1, s43
	s_cbranch_execz .LBB7_278
.LBB7_934:
	s_mov_b32 s6, exec_lo
	s_and_not1_b32 s21, s21, exec_lo
	s_trap 2
	s_or_b32 exec_lo, exec_lo, s1
	s_and_saveexec_b32 s1, s21
	s_delay_alu instid0(SALU_CYCLE_1)
	s_xor_b32 s1, exec_lo, s1
	s_cbranch_execnz .LBB7_279
.LBB7_935:
	s_or_b32 exec_lo, exec_lo, s1
	s_and_saveexec_b32 s1, s28
	s_cbranch_execz .LBB7_981
.LBB7_936:
	s_sext_i32_i16 s7, s13
	s_delay_alu instid0(SALU_CYCLE_1)
	s_cmp_lt_i32 s7, 5
	s_cbranch_scc1 .LBB7_941
; %bb.937:
	s_cmp_lt_i32 s7, 8
	s_cbranch_scc1 .LBB7_942
; %bb.938:
	;; [unrolled: 3-line block ×3, first 2 shown]
	s_cmp_gt_i32 s7, 9
	s_cbranch_scc0 .LBB7_944
; %bb.940:
	s_wait_loadcnt 0x0
	global_load_b64 v[0:1], v[6:7], off
	s_mov_b32 s7, 0
	s_branch .LBB7_945
.LBB7_941:
                                        ; implicit-def: $vgpr0_vgpr1
	s_branch .LBB7_962
.LBB7_942:
                                        ; implicit-def: $vgpr0_vgpr1
	s_branch .LBB7_951
.LBB7_943:
	s_mov_b32 s7, -1
                                        ; implicit-def: $vgpr0_vgpr1
	s_branch .LBB7_948
.LBB7_944:
	s_mov_b32 s7, -1
                                        ; implicit-def: $vgpr0_vgpr1
.LBB7_945:
	s_delay_alu instid0(SALU_CYCLE_1)
	s_and_not1_b32 vcc_lo, exec_lo, s7
	s_cbranch_vccnz .LBB7_947
; %bb.946:
	s_wait_loadcnt 0x0
	global_load_b32 v0, v[6:7], off
	s_wait_loadcnt 0x0
	v_cvt_f64_f32_e32 v[0:1], v0
.LBB7_947:
	s_mov_b32 s7, 0
.LBB7_948:
	s_delay_alu instid0(SALU_CYCLE_1)
	s_and_not1_b32 vcc_lo, exec_lo, s7
	s_cbranch_vccnz .LBB7_950
; %bb.949:
	s_wait_loadcnt 0x0
	global_load_b32 v0, v[6:7], off
	s_wait_loadcnt 0x0
	v_cvt_f32_f16_e32 v0, v0
	s_delay_alu instid0(VALU_DEP_1)
	v_cvt_f64_f32_e32 v[0:1], v0
.LBB7_950:
	s_cbranch_execnz .LBB7_961
.LBB7_951:
	s_sext_i32_i16 s7, s13
	s_delay_alu instid0(SALU_CYCLE_1)
	s_cmp_lt_i32 s7, 6
	s_cbranch_scc1 .LBB7_954
; %bb.952:
	s_cmp_gt_i32 s7, 6
	s_cbranch_scc0 .LBB7_955
; %bb.953:
	s_wait_loadcnt 0x0
	global_load_b64 v[0:1], v[6:7], off
	s_mov_b32 s7, 0
	s_branch .LBB7_956
.LBB7_954:
	s_mov_b32 s7, -1
                                        ; implicit-def: $vgpr0_vgpr1
	s_branch .LBB7_959
.LBB7_955:
	s_mov_b32 s7, -1
                                        ; implicit-def: $vgpr0_vgpr1
.LBB7_956:
	s_delay_alu instid0(SALU_CYCLE_1)
	s_and_not1_b32 vcc_lo, exec_lo, s7
	s_cbranch_vccnz .LBB7_958
; %bb.957:
	s_wait_loadcnt 0x0
	global_load_b32 v0, v[6:7], off
	s_wait_loadcnt 0x0
	v_cvt_f64_f32_e32 v[0:1], v0
.LBB7_958:
	s_mov_b32 s7, 0
.LBB7_959:
	s_delay_alu instid0(SALU_CYCLE_1)
	s_and_not1_b32 vcc_lo, exec_lo, s7
	s_cbranch_vccnz .LBB7_961
; %bb.960:
	s_wait_loadcnt 0x0
	global_load_u16 v0, v[6:7], off
	s_wait_loadcnt 0x0
	v_cvt_f32_f16_e32 v0, v0
	s_delay_alu instid0(VALU_DEP_1)
	v_cvt_f64_f32_e32 v[0:1], v0
.LBB7_961:
	s_cbranch_execnz .LBB7_980
.LBB7_962:
	s_sext_i32_i16 s7, s13
	s_delay_alu instid0(SALU_CYCLE_1)
	s_cmp_lt_i32 s7, 2
	s_cbranch_scc1 .LBB7_966
; %bb.963:
	s_cmp_lt_i32 s7, 3
	s_cbranch_scc1 .LBB7_967
; %bb.964:
	s_cmp_gt_i32 s7, 3
	s_cbranch_scc0 .LBB7_968
; %bb.965:
	s_wait_loadcnt 0x0
	global_load_b64 v[0:1], v[6:7], off
	s_mov_b32 s7, 0
	s_wait_loadcnt 0x0
	v_cvt_f64_i32_e32 v[4:5], v1
	v_cvt_f64_u32_e32 v[0:1], v0
	s_delay_alu instid0(VALU_DEP_2) | instskip(NEXT) | instid1(VALU_DEP_1)
	v_ldexp_f64 v[4:5], v[4:5], 32
	v_add_f64_e32 v[0:1], v[4:5], v[0:1]
	s_branch .LBB7_969
.LBB7_966:
                                        ; implicit-def: $vgpr0_vgpr1
	s_branch .LBB7_975
.LBB7_967:
	s_mov_b32 s7, -1
                                        ; implicit-def: $vgpr0_vgpr1
	s_branch .LBB7_972
.LBB7_968:
	s_mov_b32 s7, -1
                                        ; implicit-def: $vgpr0_vgpr1
.LBB7_969:
	s_delay_alu instid0(SALU_CYCLE_1)
	s_and_not1_b32 vcc_lo, exec_lo, s7
	s_cbranch_vccnz .LBB7_971
; %bb.970:
	s_wait_loadcnt 0x0
	global_load_b32 v0, v[6:7], off
	s_wait_loadcnt 0x0
	v_cvt_f64_i32_e32 v[0:1], v0
.LBB7_971:
	s_mov_b32 s7, 0
.LBB7_972:
	s_delay_alu instid0(SALU_CYCLE_1)
	s_and_not1_b32 vcc_lo, exec_lo, s7
	s_cbranch_vccnz .LBB7_974
; %bb.973:
	s_wait_loadcnt 0x0
	global_load_i16 v0, v[6:7], off
	s_wait_loadcnt 0x0
	v_cvt_f64_i32_e32 v[0:1], v0
.LBB7_974:
	s_cbranch_execnz .LBB7_980
.LBB7_975:
	s_sext_i32_i16 s7, s13
	s_delay_alu instid0(SALU_CYCLE_1)
	s_cmp_gt_i32 s7, 0
	s_mov_b32 s7, 0
	s_cbranch_scc0 .LBB7_977
; %bb.976:
	s_wait_loadcnt 0x0
	global_load_i8 v0, v[6:7], off
	s_wait_loadcnt 0x0
	v_cvt_f64_i32_e32 v[0:1], v0
	s_branch .LBB7_978
.LBB7_977:
	s_mov_b32 s7, -1
                                        ; implicit-def: $vgpr0_vgpr1
.LBB7_978:
	s_delay_alu instid0(SALU_CYCLE_1)
	s_and_not1_b32 vcc_lo, exec_lo, s7
	s_cbranch_vccnz .LBB7_980
; %bb.979:
	s_wait_loadcnt 0x0
	global_load_u8 v0, v[6:7], off
	s_wait_loadcnt 0x0
	v_cvt_f64_u32_e32 v[0:1], v0
.LBB7_980:
	s_or_b32 s0, s0, exec_lo
.LBB7_981:
	s_wait_xcnt 0x0
	s_or_b32 exec_lo, exec_lo, s1
	s_mov_b32 s13, 0
	s_mov_b32 s12, 0
                                        ; implicit-def: $sgpr1
                                        ; implicit-def: $vgpr4_vgpr5
	s_and_saveexec_b32 s7, s0
	s_cbranch_execz .LBB7_991
; %bb.982:
	s_wait_loadcnt 0x0
	s_delay_alu instid0(VALU_DEP_1) | instskip(NEXT) | instid1(VALU_DEP_1)
	v_mul_f64_e32 v[4:5], s[8:9], v[0:1]
	v_cmp_nlt_f64_e32 vcc_lo, s[10:11], v[4:5]
	s_and_saveexec_b32 s10, vcc_lo
	s_cbranch_execz .LBB7_984
; %bb.983:
	v_mul_f64_e32 v[0:1], 0x3ff71547652b82fe, v[4:5]
	s_mov_b64 s[0:1], 0x3e5ade156a5dcb37
	v_cmp_nlt_f64_e32 vcc_lo, 0x40900000, v[4:5]
	s_delay_alu instid0(VALU_DEP_2) | instskip(NEXT) | instid1(VALU_DEP_1)
	v_rndne_f64_e32 v[0:1], v[0:1]
	v_fmamk_f64 v[6:7], v[0:1], 0xbfe62e42fefa39ef, v[4:5]
	v_cvt_i32_f64_e32 v3, v[0:1]
	s_delay_alu instid0(VALU_DEP_2) | instskip(NEXT) | instid1(VALU_DEP_1)
	v_fmamk_f64 v[6:7], v[0:1], 0xbc7abc9e3b39803f, v[6:7]
	v_fmaak_f64 v[8:9], s[0:1], v[6:7], 0x3e928af3fca7ab0c
	v_cmp_ngt_f64_e64 s0, 0xc090cc00, v[4:5]
	s_delay_alu instid0(VALU_DEP_2) | instskip(NEXT) | instid1(VALU_DEP_1)
	v_fmaak_f64 v[8:9], v[6:7], v[8:9], 0x3ec71dee623fde64
	v_fmaak_f64 v[8:9], v[6:7], v[8:9], 0x3efa01997c89e6b0
	s_delay_alu instid0(VALU_DEP_1) | instskip(NEXT) | instid1(VALU_DEP_1)
	v_fmaak_f64 v[8:9], v[6:7], v[8:9], 0x3f2a01a014761f6e
	v_fmaak_f64 v[8:9], v[6:7], v[8:9], 0x3f56c16c1852b7b0
	s_delay_alu instid0(VALU_DEP_1) | instskip(NEXT) | instid1(VALU_DEP_1)
	;; [unrolled: 3-line block ×4, first 2 shown]
	v_fma_f64 v[8:9], v[6:7], v[8:9], 1.0
	v_fma_f64 v[0:1], v[6:7], v[8:9], 1.0
	s_delay_alu instid0(VALU_DEP_1) | instskip(NEXT) | instid1(VALU_DEP_1)
	v_ldexp_f64 v[0:1], v[0:1], v3
	v_cndmask_b32_e32 v1, 0x7ff00000, v1, vcc_lo
	s_and_b32 vcc_lo, s0, vcc_lo
	s_delay_alu instid0(VALU_DEP_1) | instid1(SALU_CYCLE_1)
	v_dual_cndmask_b32 v0, 0, v0, vcc_lo :: v_dual_cndmask_b32 v1, 0, v1, s0
	s_mov_b64 s[0:1], 0x3fe5555555555555
	s_delay_alu instid0(VALU_DEP_1) | instskip(NEXT) | instid1(VALU_DEP_1)
	v_add_f64_e32 v[4:5], 1.0, v[0:1]
	v_frexp_mant_f64_e32 v[6:7], v[4:5]
	v_frexp_exp_i32_f64_e32 v3, v[4:5]
	v_add_f64_e32 v[8:9], -1.0, v[4:5]
	s_delay_alu instid0(VALU_DEP_3) | instskip(SKIP_1) | instid1(VALU_DEP_2)
	v_cmp_gt_f64_e32 vcc_lo, s[0:1], v[6:7]
	s_mov_b64 s[0:1], 0x3fc3ab76bf559e2b
	v_add_f64_e64 v[6:7], v[8:9], -v[4:5]
	v_add_f64_e64 v[8:9], v[0:1], -v[8:9]
	v_subrev_co_ci_u32_e64 v3, null, 0, v3, vcc_lo
	s_delay_alu instid0(VALU_DEP_3) | instskip(SKIP_1) | instid1(VALU_DEP_3)
	v_add_f64_e32 v[6:7], 1.0, v[6:7]
	v_cmp_nge_f64_e32 vcc_lo, -1.0, v[0:1]
	v_sub_nc_u32_e32 v12, 0, v3
	s_delay_alu instid0(VALU_DEP_1) | instskip(NEXT) | instid1(VALU_DEP_4)
	v_ldexp_f64 v[4:5], v[4:5], v12
	v_add_f64_e32 v[6:7], v[8:9], v[6:7]
	s_delay_alu instid0(VALU_DEP_2) | instskip(SKIP_1) | instid1(VALU_DEP_3)
	v_add_f64_e32 v[10:11], 1.0, v[4:5]
	v_add_f64_e32 v[16:17], -1.0, v[4:5]
	v_ldexp_f64 v[6:7], v[6:7], v12
	s_delay_alu instid0(VALU_DEP_3) | instskip(NEXT) | instid1(VALU_DEP_3)
	v_add_f64_e32 v[8:9], -1.0, v[10:11]
	v_add_f64_e32 v[18:19], 1.0, v[16:17]
	s_delay_alu instid0(VALU_DEP_2) | instskip(NEXT) | instid1(VALU_DEP_2)
	v_add_f64_e64 v[8:9], v[4:5], -v[8:9]
	v_add_f64_e64 v[4:5], v[4:5], -v[18:19]
	s_delay_alu instid0(VALU_DEP_2) | instskip(NEXT) | instid1(VALU_DEP_2)
	v_add_f64_e32 v[8:9], v[6:7], v[8:9]
	v_add_f64_e32 v[4:5], v[6:7], v[4:5]
	s_delay_alu instid0(VALU_DEP_2) | instskip(NEXT) | instid1(VALU_DEP_2)
	v_add_f64_e32 v[12:13], v[10:11], v[8:9]
	v_add_f64_e32 v[18:19], v[16:17], v[4:5]
	s_delay_alu instid0(VALU_DEP_2) | instskip(SKIP_1) | instid1(VALU_DEP_2)
	v_rcp_f64_e32 v[14:15], v[12:13]
	v_add_f64_e64 v[10:11], v[12:13], -v[10:11]
	v_add_f64_e64 v[16:17], v[18:19], -v[16:17]
	s_delay_alu instid0(VALU_DEP_2) | instskip(NEXT) | instid1(VALU_DEP_2)
	v_add_f64_e64 v[8:9], v[8:9], -v[10:11]
	v_add_f64_e64 v[4:5], v[4:5], -v[16:17]
	s_delay_alu instid0(TRANS32_DEP_1) | instskip(NEXT) | instid1(VALU_DEP_1)
	v_fma_f64 v[20:21], -v[12:13], v[14:15], 1.0
	v_fmac_f64_e32 v[14:15], v[20:21], v[14:15]
	s_delay_alu instid0(VALU_DEP_1) | instskip(NEXT) | instid1(VALU_DEP_1)
	v_fma_f64 v[6:7], -v[12:13], v[14:15], 1.0
	v_fmac_f64_e32 v[14:15], v[6:7], v[14:15]
	s_delay_alu instid0(VALU_DEP_1) | instskip(NEXT) | instid1(VALU_DEP_1)
	v_mul_f64_e32 v[6:7], v[18:19], v[14:15]
	v_mul_f64_e32 v[20:21], v[12:13], v[6:7]
	s_delay_alu instid0(VALU_DEP_1) | instskip(NEXT) | instid1(VALU_DEP_1)
	v_fma_f64 v[10:11], v[6:7], v[12:13], -v[20:21]
	v_fmac_f64_e32 v[10:11], v[6:7], v[8:9]
	s_delay_alu instid0(VALU_DEP_1) | instskip(NEXT) | instid1(VALU_DEP_1)
	v_add_f64_e32 v[22:23], v[20:21], v[10:11]
	v_add_f64_e64 v[24:25], v[18:19], -v[22:23]
	v_add_f64_e64 v[16:17], v[22:23], -v[20:21]
	s_delay_alu instid0(VALU_DEP_2) | instskip(NEXT) | instid1(VALU_DEP_2)
	v_add_f64_e64 v[18:19], v[18:19], -v[24:25]
	v_add_f64_e64 v[10:11], v[16:17], -v[10:11]
	s_delay_alu instid0(VALU_DEP_2) | instskip(NEXT) | instid1(VALU_DEP_1)
	v_add_f64_e64 v[18:19], v[18:19], -v[22:23]
	v_add_f64_e32 v[4:5], v[4:5], v[18:19]
	s_delay_alu instid0(VALU_DEP_1) | instskip(NEXT) | instid1(VALU_DEP_1)
	v_add_f64_e32 v[4:5], v[10:11], v[4:5]
	v_add_f64_e32 v[10:11], v[24:25], v[4:5]
	s_delay_alu instid0(VALU_DEP_1) | instskip(SKIP_1) | instid1(VALU_DEP_2)
	v_mul_f64_e32 v[16:17], v[14:15], v[10:11]
	v_add_f64_e64 v[22:23], v[24:25], -v[10:11]
	v_mul_f64_e32 v[18:19], v[12:13], v[16:17]
	s_delay_alu instid0(VALU_DEP_2) | instskip(NEXT) | instid1(VALU_DEP_2)
	v_add_f64_e32 v[4:5], v[4:5], v[22:23]
	v_fma_f64 v[12:13], v[16:17], v[12:13], -v[18:19]
	s_delay_alu instid0(VALU_DEP_1) | instskip(NEXT) | instid1(VALU_DEP_1)
	v_fmac_f64_e32 v[12:13], v[16:17], v[8:9]
	v_add_f64_e32 v[8:9], v[18:19], v[12:13]
	s_delay_alu instid0(VALU_DEP_1) | instskip(SKIP_1) | instid1(VALU_DEP_2)
	v_add_f64_e64 v[20:21], v[10:11], -v[8:9]
	v_add_f64_e64 v[18:19], v[8:9], -v[18:19]
	v_add_f64_e64 v[10:11], v[10:11], -v[20:21]
	s_delay_alu instid0(VALU_DEP_1) | instskip(NEXT) | instid1(VALU_DEP_3)
	v_add_f64_e64 v[8:9], v[10:11], -v[8:9]
	v_add_f64_e64 v[10:11], v[18:19], -v[12:13]
	s_delay_alu instid0(VALU_DEP_2) | instskip(SKIP_1) | instid1(VALU_DEP_2)
	v_add_f64_e32 v[4:5], v[4:5], v[8:9]
	v_add_f64_e32 v[8:9], v[6:7], v[16:17]
	;; [unrolled: 1-line block ×3, first 2 shown]
	s_delay_alu instid0(VALU_DEP_2) | instskip(NEXT) | instid1(VALU_DEP_2)
	v_add_f64_e64 v[6:7], v[8:9], -v[6:7]
	v_add_f64_e32 v[4:5], v[20:21], v[4:5]
	s_delay_alu instid0(VALU_DEP_2) | instskip(NEXT) | instid1(VALU_DEP_2)
	v_add_f64_e64 v[6:7], v[16:17], -v[6:7]
	v_mul_f64_e32 v[4:5], v[14:15], v[4:5]
	s_delay_alu instid0(VALU_DEP_1) | instskip(NEXT) | instid1(VALU_DEP_1)
	v_add_f64_e32 v[4:5], v[6:7], v[4:5]
	v_add_f64_e32 v[6:7], v[8:9], v[4:5]
	s_delay_alu instid0(VALU_DEP_1) | instskip(NEXT) | instid1(VALU_DEP_1)
	v_mul_f64_e32 v[10:11], v[6:7], v[6:7]
	v_fmaak_f64 v[12:13], s[0:1], v[10:11], 0x3fc385386b47b09a
	v_mul_f64_e32 v[14:15], v[6:7], v[10:11]
	s_mov_b64 s[0:1], 0x3fe62e42fefa39ef
	s_delay_alu instid0(VALU_DEP_2) | instskip(NEXT) | instid1(VALU_DEP_1)
	v_fmaak_f64 v[12:13], v[10:11], v[12:13], 0x3fc7474dd7f4df2e
	v_fmaak_f64 v[12:13], v[10:11], v[12:13], 0x3fcc71c016291751
	s_delay_alu instid0(VALU_DEP_1) | instskip(NEXT) | instid1(VALU_DEP_1)
	v_fmaak_f64 v[12:13], v[10:11], v[12:13], 0x3fd249249b27acf1
	v_fmaak_f64 v[12:13], v[10:11], v[12:13], 0x3fd99999998ef7b6
	s_delay_alu instid0(VALU_DEP_1) | instskip(SKIP_2) | instid1(VALU_DEP_3)
	v_fmaak_f64 v[10:11], v[10:11], v[12:13], 0x3fe5555555555780
	v_ldexp_f64 v[12:13], v[6:7], 1
	v_add_f64_e64 v[6:7], v[6:7], -v[8:9]
	v_mul_f64_e32 v[10:11], v[14:15], v[10:11]
	v_cvt_f64_i32_e32 v[14:15], v3
	s_delay_alu instid0(VALU_DEP_3) | instskip(NEXT) | instid1(VALU_DEP_3)
	v_add_f64_e64 v[4:5], v[4:5], -v[6:7]
	v_add_f64_e32 v[8:9], v[12:13], v[10:11]
	s_delay_alu instid0(VALU_DEP_2) | instskip(NEXT) | instid1(VALU_DEP_2)
	v_ldexp_f64 v[4:5], v[4:5], 1
	v_add_f64_e64 v[6:7], v[8:9], -v[12:13]
	v_mul_f64_e32 v[12:13], 0x3fe62e42fefa39ef, v[14:15]
	s_delay_alu instid0(VALU_DEP_2) | instskip(NEXT) | instid1(VALU_DEP_2)
	v_add_f64_e64 v[6:7], v[10:11], -v[6:7]
	v_fma_f64 v[10:11], v[14:15], s[0:1], -v[12:13]
	v_cmp_neq_f64_e64 s0, 0x7ff00000, v[0:1]
	v_cmp_ngt_f64_e64 s1, -1.0, v[0:1]
	s_delay_alu instid0(VALU_DEP_4) | instskip(NEXT) | instid1(VALU_DEP_4)
	v_add_f64_e32 v[4:5], v[4:5], v[6:7]
	v_fmamk_f64 v[6:7], v[14:15], 0x3c7abc9e3b39803f, v[10:11]
	s_and_b32 vcc_lo, vcc_lo, s0
	s_delay_alu instid0(VALU_DEP_1) | instskip(NEXT) | instid1(VALU_DEP_3)
	v_add_f64_e32 v[10:11], v[12:13], v[6:7]
	v_add_f64_e32 v[14:15], v[8:9], v[4:5]
	s_delay_alu instid0(VALU_DEP_2) | instskip(NEXT) | instid1(VALU_DEP_2)
	v_add_f64_e64 v[12:13], v[10:11], -v[12:13]
	v_add_f64_e32 v[16:17], v[10:11], v[14:15]
	v_add_f64_e64 v[8:9], v[14:15], -v[8:9]
	s_delay_alu instid0(VALU_DEP_3) | instskip(NEXT) | instid1(VALU_DEP_3)
	v_add_f64_e64 v[6:7], v[6:7], -v[12:13]
	v_add_f64_e64 v[18:19], v[16:17], -v[10:11]
	s_delay_alu instid0(VALU_DEP_3) | instskip(NEXT) | instid1(VALU_DEP_2)
	v_add_f64_e64 v[4:5], v[4:5], -v[8:9]
	v_add_f64_e64 v[20:21], v[16:17], -v[18:19]
	;; [unrolled: 1-line block ×3, first 2 shown]
	s_delay_alu instid0(VALU_DEP_3) | instskip(NEXT) | instid1(VALU_DEP_3)
	v_add_f64_e32 v[12:13], v[6:7], v[4:5]
	v_add_f64_e64 v[10:11], v[10:11], -v[20:21]
	s_delay_alu instid0(VALU_DEP_1) | instskip(NEXT) | instid1(VALU_DEP_3)
	v_add_f64_e32 v[8:9], v[8:9], v[10:11]
	v_add_f64_e64 v[10:11], v[12:13], -v[6:7]
	s_delay_alu instid0(VALU_DEP_2) | instskip(NEXT) | instid1(VALU_DEP_2)
	v_add_f64_e32 v[8:9], v[12:13], v[8:9]
	v_add_f64_e64 v[12:13], v[12:13], -v[10:11]
	v_add_f64_e64 v[4:5], v[4:5], -v[10:11]
	s_delay_alu instid0(VALU_DEP_3) | instskip(NEXT) | instid1(VALU_DEP_3)
	v_add_f64_e32 v[14:15], v[16:17], v[8:9]
	v_add_f64_e64 v[6:7], v[6:7], -v[12:13]
	s_delay_alu instid0(VALU_DEP_2) | instskip(NEXT) | instid1(VALU_DEP_2)
	v_add_f64_e64 v[10:11], v[14:15], -v[16:17]
	v_add_f64_e32 v[4:5], v[4:5], v[6:7]
	s_delay_alu instid0(VALU_DEP_2) | instskip(NEXT) | instid1(VALU_DEP_1)
	v_add_f64_e64 v[6:7], v[8:9], -v[10:11]
	v_add_f64_e32 v[4:5], v[4:5], v[6:7]
	s_delay_alu instid0(VALU_DEP_1) | instskip(NEXT) | instid1(VALU_DEP_1)
	v_add_f64_e32 v[4:5], v[14:15], v[4:5]
	v_cndmask_b32_e32 v4, 0, v4, vcc_lo
	v_cmp_neq_f64_e32 vcc_lo, -1.0, v[0:1]
	s_delay_alu instid0(VALU_DEP_3) | instskip(NEXT) | instid1(VALU_DEP_1)
	v_cndmask_b32_e64 v3, 0x7ff00000, v5, s0
	v_cndmask_b32_e64 v3, 0x7ff80000, v3, s1
	s_delay_alu instid0(VALU_DEP_1) | instskip(NEXT) | instid1(VALU_DEP_1)
	v_cndmask_b32_e32 v5, 0xfff00000, v3, vcc_lo
	v_div_scale_f64 v[0:1], null, s[8:9], s[8:9], v[4:5]
	s_delay_alu instid0(VALU_DEP_1) | instskip(SKIP_1) | instid1(TRANS32_DEP_1)
	v_rcp_f64_e32 v[6:7], v[0:1]
	v_nop
	v_fma_f64 v[8:9], -v[0:1], v[6:7], 1.0
	s_delay_alu instid0(VALU_DEP_1) | instskip(NEXT) | instid1(VALU_DEP_1)
	v_fmac_f64_e32 v[6:7], v[6:7], v[8:9]
	v_fma_f64 v[8:9], -v[0:1], v[6:7], 1.0
	s_delay_alu instid0(VALU_DEP_1) | instskip(SKIP_1) | instid1(VALU_DEP_1)
	v_fmac_f64_e32 v[6:7], v[6:7], v[8:9]
	v_div_scale_f64 v[8:9], vcc_lo, v[4:5], s[8:9], v[4:5]
	v_mul_f64_e32 v[10:11], v[8:9], v[6:7]
	s_delay_alu instid0(VALU_DEP_1) | instskip(NEXT) | instid1(VALU_DEP_1)
	v_fma_f64 v[0:1], -v[0:1], v[10:11], v[8:9]
	v_div_fmas_f64 v[0:1], v[0:1], v[6:7], v[10:11]
	s_delay_alu instid0(VALU_DEP_1)
	v_div_fixup_f64 v[0:1], v[0:1], s[8:9], v[4:5]
.LBB7_984:
	s_or_b32 exec_lo, exec_lo, s10
	v_mov_b32_e32 v3, 0
	s_and_b32 s1, s38, 0xff
	s_delay_alu instid0(SALU_CYCLE_1) | instskip(NEXT) | instid1(VALU_DEP_1)
	s_cmp_lt_i32 s1, 11
	v_add_nc_u64_e32 v[4:5], s[4:5], v[2:3]
	s_cbranch_scc1 .LBB7_994
; %bb.985:
	s_and_b32 s4, 0xffff, s1
	s_mov_b32 s5, -1
	s_cmp_gt_i32 s4, 25
	s_mov_b32 s0, s22
	s_cbranch_scc0 .LBB7_1022
; %bb.986:
	s_cmp_gt_i32 s4, 28
	s_mov_b32 s0, s22
	s_cbranch_scc0 .LBB7_1006
; %bb.987:
	;; [unrolled: 4-line block ×4, first 2 shown]
	s_cmp_eq_u32 s4, 46
	s_mov_b32 s0, -1
	s_cbranch_scc0 .LBB7_995
; %bb.990:
	s_delay_alu instid0(VALU_DEP_3) | instskip(SKIP_2) | instid1(VALU_DEP_1)
	v_cvt_f32_f64_e32 v2, v[0:1]
	s_mov_b32 s0, 0
	s_mov_b32 s5, 0
	v_bfe_u32 v3, v2, 16, 1
	v_cmp_o_f32_e32 vcc_lo, v2, v2
	s_delay_alu instid0(VALU_DEP_2) | instskip(NEXT) | instid1(VALU_DEP_1)
	v_add3_u32 v3, v2, v3, 0x7fff
	v_lshrrev_b32_e32 v3, 16, v3
	s_delay_alu instid0(VALU_DEP_1)
	v_cndmask_b32_e32 v2, 0x7fc0, v3, vcc_lo
	global_store_b32 v[4:5], v2, off
	s_branch .LBB7_996
.LBB7_991:
	s_or_b32 exec_lo, exec_lo, s7
	s_and_saveexec_b32 s0, s22
	s_cbranch_execnz .LBB7_1064
.LBB7_992:
	s_or_b32 exec_lo, exec_lo, s0
	s_and_saveexec_b32 s0, s13
	s_delay_alu instid0(SALU_CYCLE_1)
	s_xor_b32 s0, exec_lo, s0
	s_cbranch_execz .LBB7_1065
.LBB7_993:
	s_wait_loadcnt 0x0
	s_delay_alu instid0(VALU_DEP_1)
	v_cmp_neq_f64_e32 vcc_lo, 0, v[0:1]
	v_cndmask_b32_e64 v2, 0, 1, vcc_lo
	global_store_b8 v[4:5], v2, off
	s_wait_xcnt 0x0
	s_or_b32 exec_lo, exec_lo, s0
	s_and_saveexec_b32 s0, s12
	s_delay_alu instid0(SALU_CYCLE_1)
	s_xor_b32 s0, exec_lo, s0
	s_cbranch_execz .LBB7_1103
	s_branch .LBB7_1066
.LBB7_994:
	s_mov_b32 s8, 0
	s_mov_b32 s5, -1
	s_mov_b32 s0, s22
	s_branch .LBB7_1063
.LBB7_995:
	s_mov_b32 s5, 0
.LBB7_996:
	s_delay_alu instid0(SALU_CYCLE_1)
	s_and_b32 vcc_lo, exec_lo, s5
	s_cbranch_vccz .LBB7_1001
; %bb.997:
	s_cmp_eq_u32 s4, 44
	s_mov_b32 s0, -1
	s_cbranch_scc0 .LBB7_1001
; %bb.998:
	s_wait_xcnt 0x0
	s_delay_alu instid0(VALU_DEP_3) | instskip(SKIP_2) | instid1(VALU_DEP_2)
	v_cvt_f32_f64_e32 v2, v[0:1]
	v_mov_b32_e32 v3, 0xff
	s_mov_b32 s5, exec_lo
	v_bfe_u32 v6, v2, 23, 8
	s_delay_alu instid0(VALU_DEP_1)
	v_cmpx_ne_u32_e32 0xff, v6
	s_cbranch_execz .LBB7_1000
; %bb.999:
	v_and_b32_e32 v3, 0x400000, v2
	v_and_or_b32 v6, 0x3fffff, v2, v6
	v_lshrrev_b32_e32 v2, 23, v2
	s_delay_alu instid0(VALU_DEP_3) | instskip(NEXT) | instid1(VALU_DEP_3)
	v_cmp_ne_u32_e32 vcc_lo, 0, v3
	v_cmp_ne_u32_e64 s0, 0, v6
	s_and_b32 s0, vcc_lo, s0
	s_delay_alu instid0(SALU_CYCLE_1) | instskip(NEXT) | instid1(VALU_DEP_1)
	v_cndmask_b32_e64 v3, 0, 1, s0
	v_add_nc_u32_e32 v3, v2, v3
.LBB7_1000:
	s_or_b32 exec_lo, exec_lo, s5
	s_mov_b32 s0, 0
	global_store_b8 v[4:5], v3, off
.LBB7_1001:
	s_mov_b32 s5, 0
.LBB7_1002:
	s_delay_alu instid0(SALU_CYCLE_1)
	s_and_b32 vcc_lo, exec_lo, s5
	s_cbranch_vccz .LBB7_1005
; %bb.1003:
	s_cmp_eq_u32 s4, 29
	s_mov_b32 s0, -1
	s_cbranch_scc0 .LBB7_1005
; %bb.1004:
	s_wait_xcnt 0x0
	s_delay_alu instid0(VALU_DEP_3) | instskip(SKIP_2) | instid1(VALU_DEP_1)
	v_trunc_f64_e32 v[2:3], v[0:1]
	s_mov_b32 s0, 0
	s_mov_b32 s5, 0
	v_ldexp_f64 v[6:7], v[2:3], 0xffffffe0
	s_delay_alu instid0(VALU_DEP_1) | instskip(NEXT) | instid1(VALU_DEP_1)
	v_floor_f64_e32 v[6:7], v[6:7]
	v_fmamk_f64 v[2:3], v[6:7], 0xc1f00000, v[2:3]
	v_cvt_u32_f64_e32 v7, v[6:7]
	s_delay_alu instid0(VALU_DEP_2)
	v_cvt_u32_f64_e32 v6, v[2:3]
	global_store_b64 v[4:5], v[6:7], off
	s_branch .LBB7_1006
.LBB7_1005:
	s_mov_b32 s5, 0
.LBB7_1006:
	s_delay_alu instid0(SALU_CYCLE_1)
	s_and_b32 vcc_lo, exec_lo, s5
	s_cbranch_vccz .LBB7_1021
; %bb.1007:
	s_cmp_lt_i32 s4, 27
	s_mov_b32 s5, -1
	s_cbranch_scc1 .LBB7_1013
; %bb.1008:
	s_cmp_gt_i32 s4, 27
	s_cbranch_scc0 .LBB7_1010
; %bb.1009:
	s_wait_xcnt 0x0
	s_delay_alu instid0(VALU_DEP_3)
	v_cvt_u32_f64_e32 v2, v[0:1]
	s_mov_b32 s5, 0
	global_store_b32 v[4:5], v2, off
.LBB7_1010:
	s_and_not1_b32 vcc_lo, exec_lo, s5
	s_cbranch_vccnz .LBB7_1012
; %bb.1011:
	s_wait_xcnt 0x0
	s_delay_alu instid0(VALU_DEP_3)
	v_cvt_u32_f64_e32 v2, v[0:1]
	global_store_b16 v[4:5], v2, off
.LBB7_1012:
	s_mov_b32 s5, 0
.LBB7_1013:
	s_delay_alu instid0(SALU_CYCLE_1)
	s_and_not1_b32 vcc_lo, exec_lo, s5
	s_cbranch_vccnz .LBB7_1021
; %bb.1014:
	s_wait_xcnt 0x0
	s_delay_alu instid0(VALU_DEP_3) | instskip(SKIP_2) | instid1(VALU_DEP_2)
	v_cvt_f32_f64_e32 v2, v[0:1]
	v_mov_b32_e32 v6, 0x80
	s_mov_b32 s5, exec_lo
	v_and_b32_e32 v3, 0x7fffffff, v2
	s_delay_alu instid0(VALU_DEP_1)
	v_cmpx_gt_u32_e32 0x43800000, v3
	s_cbranch_execz .LBB7_1020
; %bb.1015:
	v_cmp_lt_u32_e32 vcc_lo, 0x3bffffff, v3
	s_mov_b32 s8, 0
                                        ; implicit-def: $vgpr3
	s_and_saveexec_b32 s9, vcc_lo
	s_delay_alu instid0(SALU_CYCLE_1)
	s_xor_b32 s9, exec_lo, s9
	s_cbranch_execz .LBB7_1178
; %bb.1016:
	v_bfe_u32 v3, v2, 20, 1
	s_mov_b32 s8, exec_lo
	s_delay_alu instid0(VALU_DEP_1) | instskip(NEXT) | instid1(VALU_DEP_1)
	v_add3_u32 v3, v2, v3, 0x487ffff
	v_lshrrev_b32_e32 v3, 20, v3
	s_and_not1_saveexec_b32 s9, s9
	s_cbranch_execnz .LBB7_1179
.LBB7_1017:
	s_or_b32 exec_lo, exec_lo, s9
	v_mov_b32_e32 v6, 0
	s_and_saveexec_b32 s9, s8
.LBB7_1018:
	v_lshrrev_b32_e32 v2, 24, v2
	s_delay_alu instid0(VALU_DEP_1)
	v_and_or_b32 v6, 0x80, v2, v3
.LBB7_1019:
	s_or_b32 exec_lo, exec_lo, s9
.LBB7_1020:
	s_delay_alu instid0(SALU_CYCLE_1)
	s_or_b32 exec_lo, exec_lo, s5
	global_store_b8 v[4:5], v6, off
.LBB7_1021:
	s_mov_b32 s5, 0
.LBB7_1022:
	s_delay_alu instid0(SALU_CYCLE_1)
	s_and_b32 vcc_lo, exec_lo, s5
	s_mov_b32 s5, 0
	s_cbranch_vccz .LBB7_1062
; %bb.1023:
	s_cmp_gt_i32 s4, 22
	s_mov_b32 s8, -1
	s_cbranch_scc0 .LBB7_1055
; %bb.1024:
	s_cmp_lt_i32 s4, 24
	s_cbranch_scc1 .LBB7_1044
; %bb.1025:
	s_cmp_gt_i32 s4, 24
	s_cbranch_scc0 .LBB7_1033
; %bb.1026:
	s_wait_xcnt 0x0
	s_delay_alu instid0(VALU_DEP_3) | instskip(SKIP_2) | instid1(VALU_DEP_2)
	v_cvt_f32_f64_e32 v2, v[0:1]
	v_mov_b32_e32 v6, 0x80
	s_mov_b32 s8, exec_lo
	v_and_b32_e32 v3, 0x7fffffff, v2
	s_delay_alu instid0(VALU_DEP_1)
	v_cmpx_gt_u32_e32 0x47800000, v3
	s_cbranch_execz .LBB7_1032
; %bb.1027:
	v_cmp_lt_u32_e32 vcc_lo, 0x37ffffff, v3
	s_mov_b32 s9, 0
                                        ; implicit-def: $vgpr3
	s_and_saveexec_b32 s10, vcc_lo
	s_delay_alu instid0(SALU_CYCLE_1)
	s_xor_b32 s10, exec_lo, s10
	s_cbranch_execz .LBB7_1306
; %bb.1028:
	v_bfe_u32 v3, v2, 21, 1
	s_mov_b32 s9, exec_lo
	s_delay_alu instid0(VALU_DEP_1) | instskip(NEXT) | instid1(VALU_DEP_1)
	v_add3_u32 v3, v2, v3, 0x88fffff
	v_lshrrev_b32_e32 v3, 21, v3
	s_and_not1_saveexec_b32 s10, s10
	s_cbranch_execnz .LBB7_1307
.LBB7_1029:
	s_or_b32 exec_lo, exec_lo, s10
	v_mov_b32_e32 v6, 0
	s_and_saveexec_b32 s10, s9
.LBB7_1030:
	v_lshrrev_b32_e32 v2, 24, v2
	s_delay_alu instid0(VALU_DEP_1)
	v_and_or_b32 v6, 0x80, v2, v3
.LBB7_1031:
	s_or_b32 exec_lo, exec_lo, s10
.LBB7_1032:
	s_delay_alu instid0(SALU_CYCLE_1)
	s_or_b32 exec_lo, exec_lo, s8
	s_mov_b32 s8, 0
	global_store_b8 v[4:5], v6, off
.LBB7_1033:
	s_and_b32 vcc_lo, exec_lo, s8
	s_cbranch_vccz .LBB7_1043
; %bb.1034:
	s_wait_xcnt 0x0
	s_delay_alu instid0(VALU_DEP_3) | instskip(SKIP_1) | instid1(VALU_DEP_1)
	v_cvt_f32_f64_e32 v2, v[0:1]
	s_mov_b32 s8, exec_lo
                                        ; implicit-def: $vgpr3
	v_and_b32_e32 v6, 0x7fffffff, v2
	s_delay_alu instid0(VALU_DEP_1)
	v_cmpx_gt_u32_e32 0x43f00000, v6
	s_xor_b32 s8, exec_lo, s8
	s_cbranch_execz .LBB7_1040
; %bb.1035:
	s_mov_b32 s9, exec_lo
                                        ; implicit-def: $vgpr3
	v_cmpx_lt_u32_e32 0x3c7fffff, v6
	s_xor_b32 s9, exec_lo, s9
; %bb.1036:
	v_bfe_u32 v3, v2, 20, 1
	s_delay_alu instid0(VALU_DEP_1) | instskip(NEXT) | instid1(VALU_DEP_1)
	v_add3_u32 v3, v2, v3, 0x407ffff
	v_and_b32_e32 v6, 0xff00000, v3
	v_lshrrev_b32_e32 v3, 20, v3
	s_delay_alu instid0(VALU_DEP_2) | instskip(NEXT) | instid1(VALU_DEP_2)
	v_cmp_ne_u32_e32 vcc_lo, 0x7f00000, v6
	v_cndmask_b32_e32 v3, 0x7e, v3, vcc_lo
; %bb.1037:
	s_and_not1_saveexec_b32 s9, s9
; %bb.1038:
	v_add_f32_e64 v3, 0x46800000, |v2|
; %bb.1039:
	s_or_b32 exec_lo, exec_lo, s9
                                        ; implicit-def: $vgpr6
.LBB7_1040:
	s_and_not1_saveexec_b32 s8, s8
; %bb.1041:
	v_mov_b32_e32 v3, 0x7f
	v_cmp_lt_u32_e32 vcc_lo, 0x7f800000, v6
	s_delay_alu instid0(VALU_DEP_2)
	v_cndmask_b32_e32 v3, 0x7e, v3, vcc_lo
; %bb.1042:
	s_or_b32 exec_lo, exec_lo, s8
	v_lshrrev_b32_e32 v2, 24, v2
	s_delay_alu instid0(VALU_DEP_1)
	v_and_or_b32 v2, 0x80, v2, v3
	global_store_b8 v[4:5], v2, off
.LBB7_1043:
	s_mov_b32 s8, 0
.LBB7_1044:
	s_delay_alu instid0(SALU_CYCLE_1)
	s_and_not1_b32 vcc_lo, exec_lo, s8
	s_cbranch_vccnz .LBB7_1054
; %bb.1045:
	s_wait_xcnt 0x0
	s_delay_alu instid0(VALU_DEP_3) | instskip(SKIP_1) | instid1(VALU_DEP_1)
	v_cvt_f32_f64_e32 v2, v[0:1]
	s_mov_b32 s8, exec_lo
                                        ; implicit-def: $vgpr3
	v_and_b32_e32 v6, 0x7fffffff, v2
	s_delay_alu instid0(VALU_DEP_1)
	v_cmpx_gt_u32_e32 0x47800000, v6
	s_xor_b32 s8, exec_lo, s8
	s_cbranch_execz .LBB7_1051
; %bb.1046:
	s_mov_b32 s9, exec_lo
                                        ; implicit-def: $vgpr3
	v_cmpx_lt_u32_e32 0x387fffff, v6
	s_xor_b32 s9, exec_lo, s9
; %bb.1047:
	v_bfe_u32 v3, v2, 21, 1
	s_delay_alu instid0(VALU_DEP_1) | instskip(NEXT) | instid1(VALU_DEP_1)
	v_add3_u32 v3, v2, v3, 0x80fffff
	v_lshrrev_b32_e32 v3, 21, v3
; %bb.1048:
	s_and_not1_saveexec_b32 s9, s9
; %bb.1049:
	v_add_f32_e64 v3, 0x43000000, |v2|
; %bb.1050:
	s_or_b32 exec_lo, exec_lo, s9
                                        ; implicit-def: $vgpr6
.LBB7_1051:
	s_and_not1_saveexec_b32 s8, s8
; %bb.1052:
	v_mov_b32_e32 v3, 0x7f
	v_cmp_lt_u32_e32 vcc_lo, 0x7f800000, v6
	s_delay_alu instid0(VALU_DEP_2)
	v_cndmask_b32_e32 v3, 0x7c, v3, vcc_lo
; %bb.1053:
	s_or_b32 exec_lo, exec_lo, s8
	v_lshrrev_b32_e32 v2, 24, v2
	s_delay_alu instid0(VALU_DEP_1)
	v_and_or_b32 v2, 0x80, v2, v3
	global_store_b8 v[4:5], v2, off
.LBB7_1054:
	s_mov_b32 s8, 0
.LBB7_1055:
	s_delay_alu instid0(SALU_CYCLE_1)
	s_and_not1_b32 vcc_lo, exec_lo, s8
	s_mov_b32 s8, 0
	s_cbranch_vccnz .LBB7_1063
; %bb.1056:
	s_cmp_gt_i32 s4, 14
	s_mov_b32 s8, -1
	s_cbranch_scc0 .LBB7_1060
; %bb.1057:
	s_cmp_eq_u32 s4, 15
	s_mov_b32 s0, -1
	s_cbranch_scc0 .LBB7_1059
; %bb.1058:
	s_wait_xcnt 0x0
	s_delay_alu instid0(VALU_DEP_3) | instskip(SKIP_1) | instid1(VALU_DEP_1)
	v_cvt_f32_f64_e32 v2, v[0:1]
	s_mov_b32 s0, 0
	v_bfe_u32 v3, v2, 16, 1
	v_cmp_o_f32_e32 vcc_lo, v2, v2
	s_delay_alu instid0(VALU_DEP_2) | instskip(NEXT) | instid1(VALU_DEP_1)
	v_add3_u32 v3, v2, v3, 0x7fff
	v_lshrrev_b32_e32 v3, 16, v3
	s_delay_alu instid0(VALU_DEP_1)
	v_cndmask_b32_e32 v2, 0x7fc0, v3, vcc_lo
	global_store_b16 v[4:5], v2, off
.LBB7_1059:
	s_mov_b32 s8, 0
.LBB7_1060:
	s_delay_alu instid0(SALU_CYCLE_1)
	s_and_b32 vcc_lo, exec_lo, s8
	s_mov_b32 s8, 0
	s_cbranch_vccz .LBB7_1063
; %bb.1061:
	s_cmp_lg_u32 s4, 11
	s_mov_b32 s8, -1
	s_cselect_b32 s4, -1, 0
	s_and_not1_b32 s0, s0, exec_lo
	s_and_b32 s4, s4, exec_lo
	s_delay_alu instid0(SALU_CYCLE_1)
	s_or_b32 s0, s0, s4
	s_branch .LBB7_1063
.LBB7_1062:
	s_mov_b32 s8, 0
.LBB7_1063:
	s_and_not1_b32 s4, s22, exec_lo
	s_and_b32 s0, s0, exec_lo
	s_and_b32 s12, s5, exec_lo
	;; [unrolled: 1-line block ×3, first 2 shown]
	s_or_b32 s22, s4, s0
	s_wait_xcnt 0x0
	s_or_b32 exec_lo, exec_lo, s7
	s_and_saveexec_b32 s0, s22
	s_cbranch_execz .LBB7_992
.LBB7_1064:
	s_or_b32 s6, s6, exec_lo
	s_and_not1_b32 s13, s13, exec_lo
	s_trap 2
	s_or_b32 exec_lo, exec_lo, s0
	s_and_saveexec_b32 s0, s13
	s_delay_alu instid0(SALU_CYCLE_1)
	s_xor_b32 s0, exec_lo, s0
	s_cbranch_execnz .LBB7_993
.LBB7_1065:
	s_or_b32 exec_lo, exec_lo, s0
	s_and_saveexec_b32 s0, s12
	s_delay_alu instid0(SALU_CYCLE_1)
	s_xor_b32 s0, exec_lo, s0
	s_cbranch_execz .LBB7_1103
.LBB7_1066:
	s_sext_i32_i16 s5, s1
	s_mov_b32 s4, -1
	s_cmp_lt_i32 s5, 5
	s_cbranch_scc1 .LBB7_1087
; %bb.1067:
	s_cmp_lt_i32 s5, 8
	s_cbranch_scc1 .LBB7_1077
; %bb.1068:
	;; [unrolled: 3-line block ×3, first 2 shown]
	s_cmp_gt_i32 s5, 9
	s_cbranch_scc0 .LBB7_1071
; %bb.1070:
	v_mov_b32_e32 v2, 0
	s_mov_b32 s4, 0
	s_delay_alu instid0(VALU_DEP_1)
	v_mov_b32_e32 v3, v2
	s_wait_loadcnt 0x0
	global_store_b128 v[4:5], v[0:3], off
.LBB7_1071:
	s_and_not1_b32 vcc_lo, exec_lo, s4
	s_cbranch_vccnz .LBB7_1073
; %bb.1072:
	s_wait_loadcnt 0x0
	v_cvt_f32_f64_e32 v2, v[0:1]
	v_mov_b32_e32 v3, 0
	global_store_b64 v[4:5], v[2:3], off
.LBB7_1073:
	s_mov_b32 s4, 0
.LBB7_1074:
	s_delay_alu instid0(SALU_CYCLE_1)
	s_and_not1_b32 vcc_lo, exec_lo, s4
	s_cbranch_vccnz .LBB7_1076
; %bb.1075:
	s_wait_loadcnt 0x0
	s_delay_alu instid0(VALU_DEP_1) | instskip(SKIP_2) | instid1(VALU_DEP_3)
	v_and_or_b32 v2, 0x1ff, v1, v0
	v_lshrrev_b32_e32 v3, 8, v1
	v_bfe_u32 v6, v1, 20, 11
	v_cmp_ne_u32_e32 vcc_lo, 0, v2
	s_delay_alu instid0(VALU_DEP_2) | instskip(SKIP_1) | instid1(VALU_DEP_1)
	v_sub_nc_u32_e32 v7, 0x3f1, v6
	v_cndmask_b32_e64 v2, 0, 1, vcc_lo
	v_and_or_b32 v2, 0xffe, v3, v2
	s_delay_alu instid0(VALU_DEP_3) | instskip(NEXT) | instid1(VALU_DEP_2)
	v_med3_i32 v3, v7, 0, 13
	v_or_b32_e32 v7, 0x1000, v2
	s_delay_alu instid0(VALU_DEP_1) | instskip(NEXT) | instid1(VALU_DEP_1)
	v_lshrrev_b32_e32 v8, v3, v7
	v_lshlrev_b32_e32 v3, v3, v8
	s_delay_alu instid0(VALU_DEP_1) | instskip(SKIP_1) | instid1(VALU_DEP_1)
	v_cmp_ne_u32_e32 vcc_lo, v3, v7
	v_cndmask_b32_e64 v3, 0, 1, vcc_lo
	v_or_b32_e32 v3, v8, v3
	v_add_nc_u32_e32 v6, 0xfffffc10, v6
	s_delay_alu instid0(VALU_DEP_1) | instskip(SKIP_1) | instid1(VALU_DEP_2)
	v_lshl_or_b32 v7, v6, 12, v2
	v_cmp_gt_i32_e32 vcc_lo, 1, v6
	v_cndmask_b32_e32 v3, v7, v3, vcc_lo
	s_delay_alu instid0(VALU_DEP_1) | instskip(NEXT) | instid1(VALU_DEP_1)
	v_dual_lshrrev_b32 v3, 2, v3 :: v_dual_bitop2_b32 v7, 7, v3 bitop3:0x40
	v_cmp_lt_i32_e32 vcc_lo, 5, v7
	v_cndmask_b32_e64 v8, 0, 1, vcc_lo
	v_cmp_eq_u32_e32 vcc_lo, 3, v7
	v_cndmask_b32_e64 v7, 0, 1, vcc_lo
	v_cmp_ne_u32_e32 vcc_lo, 0, v2
	s_delay_alu instid0(VALU_DEP_2) | instskip(NEXT) | instid1(VALU_DEP_1)
	v_or_b32_e32 v7, v7, v8
	v_dual_mov_b32 v8, 0x7e00 :: v_dual_add_nc_u32 v3, v3, v7
	s_delay_alu instid0(VALU_DEP_1) | instskip(SKIP_2) | instid1(VALU_DEP_4)
	v_cndmask_b32_e32 v2, 0x7c00, v8, vcc_lo
	v_cmp_gt_i32_e32 vcc_lo, 31, v6
	v_lshrrev_b32_e32 v7, 16, v1
	v_cndmask_b32_e32 v3, 0x7c00, v3, vcc_lo
	v_cmp_eq_u32_e32 vcc_lo, 0x40f, v6
	s_delay_alu instid0(VALU_DEP_2) | instskip(NEXT) | instid1(VALU_DEP_4)
	v_cndmask_b32_e32 v2, v3, v2, vcc_lo
	v_and_b32_e32 v3, 0x8000, v7
	s_delay_alu instid0(VALU_DEP_1)
	v_bitop3_b32 v2, v3, 0xffff, v2 bitop3:0xc8
	global_store_b32 v[4:5], v2, off
.LBB7_1076:
	s_mov_b32 s4, 0
.LBB7_1077:
	s_delay_alu instid0(SALU_CYCLE_1)
	s_and_not1_b32 vcc_lo, exec_lo, s4
	s_cbranch_vccnz .LBB7_1086
; %bb.1078:
	s_sext_i32_i16 s5, s1
	s_mov_b32 s4, -1
	s_cmp_lt_i32 s5, 6
	s_cbranch_scc1 .LBB7_1084
; %bb.1079:
	s_cmp_gt_i32 s5, 6
	s_cbranch_scc0 .LBB7_1081
; %bb.1080:
	s_mov_b32 s4, 0
	s_wait_loadcnt 0x0
	global_store_b64 v[4:5], v[0:1], off
.LBB7_1081:
	s_and_not1_b32 vcc_lo, exec_lo, s4
	s_cbranch_vccnz .LBB7_1083
; %bb.1082:
	s_wait_loadcnt 0x0
	v_cvt_f32_f64_e32 v2, v[0:1]
	global_store_b32 v[4:5], v2, off
.LBB7_1083:
	s_mov_b32 s4, 0
.LBB7_1084:
	s_delay_alu instid0(SALU_CYCLE_1)
	s_and_not1_b32 vcc_lo, exec_lo, s4
	s_cbranch_vccnz .LBB7_1086
; %bb.1085:
	s_wait_loadcnt 0x0
	v_and_or_b32 v2, 0x1ff, v1, v0
	v_lshrrev_b32_e32 v3, 8, v1
	v_bfe_u32 v6, v1, 20, 11
	s_delay_alu instid0(VALU_DEP_3) | instskip(NEXT) | instid1(VALU_DEP_2)
	v_cmp_ne_u32_e32 vcc_lo, 0, v2
	v_sub_nc_u32_e32 v7, 0x3f1, v6
	v_cndmask_b32_e64 v2, 0, 1, vcc_lo
	s_delay_alu instid0(VALU_DEP_1) | instskip(NEXT) | instid1(VALU_DEP_3)
	v_and_or_b32 v2, 0xffe, v3, v2
	v_med3_i32 v3, v7, 0, 13
	s_delay_alu instid0(VALU_DEP_2) | instskip(NEXT) | instid1(VALU_DEP_1)
	v_or_b32_e32 v7, 0x1000, v2
	v_lshrrev_b32_e32 v8, v3, v7
	s_delay_alu instid0(VALU_DEP_1) | instskip(NEXT) | instid1(VALU_DEP_1)
	v_lshlrev_b32_e32 v3, v3, v8
	v_cmp_ne_u32_e32 vcc_lo, v3, v7
	v_cndmask_b32_e64 v3, 0, 1, vcc_lo
	s_delay_alu instid0(VALU_DEP_1) | instskip(SKIP_1) | instid1(VALU_DEP_1)
	v_or_b32_e32 v3, v8, v3
	v_add_nc_u32_e32 v6, 0xfffffc10, v6
	v_lshl_or_b32 v7, v6, 12, v2
	v_cmp_gt_i32_e32 vcc_lo, 1, v6
	s_delay_alu instid0(VALU_DEP_2) | instskip(NEXT) | instid1(VALU_DEP_1)
	v_cndmask_b32_e32 v3, v7, v3, vcc_lo
	v_dual_lshrrev_b32 v3, 2, v3 :: v_dual_bitop2_b32 v7, 7, v3 bitop3:0x40
	s_delay_alu instid0(VALU_DEP_1) | instskip(SKIP_4) | instid1(VALU_DEP_2)
	v_cmp_lt_i32_e32 vcc_lo, 5, v7
	v_cndmask_b32_e64 v8, 0, 1, vcc_lo
	v_cmp_eq_u32_e32 vcc_lo, 3, v7
	v_cndmask_b32_e64 v7, 0, 1, vcc_lo
	v_cmp_ne_u32_e32 vcc_lo, 0, v2
	v_or_b32_e32 v7, v7, v8
	s_delay_alu instid0(VALU_DEP_1) | instskip(NEXT) | instid1(VALU_DEP_1)
	v_dual_mov_b32 v8, 0x7e00 :: v_dual_add_nc_u32 v3, v3, v7
	v_cndmask_b32_e32 v2, 0x7c00, v8, vcc_lo
	v_cmp_gt_i32_e32 vcc_lo, 31, v6
	s_delay_alu instid0(VALU_DEP_3) | instskip(SKIP_1) | instid1(VALU_DEP_2)
	v_cndmask_b32_e32 v3, 0x7c00, v3, vcc_lo
	v_cmp_eq_u32_e32 vcc_lo, 0x40f, v6
	v_dual_cndmask_b32 v2, v3, v2 :: v_dual_lshrrev_b32 v3, 16, v1
	s_delay_alu instid0(VALU_DEP_1)
	v_and_or_b32 v2, 0x8000, v3, v2
	global_store_b16 v[4:5], v2, off
.LBB7_1086:
	s_mov_b32 s4, 0
.LBB7_1087:
	s_delay_alu instid0(SALU_CYCLE_1)
	s_and_not1_b32 vcc_lo, exec_lo, s4
	s_cbranch_vccnz .LBB7_1103
; %bb.1088:
	s_sext_i32_i16 s5, s1
	s_mov_b32 s4, -1
	s_cmp_lt_i32 s5, 2
	s_cbranch_scc1 .LBB7_1098
; %bb.1089:
	s_cmp_lt_i32 s5, 3
	s_cbranch_scc1 .LBB7_1095
; %bb.1090:
	s_cmp_gt_i32 s5, 3
	s_cbranch_scc0 .LBB7_1092
; %bb.1091:
	s_wait_loadcnt 0x0
	v_trunc_f64_e32 v[2:3], v[0:1]
	s_mov_b32 s4, 0
	s_delay_alu instid0(VALU_DEP_1) | instskip(NEXT) | instid1(VALU_DEP_1)
	v_ldexp_f64 v[6:7], v[2:3], 0xffffffe0
	v_floor_f64_e32 v[6:7], v[6:7]
	s_delay_alu instid0(VALU_DEP_1) | instskip(SKIP_1) | instid1(VALU_DEP_2)
	v_fmamk_f64 v[2:3], v[6:7], 0xc1f00000, v[2:3]
	v_cvt_i32_f64_e32 v7, v[6:7]
	v_cvt_u32_f64_e32 v6, v[2:3]
	global_store_b64 v[4:5], v[6:7], off
.LBB7_1092:
	s_and_not1_b32 vcc_lo, exec_lo, s4
	s_cbranch_vccnz .LBB7_1094
; %bb.1093:
	s_wait_loadcnt 0x0
	v_cvt_i32_f64_e32 v2, v[0:1]
	global_store_b32 v[4:5], v2, off
.LBB7_1094:
	s_mov_b32 s4, 0
.LBB7_1095:
	s_delay_alu instid0(SALU_CYCLE_1)
	s_and_not1_b32 vcc_lo, exec_lo, s4
	s_cbranch_vccnz .LBB7_1097
; %bb.1096:
	s_wait_loadcnt 0x0
	v_cvt_i32_f64_e32 v2, v[0:1]
	global_store_b16 v[4:5], v2, off
.LBB7_1097:
	s_mov_b32 s4, 0
.LBB7_1098:
	s_delay_alu instid0(SALU_CYCLE_1)
	s_and_not1_b32 vcc_lo, exec_lo, s4
	s_cbranch_vccnz .LBB7_1103
; %bb.1099:
	s_sext_i32_i16 s1, s1
	s_delay_alu instid0(SALU_CYCLE_1)
	s_cmp_gt_i32 s1, 0
	s_mov_b32 s1, -1
	s_cbranch_scc0 .LBB7_1101
; %bb.1100:
	s_wait_loadcnt 0x0
	v_cvt_i32_f64_e32 v2, v[0:1]
	s_mov_b32 s1, 0
	global_store_b8 v[4:5], v2, off
.LBB7_1101:
	s_and_not1_b32 vcc_lo, exec_lo, s1
	s_cbranch_vccnz .LBB7_1103
; %bb.1102:
	s_wait_loadcnt 0x0
	v_trunc_f64_e32 v[0:1], v[0:1]
	s_delay_alu instid0(VALU_DEP_1) | instskip(NEXT) | instid1(VALU_DEP_1)
	v_ldexp_f64 v[2:3], v[0:1], 0xffffffe0
	v_floor_f64_e32 v[2:3], v[2:3]
	s_delay_alu instid0(VALU_DEP_1) | instskip(NEXT) | instid1(VALU_DEP_1)
	v_fmamk_f64 v[0:1], v[2:3], 0xc1f00000, v[0:1]
	v_cvt_u32_f64_e32 v0, v[0:1]
	global_store_b8 v[4:5], v0, off
.LBB7_1103:
	s_wait_xcnt 0x0
	s_or_b32 exec_lo, exec_lo, s0
	s_delay_alu instid0(SALU_CYCLE_1)
	s_and_b32 s12, s6, exec_lo
                                        ; implicit-def: $vgpr5
                                        ; implicit-def: $vgpr4
.LBB7_1104:
	s_or_saveexec_b32 s13, s37
	s_mov_b32 s0, 0
                                        ; implicit-def: $vgpr0_vgpr1
                                        ; implicit-def: $sgpr1
                                        ; implicit-def: $vgpr12_vgpr13
	s_xor_b32 exec_lo, exec_lo, s13
	s_cbranch_execz .LBB7_1769
; %bb.1105:
	s_wait_loadcnt 0x0
	v_cndmask_b32_e64 v1, 0, 1, s36
	s_and_not1_b32 vcc_lo, exec_lo, s36
	s_cbranch_vccnz .LBB7_1111
; %bb.1106:
	s_cmp_lg_u32 s33, 0
	s_mov_b32 s8, 0
	s_cbranch_scc0 .LBB7_1112
; %bb.1107:
	s_min_u32 s1, s34, 15
	s_delay_alu instid0(SALU_CYCLE_1)
	s_add_co_i32 s1, s1, 1
	s_cmp_eq_u32 s34, 2
	s_cbranch_scc1 .LBB7_1113
; %bb.1108:
	v_dual_mov_b32 v2, 0 :: v_dual_mov_b32 v0, 0
	v_mov_b32_e32 v6, v4
	s_and_b32 s0, s1, 28
	s_add_nc_u64 s[4:5], s[2:3], 0xc4
	s_mov_b32 s9, 0
	s_mov_b64 s[6:7], s[2:3]
.LBB7_1109:                             ; =>This Inner Loop Header: Depth=1
	s_clause 0x1
	s_load_b256 s[16:23], s[6:7], 0x4
	s_load_b128 s[36:39], s[6:7], 0x24
	s_load_b256 s[24:31], s[4:5], 0x0
	s_add_co_i32 s9, s9, 4
	s_wait_xcnt 0x0
	s_add_nc_u64 s[6:7], s[6:7], 48
	s_cmp_lg_u32 s0, s9
	s_add_nc_u64 s[4:5], s[4:5], 32
	s_wait_kmcnt 0x0
	v_mul_hi_u32 v3, s17, v6
	s_delay_alu instid0(VALU_DEP_1) | instskip(NEXT) | instid1(VALU_DEP_1)
	v_add_nc_u32_e32 v3, v6, v3
	v_lshrrev_b32_e32 v3, s18, v3
	s_delay_alu instid0(VALU_DEP_1) | instskip(NEXT) | instid1(VALU_DEP_1)
	v_mul_lo_u32 v9, v3, s16
	v_sub_nc_u32_e32 v6, v6, v9
	v_mul_hi_u32 v7, s20, v3
	s_delay_alu instid0(VALU_DEP_2) | instskip(SKIP_1) | instid1(VALU_DEP_3)
	v_mad_u32 v0, v6, s25, v0
	v_mad_u32 v2, v6, s24, v2
	v_add_nc_u32_e32 v7, v3, v7
	s_delay_alu instid0(VALU_DEP_1) | instskip(NEXT) | instid1(VALU_DEP_1)
	v_lshrrev_b32_e32 v7, s21, v7
	v_mul_lo_u32 v9, v7, s19
	s_delay_alu instid0(VALU_DEP_1) | instskip(SKIP_1) | instid1(VALU_DEP_2)
	v_sub_nc_u32_e32 v3, v3, v9
	v_mul_hi_u32 v8, s23, v7
	v_mad_u32 v0, v3, s27, v0
	v_mad_u32 v2, v3, s26, v2
	s_delay_alu instid0(VALU_DEP_3) | instskip(NEXT) | instid1(VALU_DEP_1)
	v_add_nc_u32_e32 v8, v7, v8
	v_lshrrev_b32_e32 v8, s36, v8
	s_delay_alu instid0(VALU_DEP_1) | instskip(SKIP_1) | instid1(VALU_DEP_1)
	v_mul_hi_u32 v10, s38, v8
	v_mul_lo_u32 v9, v8, s22
	v_dual_add_nc_u32 v6, v8, v10 :: v_dual_sub_nc_u32 v3, v7, v9
	s_delay_alu instid0(VALU_DEP_1) | instskip(NEXT) | instid1(VALU_DEP_2)
	v_lshrrev_b32_e32 v6, s39, v6
	v_mad_u32 v0, v3, s29, v0
	v_mad_u32 v2, v3, s28, v2
	s_delay_alu instid0(VALU_DEP_3) | instskip(NEXT) | instid1(VALU_DEP_1)
	v_mul_lo_u32 v7, v6, s37
	v_sub_nc_u32_e32 v3, v8, v7
	s_delay_alu instid0(VALU_DEP_1) | instskip(NEXT) | instid1(VALU_DEP_4)
	v_mad_u32 v0, v3, s31, v0
	v_mad_u32 v2, v3, s30, v2
	s_cbranch_scc1 .LBB7_1109
; %bb.1110:
	s_delay_alu instid0(VALU_DEP_2)
	v_mov_b32_e32 v3, v0
	s_and_b32 s6, s1, 3
	s_mov_b32 s1, 0
	s_cmp_eq_u32 s6, 0
	s_cbranch_scc0 .LBB7_1114
	s_branch .LBB7_1117
.LBB7_1111:
	s_mov_b32 s8, -1
                                        ; implicit-def: $vgpr0
                                        ; implicit-def: $vgpr2
	s_branch .LBB7_1117
.LBB7_1112:
	v_dual_mov_b32 v0, 0 :: v_dual_mov_b32 v2, 0
	s_branch .LBB7_1117
.LBB7_1113:
	v_mov_b64_e32 v[2:3], 0
	v_mov_b32_e32 v6, v4
                                        ; implicit-def: $vgpr0
	s_and_b32 s6, s1, 3
	s_mov_b32 s1, 0
	s_cmp_eq_u32 s6, 0
	s_cbranch_scc1 .LBB7_1117
.LBB7_1114:
	s_lshl_b32 s4, s0, 3
	s_mov_b32 s5, s1
	s_mul_u64 s[10:11], s[0:1], 12
	s_add_nc_u64 s[4:5], s[2:3], s[4:5]
	s_delay_alu instid0(SALU_CYCLE_1)
	s_add_nc_u64 s[0:1], s[4:5], 0xc4
	s_add_nc_u64 s[4:5], s[2:3], s[10:11]
.LBB7_1115:                             ; =>This Inner Loop Header: Depth=1
	s_load_b96 s[16:18], s[4:5], 0x4
	s_load_b64 s[10:11], s[0:1], 0x0
	s_add_co_i32 s6, s6, -1
	s_wait_xcnt 0x0
	s_add_nc_u64 s[4:5], s[4:5], 12
	s_cmp_lg_u32 s6, 0
	s_add_nc_u64 s[0:1], s[0:1], 8
	s_wait_kmcnt 0x0
	v_mul_hi_u32 v0, s17, v6
	s_delay_alu instid0(VALU_DEP_1) | instskip(NEXT) | instid1(VALU_DEP_1)
	v_add_nc_u32_e32 v0, v6, v0
	v_lshrrev_b32_e32 v0, s18, v0
	s_delay_alu instid0(VALU_DEP_1) | instskip(NEXT) | instid1(VALU_DEP_1)
	v_mul_lo_u32 v7, v0, s16
	v_sub_nc_u32_e32 v6, v6, v7
	s_delay_alu instid0(VALU_DEP_1)
	v_mad_u32 v3, v6, s11, v3
	v_mad_u32 v2, v6, s10, v2
	v_mov_b32_e32 v6, v0
	s_cbranch_scc1 .LBB7_1115
; %bb.1116:
	s_delay_alu instid0(VALU_DEP_3)
	v_mov_b32_e32 v0, v3
.LBB7_1117:
	s_and_not1_b32 vcc_lo, exec_lo, s8
	s_cbranch_vccnz .LBB7_1120
; %bb.1118:
	s_clause 0x1
	s_load_b96 s[4:6], s[2:3], 0x4
	s_load_b64 s[0:1], s[2:3], 0xc4
	s_cmp_lt_u32 s33, 2
	s_wait_kmcnt 0x0
	v_mul_hi_u32 v0, s5, v4
	s_delay_alu instid0(VALU_DEP_1) | instskip(NEXT) | instid1(VALU_DEP_1)
	v_add_nc_u32_e32 v0, v4, v0
	v_lshrrev_b32_e32 v3, s6, v0
	s_delay_alu instid0(VALU_DEP_1) | instskip(NEXT) | instid1(VALU_DEP_1)
	v_mul_lo_u32 v0, v3, s4
	v_sub_nc_u32_e32 v2, v4, v0
	s_delay_alu instid0(VALU_DEP_1)
	v_mul_lo_u32 v0, v2, s1
	v_mul_lo_u32 v2, v2, s0
	s_cbranch_scc1 .LBB7_1120
; %bb.1119:
	s_clause 0x1
	s_load_b96 s[4:6], s[2:3], 0x10
	s_load_b64 s[0:1], s[2:3], 0xcc
	s_wait_kmcnt 0x0
	v_mul_hi_u32 v6, s5, v3
	s_delay_alu instid0(VALU_DEP_1) | instskip(NEXT) | instid1(VALU_DEP_1)
	v_add_nc_u32_e32 v6, v3, v6
	v_lshrrev_b32_e32 v6, s6, v6
	s_delay_alu instid0(VALU_DEP_1) | instskip(NEXT) | instid1(VALU_DEP_1)
	v_mul_lo_u32 v6, v6, s4
	v_sub_nc_u32_e32 v3, v3, v6
	s_delay_alu instid0(VALU_DEP_1)
	v_mad_u32 v2, v3, s0, v2
	v_mad_u32 v0, v3, s1, v0
.LBB7_1120:
	v_cmp_ne_u32_e32 vcc_lo, 1, v1
	v_add_nc_u32_e32 v3, 0x80, v4
	s_cbranch_vccnz .LBB7_1126
; %bb.1121:
	s_cmp_lg_u32 s33, 0
	s_mov_b32 s8, 0
	s_cbranch_scc0 .LBB7_1127
; %bb.1122:
	s_min_u32 s1, s34, 15
	s_delay_alu instid0(SALU_CYCLE_1)
	s_add_co_i32 s1, s1, 1
	s_cmp_eq_u32 s34, 2
	s_cbranch_scc1 .LBB7_1128
; %bb.1123:
	v_dual_mov_b32 v6, 0 :: v_dual_mov_b32 v16, 0
	v_mov_b32_e32 v8, v3
	s_and_b32 s0, s1, 28
	s_add_nc_u64 s[4:5], s[2:3], 0xc4
	s_mov_b32 s9, 0
	s_mov_b64 s[6:7], s[2:3]
.LBB7_1124:                             ; =>This Inner Loop Header: Depth=1
	s_clause 0x1
	s_load_b256 s[16:23], s[6:7], 0x4
	s_load_b128 s[36:39], s[6:7], 0x24
	s_load_b256 s[24:31], s[4:5], 0x0
	s_add_co_i32 s9, s9, 4
	s_wait_xcnt 0x0
	s_add_nc_u64 s[6:7], s[6:7], 48
	s_cmp_lg_u32 s0, s9
	s_add_nc_u64 s[4:5], s[4:5], 32
	s_wait_kmcnt 0x0
	v_mul_hi_u32 v7, s17, v8
	s_delay_alu instid0(VALU_DEP_1) | instskip(NEXT) | instid1(VALU_DEP_1)
	v_add_nc_u32_e32 v7, v8, v7
	v_lshrrev_b32_e32 v7, s18, v7
	s_delay_alu instid0(VALU_DEP_1) | instskip(NEXT) | instid1(VALU_DEP_1)
	v_mul_hi_u32 v9, s20, v7
	v_add_nc_u32_e32 v9, v7, v9
	s_delay_alu instid0(VALU_DEP_1) | instskip(NEXT) | instid1(VALU_DEP_1)
	v_lshrrev_b32_e32 v9, s21, v9
	v_mul_hi_u32 v10, s23, v9
	s_delay_alu instid0(VALU_DEP_1) | instskip(SKIP_1) | instid1(VALU_DEP_1)
	v_add_nc_u32_e32 v10, v9, v10
	v_mul_lo_u32 v11, v7, s16
	v_sub_nc_u32_e32 v8, v8, v11
	v_mul_lo_u32 v11, v9, s19
	s_delay_alu instid0(VALU_DEP_4) | instskip(NEXT) | instid1(VALU_DEP_3)
	v_lshrrev_b32_e32 v10, s36, v10
	v_mad_u32 v13, v8, s25, v16
	v_mad_u32 v6, v8, s24, v6
	s_delay_alu instid0(VALU_DEP_4) | instskip(NEXT) | instid1(VALU_DEP_4)
	v_sub_nc_u32_e32 v7, v7, v11
	v_mul_hi_u32 v12, s38, v10
	v_mul_lo_u32 v11, v10, s22
	s_delay_alu instid0(VALU_DEP_3) | instskip(NEXT) | instid1(VALU_DEP_3)
	v_mad_u32 v6, v7, s26, v6
	v_add_nc_u32_e32 v8, v10, v12
	v_mad_u32 v12, v7, s27, v13
	s_delay_alu instid0(VALU_DEP_2) | instskip(NEXT) | instid1(VALU_DEP_1)
	v_dual_sub_nc_u32 v7, v9, v11 :: v_dual_lshrrev_b32 v8, s39, v8
	v_mad_u32 v6, v7, s28, v6
	s_delay_alu instid0(VALU_DEP_2) | instskip(NEXT) | instid1(VALU_DEP_4)
	v_mul_lo_u32 v9, v8, s37
	v_mad_u32 v11, v7, s29, v12
	s_delay_alu instid0(VALU_DEP_2) | instskip(NEXT) | instid1(VALU_DEP_1)
	v_sub_nc_u32_e32 v7, v10, v9
	v_mad_u32 v16, v7, s31, v11
	v_mad_u32 v6, v7, s30, v6
	s_cbranch_scc1 .LBB7_1124
; %bb.1125:
	s_delay_alu instid0(VALU_DEP_2)
	v_mov_b32_e32 v7, v16
	s_and_b32 s6, s1, 3
	s_mov_b32 s1, 0
	s_cmp_eq_u32 s6, 0
	s_cbranch_scc0 .LBB7_1129
	s_branch .LBB7_1132
.LBB7_1126:
	s_mov_b32 s8, -1
                                        ; implicit-def: $vgpr16
                                        ; implicit-def: $vgpr6
	s_branch .LBB7_1132
.LBB7_1127:
	v_dual_mov_b32 v16, 0 :: v_dual_mov_b32 v6, 0
	s_branch .LBB7_1132
.LBB7_1128:
	v_mov_b64_e32 v[6:7], 0
	v_mov_b32_e32 v8, v3
	s_mov_b32 s0, 0
                                        ; implicit-def: $vgpr16
	s_and_b32 s6, s1, 3
	s_mov_b32 s1, 0
	s_cmp_eq_u32 s6, 0
	s_cbranch_scc1 .LBB7_1132
.LBB7_1129:
	s_lshl_b32 s4, s0, 3
	s_mov_b32 s5, s1
	s_mul_u64 s[10:11], s[0:1], 12
	s_add_nc_u64 s[4:5], s[2:3], s[4:5]
	s_delay_alu instid0(SALU_CYCLE_1)
	s_add_nc_u64 s[0:1], s[4:5], 0xc4
	s_add_nc_u64 s[4:5], s[2:3], s[10:11]
.LBB7_1130:                             ; =>This Inner Loop Header: Depth=1
	s_load_b96 s[16:18], s[4:5], 0x4
	s_load_b64 s[10:11], s[0:1], 0x0
	s_add_co_i32 s6, s6, -1
	s_wait_xcnt 0x0
	s_add_nc_u64 s[4:5], s[4:5], 12
	s_cmp_lg_u32 s6, 0
	s_add_nc_u64 s[0:1], s[0:1], 8
	s_wait_kmcnt 0x0
	v_mul_hi_u32 v9, s17, v8
	s_delay_alu instid0(VALU_DEP_1) | instskip(NEXT) | instid1(VALU_DEP_1)
	v_add_nc_u32_e32 v9, v8, v9
	v_lshrrev_b32_e32 v9, s18, v9
	s_delay_alu instid0(VALU_DEP_1) | instskip(NEXT) | instid1(VALU_DEP_1)
	v_mul_lo_u32 v10, v9, s16
	v_sub_nc_u32_e32 v8, v8, v10
	s_delay_alu instid0(VALU_DEP_1)
	v_mad_u32 v7, v8, s11, v7
	v_mad_u32 v6, v8, s10, v6
	v_mov_b32_e32 v8, v9
	s_cbranch_scc1 .LBB7_1130
; %bb.1131:
	s_delay_alu instid0(VALU_DEP_3)
	v_mov_b32_e32 v16, v7
.LBB7_1132:
	s_and_not1_b32 vcc_lo, exec_lo, s8
	s_cbranch_vccnz .LBB7_1135
; %bb.1133:
	s_clause 0x1
	s_load_b96 s[4:6], s[2:3], 0x4
	s_load_b64 s[0:1], s[2:3], 0xc4
	s_cmp_lt_u32 s33, 2
	s_wait_kmcnt 0x0
	v_mul_hi_u32 v6, s5, v3
	s_delay_alu instid0(VALU_DEP_1) | instskip(NEXT) | instid1(VALU_DEP_1)
	v_add_nc_u32_e32 v6, v3, v6
	v_lshrrev_b32_e32 v7, s6, v6
	s_delay_alu instid0(VALU_DEP_1) | instskip(NEXT) | instid1(VALU_DEP_1)
	v_mul_lo_u32 v6, v7, s4
	v_sub_nc_u32_e32 v3, v3, v6
	s_delay_alu instid0(VALU_DEP_1)
	v_mul_lo_u32 v16, v3, s1
	v_mul_lo_u32 v6, v3, s0
	s_cbranch_scc1 .LBB7_1135
; %bb.1134:
	s_clause 0x1
	s_load_b96 s[4:6], s[2:3], 0x10
	s_load_b64 s[0:1], s[2:3], 0xcc
	s_wait_kmcnt 0x0
	v_mul_hi_u32 v3, s5, v7
	s_delay_alu instid0(VALU_DEP_1) | instskip(NEXT) | instid1(VALU_DEP_1)
	v_add_nc_u32_e32 v3, v7, v3
	v_lshrrev_b32_e32 v3, s6, v3
	s_delay_alu instid0(VALU_DEP_1) | instskip(NEXT) | instid1(VALU_DEP_1)
	v_mul_lo_u32 v3, v3, s4
	v_sub_nc_u32_e32 v3, v7, v3
	s_delay_alu instid0(VALU_DEP_1)
	v_mad_u32 v6, v3, s0, v6
	v_mad_u32 v16, v3, s1, v16
.LBB7_1135:
	v_cmp_ne_u32_e32 vcc_lo, 1, v1
	v_add_nc_u32_e32 v3, 0x100, v4
	s_cbranch_vccnz .LBB7_1141
; %bb.1136:
	s_cmp_lg_u32 s33, 0
	s_mov_b32 s8, 0
	s_cbranch_scc0 .LBB7_1142
; %bb.1137:
	s_min_u32 s1, s34, 15
	s_delay_alu instid0(SALU_CYCLE_1)
	s_add_co_i32 s1, s1, 1
	s_cmp_eq_u32 s34, 2
	s_cbranch_scc1 .LBB7_1143
; %bb.1138:
	v_dual_mov_b32 v10, 0 :: v_dual_mov_b32 v8, 0
	v_mov_b32_e32 v4, v3
	s_and_b32 s0, s1, 28
	s_add_nc_u64 s[4:5], s[2:3], 0xc4
	s_mov_b32 s9, 0
	s_mov_b64 s[6:7], s[2:3]
.LBB7_1139:                             ; =>This Inner Loop Header: Depth=1
	s_clause 0x1
	s_load_b256 s[16:23], s[6:7], 0x4
	s_load_b128 s[36:39], s[6:7], 0x24
	s_load_b256 s[24:31], s[4:5], 0x0
	s_add_co_i32 s9, s9, 4
	s_wait_xcnt 0x0
	s_add_nc_u64 s[6:7], s[6:7], 48
	s_cmp_lg_u32 s0, s9
	s_add_nc_u64 s[4:5], s[4:5], 32
	s_wait_kmcnt 0x0
	v_mul_hi_u32 v7, s17, v4
	s_delay_alu instid0(VALU_DEP_1) | instskip(NEXT) | instid1(VALU_DEP_1)
	v_add_nc_u32_e32 v7, v4, v7
	v_lshrrev_b32_e32 v7, s18, v7
	s_delay_alu instid0(VALU_DEP_1) | instskip(NEXT) | instid1(VALU_DEP_1)
	v_mul_lo_u32 v12, v7, s16
	v_sub_nc_u32_e32 v4, v4, v12
	v_mul_hi_u32 v9, s20, v7
	s_delay_alu instid0(VALU_DEP_2) | instskip(SKIP_1) | instid1(VALU_DEP_3)
	v_mad_u32 v8, v4, s25, v8
	v_mad_u32 v4, v4, s24, v10
	v_add_nc_u32_e32 v9, v7, v9
	s_delay_alu instid0(VALU_DEP_1) | instskip(NEXT) | instid1(VALU_DEP_1)
	v_lshrrev_b32_e32 v9, s21, v9
	v_mul_hi_u32 v11, s23, v9
	v_mul_lo_u32 v12, v9, s19
	s_delay_alu instid0(VALU_DEP_1) | instskip(NEXT) | instid1(VALU_DEP_1)
	v_dual_add_nc_u32 v11, v9, v11 :: v_dual_sub_nc_u32 v7, v7, v12
	v_lshrrev_b32_e32 v11, s36, v11
	s_delay_alu instid0(VALU_DEP_2) | instskip(SKIP_1) | instid1(VALU_DEP_3)
	v_mad_u32 v8, v7, s27, v8
	v_mad_u32 v7, v7, s26, v4
	v_mul_hi_u32 v13, s38, v11
	v_mul_lo_u32 v10, v11, s22
	s_delay_alu instid0(VALU_DEP_1) | instskip(NEXT) | instid1(VALU_DEP_1)
	v_dual_add_nc_u32 v12, v11, v13 :: v_dual_sub_nc_u32 v9, v9, v10
	v_lshrrev_b32_e32 v4, s39, v12
	s_delay_alu instid0(VALU_DEP_2) | instskip(SKIP_1) | instid1(VALU_DEP_3)
	v_mad_u32 v8, v9, s29, v8
	v_mad_u32 v7, v9, s28, v7
	v_mul_lo_u32 v10, v4, s37
	s_delay_alu instid0(VALU_DEP_1) | instskip(NEXT) | instid1(VALU_DEP_1)
	v_sub_nc_u32_e32 v9, v11, v10
	v_mad_u32 v8, v9, s31, v8
	s_delay_alu instid0(VALU_DEP_4)
	v_mad_u32 v10, v9, s30, v7
	s_cbranch_scc1 .LBB7_1139
; %bb.1140:
	s_delay_alu instid0(VALU_DEP_2)
	v_mov_b32_e32 v11, v8
	s_and_b32 s6, s1, 3
	s_mov_b32 s1, 0
	s_cmp_eq_u32 s6, 0
	s_cbranch_scc0 .LBB7_1144
	s_branch .LBB7_1147
.LBB7_1141:
	s_mov_b32 s8, -1
                                        ; implicit-def: $vgpr8
                                        ; implicit-def: $vgpr10
	s_branch .LBB7_1147
.LBB7_1142:
	v_dual_mov_b32 v8, 0 :: v_dual_mov_b32 v10, 0
	s_branch .LBB7_1147
.LBB7_1143:
	v_mov_b64_e32 v[10:11], 0
	v_mov_b32_e32 v4, v3
	s_mov_b32 s0, 0
                                        ; implicit-def: $vgpr8
	s_and_b32 s6, s1, 3
	s_mov_b32 s1, 0
	s_cmp_eq_u32 s6, 0
	s_cbranch_scc1 .LBB7_1147
.LBB7_1144:
	s_lshl_b32 s4, s0, 3
	s_mov_b32 s5, s1
	s_mul_u64 s[10:11], s[0:1], 12
	s_add_nc_u64 s[4:5], s[2:3], s[4:5]
	s_delay_alu instid0(SALU_CYCLE_1)
	s_add_nc_u64 s[0:1], s[4:5], 0xc4
	s_add_nc_u64 s[4:5], s[2:3], s[10:11]
.LBB7_1145:                             ; =>This Inner Loop Header: Depth=1
	s_load_b96 s[16:18], s[4:5], 0x4
	s_load_b64 s[10:11], s[0:1], 0x0
	s_add_co_i32 s6, s6, -1
	s_wait_xcnt 0x0
	s_add_nc_u64 s[4:5], s[4:5], 12
	s_cmp_lg_u32 s6, 0
	s_add_nc_u64 s[0:1], s[0:1], 8
	s_wait_kmcnt 0x0
	v_mul_hi_u32 v7, s17, v4
	s_delay_alu instid0(VALU_DEP_1) | instskip(NEXT) | instid1(VALU_DEP_1)
	v_add_nc_u32_e32 v7, v4, v7
	v_lshrrev_b32_e32 v7, s18, v7
	s_delay_alu instid0(VALU_DEP_1) | instskip(NEXT) | instid1(VALU_DEP_1)
	v_mul_lo_u32 v8, v7, s16
	v_sub_nc_u32_e32 v4, v4, v8
	s_delay_alu instid0(VALU_DEP_1)
	v_mad_u32 v11, v4, s11, v11
	v_mad_u32 v10, v4, s10, v10
	v_mov_b32_e32 v4, v7
	s_cbranch_scc1 .LBB7_1145
; %bb.1146:
	s_delay_alu instid0(VALU_DEP_3)
	v_mov_b32_e32 v8, v11
.LBB7_1147:
	s_and_not1_b32 vcc_lo, exec_lo, s8
	s_cbranch_vccnz .LBB7_1150
; %bb.1148:
	s_clause 0x1
	s_load_b96 s[4:6], s[2:3], 0x4
	s_load_b64 s[0:1], s[2:3], 0xc4
	s_cmp_lt_u32 s33, 2
	s_wait_kmcnt 0x0
	v_mul_hi_u32 v4, s5, v3
	s_delay_alu instid0(VALU_DEP_1) | instskip(NEXT) | instid1(VALU_DEP_1)
	v_add_nc_u32_e32 v4, v3, v4
	v_lshrrev_b32_e32 v4, s6, v4
	s_delay_alu instid0(VALU_DEP_1) | instskip(NEXT) | instid1(VALU_DEP_1)
	v_mul_lo_u32 v7, v4, s4
	v_sub_nc_u32_e32 v3, v3, v7
	s_delay_alu instid0(VALU_DEP_1)
	v_mul_lo_u32 v8, v3, s1
	v_mul_lo_u32 v10, v3, s0
	s_cbranch_scc1 .LBB7_1150
; %bb.1149:
	s_clause 0x1
	s_load_b96 s[4:6], s[2:3], 0x10
	s_load_b64 s[0:1], s[2:3], 0xcc
	s_wait_kmcnt 0x0
	v_mul_hi_u32 v3, s5, v4
	s_delay_alu instid0(VALU_DEP_1) | instskip(NEXT) | instid1(VALU_DEP_1)
	v_add_nc_u32_e32 v3, v4, v3
	v_lshrrev_b32_e32 v3, s6, v3
	s_delay_alu instid0(VALU_DEP_1) | instskip(NEXT) | instid1(VALU_DEP_1)
	v_mul_lo_u32 v3, v3, s4
	v_sub_nc_u32_e32 v3, v4, v3
	s_delay_alu instid0(VALU_DEP_1)
	v_mad_u32 v10, v3, s0, v10
	v_mad_u32 v8, v3, s1, v8
.LBB7_1150:
	v_cmp_ne_u32_e32 vcc_lo, 1, v1
	s_cbranch_vccnz .LBB7_1156
; %bb.1151:
	s_cmp_lg_u32 s33, 0
	s_mov_b32 s8, 0
	s_cbranch_scc0 .LBB7_1157
; %bb.1152:
	s_min_u32 s1, s34, 15
	s_delay_alu instid0(SALU_CYCLE_1)
	s_add_co_i32 s1, s1, 1
	s_cmp_eq_u32 s34, 2
	s_cbranch_scc1 .LBB7_1158
; %bb.1153:
	v_dual_mov_b32 v14, 0 :: v_dual_mov_b32 v12, 0
	v_mov_b32_e32 v1, v5
	s_and_b32 s0, s1, 28
	s_add_nc_u64 s[4:5], s[2:3], 0xc4
	s_mov_b32 s9, 0
	s_mov_b64 s[6:7], s[2:3]
.LBB7_1154:                             ; =>This Inner Loop Header: Depth=1
	s_clause 0x1
	s_load_b256 s[16:23], s[6:7], 0x4
	s_load_b128 s[36:39], s[6:7], 0x24
	s_load_b256 s[24:31], s[4:5], 0x0
	s_add_co_i32 s9, s9, 4
	s_wait_xcnt 0x0
	s_add_nc_u64 s[6:7], s[6:7], 48
	s_cmp_lg_u32 s0, s9
	s_add_nc_u64 s[4:5], s[4:5], 32
	s_wait_kmcnt 0x0
	v_mul_hi_u32 v3, s17, v1
	s_delay_alu instid0(VALU_DEP_1) | instskip(NEXT) | instid1(VALU_DEP_1)
	v_add_nc_u32_e32 v3, v1, v3
	v_lshrrev_b32_e32 v3, s18, v3
	s_delay_alu instid0(VALU_DEP_1) | instskip(NEXT) | instid1(VALU_DEP_1)
	v_mul_lo_u32 v9, v3, s16
	v_sub_nc_u32_e32 v1, v1, v9
	v_mul_hi_u32 v4, s20, v3
	s_delay_alu instid0(VALU_DEP_2) | instskip(SKIP_1) | instid1(VALU_DEP_3)
	v_mad_u32 v12, v1, s25, v12
	v_mad_u32 v1, v1, s24, v14
	v_add_nc_u32_e32 v4, v3, v4
	s_delay_alu instid0(VALU_DEP_1) | instskip(NEXT) | instid1(VALU_DEP_1)
	v_lshrrev_b32_e32 v4, s21, v4
	v_mul_hi_u32 v7, s23, v4
	v_mul_lo_u32 v9, v4, s19
	s_delay_alu instid0(VALU_DEP_1) | instskip(NEXT) | instid1(VALU_DEP_1)
	v_dual_add_nc_u32 v7, v4, v7 :: v_dual_sub_nc_u32 v3, v3, v9
	v_lshrrev_b32_e32 v7, s36, v7
	s_delay_alu instid0(VALU_DEP_2) | instskip(SKIP_1) | instid1(VALU_DEP_3)
	v_mad_u32 v12, v3, s27, v12
	v_mad_u32 v3, v3, s26, v1
	v_mul_hi_u32 v11, s38, v7
	v_mul_lo_u32 v9, v7, s22
	s_delay_alu instid0(VALU_DEP_1) | instskip(NEXT) | instid1(VALU_DEP_1)
	v_dual_add_nc_u32 v11, v7, v11 :: v_dual_sub_nc_u32 v4, v4, v9
	v_lshrrev_b32_e32 v1, s39, v11
	s_delay_alu instid0(VALU_DEP_2) | instskip(SKIP_1) | instid1(VALU_DEP_3)
	v_mad_u32 v11, v4, s29, v12
	v_mad_u32 v3, v4, s28, v3
	v_mul_lo_u32 v9, v1, s37
	s_delay_alu instid0(VALU_DEP_1) | instskip(NEXT) | instid1(VALU_DEP_1)
	v_sub_nc_u32_e32 v4, v7, v9
	v_mad_u32 v12, v4, s31, v11
	s_delay_alu instid0(VALU_DEP_4)
	v_mad_u32 v14, v4, s30, v3
	s_cbranch_scc1 .LBB7_1154
; %bb.1155:
	s_delay_alu instid0(VALU_DEP_2)
	v_mov_b32_e32 v15, v12
	s_and_b32 s6, s1, 3
	s_mov_b32 s1, 0
	s_cmp_eq_u32 s6, 0
	s_cbranch_scc0 .LBB7_1159
	s_branch .LBB7_1162
.LBB7_1156:
	s_mov_b32 s8, -1
                                        ; implicit-def: $vgpr12
                                        ; implicit-def: $vgpr14
	s_branch .LBB7_1162
.LBB7_1157:
	v_dual_mov_b32 v12, 0 :: v_dual_mov_b32 v14, 0
	s_branch .LBB7_1162
.LBB7_1158:
	v_mov_b64_e32 v[14:15], 0
	v_mov_b32_e32 v1, v5
	s_mov_b32 s0, 0
                                        ; implicit-def: $vgpr12
	s_and_b32 s6, s1, 3
	s_mov_b32 s1, 0
	s_cmp_eq_u32 s6, 0
	s_cbranch_scc1 .LBB7_1162
.LBB7_1159:
	s_lshl_b32 s4, s0, 3
	s_mov_b32 s5, s1
	s_mul_u64 s[10:11], s[0:1], 12
	s_add_nc_u64 s[4:5], s[2:3], s[4:5]
	s_delay_alu instid0(SALU_CYCLE_1)
	s_add_nc_u64 s[0:1], s[4:5], 0xc4
	s_add_nc_u64 s[4:5], s[2:3], s[10:11]
.LBB7_1160:                             ; =>This Inner Loop Header: Depth=1
	s_load_b96 s[16:18], s[4:5], 0x4
	s_load_b64 s[10:11], s[0:1], 0x0
	s_add_co_i32 s6, s6, -1
	s_wait_xcnt 0x0
	s_add_nc_u64 s[4:5], s[4:5], 12
	s_cmp_lg_u32 s6, 0
	s_add_nc_u64 s[0:1], s[0:1], 8
	s_wait_kmcnt 0x0
	v_mul_hi_u32 v3, s17, v1
	s_delay_alu instid0(VALU_DEP_1) | instskip(NEXT) | instid1(VALU_DEP_1)
	v_add_nc_u32_e32 v3, v1, v3
	v_lshrrev_b32_e32 v3, s18, v3
	s_delay_alu instid0(VALU_DEP_1) | instskip(NEXT) | instid1(VALU_DEP_1)
	v_mul_lo_u32 v4, v3, s16
	v_sub_nc_u32_e32 v1, v1, v4
	s_delay_alu instid0(VALU_DEP_1)
	v_mad_u32 v15, v1, s11, v15
	v_mad_u32 v14, v1, s10, v14
	v_mov_b32_e32 v1, v3
	s_cbranch_scc1 .LBB7_1160
; %bb.1161:
	s_delay_alu instid0(VALU_DEP_3)
	v_mov_b32_e32 v12, v15
.LBB7_1162:
	s_and_not1_b32 vcc_lo, exec_lo, s8
	s_cbranch_vccnz .LBB7_1165
; %bb.1163:
	s_clause 0x1
	s_load_b96 s[4:6], s[2:3], 0x4
	s_load_b64 s[0:1], s[2:3], 0xc4
	s_cmp_lt_u32 s33, 2
	s_wait_kmcnt 0x0
	v_mul_hi_u32 v1, s5, v5
	s_delay_alu instid0(VALU_DEP_1) | instskip(NEXT) | instid1(VALU_DEP_1)
	v_add_nc_u32_e32 v1, v5, v1
	v_lshrrev_b32_e32 v1, s6, v1
	s_delay_alu instid0(VALU_DEP_1) | instskip(NEXT) | instid1(VALU_DEP_1)
	v_mul_lo_u32 v3, v1, s4
	v_sub_nc_u32_e32 v3, v5, v3
	s_delay_alu instid0(VALU_DEP_1)
	v_mul_lo_u32 v12, v3, s1
	v_mul_lo_u32 v14, v3, s0
	s_cbranch_scc1 .LBB7_1165
; %bb.1164:
	s_clause 0x1
	s_load_b96 s[4:6], s[2:3], 0x10
	s_load_b64 s[0:1], s[2:3], 0xcc
	s_wait_kmcnt 0x0
	v_mul_hi_u32 v3, s5, v1
	s_delay_alu instid0(VALU_DEP_1) | instskip(NEXT) | instid1(VALU_DEP_1)
	v_add_nc_u32_e32 v3, v1, v3
	v_lshrrev_b32_e32 v3, s6, v3
	s_delay_alu instid0(VALU_DEP_1) | instskip(NEXT) | instid1(VALU_DEP_1)
	v_mul_lo_u32 v3, v3, s4
	v_sub_nc_u32_e32 v1, v1, v3
	s_delay_alu instid0(VALU_DEP_1)
	v_mad_u32 v14, v1, s0, v14
	v_mad_u32 v12, v1, s1, v12
.LBB7_1165:
	v_mov_b32_e32 v1, 0
	s_load_b256 s[4:11], s[2:3], 0x148
	global_load_u8 v3, v1, s[2:3] offset:361
	s_wait_loadcnt 0x0
	v_and_b32_e32 v4, 0xffff, v3
	v_readfirstlane_b32 s15, v3
	s_delay_alu instid0(VALU_DEP_2)
	v_cmp_gt_i32_e32 vcc_lo, 11, v4
	s_wait_kmcnt 0x0
	v_add_nc_u64_e32 v[4:5], s[6:7], v[0:1]
	s_cbranch_vccnz .LBB7_1172
; %bb.1166:
	s_and_b32 s0, 0xffff, s15
	s_mov_b32 s16, 0
	s_cmp_gt_i32 s0, 25
	s_cbranch_scc0 .LBB7_1174
; %bb.1167:
	s_cmp_gt_i32 s0, 28
	s_cbranch_scc0 .LBB7_1175
; %bb.1168:
	;; [unrolled: 3-line block ×4, first 2 shown]
	s_cmp_eq_u32 s0, 46
	s_mov_b32 s14, 0
	s_cbranch_scc0 .LBB7_1180
; %bb.1171:
	global_load_b32 v0, v[4:5], off
	s_mov_b32 s1, 0
	s_mov_b32 s17, -1
	s_wait_loadcnt 0x0
	v_lshlrev_b32_e32 v0, 16, v0
	s_wait_xcnt 0x1
	s_delay_alu instid0(VALU_DEP_1)
	v_cvt_f64_f32_e32 v[0:1], v0
	s_branch .LBB7_1182
.LBB7_1172:
	s_mov_b32 s17, 0
	s_mov_b32 s14, s12
                                        ; implicit-def: $vgpr0_vgpr1
	s_cbranch_execnz .LBB7_1245
.LBB7_1173:
	s_and_not1_b32 vcc_lo, exec_lo, s17
	s_cbranch_vccz .LBB7_1290
	s_branch .LBB7_1767
.LBB7_1174:
	s_mov_b32 s17, 0
	s_mov_b32 s1, 0
                                        ; implicit-def: $vgpr0_vgpr1
	s_cbranch_execnz .LBB7_1210
	s_branch .LBB7_1241
.LBB7_1175:
	s_mov_b32 s14, -1
	s_mov_b32 s17, 0
	s_mov_b32 s1, 0
                                        ; implicit-def: $vgpr0_vgpr1
	s_branch .LBB7_1191
.LBB7_1176:
	s_mov_b32 s17, 0
	s_mov_b32 s1, 0
                                        ; implicit-def: $vgpr0_vgpr1
	s_cbranch_execnz .LBB7_1187
	s_branch .LBB7_1190
.LBB7_1177:
	s_mov_b32 s14, -1
	s_mov_b32 s17, 0
	s_mov_b32 s1, 0
	s_branch .LBB7_1181
.LBB7_1178:
	s_and_not1_saveexec_b32 s9, s9
	s_cbranch_execz .LBB7_1017
.LBB7_1179:
	v_add_f32_e64 v3, 0x46000000, |v2|
	s_and_not1_b32 s8, s8, exec_lo
	s_delay_alu instid0(VALU_DEP_1) | instskip(NEXT) | instid1(VALU_DEP_1)
	v_and_b32_e32 v3, 0xff, v3
	v_cmp_ne_u32_e32 vcc_lo, 0, v3
	s_and_b32 s10, vcc_lo, exec_lo
	s_delay_alu instid0(SALU_CYCLE_1)
	s_or_b32 s8, s8, s10
	s_or_b32 exec_lo, exec_lo, s9
	v_mov_b32_e32 v6, 0
	s_and_saveexec_b32 s9, s8
	s_cbranch_execnz .LBB7_1018
	s_branch .LBB7_1019
.LBB7_1180:
	s_mov_b32 s1, -1
	s_mov_b32 s17, 0
.LBB7_1181:
                                        ; implicit-def: $vgpr0_vgpr1
.LBB7_1182:
	s_and_b32 vcc_lo, exec_lo, s14
	s_cbranch_vccz .LBB7_1185
; %bb.1183:
	s_cmp_eq_u32 s0, 44
	s_cbranch_scc0 .LBB7_1186
; %bb.1184:
	global_load_u8 v3, v[4:5], off
	s_mov_b32 s1, 0
	s_mov_b32 s17, -1
	s_wait_loadcnt 0x0
	v_cmp_ne_u32_e32 vcc_lo, 0xff, v3
	v_lshlrev_b32_e32 v0, 23, v3
	s_wait_xcnt 0x1
	s_delay_alu instid0(VALU_DEP_1) | instskip(NEXT) | instid1(VALU_DEP_1)
	v_cvt_f64_f32_e32 v[0:1], v0
	v_cndmask_b32_e32 v0, 0x20000000, v0, vcc_lo
	s_delay_alu instid0(VALU_DEP_2) | instskip(SKIP_1) | instid1(VALU_DEP_2)
	v_cndmask_b32_e32 v1, 0x7ff80000, v1, vcc_lo
	v_cmp_ne_u32_e32 vcc_lo, 0, v3
	v_cndmask_b32_e32 v1, 0x38000000, v1, vcc_lo
	s_delay_alu instid0(VALU_DEP_4)
	v_cndmask_b32_e32 v0, 0, v0, vcc_lo
.LBB7_1185:
	s_branch .LBB7_1190
.LBB7_1186:
	s_mov_b32 s1, -1
                                        ; implicit-def: $vgpr0_vgpr1
	s_branch .LBB7_1190
.LBB7_1187:
	s_cmp_eq_u32 s0, 29
	s_cbranch_scc0 .LBB7_1189
; %bb.1188:
	global_load_b64 v[0:1], v[4:5], off
	s_mov_b32 s1, 0
	s_mov_b32 s17, -1
	s_mov_b32 s14, 0
	s_wait_loadcnt 0x0
	v_cvt_f64_u32_e32 v[18:19], v1
	v_cvt_f64_u32_e32 v[0:1], v0
	s_delay_alu instid0(VALU_DEP_2) | instskip(NEXT) | instid1(VALU_DEP_1)
	v_ldexp_f64 v[18:19], v[18:19], 32
	v_add_f64_e32 v[0:1], v[18:19], v[0:1]
	s_branch .LBB7_1191
.LBB7_1189:
	s_mov_b32 s1, -1
                                        ; implicit-def: $vgpr0_vgpr1
.LBB7_1190:
	s_mov_b32 s14, 0
.LBB7_1191:
	s_delay_alu instid0(SALU_CYCLE_1)
	s_and_b32 vcc_lo, exec_lo, s14
	s_cbranch_vccz .LBB7_1209
; %bb.1192:
	s_cmp_lt_i32 s0, 27
	s_cbranch_scc1 .LBB7_1195
; %bb.1193:
	s_cmp_gt_i32 s0, 27
	s_cbranch_scc0 .LBB7_1196
; %bb.1194:
	global_load_b32 v0, v[4:5], off
	s_mov_b32 s14, 0
	s_wait_loadcnt 0x0
	s_wait_xcnt 0x1
	v_cvt_f64_u32_e32 v[0:1], v0
	s_branch .LBB7_1197
.LBB7_1195:
	s_mov_b32 s14, -1
                                        ; implicit-def: $vgpr0_vgpr1
	s_branch .LBB7_1200
.LBB7_1196:
	s_mov_b32 s14, -1
                                        ; implicit-def: $vgpr0_vgpr1
.LBB7_1197:
	s_delay_alu instid0(SALU_CYCLE_1)
	s_and_not1_b32 vcc_lo, exec_lo, s14
	s_cbranch_vccnz .LBB7_1199
; %bb.1198:
	global_load_u16 v0, v[4:5], off
	s_wait_loadcnt 0x0
	s_wait_xcnt 0x1
	v_cvt_f64_u32_e32 v[0:1], v0
.LBB7_1199:
	s_mov_b32 s14, 0
.LBB7_1200:
	s_delay_alu instid0(SALU_CYCLE_1)
	s_and_not1_b32 vcc_lo, exec_lo, s14
	s_cbranch_vccnz .LBB7_1208
; %bb.1201:
	global_load_u8 v3, v[4:5], off
	s_mov_b32 s14, 0
	s_mov_b32 s17, exec_lo
	s_wait_loadcnt 0x0
	v_cmpx_lt_i16_e32 0x7f, v3
	s_xor_b32 s17, exec_lo, s17
	s_cbranch_execz .LBB7_1221
; %bb.1202:
	s_mov_b32 s14, -1
	s_mov_b32 s18, exec_lo
	v_cmpx_eq_u16_e32 0x80, v3
; %bb.1203:
	s_xor_b32 s14, exec_lo, -1
; %bb.1204:
	s_or_b32 exec_lo, exec_lo, s18
	s_delay_alu instid0(SALU_CYCLE_1)
	s_and_b32 s14, s14, exec_lo
	s_or_saveexec_b32 s17, s17
	v_mov_b64_e32 v[0:1], 0x7ff8000020000000
	s_xor_b32 exec_lo, exec_lo, s17
	s_cbranch_execnz .LBB7_1222
.LBB7_1205:
	s_or_b32 exec_lo, exec_lo, s17
	s_and_saveexec_b32 s17, s14
	s_cbranch_execz .LBB7_1207
.LBB7_1206:
	v_and_b32_e32 v0, 0xffff, v3
	s_delay_alu instid0(VALU_DEP_1) | instskip(SKIP_1) | instid1(VALU_DEP_2)
	v_and_b32_e32 v1, 7, v0
	v_bfe_u32 v11, v0, 3, 4
	v_clz_i32_u32_e32 v7, v1
	s_delay_alu instid0(VALU_DEP_2) | instskip(NEXT) | instid1(VALU_DEP_2)
	v_cmp_eq_u32_e32 vcc_lo, 0, v11
	v_min_u32_e32 v7, 32, v7
	s_delay_alu instid0(VALU_DEP_1) | instskip(NEXT) | instid1(VALU_DEP_1)
	v_subrev_nc_u32_e32 v9, 28, v7
	v_dual_lshlrev_b32 v0, v9, v0 :: v_dual_sub_nc_u32 v7, 29, v7
	s_delay_alu instid0(VALU_DEP_1) | instskip(NEXT) | instid1(VALU_DEP_1)
	v_dual_lshlrev_b32 v3, 24, v3 :: v_dual_bitop2_b32 v0, 7, v0 bitop3:0x40
	v_dual_cndmask_b32 v0, v1, v0 :: v_dual_cndmask_b32 v7, v11, v7
	s_delay_alu instid0(VALU_DEP_2) | instskip(NEXT) | instid1(VALU_DEP_2)
	v_and_b32_e32 v1, 0x80000000, v3
	v_lshlrev_b32_e32 v0, 20, v0
	s_delay_alu instid0(VALU_DEP_3) | instskip(NEXT) | instid1(VALU_DEP_1)
	v_lshl_add_u32 v3, v7, 23, 0x3b800000
	v_or3_b32 v0, v1, v3, v0
	s_delay_alu instid0(VALU_DEP_1)
	v_cvt_f64_f32_e32 v[0:1], v0
.LBB7_1207:
	s_or_b32 exec_lo, exec_lo, s17
.LBB7_1208:
	s_mov_b32 s17, -1
.LBB7_1209:
	s_branch .LBB7_1241
.LBB7_1210:
	s_cmp_gt_i32 s0, 22
	s_cbranch_scc0 .LBB7_1220
; %bb.1211:
	s_cmp_lt_i32 s0, 24
	s_cbranch_scc1 .LBB7_1223
; %bb.1212:
	s_cmp_gt_i32 s0, 24
	s_cbranch_scc0 .LBB7_1224
; %bb.1213:
	global_load_u8 v3, v[4:5], off
	s_mov_b32 s14, 0
	s_mov_b32 s16, exec_lo
	s_wait_loadcnt 0x0
	v_cmpx_lt_i16_e32 0x7f, v3
	s_xor_b32 s16, exec_lo, s16
	s_cbranch_execz .LBB7_1235
; %bb.1214:
	s_mov_b32 s14, -1
	s_mov_b32 s17, exec_lo
	v_cmpx_eq_u16_e32 0x80, v3
; %bb.1215:
	s_xor_b32 s14, exec_lo, -1
; %bb.1216:
	s_or_b32 exec_lo, exec_lo, s17
	s_delay_alu instid0(SALU_CYCLE_1)
	s_and_b32 s14, s14, exec_lo
	s_or_saveexec_b32 s16, s16
	v_mov_b64_e32 v[0:1], 0x7ff8000020000000
	s_xor_b32 exec_lo, exec_lo, s16
	s_cbranch_execnz .LBB7_1236
.LBB7_1217:
	s_or_b32 exec_lo, exec_lo, s16
	s_and_saveexec_b32 s16, s14
	s_cbranch_execz .LBB7_1219
.LBB7_1218:
	v_and_b32_e32 v0, 0xffff, v3
	s_delay_alu instid0(VALU_DEP_1) | instskip(SKIP_1) | instid1(VALU_DEP_2)
	v_and_b32_e32 v1, 3, v0
	v_bfe_u32 v11, v0, 2, 5
	v_clz_i32_u32_e32 v7, v1
	s_delay_alu instid0(VALU_DEP_2) | instskip(NEXT) | instid1(VALU_DEP_2)
	v_cmp_eq_u32_e32 vcc_lo, 0, v11
	v_min_u32_e32 v7, 32, v7
	s_delay_alu instid0(VALU_DEP_1) | instskip(NEXT) | instid1(VALU_DEP_1)
	v_subrev_nc_u32_e32 v9, 29, v7
	v_dual_lshlrev_b32 v0, v9, v0 :: v_dual_sub_nc_u32 v7, 30, v7
	s_delay_alu instid0(VALU_DEP_1) | instskip(NEXT) | instid1(VALU_DEP_1)
	v_dual_lshlrev_b32 v3, 24, v3 :: v_dual_bitop2_b32 v0, 3, v0 bitop3:0x40
	v_dual_cndmask_b32 v0, v1, v0 :: v_dual_cndmask_b32 v7, v11, v7
	s_delay_alu instid0(VALU_DEP_2) | instskip(NEXT) | instid1(VALU_DEP_2)
	v_and_b32_e32 v1, 0x80000000, v3
	v_lshlrev_b32_e32 v0, 21, v0
	s_delay_alu instid0(VALU_DEP_3) | instskip(NEXT) | instid1(VALU_DEP_1)
	v_lshl_add_u32 v3, v7, 23, 0x37800000
	v_or3_b32 v0, v1, v3, v0
	s_delay_alu instid0(VALU_DEP_1)
	v_cvt_f64_f32_e32 v[0:1], v0
.LBB7_1219:
	s_or_b32 exec_lo, exec_lo, s16
	s_mov_b32 s14, 0
	s_branch .LBB7_1225
.LBB7_1220:
                                        ; implicit-def: $vgpr0_vgpr1
	s_mov_b32 s16, 0
	s_branch .LBB7_1231
.LBB7_1221:
	s_or_saveexec_b32 s17, s17
	v_mov_b64_e32 v[0:1], 0x7ff8000020000000
	s_xor_b32 exec_lo, exec_lo, s17
	s_cbranch_execz .LBB7_1205
.LBB7_1222:
	v_cmp_ne_u16_e32 vcc_lo, 0, v3
	v_mov_b64_e32 v[0:1], 0
	s_and_not1_b32 s14, s14, exec_lo
	s_and_b32 s18, vcc_lo, exec_lo
	s_delay_alu instid0(SALU_CYCLE_1)
	s_or_b32 s14, s14, s18
	s_or_b32 exec_lo, exec_lo, s17
	s_and_saveexec_b32 s17, s14
	s_cbranch_execnz .LBB7_1206
	s_branch .LBB7_1207
.LBB7_1223:
	s_mov_b32 s14, -1
                                        ; implicit-def: $vgpr0_vgpr1
	s_branch .LBB7_1228
.LBB7_1224:
	s_mov_b32 s14, -1
                                        ; implicit-def: $vgpr0_vgpr1
.LBB7_1225:
	s_delay_alu instid0(SALU_CYCLE_1)
	s_and_b32 vcc_lo, exec_lo, s14
	s_cbranch_vccz .LBB7_1227
; %bb.1226:
	global_load_u8 v0, v[4:5], off
	s_wait_loadcnt 0x0
	v_lshlrev_b32_e32 v0, 24, v0
	s_wait_xcnt 0x1
	s_delay_alu instid0(VALU_DEP_1) | instskip(NEXT) | instid1(VALU_DEP_1)
	v_and_b32_e32 v1, 0x7f000000, v0
	v_clz_i32_u32_e32 v3, v1
	v_add_nc_u32_e32 v9, 0x1000000, v1
	v_cmp_ne_u32_e32 vcc_lo, 0, v1
	s_delay_alu instid0(VALU_DEP_3) | instskip(NEXT) | instid1(VALU_DEP_1)
	v_min_u32_e32 v3, 32, v3
	v_sub_nc_u32_e64 v3, v3, 4 clamp
	s_delay_alu instid0(VALU_DEP_1) | instskip(NEXT) | instid1(VALU_DEP_1)
	v_dual_lshlrev_b32 v7, v3, v1 :: v_dual_lshlrev_b32 v3, 23, v3
	v_lshrrev_b32_e32 v7, 4, v7
	s_delay_alu instid0(VALU_DEP_1) | instskip(NEXT) | instid1(VALU_DEP_1)
	v_dual_sub_nc_u32 v3, v7, v3 :: v_dual_ashrrev_i32 v7, 8, v9
	v_add_nc_u32_e32 v3, 0x3c000000, v3
	s_delay_alu instid0(VALU_DEP_1) | instskip(NEXT) | instid1(VALU_DEP_1)
	v_and_or_b32 v3, 0x7f800000, v7, v3
	v_cndmask_b32_e32 v1, 0, v3, vcc_lo
	s_delay_alu instid0(VALU_DEP_1) | instskip(NEXT) | instid1(VALU_DEP_1)
	v_and_or_b32 v0, 0x80000000, v0, v1
	v_cvt_f64_f32_e32 v[0:1], v0
.LBB7_1227:
	s_mov_b32 s14, 0
.LBB7_1228:
	s_delay_alu instid0(SALU_CYCLE_1)
	s_and_not1_b32 vcc_lo, exec_lo, s14
	s_cbranch_vccnz .LBB7_1230
; %bb.1229:
	global_load_u8 v0, v[4:5], off
	s_wait_loadcnt 0x0
	s_wait_xcnt 0x1
	v_lshlrev_b32_e32 v1, 25, v0
	v_lshlrev_b16 v0, 8, v0
	s_delay_alu instid0(VALU_DEP_1) | instskip(SKIP_1) | instid1(VALU_DEP_2)
	v_and_or_b32 v7, 0x7f00, v0, 0.5
	v_bfe_i32 v0, v0, 0, 16
	v_dual_add_f32 v7, -0.5, v7 :: v_dual_lshrrev_b32 v3, 4, v1
	v_cmp_gt_u32_e32 vcc_lo, 0x8000000, v1
	s_delay_alu instid0(VALU_DEP_2) | instskip(NEXT) | instid1(VALU_DEP_1)
	v_or_b32_e32 v3, 0x70000000, v3
	v_mul_f32_e32 v3, 0x7800000, v3
	s_delay_alu instid0(VALU_DEP_1) | instskip(NEXT) | instid1(VALU_DEP_1)
	v_cndmask_b32_e32 v1, v3, v7, vcc_lo
	v_and_or_b32 v0, 0x80000000, v0, v1
	s_delay_alu instid0(VALU_DEP_1)
	v_cvt_f64_f32_e32 v[0:1], v0
.LBB7_1230:
	s_mov_b32 s17, -1
	s_mov_b32 s16, 0
	s_cbranch_execnz .LBB7_1241
.LBB7_1231:
	s_cmp_gt_i32 s0, 14
	s_cbranch_scc0 .LBB7_1234
; %bb.1232:
	s_cmp_eq_u32 s0, 15
	s_cbranch_scc0 .LBB7_1237
; %bb.1233:
	global_load_u16 v0, v[4:5], off
	s_mov_b32 s1, 0
	s_mov_b32 s17, -1
	s_wait_loadcnt 0x0
	v_lshlrev_b32_e32 v0, 16, v0
	s_wait_xcnt 0x1
	s_delay_alu instid0(VALU_DEP_1)
	v_cvt_f64_f32_e32 v[0:1], v0
	s_branch .LBB7_1238
.LBB7_1234:
	s_mov_b32 s14, -1
                                        ; implicit-def: $vgpr0_vgpr1
	s_branch .LBB7_1239
.LBB7_1235:
	s_or_saveexec_b32 s16, s16
	v_mov_b64_e32 v[0:1], 0x7ff8000020000000
	s_xor_b32 exec_lo, exec_lo, s16
	s_cbranch_execz .LBB7_1217
.LBB7_1236:
	v_cmp_ne_u16_e32 vcc_lo, 0, v3
	v_mov_b64_e32 v[0:1], 0
	s_and_not1_b32 s14, s14, exec_lo
	s_and_b32 s17, vcc_lo, exec_lo
	s_delay_alu instid0(SALU_CYCLE_1)
	s_or_b32 s14, s14, s17
	s_or_b32 exec_lo, exec_lo, s16
	s_and_saveexec_b32 s16, s14
	s_cbranch_execnz .LBB7_1218
	s_branch .LBB7_1219
.LBB7_1237:
	s_mov_b32 s1, -1
                                        ; implicit-def: $vgpr0_vgpr1
.LBB7_1238:
	s_mov_b32 s14, 0
.LBB7_1239:
	s_delay_alu instid0(SALU_CYCLE_1)
	s_and_b32 vcc_lo, exec_lo, s14
	s_cbranch_vccz .LBB7_1241
; %bb.1240:
	s_cmp_lg_u32 s0, 11
	s_mov_b32 s16, -1
	s_cselect_b32 s1, -1, 0
.LBB7_1241:
	s_delay_alu instid0(SALU_CYCLE_1)
	s_and_b32 vcc_lo, exec_lo, s1
	s_mov_b32 s14, s12
	s_cbranch_vccnz .LBB7_1304
; %bb.1242:
	s_and_not1_b32 vcc_lo, exec_lo, s16
	s_cbranch_vccnz .LBB7_1244
.LBB7_1243:
	global_load_u8 v0, v[4:5], off
	s_mov_b32 s17, -1
	s_wait_loadcnt 0x0
	v_cmp_ne_u16_e32 vcc_lo, 0, v0
	v_mov_b32_e32 v0, 0
	s_wait_xcnt 0x1
	v_cndmask_b32_e64 v1, 0, 0x3ff00000, vcc_lo
.LBB7_1244:
	s_branch .LBB7_1173
.LBB7_1245:
	s_and_b32 s0, 0xffff, s15
	s_delay_alu instid0(SALU_CYCLE_1)
	s_cmp_lt_i32 s0, 5
	s_cbranch_scc1 .LBB7_1250
; %bb.1246:
	s_cmp_lt_i32 s0, 8
	s_cbranch_scc1 .LBB7_1251
; %bb.1247:
	;; [unrolled: 3-line block ×3, first 2 shown]
	s_cmp_gt_i32 s0, 9
	s_cbranch_scc0 .LBB7_1253
; %bb.1249:
	global_load_b64 v[0:1], v[4:5], off
	s_mov_b32 s1, 0
	s_branch .LBB7_1254
.LBB7_1250:
                                        ; implicit-def: $vgpr0_vgpr1
	s_branch .LBB7_1271
.LBB7_1251:
                                        ; implicit-def: $vgpr0_vgpr1
	s_branch .LBB7_1260
.LBB7_1252:
	s_mov_b32 s1, -1
                                        ; implicit-def: $vgpr0_vgpr1
	s_branch .LBB7_1257
.LBB7_1253:
	s_mov_b32 s1, -1
                                        ; implicit-def: $vgpr0_vgpr1
.LBB7_1254:
	s_delay_alu instid0(SALU_CYCLE_1)
	s_and_not1_b32 vcc_lo, exec_lo, s1
	s_cbranch_vccnz .LBB7_1256
; %bb.1255:
	s_wait_loadcnt 0x0
	global_load_b32 v0, v[4:5], off
	s_wait_loadcnt 0x0
	s_wait_xcnt 0x1
	v_cvt_f64_f32_e32 v[0:1], v0
.LBB7_1256:
	s_mov_b32 s1, 0
.LBB7_1257:
	s_delay_alu instid0(SALU_CYCLE_1)
	s_and_not1_b32 vcc_lo, exec_lo, s1
	s_cbranch_vccnz .LBB7_1259
; %bb.1258:
	s_wait_loadcnt 0x0
	global_load_b32 v0, v[4:5], off
	s_wait_loadcnt 0x0
	v_cvt_f32_f16_e32 v0, v0
	s_wait_xcnt 0x1
	s_delay_alu instid0(VALU_DEP_1)
	v_cvt_f64_f32_e32 v[0:1], v0
.LBB7_1259:
	s_cbranch_execnz .LBB7_1270
.LBB7_1260:
	s_cmp_lt_i32 s0, 6
	s_cbranch_scc1 .LBB7_1263
; %bb.1261:
	s_cmp_gt_i32 s0, 6
	s_cbranch_scc0 .LBB7_1264
; %bb.1262:
	s_wait_loadcnt 0x0
	global_load_b64 v[0:1], v[4:5], off
	s_mov_b32 s1, 0
	s_branch .LBB7_1265
.LBB7_1263:
	s_mov_b32 s1, -1
                                        ; implicit-def: $vgpr0_vgpr1
	s_branch .LBB7_1268
.LBB7_1264:
	s_mov_b32 s1, -1
                                        ; implicit-def: $vgpr0_vgpr1
.LBB7_1265:
	s_delay_alu instid0(SALU_CYCLE_1)
	s_and_not1_b32 vcc_lo, exec_lo, s1
	s_cbranch_vccnz .LBB7_1267
; %bb.1266:
	s_wait_loadcnt 0x0
	global_load_b32 v0, v[4:5], off
	s_wait_loadcnt 0x0
	s_wait_xcnt 0x1
	v_cvt_f64_f32_e32 v[0:1], v0
.LBB7_1267:
	s_mov_b32 s1, 0
.LBB7_1268:
	s_delay_alu instid0(SALU_CYCLE_1)
	s_and_not1_b32 vcc_lo, exec_lo, s1
	s_cbranch_vccnz .LBB7_1270
; %bb.1269:
	s_wait_loadcnt 0x0
	global_load_u16 v0, v[4:5], off
	s_wait_loadcnt 0x0
	v_cvt_f32_f16_e32 v0, v0
	s_wait_xcnt 0x1
	s_delay_alu instid0(VALU_DEP_1)
	v_cvt_f64_f32_e32 v[0:1], v0
.LBB7_1270:
	s_cbranch_execnz .LBB7_1289
.LBB7_1271:
	s_cmp_lt_i32 s0, 2
	s_cbranch_scc1 .LBB7_1275
; %bb.1272:
	s_cmp_lt_i32 s0, 3
	s_cbranch_scc1 .LBB7_1276
; %bb.1273:
	s_cmp_gt_i32 s0, 3
	s_cbranch_scc0 .LBB7_1277
; %bb.1274:
	s_wait_loadcnt 0x0
	global_load_b64 v[0:1], v[4:5], off
	s_mov_b32 s1, 0
	s_wait_loadcnt 0x0
	v_cvt_f64_i32_e32 v[18:19], v1
	v_cvt_f64_u32_e32 v[0:1], v0
	s_delay_alu instid0(VALU_DEP_2) | instskip(NEXT) | instid1(VALU_DEP_1)
	v_ldexp_f64 v[18:19], v[18:19], 32
	v_add_f64_e32 v[0:1], v[18:19], v[0:1]
	s_branch .LBB7_1278
.LBB7_1275:
                                        ; implicit-def: $vgpr0_vgpr1
	s_branch .LBB7_1284
.LBB7_1276:
	s_mov_b32 s1, -1
                                        ; implicit-def: $vgpr0_vgpr1
	s_branch .LBB7_1281
.LBB7_1277:
	s_mov_b32 s1, -1
                                        ; implicit-def: $vgpr0_vgpr1
.LBB7_1278:
	s_delay_alu instid0(SALU_CYCLE_1)
	s_and_not1_b32 vcc_lo, exec_lo, s1
	s_cbranch_vccnz .LBB7_1280
; %bb.1279:
	s_wait_loadcnt 0x0
	global_load_b32 v0, v[4:5], off
	s_wait_loadcnt 0x0
	s_wait_xcnt 0x1
	v_cvt_f64_i32_e32 v[0:1], v0
.LBB7_1280:
	s_mov_b32 s1, 0
.LBB7_1281:
	s_delay_alu instid0(SALU_CYCLE_1)
	s_and_not1_b32 vcc_lo, exec_lo, s1
	s_cbranch_vccnz .LBB7_1283
; %bb.1282:
	s_wait_loadcnt 0x0
	global_load_i16 v0, v[4:5], off
	s_wait_loadcnt 0x0
	s_wait_xcnt 0x1
	v_cvt_f64_i32_e32 v[0:1], v0
.LBB7_1283:
	s_cbranch_execnz .LBB7_1289
.LBB7_1284:
	s_cmp_gt_i32 s0, 0
	s_mov_b32 s0, 0
	s_cbranch_scc0 .LBB7_1286
; %bb.1285:
	s_wait_loadcnt 0x0
	global_load_i8 v0, v[4:5], off
	s_wait_loadcnt 0x0
	s_wait_xcnt 0x1
	v_cvt_f64_i32_e32 v[0:1], v0
	s_branch .LBB7_1287
.LBB7_1286:
	s_mov_b32 s0, -1
                                        ; implicit-def: $vgpr0_vgpr1
.LBB7_1287:
	s_delay_alu instid0(SALU_CYCLE_1)
	s_and_not1_b32 vcc_lo, exec_lo, s0
	s_cbranch_vccnz .LBB7_1289
; %bb.1288:
	s_wait_loadcnt 0x0
	global_load_u8 v0, v[4:5], off
	s_wait_loadcnt 0x0
	s_wait_xcnt 0x1
	v_cvt_f64_u32_e32 v[0:1], v0
.LBB7_1289:
.LBB7_1290:
	s_wait_loadcnt 0x0
	s_delay_alu instid0(VALU_DEP_1) | instskip(SKIP_1) | instid1(VALU_DEP_1)
	v_mul_f64_e32 v[4:5], s[8:9], v[0:1]
	s_mov_b32 s16, exec_lo
	v_cmpx_nlt_f64_e32 s[10:11], v[4:5]
	s_cbranch_execz .LBB7_1292
; %bb.1291:
	v_mul_f64_e32 v[0:1], 0x3ff71547652b82fe, v[4:5]
	s_mov_b64 s[0:1], 0x3e5ade156a5dcb37
	v_cmp_nlt_f64_e32 vcc_lo, 0x40900000, v[4:5]
	s_delay_alu instid0(VALU_DEP_2) | instskip(NEXT) | instid1(VALU_DEP_1)
	v_rndne_f64_e32 v[0:1], v[0:1]
	v_fmamk_f64 v[18:19], v[0:1], 0xbfe62e42fefa39ef, v[4:5]
	v_cvt_i32_f64_e32 v3, v[0:1]
	s_delay_alu instid0(VALU_DEP_2) | instskip(NEXT) | instid1(VALU_DEP_1)
	v_fmamk_f64 v[18:19], v[0:1], 0xbc7abc9e3b39803f, v[18:19]
	v_fmaak_f64 v[20:21], s[0:1], v[18:19], 0x3e928af3fca7ab0c
	v_cmp_ngt_f64_e64 s0, 0xc090cc00, v[4:5]
	s_delay_alu instid0(VALU_DEP_2) | instskip(NEXT) | instid1(VALU_DEP_1)
	v_fmaak_f64 v[20:21], v[18:19], v[20:21], 0x3ec71dee623fde64
	v_fmaak_f64 v[20:21], v[18:19], v[20:21], 0x3efa01997c89e6b0
	s_delay_alu instid0(VALU_DEP_1) | instskip(NEXT) | instid1(VALU_DEP_1)
	v_fmaak_f64 v[20:21], v[18:19], v[20:21], 0x3f2a01a014761f6e
	v_fmaak_f64 v[20:21], v[18:19], v[20:21], 0x3f56c16c1852b7b0
	s_delay_alu instid0(VALU_DEP_1) | instskip(NEXT) | instid1(VALU_DEP_1)
	;; [unrolled: 3-line block ×4, first 2 shown]
	v_fma_f64 v[20:21], v[18:19], v[20:21], 1.0
	v_fma_f64 v[0:1], v[18:19], v[20:21], 1.0
	s_delay_alu instid0(VALU_DEP_1) | instskip(NEXT) | instid1(VALU_DEP_1)
	v_ldexp_f64 v[0:1], v[0:1], v3
	v_cndmask_b32_e32 v1, 0x7ff00000, v1, vcc_lo
	s_and_b32 vcc_lo, s0, vcc_lo
	s_delay_alu instid0(VALU_DEP_1) | instid1(SALU_CYCLE_1)
	v_dual_cndmask_b32 v0, 0, v0, vcc_lo :: v_dual_cndmask_b32 v1, 0, v1, s0
	s_mov_b64 s[0:1], 0x3fe5555555555555
	s_delay_alu instid0(VALU_DEP_1) | instskip(NEXT) | instid1(VALU_DEP_1)
	v_add_f64_e32 v[4:5], 1.0, v[0:1]
	v_frexp_mant_f64_e32 v[18:19], v[4:5]
	v_frexp_exp_i32_f64_e32 v3, v[4:5]
	s_delay_alu instid0(VALU_DEP_2) | instskip(SKIP_1) | instid1(VALU_DEP_2)
	v_cmp_gt_f64_e32 vcc_lo, s[0:1], v[18:19]
	s_mov_b64 s[0:1], 0x3fc3ab76bf559e2b
	v_subrev_co_ci_u32_e64 v3, null, 0, v3, vcc_lo
	v_cmp_nge_f64_e32 vcc_lo, -1.0, v[0:1]
	s_delay_alu instid0(VALU_DEP_2) | instskip(NEXT) | instid1(VALU_DEP_1)
	v_dual_add_f64 v[20:21], -1.0, v[4:5] :: v_dual_sub_nc_u32 v7, 0, v3
	v_add_f64_e64 v[18:19], v[20:21], -v[4:5]
	s_delay_alu instid0(VALU_DEP_2) | instskip(SKIP_1) | instid1(VALU_DEP_3)
	v_ldexp_f64 v[4:5], v[4:5], v7
	v_add_f64_e64 v[20:21], v[0:1], -v[20:21]
	v_add_f64_e32 v[18:19], 1.0, v[18:19]
	s_delay_alu instid0(VALU_DEP_3) | instskip(SKIP_1) | instid1(VALU_DEP_3)
	v_add_f64_e32 v[22:23], 1.0, v[4:5]
	v_add_f64_e32 v[28:29], -1.0, v[4:5]
	v_add_f64_e32 v[18:19], v[20:21], v[18:19]
	s_delay_alu instid0(VALU_DEP_3) | instskip(NEXT) | instid1(VALU_DEP_3)
	v_add_f64_e32 v[20:21], -1.0, v[22:23]
	v_add_f64_e32 v[30:31], 1.0, v[28:29]
	s_delay_alu instid0(VALU_DEP_3) | instskip(NEXT) | instid1(VALU_DEP_3)
	v_ldexp_f64 v[18:19], v[18:19], v7
	v_add_f64_e64 v[20:21], v[4:5], -v[20:21]
	s_delay_alu instid0(VALU_DEP_3) | instskip(NEXT) | instid1(VALU_DEP_2)
	v_add_f64_e64 v[4:5], v[4:5], -v[30:31]
	v_add_f64_e32 v[20:21], v[18:19], v[20:21]
	s_delay_alu instid0(VALU_DEP_2) | instskip(NEXT) | instid1(VALU_DEP_2)
	v_add_f64_e32 v[4:5], v[18:19], v[4:5]
	v_add_f64_e32 v[24:25], v[22:23], v[20:21]
	s_delay_alu instid0(VALU_DEP_2) | instskip(NEXT) | instid1(VALU_DEP_2)
	v_add_f64_e32 v[30:31], v[28:29], v[4:5]
	v_rcp_f64_e32 v[26:27], v[24:25]
	v_add_f64_e64 v[22:23], v[24:25], -v[22:23]
	s_delay_alu instid0(VALU_DEP_2) | instskip(NEXT) | instid1(VALU_DEP_2)
	v_add_f64_e64 v[28:29], v[30:31], -v[28:29]
	v_add_f64_e64 v[20:21], v[20:21], -v[22:23]
	s_delay_alu instid0(VALU_DEP_2) | instskip(NEXT) | instid1(TRANS32_DEP_1)
	v_add_f64_e64 v[4:5], v[4:5], -v[28:29]
	v_fma_f64 v[32:33], -v[24:25], v[26:27], 1.0
	s_delay_alu instid0(VALU_DEP_1) | instskip(NEXT) | instid1(VALU_DEP_1)
	v_fmac_f64_e32 v[26:27], v[32:33], v[26:27]
	v_fma_f64 v[18:19], -v[24:25], v[26:27], 1.0
	s_delay_alu instid0(VALU_DEP_1) | instskip(NEXT) | instid1(VALU_DEP_1)
	v_fmac_f64_e32 v[26:27], v[18:19], v[26:27]
	v_mul_f64_e32 v[18:19], v[30:31], v[26:27]
	s_delay_alu instid0(VALU_DEP_1) | instskip(NEXT) | instid1(VALU_DEP_1)
	v_mul_f64_e32 v[32:33], v[24:25], v[18:19]
	v_fma_f64 v[22:23], v[18:19], v[24:25], -v[32:33]
	s_delay_alu instid0(VALU_DEP_1) | instskip(NEXT) | instid1(VALU_DEP_1)
	v_fmac_f64_e32 v[22:23], v[18:19], v[20:21]
	v_add_f64_e32 v[34:35], v[32:33], v[22:23]
	s_delay_alu instid0(VALU_DEP_1) | instskip(SKIP_1) | instid1(VALU_DEP_2)
	v_add_f64_e64 v[36:37], v[30:31], -v[34:35]
	v_add_f64_e64 v[28:29], v[34:35], -v[32:33]
	;; [unrolled: 1-line block ×3, first 2 shown]
	s_delay_alu instid0(VALU_DEP_2) | instskip(NEXT) | instid1(VALU_DEP_2)
	v_add_f64_e64 v[22:23], v[28:29], -v[22:23]
	v_add_f64_e64 v[30:31], v[30:31], -v[34:35]
	s_delay_alu instid0(VALU_DEP_1) | instskip(NEXT) | instid1(VALU_DEP_1)
	v_add_f64_e32 v[4:5], v[4:5], v[30:31]
	v_add_f64_e32 v[4:5], v[22:23], v[4:5]
	s_delay_alu instid0(VALU_DEP_1) | instskip(NEXT) | instid1(VALU_DEP_1)
	v_add_f64_e32 v[22:23], v[36:37], v[4:5]
	v_mul_f64_e32 v[28:29], v[26:27], v[22:23]
	v_add_f64_e64 v[34:35], v[36:37], -v[22:23]
	s_delay_alu instid0(VALU_DEP_2) | instskip(NEXT) | instid1(VALU_DEP_2)
	v_mul_f64_e32 v[30:31], v[24:25], v[28:29]
	v_add_f64_e32 v[4:5], v[4:5], v[34:35]
	s_delay_alu instid0(VALU_DEP_2) | instskip(NEXT) | instid1(VALU_DEP_1)
	v_fma_f64 v[24:25], v[28:29], v[24:25], -v[30:31]
	v_fmac_f64_e32 v[24:25], v[28:29], v[20:21]
	s_delay_alu instid0(VALU_DEP_1) | instskip(NEXT) | instid1(VALU_DEP_1)
	v_add_f64_e32 v[20:21], v[30:31], v[24:25]
	v_add_f64_e64 v[32:33], v[22:23], -v[20:21]
	v_add_f64_e64 v[30:31], v[20:21], -v[30:31]
	s_delay_alu instid0(VALU_DEP_2) | instskip(NEXT) | instid1(VALU_DEP_1)
	v_add_f64_e64 v[22:23], v[22:23], -v[32:33]
	v_add_f64_e64 v[20:21], v[22:23], -v[20:21]
	s_delay_alu instid0(VALU_DEP_3) | instskip(NEXT) | instid1(VALU_DEP_2)
	v_add_f64_e64 v[22:23], v[30:31], -v[24:25]
	v_add_f64_e32 v[4:5], v[4:5], v[20:21]
	v_add_f64_e32 v[20:21], v[18:19], v[28:29]
	s_delay_alu instid0(VALU_DEP_2) | instskip(NEXT) | instid1(VALU_DEP_2)
	v_add_f64_e32 v[4:5], v[22:23], v[4:5]
	v_add_f64_e64 v[18:19], v[20:21], -v[18:19]
	s_delay_alu instid0(VALU_DEP_2) | instskip(NEXT) | instid1(VALU_DEP_2)
	v_add_f64_e32 v[4:5], v[32:33], v[4:5]
	v_add_f64_e64 v[18:19], v[28:29], -v[18:19]
	s_delay_alu instid0(VALU_DEP_2) | instskip(NEXT) | instid1(VALU_DEP_1)
	v_mul_f64_e32 v[4:5], v[26:27], v[4:5]
	v_add_f64_e32 v[4:5], v[18:19], v[4:5]
	s_delay_alu instid0(VALU_DEP_1) | instskip(NEXT) | instid1(VALU_DEP_1)
	v_add_f64_e32 v[18:19], v[20:21], v[4:5]
	v_mul_f64_e32 v[22:23], v[18:19], v[18:19]
	s_delay_alu instid0(VALU_DEP_1) | instskip(SKIP_2) | instid1(VALU_DEP_2)
	v_fmaak_f64 v[24:25], s[0:1], v[22:23], 0x3fc385386b47b09a
	v_mul_f64_e32 v[26:27], v[18:19], v[22:23]
	s_mov_b64 s[0:1], 0x3fe62e42fefa39ef
	v_fmaak_f64 v[24:25], v[22:23], v[24:25], 0x3fc7474dd7f4df2e
	s_delay_alu instid0(VALU_DEP_1) | instskip(NEXT) | instid1(VALU_DEP_1)
	v_fmaak_f64 v[24:25], v[22:23], v[24:25], 0x3fcc71c016291751
	v_fmaak_f64 v[24:25], v[22:23], v[24:25], 0x3fd249249b27acf1
	s_delay_alu instid0(VALU_DEP_1) | instskip(NEXT) | instid1(VALU_DEP_1)
	v_fmaak_f64 v[24:25], v[22:23], v[24:25], 0x3fd99999998ef7b6
	v_fmaak_f64 v[22:23], v[22:23], v[24:25], 0x3fe5555555555780
	v_ldexp_f64 v[24:25], v[18:19], 1
	v_add_f64_e64 v[18:19], v[18:19], -v[20:21]
	s_delay_alu instid0(VALU_DEP_3) | instskip(SKIP_1) | instid1(VALU_DEP_3)
	v_mul_f64_e32 v[22:23], v[26:27], v[22:23]
	v_cvt_f64_i32_e32 v[26:27], v3
	v_add_f64_e64 v[4:5], v[4:5], -v[18:19]
	s_delay_alu instid0(VALU_DEP_3) | instskip(NEXT) | instid1(VALU_DEP_2)
	v_add_f64_e32 v[20:21], v[24:25], v[22:23]
	v_ldexp_f64 v[4:5], v[4:5], 1
	s_delay_alu instid0(VALU_DEP_2) | instskip(SKIP_1) | instid1(VALU_DEP_2)
	v_add_f64_e64 v[18:19], v[20:21], -v[24:25]
	v_mul_f64_e32 v[24:25], 0x3fe62e42fefa39ef, v[26:27]
	v_add_f64_e64 v[18:19], v[22:23], -v[18:19]
	s_delay_alu instid0(VALU_DEP_2) | instskip(SKIP_2) | instid1(VALU_DEP_4)
	v_fma_f64 v[22:23], v[26:27], s[0:1], -v[24:25]
	v_cmp_neq_f64_e64 s0, 0x7ff00000, v[0:1]
	v_cmp_ngt_f64_e64 s1, -1.0, v[0:1]
	v_add_f64_e32 v[4:5], v[4:5], v[18:19]
	s_delay_alu instid0(VALU_DEP_4) | instskip(SKIP_1) | instid1(VALU_DEP_1)
	v_fmamk_f64 v[18:19], v[26:27], 0x3c7abc9e3b39803f, v[22:23]
	s_and_b32 vcc_lo, vcc_lo, s0
	v_add_f64_e32 v[22:23], v[24:25], v[18:19]
	s_delay_alu instid0(VALU_DEP_3) | instskip(NEXT) | instid1(VALU_DEP_2)
	v_add_f64_e32 v[26:27], v[20:21], v[4:5]
	v_add_f64_e64 v[24:25], v[22:23], -v[24:25]
	s_delay_alu instid0(VALU_DEP_2) | instskip(SKIP_1) | instid1(VALU_DEP_3)
	v_add_f64_e32 v[28:29], v[22:23], v[26:27]
	v_add_f64_e64 v[20:21], v[26:27], -v[20:21]
	v_add_f64_e64 v[18:19], v[18:19], -v[24:25]
	s_delay_alu instid0(VALU_DEP_3) | instskip(NEXT) | instid1(VALU_DEP_3)
	v_add_f64_e64 v[30:31], v[28:29], -v[22:23]
	v_add_f64_e64 v[4:5], v[4:5], -v[20:21]
	s_delay_alu instid0(VALU_DEP_2) | instskip(SKIP_1) | instid1(VALU_DEP_3)
	v_add_f64_e64 v[32:33], v[28:29], -v[30:31]
	v_add_f64_e64 v[20:21], v[26:27], -v[30:31]
	v_add_f64_e32 v[24:25], v[18:19], v[4:5]
	s_delay_alu instid0(VALU_DEP_3) | instskip(NEXT) | instid1(VALU_DEP_1)
	v_add_f64_e64 v[22:23], v[22:23], -v[32:33]
	v_add_f64_e32 v[20:21], v[20:21], v[22:23]
	s_delay_alu instid0(VALU_DEP_3) | instskip(NEXT) | instid1(VALU_DEP_2)
	v_add_f64_e64 v[22:23], v[24:25], -v[18:19]
	v_add_f64_e32 v[20:21], v[24:25], v[20:21]
	s_delay_alu instid0(VALU_DEP_2) | instskip(SKIP_1) | instid1(VALU_DEP_3)
	v_add_f64_e64 v[24:25], v[24:25], -v[22:23]
	v_add_f64_e64 v[4:5], v[4:5], -v[22:23]
	v_add_f64_e32 v[26:27], v[28:29], v[20:21]
	s_delay_alu instid0(VALU_DEP_3) | instskip(NEXT) | instid1(VALU_DEP_2)
	v_add_f64_e64 v[18:19], v[18:19], -v[24:25]
	v_add_f64_e64 v[22:23], v[26:27], -v[28:29]
	s_delay_alu instid0(VALU_DEP_2) | instskip(NEXT) | instid1(VALU_DEP_2)
	v_add_f64_e32 v[4:5], v[4:5], v[18:19]
	v_add_f64_e64 v[18:19], v[20:21], -v[22:23]
	s_delay_alu instid0(VALU_DEP_1) | instskip(NEXT) | instid1(VALU_DEP_1)
	v_add_f64_e32 v[4:5], v[4:5], v[18:19]
	v_add_f64_e32 v[4:5], v[26:27], v[4:5]
	s_delay_alu instid0(VALU_DEP_1) | instskip(SKIP_1) | instid1(VALU_DEP_3)
	v_cndmask_b32_e32 v4, 0, v4, vcc_lo
	v_cmp_neq_f64_e32 vcc_lo, -1.0, v[0:1]
	v_cndmask_b32_e64 v3, 0x7ff00000, v5, s0
	s_delay_alu instid0(VALU_DEP_1) | instskip(NEXT) | instid1(VALU_DEP_1)
	v_cndmask_b32_e64 v3, 0x7ff80000, v3, s1
	v_cndmask_b32_e32 v5, 0xfff00000, v3, vcc_lo
	s_delay_alu instid0(VALU_DEP_1) | instskip(NEXT) | instid1(VALU_DEP_1)
	v_div_scale_f64 v[0:1], null, s[8:9], s[8:9], v[4:5]
	v_rcp_f64_e32 v[18:19], v[0:1]
	v_nop
	s_delay_alu instid0(TRANS32_DEP_1) | instskip(NEXT) | instid1(VALU_DEP_1)
	v_fma_f64 v[20:21], -v[0:1], v[18:19], 1.0
	v_fmac_f64_e32 v[18:19], v[18:19], v[20:21]
	s_delay_alu instid0(VALU_DEP_1) | instskip(NEXT) | instid1(VALU_DEP_1)
	v_fma_f64 v[20:21], -v[0:1], v[18:19], 1.0
	v_fmac_f64_e32 v[18:19], v[18:19], v[20:21]
	v_div_scale_f64 v[20:21], vcc_lo, v[4:5], s[8:9], v[4:5]
	s_delay_alu instid0(VALU_DEP_1) | instskip(NEXT) | instid1(VALU_DEP_1)
	v_mul_f64_e32 v[22:23], v[20:21], v[18:19]
	v_fma_f64 v[0:1], -v[0:1], v[22:23], v[20:21]
	s_delay_alu instid0(VALU_DEP_1) | instskip(NEXT) | instid1(VALU_DEP_1)
	v_div_fmas_f64 v[0:1], v[0:1], v[18:19], v[22:23]
	v_div_fixup_f64 v[0:1], v[0:1], s[8:9], v[4:5]
.LBB7_1292:
	s_or_b32 exec_lo, exec_lo, s16
	v_mov_b32_e32 v17, 0
	s_and_b32 s15, 0xffff, s15
	s_delay_alu instid0(SALU_CYCLE_1) | instskip(NEXT) | instid1(VALU_DEP_1)
	s_cmp_lt_i32 s15, 11
	v_add_nc_u64_e32 v[16:17], s[6:7], v[16:17]
	s_cbranch_scc1 .LBB7_1299
; %bb.1293:
	s_cmp_gt_i32 s15, 25
	s_mov_b32 s1, 0
	s_cbranch_scc0 .LBB7_1301
; %bb.1294:
	s_cmp_gt_i32 s15, 28
	s_cbranch_scc0 .LBB7_1302
; %bb.1295:
	s_cmp_gt_i32 s15, 43
	;; [unrolled: 3-line block ×3, first 2 shown]
	s_cbranch_scc0 .LBB7_1305
; %bb.1297:
	s_cmp_eq_u32 s15, 46
	s_mov_b32 s17, 0
	s_cbranch_scc0 .LBB7_1308
; %bb.1298:
	global_load_b32 v3, v[16:17], off
	s_mov_b32 s0, 0
	s_mov_b32 s16, -1
	s_wait_loadcnt 0x0
	v_lshlrev_b32_e32 v3, 16, v3
	s_delay_alu instid0(VALU_DEP_1)
	v_cvt_f64_f32_e32 v[4:5], v3
	s_branch .LBB7_1310
.LBB7_1299:
	s_mov_b32 s16, 0
                                        ; implicit-def: $vgpr4_vgpr5
	s_cbranch_execnz .LBB7_1375
.LBB7_1300:
	s_and_not1_b32 vcc_lo, exec_lo, s16
	s_cbranch_vccnz .LBB7_1767
	s_branch .LBB7_1422
.LBB7_1301:
	s_mov_b32 s16, 0
	s_mov_b32 s0, 0
                                        ; implicit-def: $vgpr4_vgpr5
	s_cbranch_execnz .LBB7_1339
	s_branch .LBB7_1371
.LBB7_1302:
	s_mov_b32 s17, -1
	s_mov_b32 s16, 0
	s_mov_b32 s0, 0
                                        ; implicit-def: $vgpr4_vgpr5
	s_branch .LBB7_1320
.LBB7_1303:
	s_mov_b32 s17, -1
	s_mov_b32 s16, 0
	s_mov_b32 s0, 0
                                        ; implicit-def: $vgpr4_vgpr5
	s_branch .LBB7_1315
.LBB7_1304:
	s_or_b32 s14, s12, exec_lo
	s_trap 2
	s_cbranch_execz .LBB7_1243
	s_branch .LBB7_1244
.LBB7_1305:
	s_mov_b32 s17, -1
	s_mov_b32 s16, 0
	s_mov_b32 s0, 0
	s_branch .LBB7_1309
.LBB7_1306:
	s_and_not1_saveexec_b32 s10, s10
	s_cbranch_execz .LBB7_1029
.LBB7_1307:
	v_add_f32_e64 v3, 0x42800000, |v2|
	s_and_not1_b32 s9, s9, exec_lo
	s_delay_alu instid0(VALU_DEP_1) | instskip(NEXT) | instid1(VALU_DEP_1)
	v_and_b32_e32 v3, 0xff, v3
	v_cmp_ne_u32_e32 vcc_lo, 0, v3
	s_and_b32 s11, vcc_lo, exec_lo
	s_delay_alu instid0(SALU_CYCLE_1)
	s_or_b32 s9, s9, s11
	s_or_b32 exec_lo, exec_lo, s10
	v_mov_b32_e32 v6, 0
	s_and_saveexec_b32 s10, s9
	s_cbranch_execnz .LBB7_1030
	s_branch .LBB7_1031
.LBB7_1308:
	s_mov_b32 s0, -1
	s_mov_b32 s16, 0
.LBB7_1309:
                                        ; implicit-def: $vgpr4_vgpr5
.LBB7_1310:
	s_and_b32 vcc_lo, exec_lo, s17
	s_cbranch_vccz .LBB7_1314
; %bb.1311:
	s_cmp_eq_u32 s15, 44
	s_cbranch_scc0 .LBB7_1313
; %bb.1312:
	global_load_u8 v3, v[16:17], off
	s_mov_b32 s0, 0
	s_mov_b32 s16, -1
	s_wait_loadcnt 0x0
	v_cmp_ne_u32_e32 vcc_lo, 0xff, v3
	v_lshlrev_b32_e32 v4, 23, v3
	s_delay_alu instid0(VALU_DEP_1) | instskip(NEXT) | instid1(VALU_DEP_1)
	v_cvt_f64_f32_e32 v[4:5], v4
	v_cndmask_b32_e32 v4, 0x20000000, v4, vcc_lo
	s_delay_alu instid0(VALU_DEP_2) | instskip(SKIP_1) | instid1(VALU_DEP_2)
	v_cndmask_b32_e32 v5, 0x7ff80000, v5, vcc_lo
	v_cmp_ne_u32_e32 vcc_lo, 0, v3
	v_cndmask_b32_e32 v5, 0x38000000, v5, vcc_lo
	s_delay_alu instid0(VALU_DEP_4)
	v_cndmask_b32_e32 v4, 0, v4, vcc_lo
	s_branch .LBB7_1314
.LBB7_1313:
	s_mov_b32 s0, -1
                                        ; implicit-def: $vgpr4_vgpr5
.LBB7_1314:
	s_mov_b32 s17, 0
.LBB7_1315:
	s_delay_alu instid0(SALU_CYCLE_1)
	s_and_b32 vcc_lo, exec_lo, s17
	s_cbranch_vccz .LBB7_1319
; %bb.1316:
	s_cmp_eq_u32 s15, 29
	s_cbranch_scc0 .LBB7_1318
; %bb.1317:
	global_load_b64 v[4:5], v[16:17], off
	s_mov_b32 s0, 0
	s_mov_b32 s16, -1
	s_mov_b32 s17, 0
	s_wait_loadcnt 0x0
	v_cvt_f64_u32_e32 v[18:19], v5
	v_cvt_f64_u32_e32 v[4:5], v4
	s_delay_alu instid0(VALU_DEP_2) | instskip(NEXT) | instid1(VALU_DEP_1)
	v_ldexp_f64 v[18:19], v[18:19], 32
	v_add_f64_e32 v[4:5], v[18:19], v[4:5]
	s_branch .LBB7_1320
.LBB7_1318:
	s_mov_b32 s0, -1
                                        ; implicit-def: $vgpr4_vgpr5
.LBB7_1319:
	s_mov_b32 s17, 0
.LBB7_1320:
	s_delay_alu instid0(SALU_CYCLE_1)
	s_and_b32 vcc_lo, exec_lo, s17
	s_cbranch_vccz .LBB7_1338
; %bb.1321:
	s_cmp_lt_i32 s15, 27
	s_cbranch_scc1 .LBB7_1324
; %bb.1322:
	s_cmp_gt_i32 s15, 27
	s_cbranch_scc0 .LBB7_1325
; %bb.1323:
	global_load_b32 v3, v[16:17], off
	s_mov_b32 s16, 0
	s_wait_loadcnt 0x0
	v_cvt_f64_u32_e32 v[4:5], v3
	s_branch .LBB7_1326
.LBB7_1324:
	s_mov_b32 s16, -1
                                        ; implicit-def: $vgpr4_vgpr5
	s_branch .LBB7_1329
.LBB7_1325:
	s_mov_b32 s16, -1
                                        ; implicit-def: $vgpr4_vgpr5
.LBB7_1326:
	s_delay_alu instid0(SALU_CYCLE_1)
	s_and_not1_b32 vcc_lo, exec_lo, s16
	s_cbranch_vccnz .LBB7_1328
; %bb.1327:
	global_load_u16 v3, v[16:17], off
	s_wait_loadcnt 0x0
	v_cvt_f64_u32_e32 v[4:5], v3
.LBB7_1328:
	s_mov_b32 s16, 0
.LBB7_1329:
	s_delay_alu instid0(SALU_CYCLE_1)
	s_and_not1_b32 vcc_lo, exec_lo, s16
	s_cbranch_vccnz .LBB7_1337
; %bb.1330:
	global_load_u8 v3, v[16:17], off
	s_mov_b32 s16, 0
	s_mov_b32 s17, exec_lo
	s_wait_loadcnt 0x0
	v_cmpx_lt_i16_e32 0x7f, v3
	s_xor_b32 s17, exec_lo, s17
	s_cbranch_execz .LBB7_1350
; %bb.1331:
	s_mov_b32 s16, -1
	s_mov_b32 s18, exec_lo
	v_cmpx_eq_u16_e32 0x80, v3
; %bb.1332:
	s_xor_b32 s16, exec_lo, -1
; %bb.1333:
	s_or_b32 exec_lo, exec_lo, s18
	s_delay_alu instid0(SALU_CYCLE_1)
	s_and_b32 s16, s16, exec_lo
	s_or_saveexec_b32 s17, s17
	v_mov_b64_e32 v[4:5], 0x7ff8000020000000
	s_xor_b32 exec_lo, exec_lo, s17
	s_cbranch_execnz .LBB7_1351
.LBB7_1334:
	s_or_b32 exec_lo, exec_lo, s17
	s_and_saveexec_b32 s17, s16
	s_cbranch_execz .LBB7_1336
.LBB7_1335:
	v_and_b32_e32 v4, 0xffff, v3
	s_delay_alu instid0(VALU_DEP_1) | instskip(SKIP_1) | instid1(VALU_DEP_2)
	v_and_b32_e32 v5, 7, v4
	v_bfe_u32 v11, v4, 3, 4
	v_clz_i32_u32_e32 v7, v5
	s_delay_alu instid0(VALU_DEP_2) | instskip(NEXT) | instid1(VALU_DEP_2)
	v_cmp_eq_u32_e32 vcc_lo, 0, v11
	v_min_u32_e32 v7, 32, v7
	s_delay_alu instid0(VALU_DEP_1) | instskip(NEXT) | instid1(VALU_DEP_1)
	v_subrev_nc_u32_e32 v9, 28, v7
	v_dual_lshlrev_b32 v4, v9, v4 :: v_dual_sub_nc_u32 v7, 29, v7
	s_delay_alu instid0(VALU_DEP_1) | instskip(NEXT) | instid1(VALU_DEP_1)
	v_dual_lshlrev_b32 v3, 24, v3 :: v_dual_bitop2_b32 v4, 7, v4 bitop3:0x40
	v_dual_cndmask_b32 v4, v5, v4 :: v_dual_cndmask_b32 v7, v11, v7
	s_delay_alu instid0(VALU_DEP_2) | instskip(NEXT) | instid1(VALU_DEP_2)
	v_and_b32_e32 v3, 0x80000000, v3
	v_lshlrev_b32_e32 v4, 20, v4
	s_delay_alu instid0(VALU_DEP_3) | instskip(NEXT) | instid1(VALU_DEP_1)
	v_lshl_add_u32 v5, v7, 23, 0x3b800000
	v_or3_b32 v3, v3, v5, v4
	s_delay_alu instid0(VALU_DEP_1)
	v_cvt_f64_f32_e32 v[4:5], v3
.LBB7_1336:
	s_or_b32 exec_lo, exec_lo, s17
.LBB7_1337:
	s_mov_b32 s16, -1
.LBB7_1338:
	s_branch .LBB7_1371
.LBB7_1339:
	s_cmp_gt_i32 s15, 22
	s_cbranch_scc0 .LBB7_1349
; %bb.1340:
	s_cmp_lt_i32 s15, 24
	s_cbranch_scc1 .LBB7_1352
; %bb.1341:
	s_cmp_gt_i32 s15, 24
	s_cbranch_scc0 .LBB7_1353
; %bb.1342:
	global_load_u8 v3, v[16:17], off
	s_mov_b32 s16, exec_lo
	s_wait_loadcnt 0x0
	v_cmpx_lt_i16_e32 0x7f, v3
	s_xor_b32 s16, exec_lo, s16
	s_cbranch_execz .LBB7_1365
; %bb.1343:
	s_mov_b32 s1, -1
	s_mov_b32 s17, exec_lo
	v_cmpx_eq_u16_e32 0x80, v3
; %bb.1344:
	s_xor_b32 s1, exec_lo, -1
; %bb.1345:
	s_or_b32 exec_lo, exec_lo, s17
	s_delay_alu instid0(SALU_CYCLE_1)
	s_and_b32 s1, s1, exec_lo
	s_or_saveexec_b32 s16, s16
	v_mov_b64_e32 v[4:5], 0x7ff8000020000000
	s_xor_b32 exec_lo, exec_lo, s16
	s_cbranch_execnz .LBB7_1366
.LBB7_1346:
	s_or_b32 exec_lo, exec_lo, s16
	s_and_saveexec_b32 s16, s1
	s_cbranch_execz .LBB7_1348
.LBB7_1347:
	v_and_b32_e32 v4, 0xffff, v3
	s_delay_alu instid0(VALU_DEP_1) | instskip(SKIP_1) | instid1(VALU_DEP_2)
	v_and_b32_e32 v5, 3, v4
	v_bfe_u32 v11, v4, 2, 5
	v_clz_i32_u32_e32 v7, v5
	s_delay_alu instid0(VALU_DEP_2) | instskip(NEXT) | instid1(VALU_DEP_2)
	v_cmp_eq_u32_e32 vcc_lo, 0, v11
	v_min_u32_e32 v7, 32, v7
	s_delay_alu instid0(VALU_DEP_1) | instskip(NEXT) | instid1(VALU_DEP_1)
	v_subrev_nc_u32_e32 v9, 29, v7
	v_dual_lshlrev_b32 v4, v9, v4 :: v_dual_sub_nc_u32 v7, 30, v7
	s_delay_alu instid0(VALU_DEP_1) | instskip(NEXT) | instid1(VALU_DEP_1)
	v_dual_lshlrev_b32 v3, 24, v3 :: v_dual_bitop2_b32 v4, 3, v4 bitop3:0x40
	v_dual_cndmask_b32 v4, v5, v4 :: v_dual_cndmask_b32 v7, v11, v7
	s_delay_alu instid0(VALU_DEP_2) | instskip(NEXT) | instid1(VALU_DEP_2)
	v_and_b32_e32 v3, 0x80000000, v3
	v_lshlrev_b32_e32 v4, 21, v4
	s_delay_alu instid0(VALU_DEP_3) | instskip(NEXT) | instid1(VALU_DEP_1)
	v_lshl_add_u32 v5, v7, 23, 0x37800000
	v_or3_b32 v3, v3, v5, v4
	s_delay_alu instid0(VALU_DEP_1)
	v_cvt_f64_f32_e32 v[4:5], v3
.LBB7_1348:
	s_or_b32 exec_lo, exec_lo, s16
	s_mov_b32 s1, 0
	s_branch .LBB7_1354
.LBB7_1349:
	s_mov_b32 s1, -1
                                        ; implicit-def: $vgpr4_vgpr5
	s_branch .LBB7_1360
.LBB7_1350:
	s_or_saveexec_b32 s17, s17
	v_mov_b64_e32 v[4:5], 0x7ff8000020000000
	s_xor_b32 exec_lo, exec_lo, s17
	s_cbranch_execz .LBB7_1334
.LBB7_1351:
	v_cmp_ne_u16_e32 vcc_lo, 0, v3
	v_mov_b64_e32 v[4:5], 0
	s_and_not1_b32 s16, s16, exec_lo
	s_and_b32 s18, vcc_lo, exec_lo
	s_delay_alu instid0(SALU_CYCLE_1)
	s_or_b32 s16, s16, s18
	s_or_b32 exec_lo, exec_lo, s17
	s_and_saveexec_b32 s17, s16
	s_cbranch_execnz .LBB7_1335
	s_branch .LBB7_1336
.LBB7_1352:
	s_mov_b32 s1, -1
                                        ; implicit-def: $vgpr4_vgpr5
	s_branch .LBB7_1357
.LBB7_1353:
	s_mov_b32 s1, -1
                                        ; implicit-def: $vgpr4_vgpr5
.LBB7_1354:
	s_delay_alu instid0(SALU_CYCLE_1)
	s_and_b32 vcc_lo, exec_lo, s1
	s_cbranch_vccz .LBB7_1356
; %bb.1355:
	global_load_u8 v3, v[16:17], off
	s_wait_loadcnt 0x0
	v_lshlrev_b32_e32 v3, 24, v3
	s_delay_alu instid0(VALU_DEP_1) | instskip(NEXT) | instid1(VALU_DEP_1)
	v_and_b32_e32 v4, 0x7f000000, v3
	v_clz_i32_u32_e32 v5, v4
	v_cmp_ne_u32_e32 vcc_lo, 0, v4
	v_add_nc_u32_e32 v9, 0x1000000, v4
	s_delay_alu instid0(VALU_DEP_3) | instskip(NEXT) | instid1(VALU_DEP_1)
	v_min_u32_e32 v5, 32, v5
	v_sub_nc_u32_e64 v5, v5, 4 clamp
	s_delay_alu instid0(VALU_DEP_1) | instskip(NEXT) | instid1(VALU_DEP_1)
	v_dual_lshlrev_b32 v7, v5, v4 :: v_dual_lshlrev_b32 v5, 23, v5
	v_lshrrev_b32_e32 v7, 4, v7
	s_delay_alu instid0(VALU_DEP_1) | instskip(SKIP_1) | instid1(VALU_DEP_2)
	v_sub_nc_u32_e32 v5, v7, v5
	v_ashrrev_i32_e32 v7, 8, v9
	v_add_nc_u32_e32 v5, 0x3c000000, v5
	s_delay_alu instid0(VALU_DEP_1) | instskip(NEXT) | instid1(VALU_DEP_1)
	v_and_or_b32 v5, 0x7f800000, v7, v5
	v_cndmask_b32_e32 v4, 0, v5, vcc_lo
	s_delay_alu instid0(VALU_DEP_1) | instskip(NEXT) | instid1(VALU_DEP_1)
	v_and_or_b32 v3, 0x80000000, v3, v4
	v_cvt_f64_f32_e32 v[4:5], v3
.LBB7_1356:
	s_mov_b32 s1, 0
.LBB7_1357:
	s_delay_alu instid0(SALU_CYCLE_1)
	s_and_not1_b32 vcc_lo, exec_lo, s1
	s_cbranch_vccnz .LBB7_1359
; %bb.1358:
	global_load_u8 v3, v[16:17], off
	s_wait_loadcnt 0x0
	v_lshlrev_b32_e32 v4, 25, v3
	v_lshlrev_b16 v3, 8, v3
	s_delay_alu instid0(VALU_DEP_1) | instskip(NEXT) | instid1(VALU_DEP_3)
	v_and_or_b32 v7, 0x7f00, v3, 0.5
	v_lshrrev_b32_e32 v5, 4, v4
	v_bfe_i32 v3, v3, 0, 16
	s_delay_alu instid0(VALU_DEP_3) | instskip(NEXT) | instid1(VALU_DEP_3)
	v_add_f32_e32 v7, -0.5, v7
	v_or_b32_e32 v5, 0x70000000, v5
	s_delay_alu instid0(VALU_DEP_1) | instskip(SKIP_1) | instid1(VALU_DEP_2)
	v_mul_f32_e32 v5, 0x7800000, v5
	v_cmp_gt_u32_e32 vcc_lo, 0x8000000, v4
	v_cndmask_b32_e32 v4, v5, v7, vcc_lo
	s_delay_alu instid0(VALU_DEP_1) | instskip(NEXT) | instid1(VALU_DEP_1)
	v_and_or_b32 v3, 0x80000000, v3, v4
	v_cvt_f64_f32_e32 v[4:5], v3
.LBB7_1359:
	s_mov_b32 s1, 0
	s_mov_b32 s16, -1
.LBB7_1360:
	s_and_not1_b32 vcc_lo, exec_lo, s1
	s_mov_b32 s1, 0
	s_cbranch_vccnz .LBB7_1371
; %bb.1361:
	s_cmp_gt_i32 s15, 14
	s_cbranch_scc0 .LBB7_1364
; %bb.1362:
	s_cmp_eq_u32 s15, 15
	s_cbranch_scc0 .LBB7_1367
; %bb.1363:
	global_load_u16 v3, v[16:17], off
	s_mov_b32 s0, 0
	s_mov_b32 s16, -1
	s_wait_loadcnt 0x0
	v_lshlrev_b32_e32 v3, 16, v3
	s_delay_alu instid0(VALU_DEP_1)
	v_cvt_f64_f32_e32 v[4:5], v3
	s_branch .LBB7_1369
.LBB7_1364:
	s_mov_b32 s1, -1
	s_branch .LBB7_1368
.LBB7_1365:
	s_or_saveexec_b32 s16, s16
	v_mov_b64_e32 v[4:5], 0x7ff8000020000000
	s_xor_b32 exec_lo, exec_lo, s16
	s_cbranch_execz .LBB7_1346
.LBB7_1366:
	v_cmp_ne_u16_e32 vcc_lo, 0, v3
	v_mov_b64_e32 v[4:5], 0
	s_and_not1_b32 s1, s1, exec_lo
	s_and_b32 s17, vcc_lo, exec_lo
	s_delay_alu instid0(SALU_CYCLE_1)
	s_or_b32 s1, s1, s17
	s_or_b32 exec_lo, exec_lo, s16
	s_and_saveexec_b32 s16, s1
	s_cbranch_execnz .LBB7_1347
	s_branch .LBB7_1348
.LBB7_1367:
	s_mov_b32 s0, -1
.LBB7_1368:
                                        ; implicit-def: $vgpr4_vgpr5
.LBB7_1369:
	s_and_b32 vcc_lo, exec_lo, s1
	s_mov_b32 s1, 0
	s_cbranch_vccz .LBB7_1371
; %bb.1370:
	s_cmp_lg_u32 s15, 11
	s_mov_b32 s1, -1
	s_cselect_b32 s0, -1, 0
.LBB7_1371:
	s_delay_alu instid0(SALU_CYCLE_1)
	s_and_b32 vcc_lo, exec_lo, s0
	s_cbranch_vccnz .LBB7_1436
; %bb.1372:
	s_and_not1_b32 vcc_lo, exec_lo, s1
	s_cbranch_vccnz .LBB7_1374
.LBB7_1373:
	global_load_u8 v3, v[16:17], off
	v_mov_b32_e32 v4, 0
	s_mov_b32 s16, -1
	s_wait_loadcnt 0x0
	v_cmp_ne_u16_e32 vcc_lo, 0, v3
	v_cndmask_b32_e64 v5, 0, 0x3ff00000, vcc_lo
.LBB7_1374:
	s_branch .LBB7_1300
.LBB7_1375:
	s_cmp_lt_i32 s15, 5
	s_cbranch_scc1 .LBB7_1380
; %bb.1376:
	s_cmp_lt_i32 s15, 8
	s_cbranch_scc1 .LBB7_1381
; %bb.1377:
	;; [unrolled: 3-line block ×3, first 2 shown]
	s_cmp_gt_i32 s15, 9
	s_cbranch_scc0 .LBB7_1383
; %bb.1379:
	global_load_b64 v[4:5], v[16:17], off
	s_mov_b32 s0, 0
	s_branch .LBB7_1384
.LBB7_1380:
                                        ; implicit-def: $vgpr4_vgpr5
	s_branch .LBB7_1402
.LBB7_1381:
	s_mov_b32 s0, -1
                                        ; implicit-def: $vgpr4_vgpr5
	s_branch .LBB7_1390
.LBB7_1382:
	s_mov_b32 s0, -1
                                        ; implicit-def: $vgpr4_vgpr5
	s_branch .LBB7_1387
.LBB7_1383:
	s_mov_b32 s0, -1
                                        ; implicit-def: $vgpr4_vgpr5
.LBB7_1384:
	s_delay_alu instid0(SALU_CYCLE_1)
	s_and_not1_b32 vcc_lo, exec_lo, s0
	s_cbranch_vccnz .LBB7_1386
; %bb.1385:
	global_load_b32 v3, v[16:17], off
	s_wait_loadcnt 0x0
	v_cvt_f64_f32_e32 v[4:5], v3
.LBB7_1386:
	s_mov_b32 s0, 0
.LBB7_1387:
	s_delay_alu instid0(SALU_CYCLE_1)
	s_and_not1_b32 vcc_lo, exec_lo, s0
	s_cbranch_vccnz .LBB7_1389
; %bb.1388:
	global_load_b32 v3, v[16:17], off
	s_wait_loadcnt 0x0
	v_cvt_f32_f16_e32 v3, v3
	s_delay_alu instid0(VALU_DEP_1)
	v_cvt_f64_f32_e32 v[4:5], v3
.LBB7_1389:
	s_mov_b32 s0, 0
.LBB7_1390:
	s_delay_alu instid0(SALU_CYCLE_1)
	s_and_not1_b32 vcc_lo, exec_lo, s0
	s_cbranch_vccnz .LBB7_1401
; %bb.1391:
	s_cmp_lt_i32 s15, 6
	s_cbranch_scc1 .LBB7_1394
; %bb.1392:
	s_cmp_gt_i32 s15, 6
	s_cbranch_scc0 .LBB7_1395
; %bb.1393:
	s_wait_loadcnt 0x0
	global_load_b64 v[4:5], v[16:17], off
	s_mov_b32 s0, 0
	s_branch .LBB7_1396
.LBB7_1394:
	s_mov_b32 s0, -1
                                        ; implicit-def: $vgpr4_vgpr5
	s_branch .LBB7_1399
.LBB7_1395:
	s_mov_b32 s0, -1
                                        ; implicit-def: $vgpr4_vgpr5
.LBB7_1396:
	s_delay_alu instid0(SALU_CYCLE_1)
	s_and_not1_b32 vcc_lo, exec_lo, s0
	s_cbranch_vccnz .LBB7_1398
; %bb.1397:
	global_load_b32 v3, v[16:17], off
	s_wait_loadcnt 0x0
	v_cvt_f64_f32_e32 v[4:5], v3
.LBB7_1398:
	s_mov_b32 s0, 0
.LBB7_1399:
	s_delay_alu instid0(SALU_CYCLE_1)
	s_and_not1_b32 vcc_lo, exec_lo, s0
	s_cbranch_vccnz .LBB7_1401
; %bb.1400:
	global_load_u16 v3, v[16:17], off
	s_wait_loadcnt 0x0
	v_cvt_f32_f16_e32 v3, v3
	s_delay_alu instid0(VALU_DEP_1)
	v_cvt_f64_f32_e32 v[4:5], v3
.LBB7_1401:
	s_cbranch_execnz .LBB7_1421
.LBB7_1402:
	s_cmp_lt_i32 s15, 2
	s_cbranch_scc1 .LBB7_1406
; %bb.1403:
	s_cmp_lt_i32 s15, 3
	s_cbranch_scc1 .LBB7_1407
; %bb.1404:
	s_cmp_gt_i32 s15, 3
	s_cbranch_scc0 .LBB7_1408
; %bb.1405:
	s_wait_loadcnt 0x0
	global_load_b64 v[4:5], v[16:17], off
	s_mov_b32 s0, 0
	s_wait_loadcnt 0x0
	v_cvt_f64_i32_e32 v[18:19], v5
	v_cvt_f64_u32_e32 v[4:5], v4
	s_delay_alu instid0(VALU_DEP_2) | instskip(NEXT) | instid1(VALU_DEP_1)
	v_ldexp_f64 v[18:19], v[18:19], 32
	v_add_f64_e32 v[4:5], v[18:19], v[4:5]
	s_branch .LBB7_1409
.LBB7_1406:
	s_mov_b32 s0, -1
                                        ; implicit-def: $vgpr4_vgpr5
	s_branch .LBB7_1415
.LBB7_1407:
	s_mov_b32 s0, -1
                                        ; implicit-def: $vgpr4_vgpr5
	s_branch .LBB7_1412
.LBB7_1408:
	s_mov_b32 s0, -1
                                        ; implicit-def: $vgpr4_vgpr5
.LBB7_1409:
	s_delay_alu instid0(SALU_CYCLE_1)
	s_and_not1_b32 vcc_lo, exec_lo, s0
	s_cbranch_vccnz .LBB7_1411
; %bb.1410:
	global_load_b32 v3, v[16:17], off
	s_wait_loadcnt 0x0
	v_cvt_f64_i32_e32 v[4:5], v3
.LBB7_1411:
	s_mov_b32 s0, 0
.LBB7_1412:
	s_delay_alu instid0(SALU_CYCLE_1)
	s_and_not1_b32 vcc_lo, exec_lo, s0
	s_cbranch_vccnz .LBB7_1414
; %bb.1413:
	global_load_i16 v3, v[16:17], off
	s_wait_loadcnt 0x0
	v_cvt_f64_i32_e32 v[4:5], v3
.LBB7_1414:
	s_mov_b32 s0, 0
.LBB7_1415:
	s_delay_alu instid0(SALU_CYCLE_1)
	s_and_not1_b32 vcc_lo, exec_lo, s0
	s_cbranch_vccnz .LBB7_1421
; %bb.1416:
	s_cmp_gt_i32 s15, 0
	s_mov_b32 s0, 0
	s_cbranch_scc0 .LBB7_1418
; %bb.1417:
	global_load_i8 v3, v[16:17], off
	s_wait_loadcnt 0x0
	v_cvt_f64_i32_e32 v[4:5], v3
	s_branch .LBB7_1419
.LBB7_1418:
	s_mov_b32 s0, -1
                                        ; implicit-def: $vgpr4_vgpr5
.LBB7_1419:
	s_delay_alu instid0(SALU_CYCLE_1)
	s_and_not1_b32 vcc_lo, exec_lo, s0
	s_cbranch_vccnz .LBB7_1421
; %bb.1420:
	global_load_u8 v3, v[16:17], off
	s_wait_loadcnt 0x0
	v_cvt_f64_u32_e32 v[4:5], v3
.LBB7_1421:
.LBB7_1422:
	s_wait_loadcnt 0x0
	s_delay_alu instid0(VALU_DEP_1) | instskip(SKIP_1) | instid1(VALU_DEP_1)
	v_mul_f64_e32 v[16:17], s[8:9], v[4:5]
	s_mov_b32 s16, exec_lo
	v_cmpx_nlt_f64_e32 s[10:11], v[16:17]
	s_cbranch_execz .LBB7_1424
; %bb.1423:
	v_mul_f64_e32 v[4:5], 0x3ff71547652b82fe, v[16:17]
	s_mov_b64 s[0:1], 0x3e5ade156a5dcb37
	v_cmp_nlt_f64_e32 vcc_lo, 0x40900000, v[16:17]
	s_delay_alu instid0(VALU_DEP_2) | instskip(NEXT) | instid1(VALU_DEP_1)
	v_rndne_f64_e32 v[4:5], v[4:5]
	v_fmamk_f64 v[18:19], v[4:5], 0xbfe62e42fefa39ef, v[16:17]
	v_cvt_i32_f64_e32 v3, v[4:5]
	s_delay_alu instid0(VALU_DEP_2) | instskip(NEXT) | instid1(VALU_DEP_1)
	v_fmamk_f64 v[18:19], v[4:5], 0xbc7abc9e3b39803f, v[18:19]
	v_fmaak_f64 v[20:21], s[0:1], v[18:19], 0x3e928af3fca7ab0c
	v_cmp_ngt_f64_e64 s0, 0xc090cc00, v[16:17]
	s_delay_alu instid0(VALU_DEP_2) | instskip(NEXT) | instid1(VALU_DEP_1)
	v_fmaak_f64 v[20:21], v[18:19], v[20:21], 0x3ec71dee623fde64
	v_fmaak_f64 v[20:21], v[18:19], v[20:21], 0x3efa01997c89e6b0
	s_delay_alu instid0(VALU_DEP_1) | instskip(NEXT) | instid1(VALU_DEP_1)
	v_fmaak_f64 v[20:21], v[18:19], v[20:21], 0x3f2a01a014761f6e
	v_fmaak_f64 v[20:21], v[18:19], v[20:21], 0x3f56c16c1852b7b0
	s_delay_alu instid0(VALU_DEP_1) | instskip(NEXT) | instid1(VALU_DEP_1)
	;; [unrolled: 3-line block ×4, first 2 shown]
	v_fma_f64 v[20:21], v[18:19], v[20:21], 1.0
	v_fma_f64 v[4:5], v[18:19], v[20:21], 1.0
	s_delay_alu instid0(VALU_DEP_1) | instskip(NEXT) | instid1(VALU_DEP_1)
	v_ldexp_f64 v[4:5], v[4:5], v3
	v_cndmask_b32_e32 v3, 0x7ff00000, v5, vcc_lo
	s_and_b32 vcc_lo, s0, vcc_lo
	s_delay_alu instid0(VALU_DEP_1) | instid1(SALU_CYCLE_1)
	v_dual_cndmask_b32 v4, 0, v4, vcc_lo :: v_dual_cndmask_b32 v5, 0, v3, s0
	s_mov_b64 s[0:1], 0x3fe5555555555555
	s_delay_alu instid0(VALU_DEP_1) | instskip(NEXT) | instid1(VALU_DEP_1)
	v_add_f64_e32 v[16:17], 1.0, v[4:5]
	v_frexp_mant_f64_e32 v[18:19], v[16:17]
	v_frexp_exp_i32_f64_e32 v3, v[16:17]
	s_delay_alu instid0(VALU_DEP_2) | instskip(SKIP_1) | instid1(VALU_DEP_2)
	v_cmp_gt_f64_e32 vcc_lo, s[0:1], v[18:19]
	s_mov_b64 s[0:1], 0x3fc3ab76bf559e2b
	v_subrev_co_ci_u32_e64 v3, null, 0, v3, vcc_lo
	v_cmp_nge_f64_e32 vcc_lo, -1.0, v[4:5]
	s_delay_alu instid0(VALU_DEP_2) | instskip(NEXT) | instid1(VALU_DEP_1)
	v_dual_add_f64 v[20:21], -1.0, v[16:17] :: v_dual_sub_nc_u32 v7, 0, v3
	v_add_f64_e64 v[18:19], v[20:21], -v[16:17]
	s_delay_alu instid0(VALU_DEP_2) | instskip(SKIP_1) | instid1(VALU_DEP_3)
	v_ldexp_f64 v[16:17], v[16:17], v7
	v_add_f64_e64 v[20:21], v[4:5], -v[20:21]
	v_add_f64_e32 v[18:19], 1.0, v[18:19]
	s_delay_alu instid0(VALU_DEP_3) | instskip(SKIP_1) | instid1(VALU_DEP_3)
	v_add_f64_e32 v[22:23], 1.0, v[16:17]
	v_add_f64_e32 v[28:29], -1.0, v[16:17]
	v_add_f64_e32 v[18:19], v[20:21], v[18:19]
	s_delay_alu instid0(VALU_DEP_3) | instskip(NEXT) | instid1(VALU_DEP_3)
	v_add_f64_e32 v[20:21], -1.0, v[22:23]
	v_add_f64_e32 v[30:31], 1.0, v[28:29]
	s_delay_alu instid0(VALU_DEP_3) | instskip(NEXT) | instid1(VALU_DEP_3)
	v_ldexp_f64 v[18:19], v[18:19], v7
	v_add_f64_e64 v[20:21], v[16:17], -v[20:21]
	s_delay_alu instid0(VALU_DEP_3) | instskip(NEXT) | instid1(VALU_DEP_2)
	v_add_f64_e64 v[16:17], v[16:17], -v[30:31]
	v_add_f64_e32 v[20:21], v[18:19], v[20:21]
	s_delay_alu instid0(VALU_DEP_2) | instskip(NEXT) | instid1(VALU_DEP_2)
	v_add_f64_e32 v[16:17], v[18:19], v[16:17]
	v_add_f64_e32 v[24:25], v[22:23], v[20:21]
	s_delay_alu instid0(VALU_DEP_2) | instskip(NEXT) | instid1(VALU_DEP_2)
	v_add_f64_e32 v[30:31], v[28:29], v[16:17]
	v_rcp_f64_e32 v[26:27], v[24:25]
	v_add_f64_e64 v[22:23], v[24:25], -v[22:23]
	s_delay_alu instid0(VALU_DEP_2) | instskip(NEXT) | instid1(VALU_DEP_2)
	v_add_f64_e64 v[28:29], v[30:31], -v[28:29]
	v_add_f64_e64 v[20:21], v[20:21], -v[22:23]
	s_delay_alu instid0(VALU_DEP_2) | instskip(NEXT) | instid1(TRANS32_DEP_1)
	v_add_f64_e64 v[16:17], v[16:17], -v[28:29]
	v_fma_f64 v[32:33], -v[24:25], v[26:27], 1.0
	s_delay_alu instid0(VALU_DEP_1) | instskip(NEXT) | instid1(VALU_DEP_1)
	v_fmac_f64_e32 v[26:27], v[32:33], v[26:27]
	v_fma_f64 v[18:19], -v[24:25], v[26:27], 1.0
	s_delay_alu instid0(VALU_DEP_1) | instskip(NEXT) | instid1(VALU_DEP_1)
	v_fmac_f64_e32 v[26:27], v[18:19], v[26:27]
	v_mul_f64_e32 v[18:19], v[30:31], v[26:27]
	s_delay_alu instid0(VALU_DEP_1) | instskip(NEXT) | instid1(VALU_DEP_1)
	v_mul_f64_e32 v[32:33], v[24:25], v[18:19]
	v_fma_f64 v[22:23], v[18:19], v[24:25], -v[32:33]
	s_delay_alu instid0(VALU_DEP_1) | instskip(NEXT) | instid1(VALU_DEP_1)
	v_fmac_f64_e32 v[22:23], v[18:19], v[20:21]
	v_add_f64_e32 v[34:35], v[32:33], v[22:23]
	s_delay_alu instid0(VALU_DEP_1) | instskip(SKIP_1) | instid1(VALU_DEP_2)
	v_add_f64_e64 v[36:37], v[30:31], -v[34:35]
	v_add_f64_e64 v[28:29], v[34:35], -v[32:33]
	;; [unrolled: 1-line block ×3, first 2 shown]
	s_delay_alu instid0(VALU_DEP_2) | instskip(NEXT) | instid1(VALU_DEP_2)
	v_add_f64_e64 v[22:23], v[28:29], -v[22:23]
	v_add_f64_e64 v[30:31], v[30:31], -v[34:35]
	s_delay_alu instid0(VALU_DEP_1) | instskip(NEXT) | instid1(VALU_DEP_1)
	v_add_f64_e32 v[16:17], v[16:17], v[30:31]
	v_add_f64_e32 v[16:17], v[22:23], v[16:17]
	s_delay_alu instid0(VALU_DEP_1) | instskip(NEXT) | instid1(VALU_DEP_1)
	v_add_f64_e32 v[22:23], v[36:37], v[16:17]
	v_mul_f64_e32 v[28:29], v[26:27], v[22:23]
	v_add_f64_e64 v[34:35], v[36:37], -v[22:23]
	s_delay_alu instid0(VALU_DEP_2) | instskip(NEXT) | instid1(VALU_DEP_2)
	v_mul_f64_e32 v[30:31], v[24:25], v[28:29]
	v_add_f64_e32 v[16:17], v[16:17], v[34:35]
	s_delay_alu instid0(VALU_DEP_2) | instskip(NEXT) | instid1(VALU_DEP_1)
	v_fma_f64 v[24:25], v[28:29], v[24:25], -v[30:31]
	v_fmac_f64_e32 v[24:25], v[28:29], v[20:21]
	s_delay_alu instid0(VALU_DEP_1) | instskip(NEXT) | instid1(VALU_DEP_1)
	v_add_f64_e32 v[20:21], v[30:31], v[24:25]
	v_add_f64_e64 v[32:33], v[22:23], -v[20:21]
	v_add_f64_e64 v[30:31], v[20:21], -v[30:31]
	s_delay_alu instid0(VALU_DEP_2) | instskip(NEXT) | instid1(VALU_DEP_1)
	v_add_f64_e64 v[22:23], v[22:23], -v[32:33]
	v_add_f64_e64 v[20:21], v[22:23], -v[20:21]
	s_delay_alu instid0(VALU_DEP_3) | instskip(NEXT) | instid1(VALU_DEP_2)
	v_add_f64_e64 v[22:23], v[30:31], -v[24:25]
	v_add_f64_e32 v[16:17], v[16:17], v[20:21]
	v_add_f64_e32 v[20:21], v[18:19], v[28:29]
	s_delay_alu instid0(VALU_DEP_2) | instskip(NEXT) | instid1(VALU_DEP_2)
	v_add_f64_e32 v[16:17], v[22:23], v[16:17]
	v_add_f64_e64 v[18:19], v[20:21], -v[18:19]
	s_delay_alu instid0(VALU_DEP_2) | instskip(NEXT) | instid1(VALU_DEP_2)
	v_add_f64_e32 v[16:17], v[32:33], v[16:17]
	v_add_f64_e64 v[18:19], v[28:29], -v[18:19]
	s_delay_alu instid0(VALU_DEP_2) | instskip(NEXT) | instid1(VALU_DEP_1)
	v_mul_f64_e32 v[16:17], v[26:27], v[16:17]
	v_add_f64_e32 v[16:17], v[18:19], v[16:17]
	s_delay_alu instid0(VALU_DEP_1) | instskip(NEXT) | instid1(VALU_DEP_1)
	v_add_f64_e32 v[18:19], v[20:21], v[16:17]
	v_mul_f64_e32 v[22:23], v[18:19], v[18:19]
	s_delay_alu instid0(VALU_DEP_1) | instskip(SKIP_2) | instid1(VALU_DEP_2)
	v_fmaak_f64 v[24:25], s[0:1], v[22:23], 0x3fc385386b47b09a
	v_mul_f64_e32 v[26:27], v[18:19], v[22:23]
	s_mov_b64 s[0:1], 0x3fe62e42fefa39ef
	v_fmaak_f64 v[24:25], v[22:23], v[24:25], 0x3fc7474dd7f4df2e
	s_delay_alu instid0(VALU_DEP_1) | instskip(NEXT) | instid1(VALU_DEP_1)
	v_fmaak_f64 v[24:25], v[22:23], v[24:25], 0x3fcc71c016291751
	v_fmaak_f64 v[24:25], v[22:23], v[24:25], 0x3fd249249b27acf1
	s_delay_alu instid0(VALU_DEP_1) | instskip(NEXT) | instid1(VALU_DEP_1)
	v_fmaak_f64 v[24:25], v[22:23], v[24:25], 0x3fd99999998ef7b6
	v_fmaak_f64 v[22:23], v[22:23], v[24:25], 0x3fe5555555555780
	v_ldexp_f64 v[24:25], v[18:19], 1
	v_add_f64_e64 v[18:19], v[18:19], -v[20:21]
	s_delay_alu instid0(VALU_DEP_3) | instskip(SKIP_1) | instid1(VALU_DEP_3)
	v_mul_f64_e32 v[22:23], v[26:27], v[22:23]
	v_cvt_f64_i32_e32 v[26:27], v3
	v_add_f64_e64 v[16:17], v[16:17], -v[18:19]
	s_delay_alu instid0(VALU_DEP_3) | instskip(NEXT) | instid1(VALU_DEP_2)
	v_add_f64_e32 v[20:21], v[24:25], v[22:23]
	v_ldexp_f64 v[16:17], v[16:17], 1
	s_delay_alu instid0(VALU_DEP_2) | instskip(SKIP_1) | instid1(VALU_DEP_2)
	v_add_f64_e64 v[18:19], v[20:21], -v[24:25]
	v_mul_f64_e32 v[24:25], 0x3fe62e42fefa39ef, v[26:27]
	v_add_f64_e64 v[18:19], v[22:23], -v[18:19]
	s_delay_alu instid0(VALU_DEP_2) | instskip(SKIP_2) | instid1(VALU_DEP_4)
	v_fma_f64 v[22:23], v[26:27], s[0:1], -v[24:25]
	v_cmp_neq_f64_e64 s0, 0x7ff00000, v[4:5]
	v_cmp_ngt_f64_e64 s1, -1.0, v[4:5]
	v_add_f64_e32 v[16:17], v[16:17], v[18:19]
	s_delay_alu instid0(VALU_DEP_4) | instskip(SKIP_1) | instid1(VALU_DEP_1)
	v_fmamk_f64 v[18:19], v[26:27], 0x3c7abc9e3b39803f, v[22:23]
	s_and_b32 vcc_lo, vcc_lo, s0
	v_add_f64_e32 v[22:23], v[24:25], v[18:19]
	s_delay_alu instid0(VALU_DEP_3) | instskip(NEXT) | instid1(VALU_DEP_2)
	v_add_f64_e32 v[26:27], v[20:21], v[16:17]
	v_add_f64_e64 v[24:25], v[22:23], -v[24:25]
	s_delay_alu instid0(VALU_DEP_2) | instskip(SKIP_1) | instid1(VALU_DEP_3)
	v_add_f64_e32 v[28:29], v[22:23], v[26:27]
	v_add_f64_e64 v[20:21], v[26:27], -v[20:21]
	v_add_f64_e64 v[18:19], v[18:19], -v[24:25]
	s_delay_alu instid0(VALU_DEP_3) | instskip(NEXT) | instid1(VALU_DEP_3)
	v_add_f64_e64 v[30:31], v[28:29], -v[22:23]
	v_add_f64_e64 v[16:17], v[16:17], -v[20:21]
	s_delay_alu instid0(VALU_DEP_2) | instskip(SKIP_1) | instid1(VALU_DEP_3)
	v_add_f64_e64 v[32:33], v[28:29], -v[30:31]
	v_add_f64_e64 v[20:21], v[26:27], -v[30:31]
	v_add_f64_e32 v[24:25], v[18:19], v[16:17]
	s_delay_alu instid0(VALU_DEP_3) | instskip(NEXT) | instid1(VALU_DEP_1)
	v_add_f64_e64 v[22:23], v[22:23], -v[32:33]
	v_add_f64_e32 v[20:21], v[20:21], v[22:23]
	s_delay_alu instid0(VALU_DEP_3) | instskip(NEXT) | instid1(VALU_DEP_2)
	v_add_f64_e64 v[22:23], v[24:25], -v[18:19]
	v_add_f64_e32 v[20:21], v[24:25], v[20:21]
	s_delay_alu instid0(VALU_DEP_2) | instskip(SKIP_1) | instid1(VALU_DEP_3)
	v_add_f64_e64 v[24:25], v[24:25], -v[22:23]
	v_add_f64_e64 v[16:17], v[16:17], -v[22:23]
	v_add_f64_e32 v[26:27], v[28:29], v[20:21]
	s_delay_alu instid0(VALU_DEP_3) | instskip(NEXT) | instid1(VALU_DEP_2)
	v_add_f64_e64 v[18:19], v[18:19], -v[24:25]
	v_add_f64_e64 v[22:23], v[26:27], -v[28:29]
	s_delay_alu instid0(VALU_DEP_2) | instskip(NEXT) | instid1(VALU_DEP_2)
	v_add_f64_e32 v[16:17], v[16:17], v[18:19]
	v_add_f64_e64 v[18:19], v[20:21], -v[22:23]
	s_delay_alu instid0(VALU_DEP_1) | instskip(NEXT) | instid1(VALU_DEP_1)
	v_add_f64_e32 v[16:17], v[16:17], v[18:19]
	v_add_f64_e32 v[16:17], v[26:27], v[16:17]
	s_delay_alu instid0(VALU_DEP_1) | instskip(SKIP_1) | instid1(VALU_DEP_3)
	v_cndmask_b32_e32 v16, 0, v16, vcc_lo
	v_cmp_neq_f64_e32 vcc_lo, -1.0, v[4:5]
	v_cndmask_b32_e64 v3, 0x7ff00000, v17, s0
	s_delay_alu instid0(VALU_DEP_1) | instskip(NEXT) | instid1(VALU_DEP_1)
	v_cndmask_b32_e64 v3, 0x7ff80000, v3, s1
	v_cndmask_b32_e32 v17, 0xfff00000, v3, vcc_lo
	s_delay_alu instid0(VALU_DEP_1) | instskip(NEXT) | instid1(VALU_DEP_1)
	v_div_scale_f64 v[4:5], null, s[8:9], s[8:9], v[16:17]
	v_rcp_f64_e32 v[18:19], v[4:5]
	v_nop
	s_delay_alu instid0(TRANS32_DEP_1) | instskip(NEXT) | instid1(VALU_DEP_1)
	v_fma_f64 v[20:21], -v[4:5], v[18:19], 1.0
	v_fmac_f64_e32 v[18:19], v[18:19], v[20:21]
	s_delay_alu instid0(VALU_DEP_1) | instskip(NEXT) | instid1(VALU_DEP_1)
	v_fma_f64 v[20:21], -v[4:5], v[18:19], 1.0
	v_fmac_f64_e32 v[18:19], v[18:19], v[20:21]
	v_div_scale_f64 v[20:21], vcc_lo, v[16:17], s[8:9], v[16:17]
	s_delay_alu instid0(VALU_DEP_1) | instskip(NEXT) | instid1(VALU_DEP_1)
	v_mul_f64_e32 v[22:23], v[20:21], v[18:19]
	v_fma_f64 v[4:5], -v[4:5], v[22:23], v[20:21]
	s_delay_alu instid0(VALU_DEP_1) | instskip(NEXT) | instid1(VALU_DEP_1)
	v_div_fmas_f64 v[4:5], v[4:5], v[18:19], v[22:23]
	v_div_fixup_f64 v[4:5], v[4:5], s[8:9], v[16:17]
.LBB7_1424:
	s_or_b32 exec_lo, exec_lo, s16
	v_mov_b32_e32 v9, 0
	s_cmp_lt_i32 s15, 11
	s_delay_alu instid0(VALU_DEP_1)
	v_add_nc_u64_e32 v[16:17], s[6:7], v[8:9]
	s_cbranch_scc1 .LBB7_1431
; %bb.1425:
	s_cmp_gt_i32 s15, 25
	s_mov_b32 s1, 0
	s_cbranch_scc0 .LBB7_1433
; %bb.1426:
	s_cmp_gt_i32 s15, 28
	s_cbranch_scc0 .LBB7_1434
; %bb.1427:
	s_cmp_gt_i32 s15, 43
	;; [unrolled: 3-line block ×3, first 2 shown]
	s_cbranch_scc0 .LBB7_1437
; %bb.1429:
	s_cmp_eq_u32 s15, 46
	s_mov_b32 s17, 0
	s_cbranch_scc0 .LBB7_1438
; %bb.1430:
	global_load_b32 v3, v[16:17], off
	s_mov_b32 s0, 0
	s_mov_b32 s16, -1
	s_wait_loadcnt 0x0
	v_lshlrev_b32_e32 v3, 16, v3
	s_delay_alu instid0(VALU_DEP_1)
	v_cvt_f64_f32_e32 v[8:9], v3
	s_branch .LBB7_1440
.LBB7_1431:
	s_mov_b32 s16, 0
                                        ; implicit-def: $vgpr8_vgpr9
	s_cbranch_execnz .LBB7_1506
.LBB7_1432:
	s_and_not1_b32 vcc_lo, exec_lo, s16
	s_cbranch_vccnz .LBB7_1767
	s_branch .LBB7_1554
.LBB7_1433:
	s_mov_b32 s17, -1
	s_mov_b32 s16, 0
	s_mov_b32 s0, 0
                                        ; implicit-def: $vgpr8_vgpr9
	s_branch .LBB7_1469
.LBB7_1434:
	s_mov_b32 s17, -1
	s_mov_b32 s16, 0
	s_mov_b32 s0, 0
                                        ; implicit-def: $vgpr8_vgpr9
	s_branch .LBB7_1450
.LBB7_1435:
	s_mov_b32 s17, -1
	s_mov_b32 s16, 0
	s_mov_b32 s0, 0
                                        ; implicit-def: $vgpr8_vgpr9
	s_branch .LBB7_1445
.LBB7_1436:
	s_or_b32 s14, s14, exec_lo
	s_trap 2
	s_cbranch_execz .LBB7_1373
	s_branch .LBB7_1374
.LBB7_1437:
	s_mov_b32 s17, -1
	s_mov_b32 s16, 0
	s_mov_b32 s0, 0
	s_branch .LBB7_1439
.LBB7_1438:
	s_mov_b32 s0, -1
	s_mov_b32 s16, 0
.LBB7_1439:
                                        ; implicit-def: $vgpr8_vgpr9
.LBB7_1440:
	s_and_b32 vcc_lo, exec_lo, s17
	s_cbranch_vccz .LBB7_1444
; %bb.1441:
	s_cmp_eq_u32 s15, 44
	s_cbranch_scc0 .LBB7_1443
; %bb.1442:
	global_load_u8 v3, v[16:17], off
	s_mov_b32 s0, 0
	s_mov_b32 s16, -1
	s_wait_loadcnt 0x0
	v_cmp_ne_u32_e32 vcc_lo, 0xff, v3
	v_lshlrev_b32_e32 v7, 23, v3
	s_delay_alu instid0(VALU_DEP_1) | instskip(NEXT) | instid1(VALU_DEP_1)
	v_cvt_f64_f32_e32 v[8:9], v7
	v_cndmask_b32_e32 v7, 0x20000000, v8, vcc_lo
	s_delay_alu instid0(VALU_DEP_2) | instskip(SKIP_1) | instid1(VALU_DEP_2)
	v_cndmask_b32_e32 v8, 0x7ff80000, v9, vcc_lo
	v_cmp_ne_u32_e32 vcc_lo, 0, v3
	v_cndmask_b32_e32 v9, 0x38000000, v8, vcc_lo
	s_delay_alu instid0(VALU_DEP_4)
	v_cndmask_b32_e32 v8, 0, v7, vcc_lo
	s_branch .LBB7_1444
.LBB7_1443:
	s_mov_b32 s0, -1
                                        ; implicit-def: $vgpr8_vgpr9
.LBB7_1444:
	s_mov_b32 s17, 0
.LBB7_1445:
	s_delay_alu instid0(SALU_CYCLE_1)
	s_and_b32 vcc_lo, exec_lo, s17
	s_cbranch_vccz .LBB7_1449
; %bb.1446:
	s_cmp_eq_u32 s15, 29
	s_cbranch_scc0 .LBB7_1448
; %bb.1447:
	global_load_b64 v[8:9], v[16:17], off
	s_mov_b32 s0, 0
	s_mov_b32 s16, -1
	s_mov_b32 s17, 0
	s_wait_loadcnt 0x0
	v_cvt_f64_u32_e32 v[18:19], v9
	v_cvt_f64_u32_e32 v[8:9], v8
	s_delay_alu instid0(VALU_DEP_2) | instskip(NEXT) | instid1(VALU_DEP_1)
	v_ldexp_f64 v[18:19], v[18:19], 32
	v_add_f64_e32 v[8:9], v[18:19], v[8:9]
	s_branch .LBB7_1450
.LBB7_1448:
	s_mov_b32 s0, -1
                                        ; implicit-def: $vgpr8_vgpr9
.LBB7_1449:
	s_mov_b32 s17, 0
.LBB7_1450:
	s_delay_alu instid0(SALU_CYCLE_1)
	s_and_b32 vcc_lo, exec_lo, s17
	s_cbranch_vccz .LBB7_1468
; %bb.1451:
	s_cmp_lt_i32 s15, 27
	s_cbranch_scc1 .LBB7_1454
; %bb.1452:
	s_cmp_gt_i32 s15, 27
	s_cbranch_scc0 .LBB7_1455
; %bb.1453:
	global_load_b32 v3, v[16:17], off
	s_mov_b32 s16, 0
	s_wait_loadcnt 0x0
	v_cvt_f64_u32_e32 v[8:9], v3
	s_branch .LBB7_1456
.LBB7_1454:
	s_mov_b32 s16, -1
                                        ; implicit-def: $vgpr8_vgpr9
	s_branch .LBB7_1459
.LBB7_1455:
	s_mov_b32 s16, -1
                                        ; implicit-def: $vgpr8_vgpr9
.LBB7_1456:
	s_delay_alu instid0(SALU_CYCLE_1)
	s_and_not1_b32 vcc_lo, exec_lo, s16
	s_cbranch_vccnz .LBB7_1458
; %bb.1457:
	global_load_u16 v3, v[16:17], off
	s_wait_loadcnt 0x0
	v_cvt_f64_u32_e32 v[8:9], v3
.LBB7_1458:
	s_mov_b32 s16, 0
.LBB7_1459:
	s_delay_alu instid0(SALU_CYCLE_1)
	s_and_not1_b32 vcc_lo, exec_lo, s16
	s_cbranch_vccnz .LBB7_1467
; %bb.1460:
	global_load_u8 v3, v[16:17], off
	s_mov_b32 s16, 0
	s_mov_b32 s17, exec_lo
	s_wait_loadcnt 0x0
	v_cmpx_lt_i16_e32 0x7f, v3
	s_xor_b32 s17, exec_lo, s17
	s_cbranch_execz .LBB7_1481
; %bb.1461:
	s_mov_b32 s16, -1
	s_mov_b32 s18, exec_lo
	v_cmpx_eq_u16_e32 0x80, v3
; %bb.1462:
	s_xor_b32 s16, exec_lo, -1
; %bb.1463:
	s_or_b32 exec_lo, exec_lo, s18
	s_delay_alu instid0(SALU_CYCLE_1)
	s_and_b32 s16, s16, exec_lo
	s_or_saveexec_b32 s17, s17
	v_mov_b64_e32 v[8:9], 0x7ff8000020000000
	s_xor_b32 exec_lo, exec_lo, s17
	s_cbranch_execnz .LBB7_1482
.LBB7_1464:
	s_or_b32 exec_lo, exec_lo, s17
	s_and_saveexec_b32 s17, s16
	s_cbranch_execz .LBB7_1466
.LBB7_1465:
	v_and_b32_e32 v7, 0xffff, v3
	s_delay_alu instid0(VALU_DEP_1) | instskip(SKIP_1) | instid1(VALU_DEP_2)
	v_and_b32_e32 v8, 7, v7
	v_bfe_u32 v13, v7, 3, 4
	v_clz_i32_u32_e32 v9, v8
	s_delay_alu instid0(VALU_DEP_2) | instskip(NEXT) | instid1(VALU_DEP_2)
	v_cmp_eq_u32_e32 vcc_lo, 0, v13
	v_min_u32_e32 v9, 32, v9
	s_delay_alu instid0(VALU_DEP_1) | instskip(NEXT) | instid1(VALU_DEP_1)
	v_subrev_nc_u32_e32 v11, 28, v9
	v_dual_lshlrev_b32 v7, v11, v7 :: v_dual_sub_nc_u32 v9, 29, v9
	s_delay_alu instid0(VALU_DEP_1) | instskip(NEXT) | instid1(VALU_DEP_2)
	v_and_b32_e32 v7, 7, v7
	v_dual_lshlrev_b32 v3, 24, v3 :: v_dual_cndmask_b32 v9, v13, v9, vcc_lo
	s_delay_alu instid0(VALU_DEP_2) | instskip(NEXT) | instid1(VALU_DEP_2)
	v_cndmask_b32_e32 v7, v8, v7, vcc_lo
	v_and_b32_e32 v3, 0x80000000, v3
	s_delay_alu instid0(VALU_DEP_3) | instskip(NEXT) | instid1(VALU_DEP_3)
	v_lshl_add_u32 v8, v9, 23, 0x3b800000
	v_lshlrev_b32_e32 v7, 20, v7
	s_delay_alu instid0(VALU_DEP_1) | instskip(NEXT) | instid1(VALU_DEP_1)
	v_or3_b32 v3, v3, v8, v7
	v_cvt_f64_f32_e32 v[8:9], v3
.LBB7_1466:
	s_or_b32 exec_lo, exec_lo, s17
.LBB7_1467:
	s_mov_b32 s16, -1
.LBB7_1468:
	s_mov_b32 s17, 0
.LBB7_1469:
	s_delay_alu instid0(SALU_CYCLE_1)
	s_and_b32 vcc_lo, exec_lo, s17
	s_cbranch_vccz .LBB7_1502
; %bb.1470:
	s_cmp_gt_i32 s15, 22
	s_cbranch_scc0 .LBB7_1480
; %bb.1471:
	s_cmp_lt_i32 s15, 24
	s_cbranch_scc1 .LBB7_1483
; %bb.1472:
	s_cmp_gt_i32 s15, 24
	s_cbranch_scc0 .LBB7_1484
; %bb.1473:
	global_load_u8 v3, v[16:17], off
	s_mov_b32 s16, exec_lo
	s_wait_loadcnt 0x0
	v_cmpx_lt_i16_e32 0x7f, v3
	s_xor_b32 s16, exec_lo, s16
	s_cbranch_execz .LBB7_1496
; %bb.1474:
	s_mov_b32 s1, -1
	s_mov_b32 s17, exec_lo
	v_cmpx_eq_u16_e32 0x80, v3
; %bb.1475:
	s_xor_b32 s1, exec_lo, -1
; %bb.1476:
	s_or_b32 exec_lo, exec_lo, s17
	s_delay_alu instid0(SALU_CYCLE_1)
	s_and_b32 s1, s1, exec_lo
	s_or_saveexec_b32 s16, s16
	v_mov_b64_e32 v[8:9], 0x7ff8000020000000
	s_xor_b32 exec_lo, exec_lo, s16
	s_cbranch_execnz .LBB7_1497
.LBB7_1477:
	s_or_b32 exec_lo, exec_lo, s16
	s_and_saveexec_b32 s16, s1
	s_cbranch_execz .LBB7_1479
.LBB7_1478:
	v_and_b32_e32 v7, 0xffff, v3
	s_delay_alu instid0(VALU_DEP_1) | instskip(SKIP_1) | instid1(VALU_DEP_2)
	v_and_b32_e32 v8, 3, v7
	v_bfe_u32 v13, v7, 2, 5
	v_clz_i32_u32_e32 v9, v8
	s_delay_alu instid0(VALU_DEP_2) | instskip(NEXT) | instid1(VALU_DEP_2)
	v_cmp_eq_u32_e32 vcc_lo, 0, v13
	v_min_u32_e32 v9, 32, v9
	s_delay_alu instid0(VALU_DEP_1) | instskip(NEXT) | instid1(VALU_DEP_1)
	v_subrev_nc_u32_e32 v11, 29, v9
	v_dual_lshlrev_b32 v7, v11, v7 :: v_dual_sub_nc_u32 v9, 30, v9
	s_delay_alu instid0(VALU_DEP_1) | instskip(NEXT) | instid1(VALU_DEP_2)
	v_and_b32_e32 v7, 3, v7
	v_dual_lshlrev_b32 v3, 24, v3 :: v_dual_cndmask_b32 v9, v13, v9, vcc_lo
	s_delay_alu instid0(VALU_DEP_2) | instskip(NEXT) | instid1(VALU_DEP_2)
	v_cndmask_b32_e32 v7, v8, v7, vcc_lo
	v_and_b32_e32 v3, 0x80000000, v3
	s_delay_alu instid0(VALU_DEP_3) | instskip(NEXT) | instid1(VALU_DEP_3)
	v_lshl_add_u32 v8, v9, 23, 0x37800000
	v_lshlrev_b32_e32 v7, 21, v7
	s_delay_alu instid0(VALU_DEP_1) | instskip(NEXT) | instid1(VALU_DEP_1)
	v_or3_b32 v3, v3, v8, v7
	v_cvt_f64_f32_e32 v[8:9], v3
.LBB7_1479:
	s_or_b32 exec_lo, exec_lo, s16
	s_mov_b32 s1, 0
	s_branch .LBB7_1485
.LBB7_1480:
	s_mov_b32 s1, -1
                                        ; implicit-def: $vgpr8_vgpr9
	s_branch .LBB7_1491
.LBB7_1481:
	s_or_saveexec_b32 s17, s17
	v_mov_b64_e32 v[8:9], 0x7ff8000020000000
	s_xor_b32 exec_lo, exec_lo, s17
	s_cbranch_execz .LBB7_1464
.LBB7_1482:
	v_cmp_ne_u16_e32 vcc_lo, 0, v3
	v_mov_b64_e32 v[8:9], 0
	s_and_not1_b32 s16, s16, exec_lo
	s_and_b32 s18, vcc_lo, exec_lo
	s_delay_alu instid0(SALU_CYCLE_1)
	s_or_b32 s16, s16, s18
	s_or_b32 exec_lo, exec_lo, s17
	s_and_saveexec_b32 s17, s16
	s_cbranch_execnz .LBB7_1465
	s_branch .LBB7_1466
.LBB7_1483:
	s_mov_b32 s1, -1
                                        ; implicit-def: $vgpr8_vgpr9
	s_branch .LBB7_1488
.LBB7_1484:
	s_mov_b32 s1, -1
                                        ; implicit-def: $vgpr8_vgpr9
.LBB7_1485:
	s_delay_alu instid0(SALU_CYCLE_1)
	s_and_b32 vcc_lo, exec_lo, s1
	s_cbranch_vccz .LBB7_1487
; %bb.1486:
	global_load_u8 v3, v[16:17], off
	s_wait_loadcnt 0x0
	v_lshlrev_b32_e32 v3, 24, v3
	s_delay_alu instid0(VALU_DEP_1) | instskip(NEXT) | instid1(VALU_DEP_1)
	v_and_b32_e32 v7, 0x7f000000, v3
	v_clz_i32_u32_e32 v8, v7
	v_add_nc_u32_e32 v11, 0x1000000, v7
	v_cmp_ne_u32_e32 vcc_lo, 0, v7
	s_delay_alu instid0(VALU_DEP_3) | instskip(NEXT) | instid1(VALU_DEP_1)
	v_min_u32_e32 v8, 32, v8
	v_sub_nc_u32_e64 v8, v8, 4 clamp
	s_delay_alu instid0(VALU_DEP_1) | instskip(NEXT) | instid1(VALU_DEP_1)
	v_dual_lshlrev_b32 v9, v8, v7 :: v_dual_lshlrev_b32 v8, 23, v8
	v_lshrrev_b32_e32 v9, 4, v9
	s_delay_alu instid0(VALU_DEP_1) | instskip(NEXT) | instid1(VALU_DEP_1)
	v_dual_sub_nc_u32 v8, v9, v8 :: v_dual_ashrrev_i32 v9, 8, v11
	v_add_nc_u32_e32 v8, 0x3c000000, v8
	s_delay_alu instid0(VALU_DEP_1) | instskip(NEXT) | instid1(VALU_DEP_1)
	v_and_or_b32 v8, 0x7f800000, v9, v8
	v_cndmask_b32_e32 v7, 0, v8, vcc_lo
	s_delay_alu instid0(VALU_DEP_1) | instskip(NEXT) | instid1(VALU_DEP_1)
	v_and_or_b32 v3, 0x80000000, v3, v7
	v_cvt_f64_f32_e32 v[8:9], v3
.LBB7_1487:
	s_mov_b32 s1, 0
.LBB7_1488:
	s_delay_alu instid0(SALU_CYCLE_1)
	s_and_not1_b32 vcc_lo, exec_lo, s1
	s_cbranch_vccnz .LBB7_1490
; %bb.1489:
	global_load_u8 v3, v[16:17], off
	s_wait_loadcnt 0x0
	v_lshlrev_b32_e32 v7, 25, v3
	v_lshlrev_b16 v3, 8, v3
	s_delay_alu instid0(VALU_DEP_1) | instskip(SKIP_1) | instid1(VALU_DEP_2)
	v_and_or_b32 v9, 0x7f00, v3, 0.5
	v_bfe_i32 v3, v3, 0, 16
	v_dual_add_f32 v9, -0.5, v9 :: v_dual_lshrrev_b32 v8, 4, v7
	v_cmp_gt_u32_e32 vcc_lo, 0x8000000, v7
	s_delay_alu instid0(VALU_DEP_2) | instskip(NEXT) | instid1(VALU_DEP_1)
	v_or_b32_e32 v8, 0x70000000, v8
	v_mul_f32_e32 v8, 0x7800000, v8
	s_delay_alu instid0(VALU_DEP_1) | instskip(NEXT) | instid1(VALU_DEP_1)
	v_cndmask_b32_e32 v7, v8, v9, vcc_lo
	v_and_or_b32 v3, 0x80000000, v3, v7
	s_delay_alu instid0(VALU_DEP_1)
	v_cvt_f64_f32_e32 v[8:9], v3
.LBB7_1490:
	s_mov_b32 s1, 0
	s_mov_b32 s16, -1
.LBB7_1491:
	s_and_not1_b32 vcc_lo, exec_lo, s1
	s_mov_b32 s1, 0
	s_cbranch_vccnz .LBB7_1502
; %bb.1492:
	s_cmp_gt_i32 s15, 14
	s_cbranch_scc0 .LBB7_1495
; %bb.1493:
	s_cmp_eq_u32 s15, 15
	s_cbranch_scc0 .LBB7_1498
; %bb.1494:
	global_load_u16 v3, v[16:17], off
	s_mov_b32 s0, 0
	s_mov_b32 s16, -1
	s_wait_loadcnt 0x0
	v_lshlrev_b32_e32 v3, 16, v3
	s_delay_alu instid0(VALU_DEP_1)
	v_cvt_f64_f32_e32 v[8:9], v3
	s_branch .LBB7_1500
.LBB7_1495:
	s_mov_b32 s1, -1
	s_branch .LBB7_1499
.LBB7_1496:
	s_or_saveexec_b32 s16, s16
	v_mov_b64_e32 v[8:9], 0x7ff8000020000000
	s_xor_b32 exec_lo, exec_lo, s16
	s_cbranch_execz .LBB7_1477
.LBB7_1497:
	v_cmp_ne_u16_e32 vcc_lo, 0, v3
	v_mov_b64_e32 v[8:9], 0
	s_and_not1_b32 s1, s1, exec_lo
	s_and_b32 s17, vcc_lo, exec_lo
	s_delay_alu instid0(SALU_CYCLE_1)
	s_or_b32 s1, s1, s17
	s_or_b32 exec_lo, exec_lo, s16
	s_and_saveexec_b32 s16, s1
	s_cbranch_execnz .LBB7_1478
	s_branch .LBB7_1479
.LBB7_1498:
	s_mov_b32 s0, -1
.LBB7_1499:
                                        ; implicit-def: $vgpr8_vgpr9
.LBB7_1500:
	s_and_b32 vcc_lo, exec_lo, s1
	s_mov_b32 s1, 0
	s_cbranch_vccz .LBB7_1502
; %bb.1501:
	s_cmp_lg_u32 s15, 11
	s_mov_b32 s1, -1
	s_cselect_b32 s0, -1, 0
.LBB7_1502:
	s_delay_alu instid0(SALU_CYCLE_1)
	s_and_b32 vcc_lo, exec_lo, s0
	s_cbranch_vccnz .LBB7_1567
; %bb.1503:
	s_and_not1_b32 vcc_lo, exec_lo, s1
	s_cbranch_vccnz .LBB7_1505
.LBB7_1504:
	global_load_u8 v3, v[16:17], off
	v_mov_b32_e32 v8, 0
	s_mov_b32 s16, -1
	s_wait_loadcnt 0x0
	v_cmp_ne_u16_e32 vcc_lo, 0, v3
	v_cndmask_b32_e64 v9, 0, 0x3ff00000, vcc_lo
.LBB7_1505:
	s_branch .LBB7_1432
.LBB7_1506:
	s_cmp_lt_i32 s15, 5
	s_cbranch_scc1 .LBB7_1511
; %bb.1507:
	s_cmp_lt_i32 s15, 8
	s_cbranch_scc1 .LBB7_1512
; %bb.1508:
	;; [unrolled: 3-line block ×3, first 2 shown]
	s_cmp_gt_i32 s15, 9
	s_cbranch_scc0 .LBB7_1514
; %bb.1510:
	global_load_b64 v[8:9], v[16:17], off
	s_mov_b32 s0, 0
	s_branch .LBB7_1515
.LBB7_1511:
	s_mov_b32 s0, -1
                                        ; implicit-def: $vgpr8_vgpr9
	s_branch .LBB7_1533
.LBB7_1512:
	s_mov_b32 s0, -1
                                        ; implicit-def: $vgpr8_vgpr9
	s_branch .LBB7_1521
.LBB7_1513:
	s_mov_b32 s0, -1
                                        ; implicit-def: $vgpr8_vgpr9
	s_branch .LBB7_1518
.LBB7_1514:
	s_mov_b32 s0, -1
                                        ; implicit-def: $vgpr8_vgpr9
.LBB7_1515:
	s_delay_alu instid0(SALU_CYCLE_1)
	s_and_not1_b32 vcc_lo, exec_lo, s0
	s_cbranch_vccnz .LBB7_1517
; %bb.1516:
	global_load_b32 v3, v[16:17], off
	s_wait_loadcnt 0x0
	v_cvt_f64_f32_e32 v[8:9], v3
.LBB7_1517:
	s_mov_b32 s0, 0
.LBB7_1518:
	s_delay_alu instid0(SALU_CYCLE_1)
	s_and_not1_b32 vcc_lo, exec_lo, s0
	s_cbranch_vccnz .LBB7_1520
; %bb.1519:
	global_load_b32 v3, v[16:17], off
	s_wait_loadcnt 0x0
	v_cvt_f32_f16_e32 v3, v3
	s_delay_alu instid0(VALU_DEP_1)
	v_cvt_f64_f32_e32 v[8:9], v3
.LBB7_1520:
	s_mov_b32 s0, 0
.LBB7_1521:
	s_delay_alu instid0(SALU_CYCLE_1)
	s_and_not1_b32 vcc_lo, exec_lo, s0
	s_cbranch_vccnz .LBB7_1532
; %bb.1522:
	s_cmp_lt_i32 s15, 6
	s_cbranch_scc1 .LBB7_1525
; %bb.1523:
	s_cmp_gt_i32 s15, 6
	s_cbranch_scc0 .LBB7_1526
; %bb.1524:
	s_wait_loadcnt 0x0
	global_load_b64 v[8:9], v[16:17], off
	s_mov_b32 s0, 0
	s_branch .LBB7_1527
.LBB7_1525:
	s_mov_b32 s0, -1
                                        ; implicit-def: $vgpr8_vgpr9
	s_branch .LBB7_1530
.LBB7_1526:
	s_mov_b32 s0, -1
                                        ; implicit-def: $vgpr8_vgpr9
.LBB7_1527:
	s_delay_alu instid0(SALU_CYCLE_1)
	s_and_not1_b32 vcc_lo, exec_lo, s0
	s_cbranch_vccnz .LBB7_1529
; %bb.1528:
	global_load_b32 v3, v[16:17], off
	s_wait_loadcnt 0x0
	v_cvt_f64_f32_e32 v[8:9], v3
.LBB7_1529:
	s_mov_b32 s0, 0
.LBB7_1530:
	s_delay_alu instid0(SALU_CYCLE_1)
	s_and_not1_b32 vcc_lo, exec_lo, s0
	s_cbranch_vccnz .LBB7_1532
; %bb.1531:
	global_load_u16 v3, v[16:17], off
	s_wait_loadcnt 0x0
	v_cvt_f32_f16_e32 v3, v3
	s_delay_alu instid0(VALU_DEP_1)
	v_cvt_f64_f32_e32 v[8:9], v3
.LBB7_1532:
	s_mov_b32 s0, 0
.LBB7_1533:
	s_delay_alu instid0(SALU_CYCLE_1)
	s_and_not1_b32 vcc_lo, exec_lo, s0
	s_cbranch_vccnz .LBB7_1553
; %bb.1534:
	s_cmp_lt_i32 s15, 2
	s_cbranch_scc1 .LBB7_1538
; %bb.1535:
	s_cmp_lt_i32 s15, 3
	s_cbranch_scc1 .LBB7_1539
; %bb.1536:
	s_cmp_gt_i32 s15, 3
	s_cbranch_scc0 .LBB7_1540
; %bb.1537:
	s_wait_loadcnt 0x0
	global_load_b64 v[8:9], v[16:17], off
	s_mov_b32 s0, 0
	s_wait_loadcnt 0x0
	v_cvt_f64_i32_e32 v[18:19], v9
	v_cvt_f64_u32_e32 v[8:9], v8
	s_delay_alu instid0(VALU_DEP_2) | instskip(NEXT) | instid1(VALU_DEP_1)
	v_ldexp_f64 v[18:19], v[18:19], 32
	v_add_f64_e32 v[8:9], v[18:19], v[8:9]
	s_branch .LBB7_1541
.LBB7_1538:
	s_mov_b32 s0, -1
                                        ; implicit-def: $vgpr8_vgpr9
	s_branch .LBB7_1547
.LBB7_1539:
	s_mov_b32 s0, -1
                                        ; implicit-def: $vgpr8_vgpr9
	s_branch .LBB7_1544
.LBB7_1540:
	s_mov_b32 s0, -1
                                        ; implicit-def: $vgpr8_vgpr9
.LBB7_1541:
	s_delay_alu instid0(SALU_CYCLE_1)
	s_and_not1_b32 vcc_lo, exec_lo, s0
	s_cbranch_vccnz .LBB7_1543
; %bb.1542:
	global_load_b32 v3, v[16:17], off
	s_wait_loadcnt 0x0
	v_cvt_f64_i32_e32 v[8:9], v3
.LBB7_1543:
	s_mov_b32 s0, 0
.LBB7_1544:
	s_delay_alu instid0(SALU_CYCLE_1)
	s_and_not1_b32 vcc_lo, exec_lo, s0
	s_cbranch_vccnz .LBB7_1546
; %bb.1545:
	global_load_i16 v3, v[16:17], off
	s_wait_loadcnt 0x0
	v_cvt_f64_i32_e32 v[8:9], v3
.LBB7_1546:
	s_mov_b32 s0, 0
.LBB7_1547:
	s_delay_alu instid0(SALU_CYCLE_1)
	s_and_not1_b32 vcc_lo, exec_lo, s0
	s_cbranch_vccnz .LBB7_1553
; %bb.1548:
	s_cmp_gt_i32 s15, 0
	s_mov_b32 s0, 0
	s_cbranch_scc0 .LBB7_1550
; %bb.1549:
	global_load_i8 v3, v[16:17], off
	s_wait_loadcnt 0x0
	v_cvt_f64_i32_e32 v[8:9], v3
	s_branch .LBB7_1551
.LBB7_1550:
	s_mov_b32 s0, -1
                                        ; implicit-def: $vgpr8_vgpr9
.LBB7_1551:
	s_delay_alu instid0(SALU_CYCLE_1)
	s_and_not1_b32 vcc_lo, exec_lo, s0
	s_cbranch_vccnz .LBB7_1553
; %bb.1552:
	global_load_u8 v3, v[16:17], off
	s_wait_loadcnt 0x0
	v_cvt_f64_u32_e32 v[8:9], v3
.LBB7_1553:
.LBB7_1554:
	s_wait_loadcnt 0x0
	s_delay_alu instid0(VALU_DEP_1) | instskip(SKIP_1) | instid1(VALU_DEP_1)
	v_mul_f64_e32 v[16:17], s[8:9], v[8:9]
	s_mov_b32 s16, exec_lo
	v_cmpx_nlt_f64_e32 s[10:11], v[16:17]
	s_cbranch_execz .LBB7_1556
; %bb.1555:
	v_mul_f64_e32 v[8:9], 0x3ff71547652b82fe, v[16:17]
	s_mov_b64 s[0:1], 0x3e5ade156a5dcb37
	v_cmp_nlt_f64_e32 vcc_lo, 0x40900000, v[16:17]
	s_delay_alu instid0(VALU_DEP_2) | instskip(NEXT) | instid1(VALU_DEP_1)
	v_rndne_f64_e32 v[8:9], v[8:9]
	v_fmamk_f64 v[18:19], v[8:9], 0xbfe62e42fefa39ef, v[16:17]
	v_cvt_i32_f64_e32 v3, v[8:9]
	s_delay_alu instid0(VALU_DEP_2) | instskip(NEXT) | instid1(VALU_DEP_1)
	v_fmamk_f64 v[18:19], v[8:9], 0xbc7abc9e3b39803f, v[18:19]
	v_fmaak_f64 v[20:21], s[0:1], v[18:19], 0x3e928af3fca7ab0c
	v_cmp_ngt_f64_e64 s0, 0xc090cc00, v[16:17]
	s_delay_alu instid0(VALU_DEP_2) | instskip(NEXT) | instid1(VALU_DEP_1)
	v_fmaak_f64 v[20:21], v[18:19], v[20:21], 0x3ec71dee623fde64
	v_fmaak_f64 v[20:21], v[18:19], v[20:21], 0x3efa01997c89e6b0
	s_delay_alu instid0(VALU_DEP_1) | instskip(NEXT) | instid1(VALU_DEP_1)
	v_fmaak_f64 v[20:21], v[18:19], v[20:21], 0x3f2a01a014761f6e
	v_fmaak_f64 v[20:21], v[18:19], v[20:21], 0x3f56c16c1852b7b0
	s_delay_alu instid0(VALU_DEP_1) | instskip(NEXT) | instid1(VALU_DEP_1)
	;; [unrolled: 3-line block ×4, first 2 shown]
	v_fma_f64 v[20:21], v[18:19], v[20:21], 1.0
	v_fma_f64 v[8:9], v[18:19], v[20:21], 1.0
	s_delay_alu instid0(VALU_DEP_1) | instskip(NEXT) | instid1(VALU_DEP_1)
	v_ldexp_f64 v[8:9], v[8:9], v3
	v_cndmask_b32_e32 v3, 0x7ff00000, v9, vcc_lo
	s_and_b32 vcc_lo, s0, vcc_lo
	s_delay_alu instid0(VALU_DEP_1) | instid1(SALU_CYCLE_1)
	v_dual_cndmask_b32 v8, 0, v8, vcc_lo :: v_dual_cndmask_b32 v9, 0, v3, s0
	s_mov_b64 s[0:1], 0x3fe5555555555555
	s_delay_alu instid0(VALU_DEP_1) | instskip(NEXT) | instid1(VALU_DEP_1)
	v_add_f64_e32 v[16:17], 1.0, v[8:9]
	v_frexp_mant_f64_e32 v[18:19], v[16:17]
	v_frexp_exp_i32_f64_e32 v3, v[16:17]
	s_delay_alu instid0(VALU_DEP_2) | instskip(SKIP_1) | instid1(VALU_DEP_2)
	v_cmp_gt_f64_e32 vcc_lo, s[0:1], v[18:19]
	s_mov_b64 s[0:1], 0x3fc3ab76bf559e2b
	v_subrev_co_ci_u32_e64 v3, null, 0, v3, vcc_lo
	v_cmp_nge_f64_e32 vcc_lo, -1.0, v[8:9]
	s_delay_alu instid0(VALU_DEP_2) | instskip(NEXT) | instid1(VALU_DEP_1)
	v_dual_add_f64 v[20:21], -1.0, v[16:17] :: v_dual_sub_nc_u32 v7, 0, v3
	v_add_f64_e64 v[18:19], v[20:21], -v[16:17]
	s_delay_alu instid0(VALU_DEP_2) | instskip(SKIP_1) | instid1(VALU_DEP_3)
	v_ldexp_f64 v[16:17], v[16:17], v7
	v_add_f64_e64 v[20:21], v[8:9], -v[20:21]
	v_add_f64_e32 v[18:19], 1.0, v[18:19]
	s_delay_alu instid0(VALU_DEP_3) | instskip(SKIP_1) | instid1(VALU_DEP_3)
	v_add_f64_e32 v[22:23], 1.0, v[16:17]
	v_add_f64_e32 v[28:29], -1.0, v[16:17]
	v_add_f64_e32 v[18:19], v[20:21], v[18:19]
	s_delay_alu instid0(VALU_DEP_3) | instskip(NEXT) | instid1(VALU_DEP_3)
	v_add_f64_e32 v[20:21], -1.0, v[22:23]
	v_add_f64_e32 v[30:31], 1.0, v[28:29]
	s_delay_alu instid0(VALU_DEP_3) | instskip(NEXT) | instid1(VALU_DEP_3)
	v_ldexp_f64 v[18:19], v[18:19], v7
	v_add_f64_e64 v[20:21], v[16:17], -v[20:21]
	s_delay_alu instid0(VALU_DEP_3) | instskip(NEXT) | instid1(VALU_DEP_2)
	v_add_f64_e64 v[16:17], v[16:17], -v[30:31]
	v_add_f64_e32 v[20:21], v[18:19], v[20:21]
	s_delay_alu instid0(VALU_DEP_2) | instskip(NEXT) | instid1(VALU_DEP_2)
	v_add_f64_e32 v[16:17], v[18:19], v[16:17]
	v_add_f64_e32 v[24:25], v[22:23], v[20:21]
	s_delay_alu instid0(VALU_DEP_2) | instskip(NEXT) | instid1(VALU_DEP_2)
	v_add_f64_e32 v[30:31], v[28:29], v[16:17]
	v_rcp_f64_e32 v[26:27], v[24:25]
	v_add_f64_e64 v[22:23], v[24:25], -v[22:23]
	s_delay_alu instid0(VALU_DEP_2) | instskip(NEXT) | instid1(VALU_DEP_2)
	v_add_f64_e64 v[28:29], v[30:31], -v[28:29]
	v_add_f64_e64 v[20:21], v[20:21], -v[22:23]
	s_delay_alu instid0(VALU_DEP_2) | instskip(NEXT) | instid1(TRANS32_DEP_1)
	v_add_f64_e64 v[16:17], v[16:17], -v[28:29]
	v_fma_f64 v[32:33], -v[24:25], v[26:27], 1.0
	s_delay_alu instid0(VALU_DEP_1) | instskip(NEXT) | instid1(VALU_DEP_1)
	v_fmac_f64_e32 v[26:27], v[32:33], v[26:27]
	v_fma_f64 v[18:19], -v[24:25], v[26:27], 1.0
	s_delay_alu instid0(VALU_DEP_1) | instskip(NEXT) | instid1(VALU_DEP_1)
	v_fmac_f64_e32 v[26:27], v[18:19], v[26:27]
	v_mul_f64_e32 v[18:19], v[30:31], v[26:27]
	s_delay_alu instid0(VALU_DEP_1) | instskip(NEXT) | instid1(VALU_DEP_1)
	v_mul_f64_e32 v[32:33], v[24:25], v[18:19]
	v_fma_f64 v[22:23], v[18:19], v[24:25], -v[32:33]
	s_delay_alu instid0(VALU_DEP_1) | instskip(NEXT) | instid1(VALU_DEP_1)
	v_fmac_f64_e32 v[22:23], v[18:19], v[20:21]
	v_add_f64_e32 v[34:35], v[32:33], v[22:23]
	s_delay_alu instid0(VALU_DEP_1) | instskip(SKIP_1) | instid1(VALU_DEP_2)
	v_add_f64_e64 v[36:37], v[30:31], -v[34:35]
	v_add_f64_e64 v[28:29], v[34:35], -v[32:33]
	;; [unrolled: 1-line block ×3, first 2 shown]
	s_delay_alu instid0(VALU_DEP_2) | instskip(NEXT) | instid1(VALU_DEP_2)
	v_add_f64_e64 v[22:23], v[28:29], -v[22:23]
	v_add_f64_e64 v[30:31], v[30:31], -v[34:35]
	s_delay_alu instid0(VALU_DEP_1) | instskip(NEXT) | instid1(VALU_DEP_1)
	v_add_f64_e32 v[16:17], v[16:17], v[30:31]
	v_add_f64_e32 v[16:17], v[22:23], v[16:17]
	s_delay_alu instid0(VALU_DEP_1) | instskip(NEXT) | instid1(VALU_DEP_1)
	v_add_f64_e32 v[22:23], v[36:37], v[16:17]
	v_mul_f64_e32 v[28:29], v[26:27], v[22:23]
	v_add_f64_e64 v[34:35], v[36:37], -v[22:23]
	s_delay_alu instid0(VALU_DEP_2) | instskip(NEXT) | instid1(VALU_DEP_2)
	v_mul_f64_e32 v[30:31], v[24:25], v[28:29]
	v_add_f64_e32 v[16:17], v[16:17], v[34:35]
	s_delay_alu instid0(VALU_DEP_2) | instskip(NEXT) | instid1(VALU_DEP_1)
	v_fma_f64 v[24:25], v[28:29], v[24:25], -v[30:31]
	v_fmac_f64_e32 v[24:25], v[28:29], v[20:21]
	s_delay_alu instid0(VALU_DEP_1) | instskip(NEXT) | instid1(VALU_DEP_1)
	v_add_f64_e32 v[20:21], v[30:31], v[24:25]
	v_add_f64_e64 v[32:33], v[22:23], -v[20:21]
	v_add_f64_e64 v[30:31], v[20:21], -v[30:31]
	s_delay_alu instid0(VALU_DEP_2) | instskip(NEXT) | instid1(VALU_DEP_1)
	v_add_f64_e64 v[22:23], v[22:23], -v[32:33]
	v_add_f64_e64 v[20:21], v[22:23], -v[20:21]
	s_delay_alu instid0(VALU_DEP_3) | instskip(NEXT) | instid1(VALU_DEP_2)
	v_add_f64_e64 v[22:23], v[30:31], -v[24:25]
	v_add_f64_e32 v[16:17], v[16:17], v[20:21]
	v_add_f64_e32 v[20:21], v[18:19], v[28:29]
	s_delay_alu instid0(VALU_DEP_2) | instskip(NEXT) | instid1(VALU_DEP_2)
	v_add_f64_e32 v[16:17], v[22:23], v[16:17]
	v_add_f64_e64 v[18:19], v[20:21], -v[18:19]
	s_delay_alu instid0(VALU_DEP_2) | instskip(NEXT) | instid1(VALU_DEP_2)
	v_add_f64_e32 v[16:17], v[32:33], v[16:17]
	v_add_f64_e64 v[18:19], v[28:29], -v[18:19]
	s_delay_alu instid0(VALU_DEP_2) | instskip(NEXT) | instid1(VALU_DEP_1)
	v_mul_f64_e32 v[16:17], v[26:27], v[16:17]
	v_add_f64_e32 v[16:17], v[18:19], v[16:17]
	s_delay_alu instid0(VALU_DEP_1) | instskip(NEXT) | instid1(VALU_DEP_1)
	v_add_f64_e32 v[18:19], v[20:21], v[16:17]
	v_mul_f64_e32 v[22:23], v[18:19], v[18:19]
	s_delay_alu instid0(VALU_DEP_1) | instskip(SKIP_2) | instid1(VALU_DEP_2)
	v_fmaak_f64 v[24:25], s[0:1], v[22:23], 0x3fc385386b47b09a
	v_mul_f64_e32 v[26:27], v[18:19], v[22:23]
	s_mov_b64 s[0:1], 0x3fe62e42fefa39ef
	v_fmaak_f64 v[24:25], v[22:23], v[24:25], 0x3fc7474dd7f4df2e
	s_delay_alu instid0(VALU_DEP_1) | instskip(NEXT) | instid1(VALU_DEP_1)
	v_fmaak_f64 v[24:25], v[22:23], v[24:25], 0x3fcc71c016291751
	v_fmaak_f64 v[24:25], v[22:23], v[24:25], 0x3fd249249b27acf1
	s_delay_alu instid0(VALU_DEP_1) | instskip(NEXT) | instid1(VALU_DEP_1)
	v_fmaak_f64 v[24:25], v[22:23], v[24:25], 0x3fd99999998ef7b6
	v_fmaak_f64 v[22:23], v[22:23], v[24:25], 0x3fe5555555555780
	v_ldexp_f64 v[24:25], v[18:19], 1
	v_add_f64_e64 v[18:19], v[18:19], -v[20:21]
	s_delay_alu instid0(VALU_DEP_3) | instskip(SKIP_1) | instid1(VALU_DEP_3)
	v_mul_f64_e32 v[22:23], v[26:27], v[22:23]
	v_cvt_f64_i32_e32 v[26:27], v3
	v_add_f64_e64 v[16:17], v[16:17], -v[18:19]
	s_delay_alu instid0(VALU_DEP_3) | instskip(NEXT) | instid1(VALU_DEP_2)
	v_add_f64_e32 v[20:21], v[24:25], v[22:23]
	v_ldexp_f64 v[16:17], v[16:17], 1
	s_delay_alu instid0(VALU_DEP_2) | instskip(SKIP_1) | instid1(VALU_DEP_2)
	v_add_f64_e64 v[18:19], v[20:21], -v[24:25]
	v_mul_f64_e32 v[24:25], 0x3fe62e42fefa39ef, v[26:27]
	v_add_f64_e64 v[18:19], v[22:23], -v[18:19]
	s_delay_alu instid0(VALU_DEP_2) | instskip(SKIP_2) | instid1(VALU_DEP_4)
	v_fma_f64 v[22:23], v[26:27], s[0:1], -v[24:25]
	v_cmp_neq_f64_e64 s0, 0x7ff00000, v[8:9]
	v_cmp_ngt_f64_e64 s1, -1.0, v[8:9]
	v_add_f64_e32 v[16:17], v[16:17], v[18:19]
	s_delay_alu instid0(VALU_DEP_4) | instskip(SKIP_1) | instid1(VALU_DEP_1)
	v_fmamk_f64 v[18:19], v[26:27], 0x3c7abc9e3b39803f, v[22:23]
	s_and_b32 vcc_lo, vcc_lo, s0
	v_add_f64_e32 v[22:23], v[24:25], v[18:19]
	s_delay_alu instid0(VALU_DEP_3) | instskip(NEXT) | instid1(VALU_DEP_2)
	v_add_f64_e32 v[26:27], v[20:21], v[16:17]
	v_add_f64_e64 v[24:25], v[22:23], -v[24:25]
	s_delay_alu instid0(VALU_DEP_2) | instskip(SKIP_1) | instid1(VALU_DEP_3)
	v_add_f64_e32 v[28:29], v[22:23], v[26:27]
	v_add_f64_e64 v[20:21], v[26:27], -v[20:21]
	v_add_f64_e64 v[18:19], v[18:19], -v[24:25]
	s_delay_alu instid0(VALU_DEP_3) | instskip(NEXT) | instid1(VALU_DEP_3)
	v_add_f64_e64 v[30:31], v[28:29], -v[22:23]
	v_add_f64_e64 v[16:17], v[16:17], -v[20:21]
	s_delay_alu instid0(VALU_DEP_2) | instskip(SKIP_1) | instid1(VALU_DEP_3)
	v_add_f64_e64 v[32:33], v[28:29], -v[30:31]
	v_add_f64_e64 v[20:21], v[26:27], -v[30:31]
	v_add_f64_e32 v[24:25], v[18:19], v[16:17]
	s_delay_alu instid0(VALU_DEP_3) | instskip(NEXT) | instid1(VALU_DEP_1)
	v_add_f64_e64 v[22:23], v[22:23], -v[32:33]
	v_add_f64_e32 v[20:21], v[20:21], v[22:23]
	s_delay_alu instid0(VALU_DEP_3) | instskip(NEXT) | instid1(VALU_DEP_2)
	v_add_f64_e64 v[22:23], v[24:25], -v[18:19]
	v_add_f64_e32 v[20:21], v[24:25], v[20:21]
	s_delay_alu instid0(VALU_DEP_2) | instskip(SKIP_1) | instid1(VALU_DEP_3)
	v_add_f64_e64 v[24:25], v[24:25], -v[22:23]
	v_add_f64_e64 v[16:17], v[16:17], -v[22:23]
	v_add_f64_e32 v[26:27], v[28:29], v[20:21]
	s_delay_alu instid0(VALU_DEP_3) | instskip(NEXT) | instid1(VALU_DEP_2)
	v_add_f64_e64 v[18:19], v[18:19], -v[24:25]
	v_add_f64_e64 v[22:23], v[26:27], -v[28:29]
	s_delay_alu instid0(VALU_DEP_2) | instskip(NEXT) | instid1(VALU_DEP_2)
	v_add_f64_e32 v[16:17], v[16:17], v[18:19]
	v_add_f64_e64 v[18:19], v[20:21], -v[22:23]
	s_delay_alu instid0(VALU_DEP_1) | instskip(NEXT) | instid1(VALU_DEP_1)
	v_add_f64_e32 v[16:17], v[16:17], v[18:19]
	v_add_f64_e32 v[16:17], v[26:27], v[16:17]
	s_delay_alu instid0(VALU_DEP_1) | instskip(SKIP_1) | instid1(VALU_DEP_3)
	v_cndmask_b32_e32 v16, 0, v16, vcc_lo
	v_cmp_neq_f64_e32 vcc_lo, -1.0, v[8:9]
	v_cndmask_b32_e64 v3, 0x7ff00000, v17, s0
	s_delay_alu instid0(VALU_DEP_1) | instskip(NEXT) | instid1(VALU_DEP_1)
	v_cndmask_b32_e64 v3, 0x7ff80000, v3, s1
	v_cndmask_b32_e32 v17, 0xfff00000, v3, vcc_lo
	s_delay_alu instid0(VALU_DEP_1) | instskip(NEXT) | instid1(VALU_DEP_1)
	v_div_scale_f64 v[8:9], null, s[8:9], s[8:9], v[16:17]
	v_rcp_f64_e32 v[18:19], v[8:9]
	v_nop
	s_delay_alu instid0(TRANS32_DEP_1) | instskip(NEXT) | instid1(VALU_DEP_1)
	v_fma_f64 v[20:21], -v[8:9], v[18:19], 1.0
	v_fmac_f64_e32 v[18:19], v[18:19], v[20:21]
	s_delay_alu instid0(VALU_DEP_1) | instskip(NEXT) | instid1(VALU_DEP_1)
	v_fma_f64 v[20:21], -v[8:9], v[18:19], 1.0
	v_fmac_f64_e32 v[18:19], v[18:19], v[20:21]
	v_div_scale_f64 v[20:21], vcc_lo, v[16:17], s[8:9], v[16:17]
	s_delay_alu instid0(VALU_DEP_1) | instskip(NEXT) | instid1(VALU_DEP_1)
	v_mul_f64_e32 v[22:23], v[20:21], v[18:19]
	v_fma_f64 v[8:9], -v[8:9], v[22:23], v[20:21]
	s_delay_alu instid0(VALU_DEP_1) | instskip(NEXT) | instid1(VALU_DEP_1)
	v_div_fmas_f64 v[8:9], v[8:9], v[18:19], v[22:23]
	v_div_fixup_f64 v[8:9], v[8:9], s[8:9], v[16:17]
.LBB7_1556:
	s_or_b32 exec_lo, exec_lo, s16
	v_mov_b32_e32 v13, 0
	s_cmp_lt_i32 s15, 11
	s_delay_alu instid0(VALU_DEP_1)
	v_add_nc_u64_e32 v[16:17], s[6:7], v[12:13]
	s_cbranch_scc1 .LBB7_1563
; %bb.1557:
	s_cmp_gt_i32 s15, 25
	s_mov_b32 s1, 0
	s_cbranch_scc0 .LBB7_1564
; %bb.1558:
	s_cmp_gt_i32 s15, 28
	s_cbranch_scc0 .LBB7_1565
; %bb.1559:
	s_cmp_gt_i32 s15, 43
	;; [unrolled: 3-line block ×3, first 2 shown]
	s_cbranch_scc0 .LBB7_1568
; %bb.1561:
	s_cmp_eq_u32 s15, 46
	s_mov_b32 s7, 0
	s_cbranch_scc0 .LBB7_1569
; %bb.1562:
	global_load_b32 v3, v[16:17], off
	s_mov_b32 s0, 0
	s_mov_b32 s6, -1
	s_wait_loadcnt 0x0
	v_lshlrev_b32_e32 v3, 16, v3
	s_delay_alu instid0(VALU_DEP_1)
	v_cvt_f64_f32_e32 v[12:13], v3
	s_branch .LBB7_1571
.LBB7_1563:
	s_mov_b32 s0, -1
	s_mov_b32 s6, 0
                                        ; implicit-def: $vgpr12_vgpr13
	s_branch .LBB7_1637
.LBB7_1564:
	s_mov_b32 s7, -1
	s_mov_b32 s6, 0
	s_mov_b32 s0, 0
                                        ; implicit-def: $vgpr12_vgpr13
	s_branch .LBB7_1600
.LBB7_1565:
	s_mov_b32 s7, -1
	s_mov_b32 s6, 0
	s_mov_b32 s0, 0
                                        ; implicit-def: $vgpr12_vgpr13
	s_branch .LBB7_1581
.LBB7_1566:
	s_mov_b32 s7, -1
	s_mov_b32 s6, 0
	s_mov_b32 s0, 0
                                        ; implicit-def: $vgpr12_vgpr13
	s_branch .LBB7_1576
.LBB7_1567:
	s_or_b32 s14, s14, exec_lo
	s_trap 2
	s_cbranch_execz .LBB7_1504
	s_branch .LBB7_1505
.LBB7_1568:
	s_mov_b32 s7, -1
	s_mov_b32 s6, 0
	s_mov_b32 s0, 0
	s_branch .LBB7_1570
.LBB7_1569:
	s_mov_b32 s0, -1
	s_mov_b32 s6, 0
.LBB7_1570:
                                        ; implicit-def: $vgpr12_vgpr13
.LBB7_1571:
	s_and_b32 vcc_lo, exec_lo, s7
	s_cbranch_vccz .LBB7_1575
; %bb.1572:
	s_cmp_eq_u32 s15, 44
	s_cbranch_scc0 .LBB7_1574
; %bb.1573:
	global_load_u8 v3, v[16:17], off
	s_mov_b32 s0, 0
	s_mov_b32 s6, -1
	s_wait_loadcnt 0x0
	v_lshlrev_b32_e32 v7, 23, v3
	v_cmp_ne_u32_e32 vcc_lo, 0xff, v3
	s_delay_alu instid0(VALU_DEP_2) | instskip(NEXT) | instid1(VALU_DEP_1)
	v_cvt_f64_f32_e32 v[12:13], v7
	v_cndmask_b32_e32 v7, 0x20000000, v12, vcc_lo
	s_delay_alu instid0(VALU_DEP_2) | instskip(SKIP_1) | instid1(VALU_DEP_2)
	v_cndmask_b32_e32 v11, 0x7ff80000, v13, vcc_lo
	v_cmp_ne_u32_e32 vcc_lo, 0, v3
	v_cndmask_b32_e32 v13, 0x38000000, v11, vcc_lo
	s_delay_alu instid0(VALU_DEP_4)
	v_cndmask_b32_e32 v12, 0, v7, vcc_lo
	s_branch .LBB7_1575
.LBB7_1574:
	s_mov_b32 s0, -1
                                        ; implicit-def: $vgpr12_vgpr13
.LBB7_1575:
	s_mov_b32 s7, 0
.LBB7_1576:
	s_delay_alu instid0(SALU_CYCLE_1)
	s_and_b32 vcc_lo, exec_lo, s7
	s_cbranch_vccz .LBB7_1580
; %bb.1577:
	s_cmp_eq_u32 s15, 29
	s_cbranch_scc0 .LBB7_1579
; %bb.1578:
	global_load_b64 v[12:13], v[16:17], off
	s_mov_b32 s0, 0
	s_mov_b32 s6, -1
	s_mov_b32 s7, 0
	s_wait_loadcnt 0x0
	v_cvt_f64_u32_e32 v[18:19], v13
	v_cvt_f64_u32_e32 v[12:13], v12
	s_delay_alu instid0(VALU_DEP_2) | instskip(NEXT) | instid1(VALU_DEP_1)
	v_ldexp_f64 v[18:19], v[18:19], 32
	v_add_f64_e32 v[12:13], v[18:19], v[12:13]
	s_branch .LBB7_1581
.LBB7_1579:
	s_mov_b32 s0, -1
                                        ; implicit-def: $vgpr12_vgpr13
.LBB7_1580:
	s_mov_b32 s7, 0
.LBB7_1581:
	s_delay_alu instid0(SALU_CYCLE_1)
	s_and_b32 vcc_lo, exec_lo, s7
	s_cbranch_vccz .LBB7_1599
; %bb.1582:
	s_cmp_lt_i32 s15, 27
	s_cbranch_scc1 .LBB7_1585
; %bb.1583:
	s_cmp_gt_i32 s15, 27
	s_cbranch_scc0 .LBB7_1586
; %bb.1584:
	global_load_b32 v3, v[16:17], off
	s_mov_b32 s6, 0
	s_wait_loadcnt 0x0
	v_cvt_f64_u32_e32 v[12:13], v3
	s_branch .LBB7_1587
.LBB7_1585:
	s_mov_b32 s6, -1
                                        ; implicit-def: $vgpr12_vgpr13
	s_branch .LBB7_1590
.LBB7_1586:
	s_mov_b32 s6, -1
                                        ; implicit-def: $vgpr12_vgpr13
.LBB7_1587:
	s_delay_alu instid0(SALU_CYCLE_1)
	s_and_not1_b32 vcc_lo, exec_lo, s6
	s_cbranch_vccnz .LBB7_1589
; %bb.1588:
	global_load_u16 v3, v[16:17], off
	s_wait_loadcnt 0x0
	v_cvt_f64_u32_e32 v[12:13], v3
.LBB7_1589:
	s_mov_b32 s6, 0
.LBB7_1590:
	s_delay_alu instid0(SALU_CYCLE_1)
	s_and_not1_b32 vcc_lo, exec_lo, s6
	s_cbranch_vccnz .LBB7_1598
; %bb.1591:
	global_load_u8 v3, v[16:17], off
	s_mov_b32 s6, 0
	s_mov_b32 s7, exec_lo
	s_wait_loadcnt 0x0
	v_cmpx_lt_i16_e32 0x7f, v3
	s_xor_b32 s7, exec_lo, s7
	s_cbranch_execz .LBB7_1612
; %bb.1592:
	s_mov_b32 s6, -1
	s_mov_b32 s16, exec_lo
	v_cmpx_eq_u16_e32 0x80, v3
; %bb.1593:
	s_xor_b32 s6, exec_lo, -1
; %bb.1594:
	s_or_b32 exec_lo, exec_lo, s16
	s_delay_alu instid0(SALU_CYCLE_1)
	s_and_b32 s6, s6, exec_lo
	s_or_saveexec_b32 s7, s7
	v_mov_b64_e32 v[12:13], 0x7ff8000020000000
	s_xor_b32 exec_lo, exec_lo, s7
	s_cbranch_execnz .LBB7_1613
.LBB7_1595:
	s_or_b32 exec_lo, exec_lo, s7
	s_and_saveexec_b32 s7, s6
	s_cbranch_execz .LBB7_1597
.LBB7_1596:
	v_and_b32_e32 v7, 0xffff, v3
	s_delay_alu instid0(VALU_DEP_1) | instskip(SKIP_1) | instid1(VALU_DEP_2)
	v_and_b32_e32 v11, 7, v7
	v_bfe_u32 v15, v7, 3, 4
	v_clz_i32_u32_e32 v12, v11
	s_delay_alu instid0(VALU_DEP_2) | instskip(NEXT) | instid1(VALU_DEP_2)
	v_cmp_eq_u32_e32 vcc_lo, 0, v15
	v_min_u32_e32 v12, 32, v12
	s_delay_alu instid0(VALU_DEP_1) | instskip(NEXT) | instid1(VALU_DEP_1)
	v_subrev_nc_u32_e32 v13, 28, v12
	v_dual_lshlrev_b32 v7, v13, v7 :: v_dual_sub_nc_u32 v12, 29, v12
	s_delay_alu instid0(VALU_DEP_1) | instskip(NEXT) | instid1(VALU_DEP_2)
	v_and_b32_e32 v7, 7, v7
	v_dual_cndmask_b32 v12, v15, v12 :: v_dual_lshlrev_b32 v3, 24, v3
	s_delay_alu instid0(VALU_DEP_2) | instskip(NEXT) | instid1(VALU_DEP_2)
	v_cndmask_b32_e32 v7, v11, v7, vcc_lo
	v_and_b32_e32 v3, 0x80000000, v3
	s_delay_alu instid0(VALU_DEP_3) | instskip(NEXT) | instid1(VALU_DEP_3)
	v_lshl_add_u32 v11, v12, 23, 0x3b800000
	v_lshlrev_b32_e32 v7, 20, v7
	s_delay_alu instid0(VALU_DEP_1) | instskip(NEXT) | instid1(VALU_DEP_1)
	v_or3_b32 v3, v3, v11, v7
	v_cvt_f64_f32_e32 v[12:13], v3
.LBB7_1597:
	s_or_b32 exec_lo, exec_lo, s7
.LBB7_1598:
	s_mov_b32 s6, -1
.LBB7_1599:
	s_mov_b32 s7, 0
.LBB7_1600:
	s_delay_alu instid0(SALU_CYCLE_1)
	s_and_b32 vcc_lo, exec_lo, s7
	s_cbranch_vccz .LBB7_1633
; %bb.1601:
	s_cmp_gt_i32 s15, 22
	s_cbranch_scc0 .LBB7_1611
; %bb.1602:
	s_cmp_lt_i32 s15, 24
	s_cbranch_scc1 .LBB7_1614
; %bb.1603:
	s_cmp_gt_i32 s15, 24
	s_cbranch_scc0 .LBB7_1615
; %bb.1604:
	global_load_u8 v3, v[16:17], off
	s_mov_b32 s6, exec_lo
	s_wait_loadcnt 0x0
	v_cmpx_lt_i16_e32 0x7f, v3
	s_xor_b32 s6, exec_lo, s6
	s_cbranch_execz .LBB7_1627
; %bb.1605:
	s_mov_b32 s1, -1
	s_mov_b32 s7, exec_lo
	v_cmpx_eq_u16_e32 0x80, v3
; %bb.1606:
	s_xor_b32 s1, exec_lo, -1
; %bb.1607:
	s_or_b32 exec_lo, exec_lo, s7
	s_delay_alu instid0(SALU_CYCLE_1)
	s_and_b32 s1, s1, exec_lo
	s_or_saveexec_b32 s6, s6
	v_mov_b64_e32 v[12:13], 0x7ff8000020000000
	s_xor_b32 exec_lo, exec_lo, s6
	s_cbranch_execnz .LBB7_1628
.LBB7_1608:
	s_or_b32 exec_lo, exec_lo, s6
	s_and_saveexec_b32 s6, s1
	s_cbranch_execz .LBB7_1610
.LBB7_1609:
	v_and_b32_e32 v7, 0xffff, v3
	s_delay_alu instid0(VALU_DEP_1) | instskip(SKIP_1) | instid1(VALU_DEP_2)
	v_and_b32_e32 v11, 3, v7
	v_bfe_u32 v15, v7, 2, 5
	v_clz_i32_u32_e32 v12, v11
	s_delay_alu instid0(VALU_DEP_2) | instskip(NEXT) | instid1(VALU_DEP_2)
	v_cmp_eq_u32_e32 vcc_lo, 0, v15
	v_min_u32_e32 v12, 32, v12
	s_delay_alu instid0(VALU_DEP_1) | instskip(NEXT) | instid1(VALU_DEP_1)
	v_subrev_nc_u32_e32 v13, 29, v12
	v_dual_lshlrev_b32 v7, v13, v7 :: v_dual_sub_nc_u32 v12, 30, v12
	s_delay_alu instid0(VALU_DEP_1) | instskip(NEXT) | instid1(VALU_DEP_2)
	v_and_b32_e32 v7, 3, v7
	v_dual_cndmask_b32 v12, v15, v12 :: v_dual_lshlrev_b32 v3, 24, v3
	s_delay_alu instid0(VALU_DEP_2) | instskip(NEXT) | instid1(VALU_DEP_2)
	v_cndmask_b32_e32 v7, v11, v7, vcc_lo
	v_and_b32_e32 v3, 0x80000000, v3
	s_delay_alu instid0(VALU_DEP_3) | instskip(NEXT) | instid1(VALU_DEP_3)
	v_lshl_add_u32 v11, v12, 23, 0x37800000
	v_lshlrev_b32_e32 v7, 21, v7
	s_delay_alu instid0(VALU_DEP_1) | instskip(NEXT) | instid1(VALU_DEP_1)
	v_or3_b32 v3, v3, v11, v7
	v_cvt_f64_f32_e32 v[12:13], v3
.LBB7_1610:
	s_or_b32 exec_lo, exec_lo, s6
	s_mov_b32 s1, 0
	s_branch .LBB7_1616
.LBB7_1611:
	s_mov_b32 s1, -1
                                        ; implicit-def: $vgpr12_vgpr13
	s_branch .LBB7_1622
.LBB7_1612:
	s_or_saveexec_b32 s7, s7
	v_mov_b64_e32 v[12:13], 0x7ff8000020000000
	s_xor_b32 exec_lo, exec_lo, s7
	s_cbranch_execz .LBB7_1595
.LBB7_1613:
	v_cmp_ne_u16_e32 vcc_lo, 0, v3
	v_mov_b64_e32 v[12:13], 0
	s_and_not1_b32 s6, s6, exec_lo
	s_and_b32 s16, vcc_lo, exec_lo
	s_delay_alu instid0(SALU_CYCLE_1)
	s_or_b32 s6, s6, s16
	s_or_b32 exec_lo, exec_lo, s7
	s_and_saveexec_b32 s7, s6
	s_cbranch_execnz .LBB7_1596
	s_branch .LBB7_1597
.LBB7_1614:
	s_mov_b32 s1, -1
                                        ; implicit-def: $vgpr12_vgpr13
	s_branch .LBB7_1619
.LBB7_1615:
	s_mov_b32 s1, -1
                                        ; implicit-def: $vgpr12_vgpr13
.LBB7_1616:
	s_delay_alu instid0(SALU_CYCLE_1)
	s_and_b32 vcc_lo, exec_lo, s1
	s_cbranch_vccz .LBB7_1618
; %bb.1617:
	global_load_u8 v3, v[16:17], off
	s_wait_loadcnt 0x0
	v_lshlrev_b32_e32 v3, 24, v3
	s_delay_alu instid0(VALU_DEP_1) | instskip(NEXT) | instid1(VALU_DEP_1)
	v_and_b32_e32 v7, 0x7f000000, v3
	v_clz_i32_u32_e32 v11, v7
	v_add_nc_u32_e32 v13, 0x1000000, v7
	v_cmp_ne_u32_e32 vcc_lo, 0, v7
	s_delay_alu instid0(VALU_DEP_3) | instskip(NEXT) | instid1(VALU_DEP_1)
	v_min_u32_e32 v11, 32, v11
	v_sub_nc_u32_e64 v11, v11, 4 clamp
	s_delay_alu instid0(VALU_DEP_1) | instskip(NEXT) | instid1(VALU_DEP_1)
	v_lshlrev_b32_e32 v12, v11, v7
	v_dual_lshlrev_b32 v11, 23, v11 :: v_dual_lshrrev_b32 v12, 4, v12
	s_delay_alu instid0(VALU_DEP_1) | instskip(NEXT) | instid1(VALU_DEP_1)
	v_dual_sub_nc_u32 v11, v12, v11 :: v_dual_ashrrev_i32 v12, 8, v13
	v_add_nc_u32_e32 v11, 0x3c000000, v11
	s_delay_alu instid0(VALU_DEP_1) | instskip(NEXT) | instid1(VALU_DEP_1)
	v_and_or_b32 v11, 0x7f800000, v12, v11
	v_cndmask_b32_e32 v7, 0, v11, vcc_lo
	s_delay_alu instid0(VALU_DEP_1) | instskip(NEXT) | instid1(VALU_DEP_1)
	v_and_or_b32 v3, 0x80000000, v3, v7
	v_cvt_f64_f32_e32 v[12:13], v3
.LBB7_1618:
	s_mov_b32 s1, 0
.LBB7_1619:
	s_delay_alu instid0(SALU_CYCLE_1)
	s_and_not1_b32 vcc_lo, exec_lo, s1
	s_cbranch_vccnz .LBB7_1621
; %bb.1620:
	global_load_u8 v3, v[16:17], off
	s_wait_loadcnt 0x0
	v_lshlrev_b32_e32 v7, 25, v3
	v_lshlrev_b16 v3, 8, v3
	s_delay_alu instid0(VALU_DEP_1) | instskip(SKIP_1) | instid1(VALU_DEP_2)
	v_and_or_b32 v12, 0x7f00, v3, 0.5
	v_bfe_i32 v3, v3, 0, 16
	v_dual_add_f32 v12, -0.5, v12 :: v_dual_lshrrev_b32 v11, 4, v7
	v_cmp_gt_u32_e32 vcc_lo, 0x8000000, v7
	s_delay_alu instid0(VALU_DEP_2) | instskip(NEXT) | instid1(VALU_DEP_1)
	v_or_b32_e32 v11, 0x70000000, v11
	v_mul_f32_e32 v11, 0x7800000, v11
	s_delay_alu instid0(VALU_DEP_1) | instskip(NEXT) | instid1(VALU_DEP_1)
	v_cndmask_b32_e32 v7, v11, v12, vcc_lo
	v_and_or_b32 v3, 0x80000000, v3, v7
	s_delay_alu instid0(VALU_DEP_1)
	v_cvt_f64_f32_e32 v[12:13], v3
.LBB7_1621:
	s_mov_b32 s1, 0
	s_mov_b32 s6, -1
.LBB7_1622:
	s_and_not1_b32 vcc_lo, exec_lo, s1
	s_mov_b32 s1, 0
	s_cbranch_vccnz .LBB7_1633
; %bb.1623:
	s_cmp_gt_i32 s15, 14
	s_cbranch_scc0 .LBB7_1626
; %bb.1624:
	s_cmp_eq_u32 s15, 15
	s_cbranch_scc0 .LBB7_1629
; %bb.1625:
	global_load_u16 v3, v[16:17], off
	s_mov_b32 s0, 0
	s_mov_b32 s6, -1
	s_wait_loadcnt 0x0
	v_lshlrev_b32_e32 v3, 16, v3
	s_delay_alu instid0(VALU_DEP_1)
	v_cvt_f64_f32_e32 v[12:13], v3
	s_branch .LBB7_1631
.LBB7_1626:
	s_mov_b32 s1, -1
	s_branch .LBB7_1630
.LBB7_1627:
	s_or_saveexec_b32 s6, s6
	v_mov_b64_e32 v[12:13], 0x7ff8000020000000
	s_xor_b32 exec_lo, exec_lo, s6
	s_cbranch_execz .LBB7_1608
.LBB7_1628:
	v_cmp_ne_u16_e32 vcc_lo, 0, v3
	v_mov_b64_e32 v[12:13], 0
	s_and_not1_b32 s1, s1, exec_lo
	s_and_b32 s7, vcc_lo, exec_lo
	s_delay_alu instid0(SALU_CYCLE_1)
	s_or_b32 s1, s1, s7
	s_or_b32 exec_lo, exec_lo, s6
	s_and_saveexec_b32 s6, s1
	s_cbranch_execnz .LBB7_1609
	s_branch .LBB7_1610
.LBB7_1629:
	s_mov_b32 s0, -1
.LBB7_1630:
                                        ; implicit-def: $vgpr12_vgpr13
.LBB7_1631:
	s_and_b32 vcc_lo, exec_lo, s1
	s_mov_b32 s1, 0
	s_cbranch_vccz .LBB7_1633
; %bb.1632:
	s_cmp_lg_u32 s15, 11
	s_mov_b32 s1, -1
	s_cselect_b32 s0, -1, 0
.LBB7_1633:
	s_delay_alu instid0(SALU_CYCLE_1)
	s_and_b32 vcc_lo, exec_lo, s0
	s_cbranch_vccnz .LBB7_2169
; %bb.1634:
	s_and_not1_b32 vcc_lo, exec_lo, s1
	s_cbranch_vccnz .LBB7_1636
.LBB7_1635:
	global_load_u8 v3, v[16:17], off
	v_mov_b32_e32 v12, 0
	s_mov_b32 s6, -1
	s_wait_loadcnt 0x0
	v_cmp_ne_u16_e32 vcc_lo, 0, v3
	v_cndmask_b32_e64 v13, 0, 0x3ff00000, vcc_lo
.LBB7_1636:
	s_mov_b32 s0, 0
.LBB7_1637:
	s_delay_alu instid0(SALU_CYCLE_1)
	s_and_b32 vcc_lo, exec_lo, s0
	s_cbranch_vccz .LBB7_1686
; %bb.1638:
	s_cmp_lt_i32 s15, 5
	s_cbranch_scc1 .LBB7_1643
; %bb.1639:
	s_cmp_lt_i32 s15, 8
	s_cbranch_scc1 .LBB7_1644
; %bb.1640:
	s_cmp_lt_i32 s15, 9
	s_cbranch_scc1 .LBB7_1645
; %bb.1641:
	s_cmp_gt_i32 s15, 9
	s_cbranch_scc0 .LBB7_1646
; %bb.1642:
	global_load_b64 v[12:13], v[16:17], off
	s_mov_b32 s0, 0
	s_branch .LBB7_1647
.LBB7_1643:
	s_mov_b32 s0, -1
                                        ; implicit-def: $vgpr12_vgpr13
	s_branch .LBB7_1665
.LBB7_1644:
	s_mov_b32 s0, -1
                                        ; implicit-def: $vgpr12_vgpr13
	s_branch .LBB7_1653
.LBB7_1645:
	s_mov_b32 s0, -1
                                        ; implicit-def: $vgpr12_vgpr13
	s_branch .LBB7_1650
.LBB7_1646:
	s_mov_b32 s0, -1
                                        ; implicit-def: $vgpr12_vgpr13
.LBB7_1647:
	s_delay_alu instid0(SALU_CYCLE_1)
	s_and_not1_b32 vcc_lo, exec_lo, s0
	s_cbranch_vccnz .LBB7_1649
; %bb.1648:
	global_load_b32 v3, v[16:17], off
	s_wait_loadcnt 0x0
	v_cvt_f64_f32_e32 v[12:13], v3
.LBB7_1649:
	s_mov_b32 s0, 0
.LBB7_1650:
	s_delay_alu instid0(SALU_CYCLE_1)
	s_and_not1_b32 vcc_lo, exec_lo, s0
	s_cbranch_vccnz .LBB7_1652
; %bb.1651:
	global_load_b32 v3, v[16:17], off
	s_wait_loadcnt 0x0
	v_cvt_f32_f16_e32 v3, v3
	s_delay_alu instid0(VALU_DEP_1)
	v_cvt_f64_f32_e32 v[12:13], v3
.LBB7_1652:
	s_mov_b32 s0, 0
.LBB7_1653:
	s_delay_alu instid0(SALU_CYCLE_1)
	s_and_not1_b32 vcc_lo, exec_lo, s0
	s_cbranch_vccnz .LBB7_1664
; %bb.1654:
	s_cmp_lt_i32 s15, 6
	s_cbranch_scc1 .LBB7_1657
; %bb.1655:
	s_cmp_gt_i32 s15, 6
	s_cbranch_scc0 .LBB7_1658
; %bb.1656:
	s_wait_loadcnt 0x0
	global_load_b64 v[12:13], v[16:17], off
	s_mov_b32 s0, 0
	s_branch .LBB7_1659
.LBB7_1657:
	s_mov_b32 s0, -1
                                        ; implicit-def: $vgpr12_vgpr13
	s_branch .LBB7_1662
.LBB7_1658:
	s_mov_b32 s0, -1
                                        ; implicit-def: $vgpr12_vgpr13
.LBB7_1659:
	s_delay_alu instid0(SALU_CYCLE_1)
	s_and_not1_b32 vcc_lo, exec_lo, s0
	s_cbranch_vccnz .LBB7_1661
; %bb.1660:
	global_load_b32 v3, v[16:17], off
	s_wait_loadcnt 0x0
	v_cvt_f64_f32_e32 v[12:13], v3
.LBB7_1661:
	s_mov_b32 s0, 0
.LBB7_1662:
	s_delay_alu instid0(SALU_CYCLE_1)
	s_and_not1_b32 vcc_lo, exec_lo, s0
	s_cbranch_vccnz .LBB7_1664
; %bb.1663:
	global_load_u16 v3, v[16:17], off
	s_wait_loadcnt 0x0
	v_cvt_f32_f16_e32 v3, v3
	s_delay_alu instid0(VALU_DEP_1)
	v_cvt_f64_f32_e32 v[12:13], v3
.LBB7_1664:
	s_mov_b32 s0, 0
.LBB7_1665:
	s_delay_alu instid0(SALU_CYCLE_1)
	s_and_not1_b32 vcc_lo, exec_lo, s0
	s_cbranch_vccnz .LBB7_1685
; %bb.1666:
	s_cmp_lt_i32 s15, 2
	s_cbranch_scc1 .LBB7_1670
; %bb.1667:
	s_cmp_lt_i32 s15, 3
	s_cbranch_scc1 .LBB7_1671
; %bb.1668:
	s_cmp_gt_i32 s15, 3
	s_cbranch_scc0 .LBB7_1672
; %bb.1669:
	s_wait_loadcnt 0x0
	global_load_b64 v[12:13], v[16:17], off
	s_mov_b32 s0, 0
	s_wait_loadcnt 0x0
	v_cvt_f64_i32_e32 v[18:19], v13
	v_cvt_f64_u32_e32 v[12:13], v12
	s_delay_alu instid0(VALU_DEP_2) | instskip(NEXT) | instid1(VALU_DEP_1)
	v_ldexp_f64 v[18:19], v[18:19], 32
	v_add_f64_e32 v[12:13], v[18:19], v[12:13]
	s_branch .LBB7_1673
.LBB7_1670:
	s_mov_b32 s0, -1
                                        ; implicit-def: $vgpr12_vgpr13
	s_branch .LBB7_1679
.LBB7_1671:
	s_mov_b32 s0, -1
                                        ; implicit-def: $vgpr12_vgpr13
	s_branch .LBB7_1676
.LBB7_1672:
	s_mov_b32 s0, -1
                                        ; implicit-def: $vgpr12_vgpr13
.LBB7_1673:
	s_delay_alu instid0(SALU_CYCLE_1)
	s_and_not1_b32 vcc_lo, exec_lo, s0
	s_cbranch_vccnz .LBB7_1675
; %bb.1674:
	global_load_b32 v3, v[16:17], off
	s_wait_loadcnt 0x0
	v_cvt_f64_i32_e32 v[12:13], v3
.LBB7_1675:
	s_mov_b32 s0, 0
.LBB7_1676:
	s_delay_alu instid0(SALU_CYCLE_1)
	s_and_not1_b32 vcc_lo, exec_lo, s0
	s_cbranch_vccnz .LBB7_1678
; %bb.1677:
	global_load_i16 v3, v[16:17], off
	s_wait_loadcnt 0x0
	v_cvt_f64_i32_e32 v[12:13], v3
.LBB7_1678:
	s_mov_b32 s0, 0
.LBB7_1679:
	s_delay_alu instid0(SALU_CYCLE_1)
	s_and_not1_b32 vcc_lo, exec_lo, s0
	s_cbranch_vccnz .LBB7_1685
; %bb.1680:
	s_cmp_gt_i32 s15, 0
	s_mov_b32 s0, 0
	s_cbranch_scc0 .LBB7_1682
; %bb.1681:
	global_load_i8 v3, v[16:17], off
	s_wait_loadcnt 0x0
	v_cvt_f64_i32_e32 v[12:13], v3
	s_branch .LBB7_1683
.LBB7_1682:
	s_mov_b32 s0, -1
                                        ; implicit-def: $vgpr12_vgpr13
.LBB7_1683:
	s_delay_alu instid0(SALU_CYCLE_1)
	s_and_not1_b32 vcc_lo, exec_lo, s0
	s_cbranch_vccnz .LBB7_1685
; %bb.1684:
	global_load_u8 v3, v[16:17], off
	s_wait_loadcnt 0x0
	v_cvt_f64_u32_e32 v[12:13], v3
.LBB7_1685:
	s_mov_b32 s6, -1
.LBB7_1686:
	s_delay_alu instid0(SALU_CYCLE_1)
	s_and_not1_b32 vcc_lo, exec_lo, s6
	s_cbranch_vccnz .LBB7_1767
; %bb.1687:
	s_wait_loadcnt 0x0
	s_delay_alu instid0(VALU_DEP_1) | instskip(SKIP_1) | instid1(VALU_DEP_1)
	v_mul_f64_e32 v[16:17], s[8:9], v[12:13]
	s_mov_b32 s6, exec_lo
	v_cmpx_nlt_f64_e32 s[10:11], v[16:17]
	s_cbranch_execz .LBB7_1689
; %bb.1688:
	v_mul_f64_e32 v[12:13], 0x3ff71547652b82fe, v[16:17]
	s_mov_b64 s[0:1], 0x3e5ade156a5dcb37
	v_cmp_nlt_f64_e32 vcc_lo, 0x40900000, v[16:17]
	s_delay_alu instid0(VALU_DEP_2) | instskip(NEXT) | instid1(VALU_DEP_1)
	v_rndne_f64_e32 v[12:13], v[12:13]
	v_fmamk_f64 v[18:19], v[12:13], 0xbfe62e42fefa39ef, v[16:17]
	v_cvt_i32_f64_e32 v3, v[12:13]
	s_delay_alu instid0(VALU_DEP_2) | instskip(NEXT) | instid1(VALU_DEP_1)
	v_fmamk_f64 v[18:19], v[12:13], 0xbc7abc9e3b39803f, v[18:19]
	v_fmaak_f64 v[20:21], s[0:1], v[18:19], 0x3e928af3fca7ab0c
	v_cmp_ngt_f64_e64 s0, 0xc090cc00, v[16:17]
	s_delay_alu instid0(VALU_DEP_2) | instskip(NEXT) | instid1(VALU_DEP_1)
	v_fmaak_f64 v[20:21], v[18:19], v[20:21], 0x3ec71dee623fde64
	v_fmaak_f64 v[20:21], v[18:19], v[20:21], 0x3efa01997c89e6b0
	s_delay_alu instid0(VALU_DEP_1) | instskip(NEXT) | instid1(VALU_DEP_1)
	v_fmaak_f64 v[20:21], v[18:19], v[20:21], 0x3f2a01a014761f6e
	v_fmaak_f64 v[20:21], v[18:19], v[20:21], 0x3f56c16c1852b7b0
	s_delay_alu instid0(VALU_DEP_1) | instskip(NEXT) | instid1(VALU_DEP_1)
	;; [unrolled: 3-line block ×4, first 2 shown]
	v_fma_f64 v[20:21], v[18:19], v[20:21], 1.0
	v_fma_f64 v[12:13], v[18:19], v[20:21], 1.0
	s_delay_alu instid0(VALU_DEP_1) | instskip(NEXT) | instid1(VALU_DEP_1)
	v_ldexp_f64 v[12:13], v[12:13], v3
	v_cndmask_b32_e32 v3, 0x7ff00000, v13, vcc_lo
	s_and_b32 vcc_lo, s0, vcc_lo
	s_delay_alu instid0(VALU_DEP_1) | instid1(SALU_CYCLE_1)
	v_dual_cndmask_b32 v12, 0, v12, vcc_lo :: v_dual_cndmask_b32 v13, 0, v3, s0
	s_mov_b64 s[0:1], 0x3fe5555555555555
	s_delay_alu instid0(VALU_DEP_1) | instskip(NEXT) | instid1(VALU_DEP_1)
	v_add_f64_e32 v[16:17], 1.0, v[12:13]
	v_frexp_mant_f64_e32 v[18:19], v[16:17]
	v_frexp_exp_i32_f64_e32 v3, v[16:17]
	s_delay_alu instid0(VALU_DEP_2) | instskip(SKIP_1) | instid1(VALU_DEP_2)
	v_cmp_gt_f64_e32 vcc_lo, s[0:1], v[18:19]
	s_mov_b64 s[0:1], 0x3fc3ab76bf559e2b
	v_subrev_co_ci_u32_e64 v3, null, 0, v3, vcc_lo
	v_cmp_nge_f64_e32 vcc_lo, -1.0, v[12:13]
	s_delay_alu instid0(VALU_DEP_2) | instskip(NEXT) | instid1(VALU_DEP_1)
	v_dual_add_f64 v[20:21], -1.0, v[16:17] :: v_dual_sub_nc_u32 v7, 0, v3
	v_add_f64_e64 v[18:19], v[20:21], -v[16:17]
	s_delay_alu instid0(VALU_DEP_2) | instskip(SKIP_1) | instid1(VALU_DEP_3)
	v_ldexp_f64 v[16:17], v[16:17], v7
	v_add_f64_e64 v[20:21], v[12:13], -v[20:21]
	v_add_f64_e32 v[18:19], 1.0, v[18:19]
	s_delay_alu instid0(VALU_DEP_3) | instskip(SKIP_1) | instid1(VALU_DEP_3)
	v_add_f64_e32 v[22:23], 1.0, v[16:17]
	v_add_f64_e32 v[28:29], -1.0, v[16:17]
	v_add_f64_e32 v[18:19], v[20:21], v[18:19]
	s_delay_alu instid0(VALU_DEP_3) | instskip(NEXT) | instid1(VALU_DEP_3)
	v_add_f64_e32 v[20:21], -1.0, v[22:23]
	v_add_f64_e32 v[30:31], 1.0, v[28:29]
	s_delay_alu instid0(VALU_DEP_3) | instskip(NEXT) | instid1(VALU_DEP_3)
	v_ldexp_f64 v[18:19], v[18:19], v7
	v_add_f64_e64 v[20:21], v[16:17], -v[20:21]
	s_delay_alu instid0(VALU_DEP_3) | instskip(NEXT) | instid1(VALU_DEP_2)
	v_add_f64_e64 v[16:17], v[16:17], -v[30:31]
	v_add_f64_e32 v[20:21], v[18:19], v[20:21]
	s_delay_alu instid0(VALU_DEP_2) | instskip(NEXT) | instid1(VALU_DEP_2)
	v_add_f64_e32 v[16:17], v[18:19], v[16:17]
	v_add_f64_e32 v[24:25], v[22:23], v[20:21]
	s_delay_alu instid0(VALU_DEP_2) | instskip(NEXT) | instid1(VALU_DEP_2)
	v_add_f64_e32 v[30:31], v[28:29], v[16:17]
	v_rcp_f64_e32 v[26:27], v[24:25]
	v_add_f64_e64 v[22:23], v[24:25], -v[22:23]
	s_delay_alu instid0(VALU_DEP_2) | instskip(NEXT) | instid1(VALU_DEP_2)
	v_add_f64_e64 v[28:29], v[30:31], -v[28:29]
	v_add_f64_e64 v[20:21], v[20:21], -v[22:23]
	s_delay_alu instid0(VALU_DEP_2) | instskip(NEXT) | instid1(TRANS32_DEP_1)
	v_add_f64_e64 v[16:17], v[16:17], -v[28:29]
	v_fma_f64 v[32:33], -v[24:25], v[26:27], 1.0
	s_delay_alu instid0(VALU_DEP_1) | instskip(NEXT) | instid1(VALU_DEP_1)
	v_fmac_f64_e32 v[26:27], v[32:33], v[26:27]
	v_fma_f64 v[18:19], -v[24:25], v[26:27], 1.0
	s_delay_alu instid0(VALU_DEP_1) | instskip(NEXT) | instid1(VALU_DEP_1)
	v_fmac_f64_e32 v[26:27], v[18:19], v[26:27]
	v_mul_f64_e32 v[18:19], v[30:31], v[26:27]
	s_delay_alu instid0(VALU_DEP_1) | instskip(NEXT) | instid1(VALU_DEP_1)
	v_mul_f64_e32 v[32:33], v[24:25], v[18:19]
	v_fma_f64 v[22:23], v[18:19], v[24:25], -v[32:33]
	s_delay_alu instid0(VALU_DEP_1) | instskip(NEXT) | instid1(VALU_DEP_1)
	v_fmac_f64_e32 v[22:23], v[18:19], v[20:21]
	v_add_f64_e32 v[34:35], v[32:33], v[22:23]
	s_delay_alu instid0(VALU_DEP_1) | instskip(SKIP_1) | instid1(VALU_DEP_2)
	v_add_f64_e64 v[36:37], v[30:31], -v[34:35]
	v_add_f64_e64 v[28:29], v[34:35], -v[32:33]
	;; [unrolled: 1-line block ×3, first 2 shown]
	s_delay_alu instid0(VALU_DEP_2) | instskip(NEXT) | instid1(VALU_DEP_2)
	v_add_f64_e64 v[22:23], v[28:29], -v[22:23]
	v_add_f64_e64 v[30:31], v[30:31], -v[34:35]
	s_delay_alu instid0(VALU_DEP_1) | instskip(NEXT) | instid1(VALU_DEP_1)
	v_add_f64_e32 v[16:17], v[16:17], v[30:31]
	v_add_f64_e32 v[16:17], v[22:23], v[16:17]
	s_delay_alu instid0(VALU_DEP_1) | instskip(NEXT) | instid1(VALU_DEP_1)
	v_add_f64_e32 v[22:23], v[36:37], v[16:17]
	v_mul_f64_e32 v[28:29], v[26:27], v[22:23]
	v_add_f64_e64 v[34:35], v[36:37], -v[22:23]
	s_delay_alu instid0(VALU_DEP_2) | instskip(NEXT) | instid1(VALU_DEP_2)
	v_mul_f64_e32 v[30:31], v[24:25], v[28:29]
	v_add_f64_e32 v[16:17], v[16:17], v[34:35]
	s_delay_alu instid0(VALU_DEP_2) | instskip(NEXT) | instid1(VALU_DEP_1)
	v_fma_f64 v[24:25], v[28:29], v[24:25], -v[30:31]
	v_fmac_f64_e32 v[24:25], v[28:29], v[20:21]
	s_delay_alu instid0(VALU_DEP_1) | instskip(NEXT) | instid1(VALU_DEP_1)
	v_add_f64_e32 v[20:21], v[30:31], v[24:25]
	v_add_f64_e64 v[32:33], v[22:23], -v[20:21]
	v_add_f64_e64 v[30:31], v[20:21], -v[30:31]
	s_delay_alu instid0(VALU_DEP_2) | instskip(NEXT) | instid1(VALU_DEP_1)
	v_add_f64_e64 v[22:23], v[22:23], -v[32:33]
	v_add_f64_e64 v[20:21], v[22:23], -v[20:21]
	s_delay_alu instid0(VALU_DEP_3) | instskip(NEXT) | instid1(VALU_DEP_2)
	v_add_f64_e64 v[22:23], v[30:31], -v[24:25]
	v_add_f64_e32 v[16:17], v[16:17], v[20:21]
	v_add_f64_e32 v[20:21], v[18:19], v[28:29]
	s_delay_alu instid0(VALU_DEP_2) | instskip(NEXT) | instid1(VALU_DEP_2)
	v_add_f64_e32 v[16:17], v[22:23], v[16:17]
	v_add_f64_e64 v[18:19], v[20:21], -v[18:19]
	s_delay_alu instid0(VALU_DEP_2) | instskip(NEXT) | instid1(VALU_DEP_2)
	v_add_f64_e32 v[16:17], v[32:33], v[16:17]
	v_add_f64_e64 v[18:19], v[28:29], -v[18:19]
	s_delay_alu instid0(VALU_DEP_2) | instskip(NEXT) | instid1(VALU_DEP_1)
	v_mul_f64_e32 v[16:17], v[26:27], v[16:17]
	v_add_f64_e32 v[16:17], v[18:19], v[16:17]
	s_delay_alu instid0(VALU_DEP_1) | instskip(NEXT) | instid1(VALU_DEP_1)
	v_add_f64_e32 v[18:19], v[20:21], v[16:17]
	v_mul_f64_e32 v[22:23], v[18:19], v[18:19]
	s_delay_alu instid0(VALU_DEP_1) | instskip(SKIP_2) | instid1(VALU_DEP_2)
	v_fmaak_f64 v[24:25], s[0:1], v[22:23], 0x3fc385386b47b09a
	v_mul_f64_e32 v[26:27], v[18:19], v[22:23]
	s_mov_b64 s[0:1], 0x3fe62e42fefa39ef
	v_fmaak_f64 v[24:25], v[22:23], v[24:25], 0x3fc7474dd7f4df2e
	s_delay_alu instid0(VALU_DEP_1) | instskip(NEXT) | instid1(VALU_DEP_1)
	v_fmaak_f64 v[24:25], v[22:23], v[24:25], 0x3fcc71c016291751
	v_fmaak_f64 v[24:25], v[22:23], v[24:25], 0x3fd249249b27acf1
	s_delay_alu instid0(VALU_DEP_1) | instskip(NEXT) | instid1(VALU_DEP_1)
	v_fmaak_f64 v[24:25], v[22:23], v[24:25], 0x3fd99999998ef7b6
	v_fmaak_f64 v[22:23], v[22:23], v[24:25], 0x3fe5555555555780
	v_ldexp_f64 v[24:25], v[18:19], 1
	v_add_f64_e64 v[18:19], v[18:19], -v[20:21]
	s_delay_alu instid0(VALU_DEP_3) | instskip(SKIP_1) | instid1(VALU_DEP_3)
	v_mul_f64_e32 v[22:23], v[26:27], v[22:23]
	v_cvt_f64_i32_e32 v[26:27], v3
	v_add_f64_e64 v[16:17], v[16:17], -v[18:19]
	s_delay_alu instid0(VALU_DEP_3) | instskip(NEXT) | instid1(VALU_DEP_2)
	v_add_f64_e32 v[20:21], v[24:25], v[22:23]
	v_ldexp_f64 v[16:17], v[16:17], 1
	s_delay_alu instid0(VALU_DEP_2) | instskip(SKIP_1) | instid1(VALU_DEP_2)
	v_add_f64_e64 v[18:19], v[20:21], -v[24:25]
	v_mul_f64_e32 v[24:25], 0x3fe62e42fefa39ef, v[26:27]
	v_add_f64_e64 v[18:19], v[22:23], -v[18:19]
	s_delay_alu instid0(VALU_DEP_2) | instskip(SKIP_2) | instid1(VALU_DEP_4)
	v_fma_f64 v[22:23], v[26:27], s[0:1], -v[24:25]
	v_cmp_neq_f64_e64 s0, 0x7ff00000, v[12:13]
	v_cmp_ngt_f64_e64 s1, -1.0, v[12:13]
	v_add_f64_e32 v[16:17], v[16:17], v[18:19]
	s_delay_alu instid0(VALU_DEP_4) | instskip(SKIP_1) | instid1(VALU_DEP_1)
	v_fmamk_f64 v[18:19], v[26:27], 0x3c7abc9e3b39803f, v[22:23]
	s_and_b32 vcc_lo, vcc_lo, s0
	v_add_f64_e32 v[22:23], v[24:25], v[18:19]
	s_delay_alu instid0(VALU_DEP_3) | instskip(NEXT) | instid1(VALU_DEP_2)
	v_add_f64_e32 v[26:27], v[20:21], v[16:17]
	v_add_f64_e64 v[24:25], v[22:23], -v[24:25]
	s_delay_alu instid0(VALU_DEP_2) | instskip(SKIP_1) | instid1(VALU_DEP_3)
	v_add_f64_e32 v[28:29], v[22:23], v[26:27]
	v_add_f64_e64 v[20:21], v[26:27], -v[20:21]
	v_add_f64_e64 v[18:19], v[18:19], -v[24:25]
	s_delay_alu instid0(VALU_DEP_3) | instskip(NEXT) | instid1(VALU_DEP_3)
	v_add_f64_e64 v[30:31], v[28:29], -v[22:23]
	v_add_f64_e64 v[16:17], v[16:17], -v[20:21]
	s_delay_alu instid0(VALU_DEP_2) | instskip(SKIP_1) | instid1(VALU_DEP_3)
	v_add_f64_e64 v[32:33], v[28:29], -v[30:31]
	v_add_f64_e64 v[20:21], v[26:27], -v[30:31]
	v_add_f64_e32 v[24:25], v[18:19], v[16:17]
	s_delay_alu instid0(VALU_DEP_3) | instskip(NEXT) | instid1(VALU_DEP_1)
	v_add_f64_e64 v[22:23], v[22:23], -v[32:33]
	v_add_f64_e32 v[20:21], v[20:21], v[22:23]
	s_delay_alu instid0(VALU_DEP_3) | instskip(NEXT) | instid1(VALU_DEP_2)
	v_add_f64_e64 v[22:23], v[24:25], -v[18:19]
	v_add_f64_e32 v[20:21], v[24:25], v[20:21]
	s_delay_alu instid0(VALU_DEP_2) | instskip(SKIP_1) | instid1(VALU_DEP_3)
	v_add_f64_e64 v[24:25], v[24:25], -v[22:23]
	v_add_f64_e64 v[16:17], v[16:17], -v[22:23]
	v_add_f64_e32 v[26:27], v[28:29], v[20:21]
	s_delay_alu instid0(VALU_DEP_3) | instskip(NEXT) | instid1(VALU_DEP_2)
	v_add_f64_e64 v[18:19], v[18:19], -v[24:25]
	v_add_f64_e64 v[22:23], v[26:27], -v[28:29]
	s_delay_alu instid0(VALU_DEP_2) | instskip(NEXT) | instid1(VALU_DEP_2)
	v_add_f64_e32 v[16:17], v[16:17], v[18:19]
	v_add_f64_e64 v[18:19], v[20:21], -v[22:23]
	s_delay_alu instid0(VALU_DEP_1) | instskip(NEXT) | instid1(VALU_DEP_1)
	v_add_f64_e32 v[16:17], v[16:17], v[18:19]
	v_add_f64_e32 v[16:17], v[26:27], v[16:17]
	s_delay_alu instid0(VALU_DEP_1) | instskip(SKIP_1) | instid1(VALU_DEP_3)
	v_cndmask_b32_e32 v16, 0, v16, vcc_lo
	v_cmp_neq_f64_e32 vcc_lo, -1.0, v[12:13]
	v_cndmask_b32_e64 v3, 0x7ff00000, v17, s0
	s_delay_alu instid0(VALU_DEP_1) | instskip(NEXT) | instid1(VALU_DEP_1)
	v_cndmask_b32_e64 v3, 0x7ff80000, v3, s1
	v_cndmask_b32_e32 v17, 0xfff00000, v3, vcc_lo
	s_delay_alu instid0(VALU_DEP_1) | instskip(NEXT) | instid1(VALU_DEP_1)
	v_div_scale_f64 v[12:13], null, s[8:9], s[8:9], v[16:17]
	v_rcp_f64_e32 v[18:19], v[12:13]
	v_nop
	s_delay_alu instid0(TRANS32_DEP_1) | instskip(NEXT) | instid1(VALU_DEP_1)
	v_fma_f64 v[20:21], -v[12:13], v[18:19], 1.0
	v_fmac_f64_e32 v[18:19], v[18:19], v[20:21]
	s_delay_alu instid0(VALU_DEP_1) | instskip(NEXT) | instid1(VALU_DEP_1)
	v_fma_f64 v[20:21], -v[12:13], v[18:19], 1.0
	v_fmac_f64_e32 v[18:19], v[18:19], v[20:21]
	v_div_scale_f64 v[20:21], vcc_lo, v[16:17], s[8:9], v[16:17]
	s_delay_alu instid0(VALU_DEP_1) | instskip(NEXT) | instid1(VALU_DEP_1)
	v_mul_f64_e32 v[22:23], v[20:21], v[18:19]
	v_fma_f64 v[12:13], -v[12:13], v[22:23], v[20:21]
	s_delay_alu instid0(VALU_DEP_1) | instskip(NEXT) | instid1(VALU_DEP_1)
	v_div_fmas_f64 v[12:13], v[12:13], v[18:19], v[22:23]
	v_div_fixup_f64 v[12:13], v[12:13], s[8:9], v[16:17]
.LBB7_1689:
	s_or_b32 exec_lo, exec_lo, s6
	s_load_b32 s0, s[2:3], 0x168
	v_mov_b32_e32 v3, 0
	s_delay_alu instid0(VALU_DEP_1) | instskip(SKIP_2) | instid1(SALU_CYCLE_1)
	v_add_nc_u64_e32 v[16:17], s[4:5], v[2:3]
	s_wait_kmcnt 0x0
	s_and_b32 s1, s0, 0xff
	s_cmp_lt_i32 s1, 11
	s_cbranch_scc1 .LBB7_1812
; %bb.1690:
	s_and_b32 s2, 0xffff, s1
	s_mov_b32 s7, -1
	s_mov_b32 s3, 0
	s_cmp_gt_i32 s2, 25
	s_mov_b32 s6, 0
	s_mov_b32 s0, 0
	s_cbranch_scc0 .LBB7_1723
; %bb.1691:
	s_cmp_gt_i32 s2, 28
	s_cbranch_scc0 .LBB7_1706
; %bb.1692:
	s_cmp_gt_i32 s2, 43
	;; [unrolled: 3-line block ×3, first 2 shown]
	s_cbranch_scc0 .LBB7_1696
; %bb.1694:
	s_mov_b32 s0, -1
	s_mov_b32 s7, 0
	s_cmp_eq_u32 s2, 46
	s_cbranch_scc0 .LBB7_1696
; %bb.1695:
	v_cvt_f32_f64_e32 v2, v[0:1]
	s_mov_b32 s0, 0
	s_mov_b32 s6, -1
	s_delay_alu instid0(VALU_DEP_1) | instskip(SKIP_1) | instid1(VALU_DEP_2)
	v_bfe_u32 v3, v2, 16, 1
	v_cmp_o_f32_e32 vcc_lo, v2, v2
	v_add3_u32 v3, v2, v3, 0x7fff
	s_delay_alu instid0(VALU_DEP_1) | instskip(NEXT) | instid1(VALU_DEP_1)
	v_lshrrev_b32_e32 v3, 16, v3
	v_cndmask_b32_e32 v2, 0x7fc0, v3, vcc_lo
	global_store_b32 v[16:17], v2, off
.LBB7_1696:
	s_and_b32 vcc_lo, exec_lo, s7
	s_cbranch_vccz .LBB7_1701
; %bb.1697:
	s_cmp_eq_u32 s2, 44
	s_mov_b32 s0, -1
	s_cbranch_scc0 .LBB7_1701
; %bb.1698:
	s_wait_xcnt 0x0
	v_cvt_f32_f64_e32 v2, v[0:1]
	v_mov_b32_e32 v3, 0xff
	s_mov_b32 s6, exec_lo
	s_delay_alu instid0(VALU_DEP_2) | instskip(NEXT) | instid1(VALU_DEP_1)
	v_bfe_u32 v7, v2, 23, 8
	v_cmpx_ne_u32_e32 0xff, v7
	s_cbranch_execz .LBB7_1700
; %bb.1699:
	v_and_b32_e32 v3, 0x400000, v2
	v_and_or_b32 v7, 0x3fffff, v2, v7
	v_lshrrev_b32_e32 v2, 23, v2
	s_delay_alu instid0(VALU_DEP_3) | instskip(NEXT) | instid1(VALU_DEP_3)
	v_cmp_ne_u32_e32 vcc_lo, 0, v3
	v_cmp_ne_u32_e64 s0, 0, v7
	s_and_b32 s0, vcc_lo, s0
	s_delay_alu instid0(SALU_CYCLE_1) | instskip(NEXT) | instid1(VALU_DEP_1)
	v_cndmask_b32_e64 v3, 0, 1, s0
	v_add_nc_u32_e32 v3, v2, v3
.LBB7_1700:
	s_or_b32 exec_lo, exec_lo, s6
	s_mov_b32 s0, 0
	s_mov_b32 s6, -1
	global_store_b8 v[16:17], v3, off
.LBB7_1701:
	s_mov_b32 s7, 0
.LBB7_1702:
	s_delay_alu instid0(SALU_CYCLE_1)
	s_and_b32 vcc_lo, exec_lo, s7
	s_cbranch_vccz .LBB7_1705
; %bb.1703:
	s_cmp_eq_u32 s2, 29
	s_mov_b32 s0, -1
	s_cbranch_scc0 .LBB7_1705
; %bb.1704:
	s_wait_xcnt 0x0
	v_trunc_f64_e32 v[2:3], v[0:1]
	s_mov_b32 s0, 0
	s_mov_b32 s6, -1
	s_delay_alu instid0(VALU_DEP_1) | instskip(NEXT) | instid1(VALU_DEP_1)
	v_ldexp_f64 v[18:19], v[2:3], 0xffffffe0
	v_floor_f64_e32 v[18:19], v[18:19]
	s_delay_alu instid0(VALU_DEP_1) | instskip(SKIP_1) | instid1(VALU_DEP_2)
	v_fmamk_f64 v[2:3], v[18:19], 0xc1f00000, v[2:3]
	v_cvt_u32_f64_e32 v19, v[18:19]
	v_cvt_u32_f64_e32 v18, v[2:3]
	global_store_b64 v[16:17], v[18:19], off
.LBB7_1705:
	s_mov_b32 s7, 0
.LBB7_1706:
	s_delay_alu instid0(SALU_CYCLE_1)
	s_and_b32 vcc_lo, exec_lo, s7
	s_cbranch_vccz .LBB7_1722
; %bb.1707:
	s_cmp_lt_i32 s2, 27
	s_mov_b32 s6, -1
	s_cbranch_scc1 .LBB7_1713
; %bb.1708:
	s_wait_xcnt 0x0
	v_cvt_u32_f64_e32 v2, v[0:1]
	s_cmp_gt_i32 s2, 27
	s_cbranch_scc0 .LBB7_1710
; %bb.1709:
	s_mov_b32 s6, 0
	global_store_b32 v[16:17], v2, off
.LBB7_1710:
	s_and_not1_b32 vcc_lo, exec_lo, s6
	s_cbranch_vccnz .LBB7_1712
; %bb.1711:
	global_store_b16 v[16:17], v2, off
.LBB7_1712:
	s_mov_b32 s6, 0
.LBB7_1713:
	s_delay_alu instid0(SALU_CYCLE_1)
	s_and_not1_b32 vcc_lo, exec_lo, s6
	s_cbranch_vccnz .LBB7_1721
; %bb.1714:
	s_wait_xcnt 0x0
	v_cvt_f32_f64_e32 v2, v[0:1]
	v_mov_b32_e32 v7, 0x80
	s_mov_b32 s6, exec_lo
	s_delay_alu instid0(VALU_DEP_2) | instskip(NEXT) | instid1(VALU_DEP_1)
	v_and_b32_e32 v3, 0x7fffffff, v2
	v_cmpx_gt_u32_e32 0x43800000, v3
	s_cbranch_execz .LBB7_1720
; %bb.1715:
	v_cmp_lt_u32_e32 vcc_lo, 0x3bffffff, v3
	s_mov_b32 s7, 0
                                        ; implicit-def: $vgpr3
	s_and_saveexec_b32 s8, vcc_lo
	s_delay_alu instid0(SALU_CYCLE_1)
	s_xor_b32 s8, exec_lo, s8
	s_cbranch_execz .LBB7_2170
; %bb.1716:
	v_bfe_u32 v3, v2, 20, 1
	s_mov_b32 s7, exec_lo
	s_delay_alu instid0(VALU_DEP_1) | instskip(NEXT) | instid1(VALU_DEP_1)
	v_add3_u32 v3, v2, v3, 0x487ffff
	v_lshrrev_b32_e32 v3, 20, v3
	s_and_not1_saveexec_b32 s8, s8
	s_cbranch_execnz .LBB7_2171
.LBB7_1717:
	s_or_b32 exec_lo, exec_lo, s8
	v_mov_b32_e32 v7, 0
	s_and_saveexec_b32 s8, s7
.LBB7_1718:
	v_lshrrev_b32_e32 v2, 24, v2
	s_delay_alu instid0(VALU_DEP_1)
	v_and_or_b32 v7, 0x80, v2, v3
.LBB7_1719:
	s_or_b32 exec_lo, exec_lo, s8
.LBB7_1720:
	s_delay_alu instid0(SALU_CYCLE_1)
	s_or_b32 exec_lo, exec_lo, s6
	global_store_b8 v[16:17], v7, off
.LBB7_1721:
	s_mov_b32 s6, -1
.LBB7_1722:
	s_mov_b32 s7, 0
.LBB7_1723:
	s_delay_alu instid0(SALU_CYCLE_1)
	s_and_b32 vcc_lo, exec_lo, s7
	s_cbranch_vccz .LBB7_1763
; %bb.1724:
	s_cmp_gt_i32 s2, 22
	s_mov_b32 s3, -1
	s_cbranch_scc0 .LBB7_1756
; %bb.1725:
	s_cmp_lt_i32 s2, 24
	s_cbranch_scc1 .LBB7_1745
; %bb.1726:
	s_cmp_gt_i32 s2, 24
	s_cbranch_scc0 .LBB7_1734
; %bb.1727:
	s_wait_xcnt 0x0
	v_cvt_f32_f64_e32 v2, v[0:1]
	v_mov_b32_e32 v7, 0x80
	s_mov_b32 s3, exec_lo
	s_delay_alu instid0(VALU_DEP_2) | instskip(NEXT) | instid1(VALU_DEP_1)
	v_and_b32_e32 v3, 0x7fffffff, v2
	v_cmpx_gt_u32_e32 0x47800000, v3
	s_cbranch_execz .LBB7_1733
; %bb.1728:
	v_cmp_lt_u32_e32 vcc_lo, 0x37ffffff, v3
	s_mov_b32 s6, 0
                                        ; implicit-def: $vgpr3
	s_and_saveexec_b32 s7, vcc_lo
	s_delay_alu instid0(SALU_CYCLE_1)
	s_xor_b32 s7, exec_lo, s7
	s_cbranch_execz .LBB7_2173
; %bb.1729:
	v_bfe_u32 v3, v2, 21, 1
	s_mov_b32 s6, exec_lo
	s_delay_alu instid0(VALU_DEP_1) | instskip(NEXT) | instid1(VALU_DEP_1)
	v_add3_u32 v3, v2, v3, 0x88fffff
	v_lshrrev_b32_e32 v3, 21, v3
	s_and_not1_saveexec_b32 s7, s7
	s_cbranch_execnz .LBB7_2174
.LBB7_1730:
	s_or_b32 exec_lo, exec_lo, s7
	v_mov_b32_e32 v7, 0
	s_and_saveexec_b32 s7, s6
.LBB7_1731:
	v_lshrrev_b32_e32 v2, 24, v2
	s_delay_alu instid0(VALU_DEP_1)
	v_and_or_b32 v7, 0x80, v2, v3
.LBB7_1732:
	s_or_b32 exec_lo, exec_lo, s7
.LBB7_1733:
	s_delay_alu instid0(SALU_CYCLE_1)
	s_or_b32 exec_lo, exec_lo, s3
	s_mov_b32 s3, 0
	global_store_b8 v[16:17], v7, off
.LBB7_1734:
	s_and_b32 vcc_lo, exec_lo, s3
	s_cbranch_vccz .LBB7_1744
; %bb.1735:
	s_wait_xcnt 0x0
	v_cvt_f32_f64_e32 v2, v[0:1]
	s_mov_b32 s3, exec_lo
                                        ; implicit-def: $vgpr3
	s_delay_alu instid0(VALU_DEP_1) | instskip(NEXT) | instid1(VALU_DEP_1)
	v_and_b32_e32 v7, 0x7fffffff, v2
	v_cmpx_gt_u32_e32 0x43f00000, v7
	s_xor_b32 s3, exec_lo, s3
	s_cbranch_execz .LBB7_1741
; %bb.1736:
	s_mov_b32 s6, exec_lo
                                        ; implicit-def: $vgpr3
	v_cmpx_lt_u32_e32 0x3c7fffff, v7
	s_xor_b32 s6, exec_lo, s6
; %bb.1737:
	v_bfe_u32 v3, v2, 20, 1
	s_delay_alu instid0(VALU_DEP_1) | instskip(NEXT) | instid1(VALU_DEP_1)
	v_add3_u32 v3, v2, v3, 0x407ffff
	v_and_b32_e32 v7, 0xff00000, v3
	v_lshrrev_b32_e32 v3, 20, v3
	s_delay_alu instid0(VALU_DEP_2) | instskip(NEXT) | instid1(VALU_DEP_2)
	v_cmp_ne_u32_e32 vcc_lo, 0x7f00000, v7
	v_cndmask_b32_e32 v3, 0x7e, v3, vcc_lo
; %bb.1738:
	s_and_not1_saveexec_b32 s6, s6
; %bb.1739:
	v_add_f32_e64 v3, 0x46800000, |v2|
; %bb.1740:
	s_or_b32 exec_lo, exec_lo, s6
                                        ; implicit-def: $vgpr7
.LBB7_1741:
	s_and_not1_saveexec_b32 s3, s3
; %bb.1742:
	v_mov_b32_e32 v3, 0x7f
	v_cmp_lt_u32_e32 vcc_lo, 0x7f800000, v7
	s_delay_alu instid0(VALU_DEP_2)
	v_cndmask_b32_e32 v3, 0x7e, v3, vcc_lo
; %bb.1743:
	s_or_b32 exec_lo, exec_lo, s3
	v_lshrrev_b32_e32 v2, 24, v2
	s_delay_alu instid0(VALU_DEP_1)
	v_and_or_b32 v2, 0x80, v2, v3
	global_store_b8 v[16:17], v2, off
.LBB7_1744:
	s_mov_b32 s3, 0
.LBB7_1745:
	s_delay_alu instid0(SALU_CYCLE_1)
	s_and_not1_b32 vcc_lo, exec_lo, s3
	s_cbranch_vccnz .LBB7_1755
; %bb.1746:
	s_wait_xcnt 0x0
	v_cvt_f32_f64_e32 v2, v[0:1]
	s_mov_b32 s3, exec_lo
                                        ; implicit-def: $vgpr3
	s_delay_alu instid0(VALU_DEP_1) | instskip(NEXT) | instid1(VALU_DEP_1)
	v_and_b32_e32 v7, 0x7fffffff, v2
	v_cmpx_gt_u32_e32 0x47800000, v7
	s_xor_b32 s3, exec_lo, s3
	s_cbranch_execz .LBB7_1752
; %bb.1747:
	s_mov_b32 s6, exec_lo
                                        ; implicit-def: $vgpr3
	v_cmpx_lt_u32_e32 0x387fffff, v7
	s_xor_b32 s6, exec_lo, s6
; %bb.1748:
	v_bfe_u32 v3, v2, 21, 1
	s_delay_alu instid0(VALU_DEP_1) | instskip(NEXT) | instid1(VALU_DEP_1)
	v_add3_u32 v3, v2, v3, 0x80fffff
	v_lshrrev_b32_e32 v3, 21, v3
; %bb.1749:
	s_and_not1_saveexec_b32 s6, s6
; %bb.1750:
	v_add_f32_e64 v3, 0x43000000, |v2|
; %bb.1751:
	s_or_b32 exec_lo, exec_lo, s6
                                        ; implicit-def: $vgpr7
.LBB7_1752:
	s_and_not1_saveexec_b32 s3, s3
; %bb.1753:
	v_mov_b32_e32 v3, 0x7f
	v_cmp_lt_u32_e32 vcc_lo, 0x7f800000, v7
	s_delay_alu instid0(VALU_DEP_2)
	v_cndmask_b32_e32 v3, 0x7c, v3, vcc_lo
; %bb.1754:
	s_or_b32 exec_lo, exec_lo, s3
	v_lshrrev_b32_e32 v2, 24, v2
	s_delay_alu instid0(VALU_DEP_1)
	v_and_or_b32 v2, 0x80, v2, v3
	global_store_b8 v[16:17], v2, off
.LBB7_1755:
	s_mov_b32 s3, 0
	s_mov_b32 s6, -1
.LBB7_1756:
	s_and_not1_b32 vcc_lo, exec_lo, s3
	s_mov_b32 s3, 0
	s_cbranch_vccnz .LBB7_1763
; %bb.1757:
	s_cmp_gt_i32 s2, 14
	s_mov_b32 s3, -1
	s_cbranch_scc0 .LBB7_1761
; %bb.1758:
	s_cmp_eq_u32 s2, 15
	s_mov_b32 s0, -1
	s_cbranch_scc0 .LBB7_1760
; %bb.1759:
	s_wait_xcnt 0x0
	v_cvt_f32_f64_e32 v2, v[0:1]
	s_mov_b32 s0, 0
	s_mov_b32 s6, -1
	s_delay_alu instid0(VALU_DEP_1) | instskip(SKIP_1) | instid1(VALU_DEP_2)
	v_bfe_u32 v3, v2, 16, 1
	v_cmp_o_f32_e32 vcc_lo, v2, v2
	v_add3_u32 v3, v2, v3, 0x7fff
	s_delay_alu instid0(VALU_DEP_1) | instskip(NEXT) | instid1(VALU_DEP_1)
	v_lshrrev_b32_e32 v3, 16, v3
	v_cndmask_b32_e32 v2, 0x7fc0, v3, vcc_lo
	global_store_b16 v[16:17], v2, off
.LBB7_1760:
	s_mov_b32 s3, 0
.LBB7_1761:
	s_delay_alu instid0(SALU_CYCLE_1)
	s_and_b32 vcc_lo, exec_lo, s3
	s_mov_b32 s3, 0
	s_cbranch_vccz .LBB7_1763
; %bb.1762:
	s_cmp_lg_u32 s2, 11
	s_mov_b32 s3, -1
	s_cselect_b32 s0, -1, 0
.LBB7_1763:
	s_delay_alu instid0(SALU_CYCLE_1)
	s_and_b32 vcc_lo, exec_lo, s0
	s_cbranch_vccnz .LBB7_2172
; %bb.1764:
	s_and_not1_b32 vcc_lo, exec_lo, s3
	s_cbranch_vccnz .LBB7_1766
.LBB7_1765:
	v_cmp_neq_f64_e32 vcc_lo, 0, v[0:1]
	s_mov_b32 s6, -1
	s_wait_xcnt 0x0
	v_cndmask_b32_e64 v2, 0, 1, vcc_lo
	global_store_b8 v[16:17], v2, off
.LBB7_1766:
	s_mov_b32 s0, 0
	s_branch .LBB7_1813
.LBB7_1767:
	s_mov_b32 s0, 0
	s_wait_xcnt 0x0
	s_mov_b32 s3, 0
                                        ; implicit-def: $vgpr0_vgpr1
                                        ; implicit-def: $sgpr1
                                        ; implicit-def: $vgpr12_vgpr13
.LBB7_1768:
	s_and_not1_b32 s2, s12, exec_lo
	s_and_b32 s4, s14, exec_lo
	s_and_b32 s0, s0, exec_lo
	;; [unrolled: 1-line block ×3, first 2 shown]
	s_or_b32 s12, s2, s4
.LBB7_1769:
	s_wait_xcnt 0x0
	s_or_b32 exec_lo, exec_lo, s13
	s_and_saveexec_b32 s2, s12
	s_cbranch_execz .LBB7_1772
; %bb.1770:
	; divergent unreachable
	s_or_b32 exec_lo, exec_lo, s2
	s_and_saveexec_b32 s2, s35
	s_delay_alu instid0(SALU_CYCLE_1)
	s_xor_b32 s2, exec_lo, s2
	s_cbranch_execnz .LBB7_1773
.LBB7_1771:
	s_or_b32 exec_lo, exec_lo, s2
	s_and_saveexec_b32 s2, s0
	s_cbranch_execnz .LBB7_1774
	s_branch .LBB7_1811
.LBB7_1772:
	s_or_b32 exec_lo, exec_lo, s2
	s_and_saveexec_b32 s2, s35
	s_delay_alu instid0(SALU_CYCLE_1)
	s_xor_b32 s2, exec_lo, s2
	s_cbranch_execz .LBB7_1771
.LBB7_1773:
	s_wait_loadcnt 0x0
	s_delay_alu instid0(VALU_DEP_1)
	v_cmp_neq_f64_e32 vcc_lo, 0, v[12:13]
	v_cndmask_b32_e64 v2, 0, 1, vcc_lo
	global_store_b8 v[0:1], v2, off
	s_wait_xcnt 0x0
	s_or_b32 exec_lo, exec_lo, s2
	s_and_saveexec_b32 s2, s0
	s_cbranch_execz .LBB7_1811
.LBB7_1774:
	s_sext_i32_i16 s2, s1
	s_mov_b32 s0, -1
	s_cmp_lt_i32 s2, 5
	s_cbranch_scc1 .LBB7_1795
; %bb.1775:
	s_cmp_lt_i32 s2, 8
	s_cbranch_scc1 .LBB7_1785
; %bb.1776:
	;; [unrolled: 3-line block ×3, first 2 shown]
	s_cmp_gt_i32 s2, 9
	s_cbranch_scc0 .LBB7_1779
; %bb.1778:
	v_mov_b32_e32 v14, 0
	s_mov_b32 s0, 0
	s_delay_alu instid0(VALU_DEP_1)
	v_mov_b32_e32 v15, v14
	s_wait_loadcnt 0x0
	global_store_b128 v[0:1], v[12:15], off
.LBB7_1779:
	s_and_not1_b32 vcc_lo, exec_lo, s0
	s_cbranch_vccnz .LBB7_1781
; %bb.1780:
	s_wait_loadcnt 0x0
	v_cvt_f32_f64_e32 v2, v[12:13]
	v_mov_b32_e32 v3, 0
	global_store_b64 v[0:1], v[2:3], off
.LBB7_1781:
	s_mov_b32 s0, 0
.LBB7_1782:
	s_delay_alu instid0(SALU_CYCLE_1)
	s_and_not1_b32 vcc_lo, exec_lo, s0
	s_cbranch_vccnz .LBB7_1784
; %bb.1783:
	s_wait_loadcnt 0x0
	v_and_or_b32 v2, 0x1ff, v13, v12
	v_lshrrev_b32_e32 v3, 8, v13
	v_bfe_u32 v4, v13, 20, 11
	s_delay_alu instid0(VALU_DEP_3) | instskip(NEXT) | instid1(VALU_DEP_2)
	v_cmp_ne_u32_e32 vcc_lo, 0, v2
	v_sub_nc_u32_e32 v5, 0x3f1, v4
	v_add_nc_u32_e32 v4, 0xfffffc10, v4
	v_cndmask_b32_e64 v2, 0, 1, vcc_lo
	s_delay_alu instid0(VALU_DEP_1) | instskip(NEXT) | instid1(VALU_DEP_4)
	v_and_or_b32 v2, 0xffe, v3, v2
	v_med3_i32 v3, v5, 0, 13
	s_delay_alu instid0(VALU_DEP_2) | instskip(NEXT) | instid1(VALU_DEP_1)
	v_or_b32_e32 v5, 0x1000, v2
	v_lshrrev_b32_e32 v6, v3, v5
	s_delay_alu instid0(VALU_DEP_1) | instskip(NEXT) | instid1(VALU_DEP_1)
	v_lshlrev_b32_e32 v3, v3, v6
	v_cmp_ne_u32_e32 vcc_lo, v3, v5
	v_lshl_or_b32 v5, v4, 12, v2
	v_cndmask_b32_e64 v3, 0, 1, vcc_lo
	v_cmp_gt_i32_e32 vcc_lo, 1, v4
	s_delay_alu instid0(VALU_DEP_2) | instskip(NEXT) | instid1(VALU_DEP_1)
	v_or_b32_e32 v3, v6, v3
	v_cndmask_b32_e32 v3, v5, v3, vcc_lo
	s_delay_alu instid0(VALU_DEP_1) | instskip(NEXT) | instid1(VALU_DEP_1)
	v_dual_lshrrev_b32 v3, 2, v3 :: v_dual_bitop2_b32 v5, 7, v3 bitop3:0x40
	v_cmp_lt_i32_e32 vcc_lo, 5, v5
	v_cndmask_b32_e64 v6, 0, 1, vcc_lo
	v_cmp_eq_u32_e32 vcc_lo, 3, v5
	v_cndmask_b32_e64 v5, 0, 1, vcc_lo
	v_cmp_ne_u32_e32 vcc_lo, 0, v2
	s_delay_alu instid0(VALU_DEP_2) | instskip(NEXT) | instid1(VALU_DEP_1)
	v_or_b32_e32 v5, v5, v6
	v_dual_mov_b32 v6, 0x7e00 :: v_dual_add_nc_u32 v3, v3, v5
	s_delay_alu instid0(VALU_DEP_1) | instskip(SKIP_2) | instid1(VALU_DEP_4)
	v_cndmask_b32_e32 v2, 0x7c00, v6, vcc_lo
	v_cmp_gt_i32_e32 vcc_lo, 31, v4
	v_lshrrev_b32_e32 v5, 16, v13
	v_cndmask_b32_e32 v3, 0x7c00, v3, vcc_lo
	v_cmp_eq_u32_e32 vcc_lo, 0x40f, v4
	s_delay_alu instid0(VALU_DEP_2) | instskip(NEXT) | instid1(VALU_DEP_4)
	v_cndmask_b32_e32 v2, v3, v2, vcc_lo
	v_and_b32_e32 v3, 0x8000, v5
	s_delay_alu instid0(VALU_DEP_1)
	v_bitop3_b32 v2, v3, 0xffff, v2 bitop3:0xc8
	global_store_b32 v[0:1], v2, off
.LBB7_1784:
	s_mov_b32 s0, 0
.LBB7_1785:
	s_delay_alu instid0(SALU_CYCLE_1)
	s_and_not1_b32 vcc_lo, exec_lo, s0
	s_cbranch_vccnz .LBB7_1794
; %bb.1786:
	s_sext_i32_i16 s2, s1
	s_mov_b32 s0, -1
	s_cmp_lt_i32 s2, 6
	s_cbranch_scc1 .LBB7_1792
; %bb.1787:
	s_cmp_gt_i32 s2, 6
	s_cbranch_scc0 .LBB7_1789
; %bb.1788:
	s_mov_b32 s0, 0
	s_wait_loadcnt 0x0
	global_store_b64 v[0:1], v[12:13], off
.LBB7_1789:
	s_and_not1_b32 vcc_lo, exec_lo, s0
	s_cbranch_vccnz .LBB7_1791
; %bb.1790:
	s_wait_loadcnt 0x0
	v_cvt_f32_f64_e32 v2, v[12:13]
	global_store_b32 v[0:1], v2, off
.LBB7_1791:
	s_mov_b32 s0, 0
.LBB7_1792:
	s_delay_alu instid0(SALU_CYCLE_1)
	s_and_not1_b32 vcc_lo, exec_lo, s0
	s_cbranch_vccnz .LBB7_1794
; %bb.1793:
	s_wait_loadcnt 0x0
	v_and_or_b32 v2, 0x1ff, v13, v12
	v_lshrrev_b32_e32 v3, 8, v13
	v_bfe_u32 v4, v13, 20, 11
	s_delay_alu instid0(VALU_DEP_3) | instskip(NEXT) | instid1(VALU_DEP_2)
	v_cmp_ne_u32_e32 vcc_lo, 0, v2
	v_sub_nc_u32_e32 v5, 0x3f1, v4
	v_add_nc_u32_e32 v4, 0xfffffc10, v4
	v_cndmask_b32_e64 v2, 0, 1, vcc_lo
	s_delay_alu instid0(VALU_DEP_1) | instskip(NEXT) | instid1(VALU_DEP_4)
	v_and_or_b32 v2, 0xffe, v3, v2
	v_med3_i32 v3, v5, 0, 13
	s_delay_alu instid0(VALU_DEP_2) | instskip(NEXT) | instid1(VALU_DEP_1)
	v_or_b32_e32 v5, 0x1000, v2
	v_lshrrev_b32_e32 v6, v3, v5
	s_delay_alu instid0(VALU_DEP_1) | instskip(NEXT) | instid1(VALU_DEP_1)
	v_lshlrev_b32_e32 v3, v3, v6
	v_cmp_ne_u32_e32 vcc_lo, v3, v5
	v_lshl_or_b32 v5, v4, 12, v2
	v_cndmask_b32_e64 v3, 0, 1, vcc_lo
	v_cmp_gt_i32_e32 vcc_lo, 1, v4
	s_delay_alu instid0(VALU_DEP_2) | instskip(NEXT) | instid1(VALU_DEP_1)
	v_or_b32_e32 v3, v6, v3
	v_cndmask_b32_e32 v3, v5, v3, vcc_lo
	s_delay_alu instid0(VALU_DEP_1) | instskip(NEXT) | instid1(VALU_DEP_1)
	v_dual_lshrrev_b32 v3, 2, v3 :: v_dual_bitop2_b32 v5, 7, v3 bitop3:0x40
	v_cmp_lt_i32_e32 vcc_lo, 5, v5
	v_cndmask_b32_e64 v6, 0, 1, vcc_lo
	v_cmp_eq_u32_e32 vcc_lo, 3, v5
	v_cndmask_b32_e64 v5, 0, 1, vcc_lo
	v_cmp_ne_u32_e32 vcc_lo, 0, v2
	s_delay_alu instid0(VALU_DEP_2) | instskip(NEXT) | instid1(VALU_DEP_1)
	v_or_b32_e32 v5, v5, v6
	v_dual_mov_b32 v6, 0x7e00 :: v_dual_add_nc_u32 v3, v3, v5
	s_delay_alu instid0(VALU_DEP_1) | instskip(SKIP_1) | instid1(VALU_DEP_3)
	v_cndmask_b32_e32 v2, 0x7c00, v6, vcc_lo
	v_cmp_gt_i32_e32 vcc_lo, 31, v4
	v_cndmask_b32_e32 v3, 0x7c00, v3, vcc_lo
	v_cmp_eq_u32_e32 vcc_lo, 0x40f, v4
	s_delay_alu instid0(VALU_DEP_2) | instskip(NEXT) | instid1(VALU_DEP_1)
	v_dual_cndmask_b32 v2, v3, v2 :: v_dual_lshrrev_b32 v3, 16, v13
	v_and_or_b32 v2, 0x8000, v3, v2
	global_store_b16 v[0:1], v2, off
.LBB7_1794:
	s_mov_b32 s0, 0
.LBB7_1795:
	s_delay_alu instid0(SALU_CYCLE_1)
	s_and_not1_b32 vcc_lo, exec_lo, s0
	s_cbranch_vccnz .LBB7_1811
; %bb.1796:
	s_sext_i32_i16 s2, s1
	s_mov_b32 s0, -1
	s_cmp_lt_i32 s2, 2
	s_cbranch_scc1 .LBB7_1806
; %bb.1797:
	s_cmp_lt_i32 s2, 3
	s_cbranch_scc1 .LBB7_1803
; %bb.1798:
	s_cmp_gt_i32 s2, 3
	s_cbranch_scc0 .LBB7_1800
; %bb.1799:
	s_wait_loadcnt 0x0
	v_trunc_f64_e32 v[2:3], v[12:13]
	s_mov_b32 s0, 0
	s_delay_alu instid0(VALU_DEP_1) | instskip(NEXT) | instid1(VALU_DEP_1)
	v_ldexp_f64 v[4:5], v[2:3], 0xffffffe0
	v_floor_f64_e32 v[4:5], v[4:5]
	s_delay_alu instid0(VALU_DEP_1) | instskip(SKIP_1) | instid1(VALU_DEP_2)
	v_fmamk_f64 v[2:3], v[4:5], 0xc1f00000, v[2:3]
	v_cvt_i32_f64_e32 v5, v[4:5]
	v_cvt_u32_f64_e32 v4, v[2:3]
	global_store_b64 v[0:1], v[4:5], off
.LBB7_1800:
	s_and_not1_b32 vcc_lo, exec_lo, s0
	s_cbranch_vccnz .LBB7_1802
; %bb.1801:
	s_wait_loadcnt 0x0
	v_cvt_i32_f64_e32 v2, v[12:13]
	global_store_b32 v[0:1], v2, off
.LBB7_1802:
	s_mov_b32 s0, 0
.LBB7_1803:
	s_delay_alu instid0(SALU_CYCLE_1)
	s_and_not1_b32 vcc_lo, exec_lo, s0
	s_cbranch_vccnz .LBB7_1805
; %bb.1804:
	s_wait_loadcnt 0x0
	v_cvt_i32_f64_e32 v2, v[12:13]
	global_store_b16 v[0:1], v2, off
.LBB7_1805:
	s_mov_b32 s0, 0
.LBB7_1806:
	s_delay_alu instid0(SALU_CYCLE_1)
	s_and_not1_b32 vcc_lo, exec_lo, s0
	s_cbranch_vccnz .LBB7_1811
; %bb.1807:
	s_sext_i32_i16 s0, s1
	s_delay_alu instid0(SALU_CYCLE_1)
	s_cmp_gt_i32 s0, 0
	s_mov_b32 s0, -1
	s_cbranch_scc0 .LBB7_1809
; %bb.1808:
	s_wait_loadcnt 0x0
	v_cvt_i32_f64_e32 v2, v[12:13]
	s_mov_b32 s0, 0
	global_store_b8 v[0:1], v2, off
.LBB7_1809:
	s_and_not1_b32 vcc_lo, exec_lo, s0
	s_cbranch_vccnz .LBB7_1811
; %bb.1810:
	s_wait_loadcnt 0x0
	v_trunc_f64_e32 v[2:3], v[12:13]
	s_delay_alu instid0(VALU_DEP_1) | instskip(NEXT) | instid1(VALU_DEP_1)
	v_ldexp_f64 v[4:5], v[2:3], 0xffffffe0
	v_floor_f64_e32 v[4:5], v[4:5]
	s_delay_alu instid0(VALU_DEP_1) | instskip(NEXT) | instid1(VALU_DEP_1)
	v_fmamk_f64 v[2:3], v[4:5], 0xc1f00000, v[2:3]
	v_cvt_u32_f64_e32 v2, v[2:3]
	global_store_b8 v[0:1], v2, off
	s_endpgm
.LBB7_1811:
	s_endpgm
.LBB7_1812:
	s_mov_b32 s0, -1
	s_mov_b32 s6, 0
.LBB7_1813:
	s_and_b32 vcc_lo, exec_lo, s0
	s_cbranch_vccz .LBB7_1852
; %bb.1814:
	s_and_b32 s0, 0xffff, s1
	s_mov_b32 s2, -1
	s_cmp_lt_i32 s0, 5
	s_cbranch_scc1 .LBB7_1835
; %bb.1815:
	s_cmp_lt_i32 s0, 8
	s_cbranch_scc1 .LBB7_1825
; %bb.1816:
	;; [unrolled: 3-line block ×3, first 2 shown]
	s_cmp_gt_i32 s0, 9
	s_cbranch_scc0 .LBB7_1819
; %bb.1818:
	s_wait_xcnt 0x0
	v_mov_b32_e32 v2, 0
	s_mov_b32 s2, 0
	s_delay_alu instid0(VALU_DEP_1)
	v_mov_b32_e32 v3, v2
	global_store_b128 v[16:17], v[0:3], off
.LBB7_1819:
	s_and_not1_b32 vcc_lo, exec_lo, s2
	s_cbranch_vccnz .LBB7_1821
; %bb.1820:
	s_wait_xcnt 0x0
	v_cvt_f32_f64_e32 v2, v[0:1]
	v_mov_b32_e32 v3, 0
	global_store_b64 v[16:17], v[2:3], off
.LBB7_1821:
	s_mov_b32 s2, 0
.LBB7_1822:
	s_delay_alu instid0(SALU_CYCLE_1)
	s_and_not1_b32 vcc_lo, exec_lo, s2
	s_cbranch_vccnz .LBB7_1824
; %bb.1823:
	s_wait_xcnt 0x0
	v_and_or_b32 v2, 0x1ff, v1, v0
	v_lshrrev_b32_e32 v3, 8, v1
	v_bfe_u32 v7, v1, 20, 11
	s_delay_alu instid0(VALU_DEP_3) | instskip(NEXT) | instid1(VALU_DEP_2)
	v_cmp_ne_u32_e32 vcc_lo, 0, v2
	v_sub_nc_u32_e32 v11, 0x3f1, v7
	v_add_nc_u32_e32 v7, 0xfffffc10, v7
	v_cndmask_b32_e64 v2, 0, 1, vcc_lo
	s_delay_alu instid0(VALU_DEP_1) | instskip(NEXT) | instid1(VALU_DEP_4)
	v_and_or_b32 v2, 0xffe, v3, v2
	v_med3_i32 v3, v11, 0, 13
	s_delay_alu instid0(VALU_DEP_2) | instskip(NEXT) | instid1(VALU_DEP_1)
	v_or_b32_e32 v11, 0x1000, v2
	v_lshrrev_b32_e32 v15, v3, v11
	s_delay_alu instid0(VALU_DEP_1) | instskip(NEXT) | instid1(VALU_DEP_1)
	v_lshlrev_b32_e32 v3, v3, v15
	v_cmp_ne_u32_e32 vcc_lo, v3, v11
	v_lshl_or_b32 v11, v7, 12, v2
	v_cndmask_b32_e64 v3, 0, 1, vcc_lo
	v_cmp_gt_i32_e32 vcc_lo, 1, v7
	s_delay_alu instid0(VALU_DEP_2) | instskip(NEXT) | instid1(VALU_DEP_1)
	v_or_b32_e32 v3, v15, v3
	v_cndmask_b32_e32 v3, v11, v3, vcc_lo
	s_delay_alu instid0(VALU_DEP_1) | instskip(NEXT) | instid1(VALU_DEP_1)
	v_dual_lshrrev_b32 v3, 2, v3 :: v_dual_bitop2_b32 v11, 7, v3 bitop3:0x40
	v_cmp_lt_i32_e32 vcc_lo, 5, v11
	v_cndmask_b32_e64 v15, 0, 1, vcc_lo
	v_cmp_eq_u32_e32 vcc_lo, 3, v11
	v_cndmask_b32_e64 v11, 0, 1, vcc_lo
	v_cmp_ne_u32_e32 vcc_lo, 0, v2
	s_delay_alu instid0(VALU_DEP_2) | instskip(SKIP_1) | instid1(VALU_DEP_2)
	v_or_b32_e32 v11, v11, v15
	v_mov_b32_e32 v15, 0x7e00
	v_add_nc_u32_e32 v3, v3, v11
	s_delay_alu instid0(VALU_DEP_2) | instskip(SKIP_2) | instid1(VALU_DEP_4)
	v_cndmask_b32_e32 v2, 0x7c00, v15, vcc_lo
	v_cmp_gt_i32_e32 vcc_lo, 31, v7
	v_lshrrev_b32_e32 v11, 16, v1
	v_cndmask_b32_e32 v3, 0x7c00, v3, vcc_lo
	v_cmp_eq_u32_e32 vcc_lo, 0x40f, v7
	s_delay_alu instid0(VALU_DEP_2) | instskip(NEXT) | instid1(VALU_DEP_4)
	v_cndmask_b32_e32 v2, v3, v2, vcc_lo
	v_and_b32_e32 v3, 0x8000, v11
	s_delay_alu instid0(VALU_DEP_1)
	v_bitop3_b32 v2, v3, 0xffff, v2 bitop3:0xc8
	global_store_b32 v[16:17], v2, off
.LBB7_1824:
	s_mov_b32 s2, 0
.LBB7_1825:
	s_delay_alu instid0(SALU_CYCLE_1)
	s_and_not1_b32 vcc_lo, exec_lo, s2
	s_cbranch_vccnz .LBB7_1834
; %bb.1826:
	s_cmp_lt_i32 s0, 6
	s_mov_b32 s2, -1
	s_cbranch_scc1 .LBB7_1832
; %bb.1827:
	s_cmp_gt_i32 s0, 6
	s_cbranch_scc0 .LBB7_1829
; %bb.1828:
	s_mov_b32 s2, 0
	global_store_b64 v[16:17], v[0:1], off
.LBB7_1829:
	s_and_not1_b32 vcc_lo, exec_lo, s2
	s_cbranch_vccnz .LBB7_1831
; %bb.1830:
	s_wait_xcnt 0x0
	v_cvt_f32_f64_e32 v2, v[0:1]
	global_store_b32 v[16:17], v2, off
.LBB7_1831:
	s_mov_b32 s2, 0
.LBB7_1832:
	s_delay_alu instid0(SALU_CYCLE_1)
	s_and_not1_b32 vcc_lo, exec_lo, s2
	s_cbranch_vccnz .LBB7_1834
; %bb.1833:
	s_wait_xcnt 0x0
	v_and_or_b32 v2, 0x1ff, v1, v0
	v_lshrrev_b32_e32 v3, 8, v1
	v_bfe_u32 v7, v1, 20, 11
	s_delay_alu instid0(VALU_DEP_3) | instskip(NEXT) | instid1(VALU_DEP_2)
	v_cmp_ne_u32_e32 vcc_lo, 0, v2
	v_sub_nc_u32_e32 v11, 0x3f1, v7
	v_add_nc_u32_e32 v7, 0xfffffc10, v7
	v_cndmask_b32_e64 v2, 0, 1, vcc_lo
	s_delay_alu instid0(VALU_DEP_1) | instskip(NEXT) | instid1(VALU_DEP_4)
	v_and_or_b32 v2, 0xffe, v3, v2
	v_med3_i32 v3, v11, 0, 13
	s_delay_alu instid0(VALU_DEP_2) | instskip(NEXT) | instid1(VALU_DEP_1)
	v_or_b32_e32 v11, 0x1000, v2
	v_lshrrev_b32_e32 v15, v3, v11
	s_delay_alu instid0(VALU_DEP_1) | instskip(NEXT) | instid1(VALU_DEP_1)
	v_lshlrev_b32_e32 v3, v3, v15
	v_cmp_ne_u32_e32 vcc_lo, v3, v11
	v_lshl_or_b32 v11, v7, 12, v2
	v_cndmask_b32_e64 v3, 0, 1, vcc_lo
	v_cmp_gt_i32_e32 vcc_lo, 1, v7
	s_delay_alu instid0(VALU_DEP_2) | instskip(NEXT) | instid1(VALU_DEP_1)
	v_or_b32_e32 v3, v15, v3
	v_cndmask_b32_e32 v3, v11, v3, vcc_lo
	s_delay_alu instid0(VALU_DEP_1) | instskip(NEXT) | instid1(VALU_DEP_1)
	v_dual_lshrrev_b32 v3, 2, v3 :: v_dual_bitop2_b32 v11, 7, v3 bitop3:0x40
	v_cmp_lt_i32_e32 vcc_lo, 5, v11
	v_cndmask_b32_e64 v15, 0, 1, vcc_lo
	v_cmp_eq_u32_e32 vcc_lo, 3, v11
	v_cndmask_b32_e64 v11, 0, 1, vcc_lo
	v_cmp_ne_u32_e32 vcc_lo, 0, v2
	s_delay_alu instid0(VALU_DEP_2) | instskip(SKIP_1) | instid1(VALU_DEP_2)
	v_or_b32_e32 v11, v11, v15
	v_mov_b32_e32 v15, 0x7e00
	v_add_nc_u32_e32 v3, v3, v11
	s_delay_alu instid0(VALU_DEP_2) | instskip(SKIP_1) | instid1(VALU_DEP_3)
	v_cndmask_b32_e32 v2, 0x7c00, v15, vcc_lo
	v_cmp_gt_i32_e32 vcc_lo, 31, v7
	v_cndmask_b32_e32 v3, 0x7c00, v3, vcc_lo
	v_cmp_eq_u32_e32 vcc_lo, 0x40f, v7
	s_delay_alu instid0(VALU_DEP_2) | instskip(NEXT) | instid1(VALU_DEP_1)
	v_dual_cndmask_b32 v2, v3, v2 :: v_dual_lshrrev_b32 v3, 16, v1
	v_and_or_b32 v2, 0x8000, v3, v2
	global_store_b16 v[16:17], v2, off
.LBB7_1834:
	s_mov_b32 s2, 0
.LBB7_1835:
	s_delay_alu instid0(SALU_CYCLE_1)
	s_and_not1_b32 vcc_lo, exec_lo, s2
	s_cbranch_vccnz .LBB7_1851
; %bb.1836:
	s_cmp_lt_i32 s0, 2
	s_mov_b32 s2, -1
	s_cbranch_scc1 .LBB7_1846
; %bb.1837:
	s_cmp_lt_i32 s0, 3
	s_cbranch_scc1 .LBB7_1843
; %bb.1838:
	s_cmp_gt_i32 s0, 3
	s_cbranch_scc0 .LBB7_1840
; %bb.1839:
	s_wait_xcnt 0x0
	v_trunc_f64_e32 v[2:3], v[0:1]
	s_mov_b32 s2, 0
	s_delay_alu instid0(VALU_DEP_1) | instskip(NEXT) | instid1(VALU_DEP_1)
	v_ldexp_f64 v[18:19], v[2:3], 0xffffffe0
	v_floor_f64_e32 v[18:19], v[18:19]
	s_delay_alu instid0(VALU_DEP_1) | instskip(SKIP_1) | instid1(VALU_DEP_2)
	v_fmamk_f64 v[2:3], v[18:19], 0xc1f00000, v[2:3]
	v_cvt_i32_f64_e32 v19, v[18:19]
	v_cvt_u32_f64_e32 v18, v[2:3]
	global_store_b64 v[16:17], v[18:19], off
.LBB7_1840:
	s_and_not1_b32 vcc_lo, exec_lo, s2
	s_cbranch_vccnz .LBB7_1842
; %bb.1841:
	s_wait_xcnt 0x0
	v_cvt_i32_f64_e32 v2, v[0:1]
	global_store_b32 v[16:17], v2, off
.LBB7_1842:
	s_mov_b32 s2, 0
.LBB7_1843:
	s_delay_alu instid0(SALU_CYCLE_1)
	s_and_not1_b32 vcc_lo, exec_lo, s2
	s_cbranch_vccnz .LBB7_1845
; %bb.1844:
	s_wait_xcnt 0x0
	v_cvt_i32_f64_e32 v2, v[0:1]
	global_store_b16 v[16:17], v2, off
.LBB7_1845:
	s_mov_b32 s2, 0
.LBB7_1846:
	s_delay_alu instid0(SALU_CYCLE_1)
	s_and_not1_b32 vcc_lo, exec_lo, s2
	s_cbranch_vccnz .LBB7_1851
; %bb.1847:
	s_cmp_gt_i32 s0, 0
	s_mov_b32 s0, -1
	s_cbranch_scc0 .LBB7_1849
; %bb.1848:
	s_wait_xcnt 0x0
	v_cvt_i32_f64_e32 v2, v[0:1]
	s_mov_b32 s0, 0
	global_store_b8 v[16:17], v2, off
.LBB7_1849:
	s_and_not1_b32 vcc_lo, exec_lo, s0
	s_cbranch_vccnz .LBB7_1851
; %bb.1850:
	s_wait_xcnt 0x0
	v_trunc_f64_e32 v[0:1], v[0:1]
	s_delay_alu instid0(VALU_DEP_1) | instskip(NEXT) | instid1(VALU_DEP_1)
	v_ldexp_f64 v[2:3], v[0:1], 0xffffffe0
	v_floor_f64_e32 v[2:3], v[2:3]
	s_delay_alu instid0(VALU_DEP_1) | instskip(NEXT) | instid1(VALU_DEP_1)
	v_fmamk_f64 v[0:1], v[2:3], 0xc1f00000, v[0:1]
	v_cvt_u32_f64_e32 v0, v[0:1]
	global_store_b8 v[16:17], v0, off
.LBB7_1851:
	s_mov_b32 s6, -1
.LBB7_1852:
	s_delay_alu instid0(SALU_CYCLE_1)
	s_and_not1_b32 vcc_lo, exec_lo, s6
	s_cbranch_vccnz .LBB7_2167
; %bb.1853:
	s_wait_xcnt 0x0
	v_mov_b32_e32 v7, 0
	s_and_b32 s2, 0xffff, s1
	s_delay_alu instid0(SALU_CYCLE_1) | instskip(NEXT) | instid1(VALU_DEP_1)
	s_cmp_lt_i32 s2, 11
	v_add_nc_u64_e32 v[0:1], s[4:5], v[6:7]
	s_cbranch_scc1 .LBB7_1931
; %bb.1854:
	s_mov_b32 s7, -1
	s_mov_b32 s3, 0
	s_cmp_gt_i32 s2, 25
	s_mov_b32 s6, 0
	s_mov_b32 s0, 0
	s_cbranch_scc0 .LBB7_1887
; %bb.1855:
	s_cmp_gt_i32 s2, 28
	s_cbranch_scc0 .LBB7_1870
; %bb.1856:
	s_cmp_gt_i32 s2, 43
	;; [unrolled: 3-line block ×3, first 2 shown]
	s_cbranch_scc0 .LBB7_1860
; %bb.1858:
	s_mov_b32 s0, -1
	s_mov_b32 s7, 0
	s_cmp_eq_u32 s2, 46
	s_cbranch_scc0 .LBB7_1860
; %bb.1859:
	v_cvt_f32_f64_e32 v2, v[4:5]
	s_mov_b32 s0, 0
	s_mov_b32 s6, -1
	s_delay_alu instid0(VALU_DEP_1) | instskip(SKIP_1) | instid1(VALU_DEP_2)
	v_bfe_u32 v3, v2, 16, 1
	v_cmp_o_f32_e32 vcc_lo, v2, v2
	v_add3_u32 v3, v2, v3, 0x7fff
	s_delay_alu instid0(VALU_DEP_1) | instskip(NEXT) | instid1(VALU_DEP_1)
	v_lshrrev_b32_e32 v3, 16, v3
	v_cndmask_b32_e32 v2, 0x7fc0, v3, vcc_lo
	global_store_b32 v[0:1], v2, off
.LBB7_1860:
	s_and_b32 vcc_lo, exec_lo, s7
	s_cbranch_vccz .LBB7_1865
; %bb.1861:
	s_cmp_eq_u32 s2, 44
	s_mov_b32 s0, -1
	s_cbranch_scc0 .LBB7_1865
; %bb.1862:
	s_wait_xcnt 0x0
	v_cvt_f32_f64_e32 v2, v[4:5]
	v_mov_b32_e32 v3, 0xff
	s_mov_b32 s6, exec_lo
	s_delay_alu instid0(VALU_DEP_2) | instskip(NEXT) | instid1(VALU_DEP_1)
	v_bfe_u32 v6, v2, 23, 8
	v_cmpx_ne_u32_e32 0xff, v6
	s_cbranch_execz .LBB7_1864
; %bb.1863:
	v_and_b32_e32 v3, 0x400000, v2
	v_and_or_b32 v6, 0x3fffff, v2, v6
	v_lshrrev_b32_e32 v2, 23, v2
	s_delay_alu instid0(VALU_DEP_3) | instskip(NEXT) | instid1(VALU_DEP_3)
	v_cmp_ne_u32_e32 vcc_lo, 0, v3
	v_cmp_ne_u32_e64 s0, 0, v6
	s_and_b32 s0, vcc_lo, s0
	s_delay_alu instid0(SALU_CYCLE_1) | instskip(NEXT) | instid1(VALU_DEP_1)
	v_cndmask_b32_e64 v3, 0, 1, s0
	v_add_nc_u32_e32 v3, v2, v3
.LBB7_1864:
	s_or_b32 exec_lo, exec_lo, s6
	s_mov_b32 s0, 0
	s_mov_b32 s6, -1
	global_store_b8 v[0:1], v3, off
.LBB7_1865:
	s_mov_b32 s7, 0
.LBB7_1866:
	s_delay_alu instid0(SALU_CYCLE_1)
	s_and_b32 vcc_lo, exec_lo, s7
	s_cbranch_vccz .LBB7_1869
; %bb.1867:
	s_cmp_eq_u32 s2, 29
	s_mov_b32 s0, -1
	s_cbranch_scc0 .LBB7_1869
; %bb.1868:
	s_wait_xcnt 0x0
	v_trunc_f64_e32 v[2:3], v[4:5]
	s_mov_b32 s0, 0
	s_mov_b32 s6, -1
	s_delay_alu instid0(VALU_DEP_1) | instskip(NEXT) | instid1(VALU_DEP_1)
	v_ldexp_f64 v[6:7], v[2:3], 0xffffffe0
	v_floor_f64_e32 v[6:7], v[6:7]
	s_delay_alu instid0(VALU_DEP_1) | instskip(SKIP_1) | instid1(VALU_DEP_2)
	v_fmamk_f64 v[2:3], v[6:7], 0xc1f00000, v[2:3]
	v_cvt_u32_f64_e32 v7, v[6:7]
	v_cvt_u32_f64_e32 v6, v[2:3]
	global_store_b64 v[0:1], v[6:7], off
.LBB7_1869:
	s_mov_b32 s7, 0
.LBB7_1870:
	s_delay_alu instid0(SALU_CYCLE_1)
	s_and_b32 vcc_lo, exec_lo, s7
	s_cbranch_vccz .LBB7_1886
; %bb.1871:
	s_cmp_lt_i32 s2, 27
	s_mov_b32 s6, -1
	s_cbranch_scc1 .LBB7_1877
; %bb.1872:
	s_cmp_gt_i32 s2, 27
	s_cbranch_scc0 .LBB7_1874
; %bb.1873:
	s_wait_xcnt 0x0
	v_cvt_u32_f64_e32 v2, v[4:5]
	s_mov_b32 s6, 0
	global_store_b32 v[0:1], v2, off
.LBB7_1874:
	s_and_not1_b32 vcc_lo, exec_lo, s6
	s_cbranch_vccnz .LBB7_1876
; %bb.1875:
	s_wait_xcnt 0x0
	v_cvt_u32_f64_e32 v2, v[4:5]
	global_store_b16 v[0:1], v2, off
.LBB7_1876:
	s_mov_b32 s6, 0
.LBB7_1877:
	s_delay_alu instid0(SALU_CYCLE_1)
	s_and_not1_b32 vcc_lo, exec_lo, s6
	s_cbranch_vccnz .LBB7_1885
; %bb.1878:
	s_wait_xcnt 0x0
	v_cvt_f32_f64_e32 v2, v[4:5]
	v_mov_b32_e32 v6, 0x80
	s_mov_b32 s6, exec_lo
	s_delay_alu instid0(VALU_DEP_2) | instskip(NEXT) | instid1(VALU_DEP_1)
	v_and_b32_e32 v3, 0x7fffffff, v2
	v_cmpx_gt_u32_e32 0x43800000, v3
	s_cbranch_execz .LBB7_1884
; %bb.1879:
	v_cmp_lt_u32_e32 vcc_lo, 0x3bffffff, v3
	s_mov_b32 s7, 0
                                        ; implicit-def: $vgpr3
	s_and_saveexec_b32 s8, vcc_lo
	s_delay_alu instid0(SALU_CYCLE_1)
	s_xor_b32 s8, exec_lo, s8
	s_cbranch_execz .LBB7_2175
; %bb.1880:
	v_bfe_u32 v3, v2, 20, 1
	s_mov_b32 s7, exec_lo
	s_delay_alu instid0(VALU_DEP_1) | instskip(NEXT) | instid1(VALU_DEP_1)
	v_add3_u32 v3, v2, v3, 0x487ffff
	v_lshrrev_b32_e32 v3, 20, v3
	s_and_not1_saveexec_b32 s8, s8
	s_cbranch_execnz .LBB7_2176
.LBB7_1881:
	s_or_b32 exec_lo, exec_lo, s8
	v_mov_b32_e32 v6, 0
	s_and_saveexec_b32 s8, s7
.LBB7_1882:
	v_lshrrev_b32_e32 v2, 24, v2
	s_delay_alu instid0(VALU_DEP_1)
	v_and_or_b32 v6, 0x80, v2, v3
.LBB7_1883:
	s_or_b32 exec_lo, exec_lo, s8
.LBB7_1884:
	s_delay_alu instid0(SALU_CYCLE_1)
	s_or_b32 exec_lo, exec_lo, s6
	global_store_b8 v[0:1], v6, off
.LBB7_1885:
	s_mov_b32 s6, -1
.LBB7_1886:
	s_mov_b32 s7, 0
.LBB7_1887:
	s_delay_alu instid0(SALU_CYCLE_1)
	s_and_b32 vcc_lo, exec_lo, s7
	s_cbranch_vccz .LBB7_1927
; %bb.1888:
	s_cmp_gt_i32 s2, 22
	s_mov_b32 s3, -1
	s_cbranch_scc0 .LBB7_1920
; %bb.1889:
	s_cmp_lt_i32 s2, 24
	s_cbranch_scc1 .LBB7_1909
; %bb.1890:
	s_cmp_gt_i32 s2, 24
	s_cbranch_scc0 .LBB7_1898
; %bb.1891:
	s_wait_xcnt 0x0
	v_cvt_f32_f64_e32 v2, v[4:5]
	v_mov_b32_e32 v6, 0x80
	s_mov_b32 s3, exec_lo
	s_delay_alu instid0(VALU_DEP_2) | instskip(NEXT) | instid1(VALU_DEP_1)
	v_and_b32_e32 v3, 0x7fffffff, v2
	v_cmpx_gt_u32_e32 0x47800000, v3
	s_cbranch_execz .LBB7_1897
; %bb.1892:
	v_cmp_lt_u32_e32 vcc_lo, 0x37ffffff, v3
	s_mov_b32 s6, 0
                                        ; implicit-def: $vgpr3
	s_and_saveexec_b32 s7, vcc_lo
	s_delay_alu instid0(SALU_CYCLE_1)
	s_xor_b32 s7, exec_lo, s7
	s_cbranch_execz .LBB7_2178
; %bb.1893:
	v_bfe_u32 v3, v2, 21, 1
	s_mov_b32 s6, exec_lo
	s_delay_alu instid0(VALU_DEP_1) | instskip(NEXT) | instid1(VALU_DEP_1)
	v_add3_u32 v3, v2, v3, 0x88fffff
	v_lshrrev_b32_e32 v3, 21, v3
	s_and_not1_saveexec_b32 s7, s7
	s_cbranch_execnz .LBB7_2179
.LBB7_1894:
	s_or_b32 exec_lo, exec_lo, s7
	v_mov_b32_e32 v6, 0
	s_and_saveexec_b32 s7, s6
.LBB7_1895:
	v_lshrrev_b32_e32 v2, 24, v2
	s_delay_alu instid0(VALU_DEP_1)
	v_and_or_b32 v6, 0x80, v2, v3
.LBB7_1896:
	s_or_b32 exec_lo, exec_lo, s7
.LBB7_1897:
	s_delay_alu instid0(SALU_CYCLE_1)
	s_or_b32 exec_lo, exec_lo, s3
	s_mov_b32 s3, 0
	global_store_b8 v[0:1], v6, off
.LBB7_1898:
	s_and_b32 vcc_lo, exec_lo, s3
	s_cbranch_vccz .LBB7_1908
; %bb.1899:
	s_wait_xcnt 0x0
	v_cvt_f32_f64_e32 v2, v[4:5]
	s_mov_b32 s3, exec_lo
                                        ; implicit-def: $vgpr3
	s_delay_alu instid0(VALU_DEP_1) | instskip(NEXT) | instid1(VALU_DEP_1)
	v_and_b32_e32 v6, 0x7fffffff, v2
	v_cmpx_gt_u32_e32 0x43f00000, v6
	s_xor_b32 s3, exec_lo, s3
	s_cbranch_execz .LBB7_1905
; %bb.1900:
	s_mov_b32 s6, exec_lo
                                        ; implicit-def: $vgpr3
	v_cmpx_lt_u32_e32 0x3c7fffff, v6
	s_xor_b32 s6, exec_lo, s6
; %bb.1901:
	v_bfe_u32 v3, v2, 20, 1
	s_delay_alu instid0(VALU_DEP_1) | instskip(NEXT) | instid1(VALU_DEP_1)
	v_add3_u32 v3, v2, v3, 0x407ffff
	v_and_b32_e32 v6, 0xff00000, v3
	v_lshrrev_b32_e32 v3, 20, v3
	s_delay_alu instid0(VALU_DEP_2) | instskip(NEXT) | instid1(VALU_DEP_2)
	v_cmp_ne_u32_e32 vcc_lo, 0x7f00000, v6
	v_cndmask_b32_e32 v3, 0x7e, v3, vcc_lo
; %bb.1902:
	s_and_not1_saveexec_b32 s6, s6
; %bb.1903:
	v_add_f32_e64 v3, 0x46800000, |v2|
; %bb.1904:
	s_or_b32 exec_lo, exec_lo, s6
                                        ; implicit-def: $vgpr6
.LBB7_1905:
	s_and_not1_saveexec_b32 s3, s3
; %bb.1906:
	v_mov_b32_e32 v3, 0x7f
	v_cmp_lt_u32_e32 vcc_lo, 0x7f800000, v6
	s_delay_alu instid0(VALU_DEP_2)
	v_cndmask_b32_e32 v3, 0x7e, v3, vcc_lo
; %bb.1907:
	s_or_b32 exec_lo, exec_lo, s3
	v_lshrrev_b32_e32 v2, 24, v2
	s_delay_alu instid0(VALU_DEP_1)
	v_and_or_b32 v2, 0x80, v2, v3
	global_store_b8 v[0:1], v2, off
.LBB7_1908:
	s_mov_b32 s3, 0
.LBB7_1909:
	s_delay_alu instid0(SALU_CYCLE_1)
	s_and_not1_b32 vcc_lo, exec_lo, s3
	s_cbranch_vccnz .LBB7_1919
; %bb.1910:
	s_wait_xcnt 0x0
	v_cvt_f32_f64_e32 v2, v[4:5]
	s_mov_b32 s3, exec_lo
                                        ; implicit-def: $vgpr3
	s_delay_alu instid0(VALU_DEP_1) | instskip(NEXT) | instid1(VALU_DEP_1)
	v_and_b32_e32 v6, 0x7fffffff, v2
	v_cmpx_gt_u32_e32 0x47800000, v6
	s_xor_b32 s3, exec_lo, s3
	s_cbranch_execz .LBB7_1916
; %bb.1911:
	s_mov_b32 s6, exec_lo
                                        ; implicit-def: $vgpr3
	v_cmpx_lt_u32_e32 0x387fffff, v6
	s_xor_b32 s6, exec_lo, s6
; %bb.1912:
	v_bfe_u32 v3, v2, 21, 1
	s_delay_alu instid0(VALU_DEP_1) | instskip(NEXT) | instid1(VALU_DEP_1)
	v_add3_u32 v3, v2, v3, 0x80fffff
	v_lshrrev_b32_e32 v3, 21, v3
; %bb.1913:
	s_and_not1_saveexec_b32 s6, s6
; %bb.1914:
	v_add_f32_e64 v3, 0x43000000, |v2|
; %bb.1915:
	s_or_b32 exec_lo, exec_lo, s6
                                        ; implicit-def: $vgpr6
.LBB7_1916:
	s_and_not1_saveexec_b32 s3, s3
; %bb.1917:
	v_mov_b32_e32 v3, 0x7f
	v_cmp_lt_u32_e32 vcc_lo, 0x7f800000, v6
	s_delay_alu instid0(VALU_DEP_2)
	v_cndmask_b32_e32 v3, 0x7c, v3, vcc_lo
; %bb.1918:
	s_or_b32 exec_lo, exec_lo, s3
	v_lshrrev_b32_e32 v2, 24, v2
	s_delay_alu instid0(VALU_DEP_1)
	v_and_or_b32 v2, 0x80, v2, v3
	global_store_b8 v[0:1], v2, off
.LBB7_1919:
	s_mov_b32 s3, 0
	s_mov_b32 s6, -1
.LBB7_1920:
	s_and_not1_b32 vcc_lo, exec_lo, s3
	s_mov_b32 s3, 0
	s_cbranch_vccnz .LBB7_1927
; %bb.1921:
	s_cmp_gt_i32 s2, 14
	s_mov_b32 s3, -1
	s_cbranch_scc0 .LBB7_1925
; %bb.1922:
	s_cmp_eq_u32 s2, 15
	s_mov_b32 s0, -1
	s_cbranch_scc0 .LBB7_1924
; %bb.1923:
	s_wait_xcnt 0x0
	v_cvt_f32_f64_e32 v2, v[4:5]
	s_mov_b32 s0, 0
	s_mov_b32 s6, -1
	s_delay_alu instid0(VALU_DEP_1) | instskip(SKIP_1) | instid1(VALU_DEP_2)
	v_bfe_u32 v3, v2, 16, 1
	v_cmp_o_f32_e32 vcc_lo, v2, v2
	v_add3_u32 v3, v2, v3, 0x7fff
	s_delay_alu instid0(VALU_DEP_1) | instskip(NEXT) | instid1(VALU_DEP_1)
	v_lshrrev_b32_e32 v3, 16, v3
	v_cndmask_b32_e32 v2, 0x7fc0, v3, vcc_lo
	global_store_b16 v[0:1], v2, off
.LBB7_1924:
	s_mov_b32 s3, 0
.LBB7_1925:
	s_delay_alu instid0(SALU_CYCLE_1)
	s_and_b32 vcc_lo, exec_lo, s3
	s_mov_b32 s3, 0
	s_cbranch_vccz .LBB7_1927
; %bb.1926:
	s_cmp_lg_u32 s2, 11
	s_mov_b32 s3, -1
	s_cselect_b32 s0, -1, 0
.LBB7_1927:
	s_delay_alu instid0(SALU_CYCLE_1)
	s_and_b32 vcc_lo, exec_lo, s0
	s_cbranch_vccnz .LBB7_2177
; %bb.1928:
	s_and_not1_b32 vcc_lo, exec_lo, s3
	s_cbranch_vccnz .LBB7_1930
.LBB7_1929:
	v_cmp_neq_f64_e32 vcc_lo, 0, v[4:5]
	s_mov_b32 s6, -1
	s_wait_xcnt 0x0
	v_cndmask_b32_e64 v2, 0, 1, vcc_lo
	global_store_b8 v[0:1], v2, off
.LBB7_1930:
	s_mov_b32 s0, 0
	s_branch .LBB7_1932
.LBB7_1931:
	s_mov_b32 s0, -1
	s_mov_b32 s6, 0
.LBB7_1932:
	s_and_b32 vcc_lo, exec_lo, s0
	s_cbranch_vccz .LBB7_1971
; %bb.1933:
	s_cmp_lt_i32 s2, 5
	s_mov_b32 s0, -1
	s_cbranch_scc1 .LBB7_1954
; %bb.1934:
	s_cmp_lt_i32 s2, 8
	s_cbranch_scc1 .LBB7_1944
; %bb.1935:
	s_cmp_lt_i32 s2, 9
	s_cbranch_scc1 .LBB7_1941
; %bb.1936:
	s_cmp_gt_i32 s2, 9
	s_cbranch_scc0 .LBB7_1938
; %bb.1937:
	s_wait_xcnt 0x0
	v_mov_b32_e32 v6, 0
	s_mov_b32 s0, 0
	s_delay_alu instid0(VALU_DEP_1)
	v_mov_b32_e32 v7, v6
	global_store_b128 v[0:1], v[4:7], off
.LBB7_1938:
	s_and_not1_b32 vcc_lo, exec_lo, s0
	s_cbranch_vccnz .LBB7_1940
; %bb.1939:
	s_wait_xcnt 0x0
	v_cvt_f32_f64_e32 v2, v[4:5]
	v_mov_b32_e32 v3, 0
	global_store_b64 v[0:1], v[2:3], off
.LBB7_1940:
	s_mov_b32 s0, 0
.LBB7_1941:
	s_delay_alu instid0(SALU_CYCLE_1)
	s_and_not1_b32 vcc_lo, exec_lo, s0
	s_cbranch_vccnz .LBB7_1943
; %bb.1942:
	s_wait_xcnt 0x0
	v_and_or_b32 v2, 0x1ff, v5, v4
	v_lshrrev_b32_e32 v3, 8, v5
	v_bfe_u32 v6, v5, 20, 11
	s_delay_alu instid0(VALU_DEP_3) | instskip(NEXT) | instid1(VALU_DEP_2)
	v_cmp_ne_u32_e32 vcc_lo, 0, v2
	v_sub_nc_u32_e32 v7, 0x3f1, v6
	v_cndmask_b32_e64 v2, 0, 1, vcc_lo
	s_delay_alu instid0(VALU_DEP_1) | instskip(NEXT) | instid1(VALU_DEP_3)
	v_and_or_b32 v2, 0xffe, v3, v2
	v_med3_i32 v3, v7, 0, 13
	s_delay_alu instid0(VALU_DEP_2) | instskip(NEXT) | instid1(VALU_DEP_1)
	v_or_b32_e32 v7, 0x1000, v2
	v_lshrrev_b32_e32 v11, v3, v7
	s_delay_alu instid0(VALU_DEP_1) | instskip(NEXT) | instid1(VALU_DEP_1)
	v_lshlrev_b32_e32 v3, v3, v11
	v_cmp_ne_u32_e32 vcc_lo, v3, v7
	v_cndmask_b32_e64 v3, 0, 1, vcc_lo
	s_delay_alu instid0(VALU_DEP_1) | instskip(SKIP_1) | instid1(VALU_DEP_1)
	v_or_b32_e32 v3, v11, v3
	v_add_nc_u32_e32 v6, 0xfffffc10, v6
	v_lshl_or_b32 v7, v6, 12, v2
	v_cmp_gt_i32_e32 vcc_lo, 1, v6
	s_delay_alu instid0(VALU_DEP_2) | instskip(NEXT) | instid1(VALU_DEP_1)
	v_cndmask_b32_e32 v3, v7, v3, vcc_lo
	v_dual_lshrrev_b32 v3, 2, v3 :: v_dual_bitop2_b32 v7, 7, v3 bitop3:0x40
	s_delay_alu instid0(VALU_DEP_1) | instskip(SKIP_4) | instid1(VALU_DEP_2)
	v_cmp_lt_i32_e32 vcc_lo, 5, v7
	v_cndmask_b32_e64 v11, 0, 1, vcc_lo
	v_cmp_eq_u32_e32 vcc_lo, 3, v7
	v_cndmask_b32_e64 v7, 0, 1, vcc_lo
	v_cmp_ne_u32_e32 vcc_lo, 0, v2
	v_or_b32_e32 v7, v7, v11
	v_mov_b32_e32 v11, 0x7e00
	s_delay_alu instid0(VALU_DEP_2) | instskip(NEXT) | instid1(VALU_DEP_2)
	v_add_nc_u32_e32 v3, v3, v7
	v_cndmask_b32_e32 v2, 0x7c00, v11, vcc_lo
	v_cmp_gt_i32_e32 vcc_lo, 31, v6
	v_lshrrev_b32_e32 v7, 16, v5
	s_delay_alu instid0(VALU_DEP_4) | instskip(SKIP_1) | instid1(VALU_DEP_2)
	v_cndmask_b32_e32 v3, 0x7c00, v3, vcc_lo
	v_cmp_eq_u32_e32 vcc_lo, 0x40f, v6
	v_cndmask_b32_e32 v2, v3, v2, vcc_lo
	s_delay_alu instid0(VALU_DEP_4) | instskip(NEXT) | instid1(VALU_DEP_1)
	v_and_b32_e32 v3, 0x8000, v7
	v_bitop3_b32 v2, v3, 0xffff, v2 bitop3:0xc8
	global_store_b32 v[0:1], v2, off
.LBB7_1943:
	s_mov_b32 s0, 0
.LBB7_1944:
	s_delay_alu instid0(SALU_CYCLE_1)
	s_and_not1_b32 vcc_lo, exec_lo, s0
	s_cbranch_vccnz .LBB7_1953
; %bb.1945:
	s_cmp_lt_i32 s2, 6
	s_mov_b32 s0, -1
	s_cbranch_scc1 .LBB7_1951
; %bb.1946:
	s_cmp_gt_i32 s2, 6
	s_cbranch_scc0 .LBB7_1948
; %bb.1947:
	s_mov_b32 s0, 0
	global_store_b64 v[0:1], v[4:5], off
.LBB7_1948:
	s_and_not1_b32 vcc_lo, exec_lo, s0
	s_cbranch_vccnz .LBB7_1950
; %bb.1949:
	s_wait_xcnt 0x0
	v_cvt_f32_f64_e32 v2, v[4:5]
	global_store_b32 v[0:1], v2, off
.LBB7_1950:
	s_mov_b32 s0, 0
.LBB7_1951:
	s_delay_alu instid0(SALU_CYCLE_1)
	s_and_not1_b32 vcc_lo, exec_lo, s0
	s_cbranch_vccnz .LBB7_1953
; %bb.1952:
	s_wait_xcnt 0x0
	v_and_or_b32 v2, 0x1ff, v5, v4
	v_lshrrev_b32_e32 v3, 8, v5
	v_bfe_u32 v6, v5, 20, 11
	s_delay_alu instid0(VALU_DEP_3) | instskip(NEXT) | instid1(VALU_DEP_2)
	v_cmp_ne_u32_e32 vcc_lo, 0, v2
	v_sub_nc_u32_e32 v7, 0x3f1, v6
	v_cndmask_b32_e64 v2, 0, 1, vcc_lo
	s_delay_alu instid0(VALU_DEP_1) | instskip(NEXT) | instid1(VALU_DEP_3)
	v_and_or_b32 v2, 0xffe, v3, v2
	v_med3_i32 v3, v7, 0, 13
	s_delay_alu instid0(VALU_DEP_2) | instskip(NEXT) | instid1(VALU_DEP_1)
	v_or_b32_e32 v7, 0x1000, v2
	v_lshrrev_b32_e32 v11, v3, v7
	s_delay_alu instid0(VALU_DEP_1) | instskip(NEXT) | instid1(VALU_DEP_1)
	v_lshlrev_b32_e32 v3, v3, v11
	v_cmp_ne_u32_e32 vcc_lo, v3, v7
	v_cndmask_b32_e64 v3, 0, 1, vcc_lo
	s_delay_alu instid0(VALU_DEP_1) | instskip(SKIP_1) | instid1(VALU_DEP_1)
	v_or_b32_e32 v3, v11, v3
	v_add_nc_u32_e32 v6, 0xfffffc10, v6
	v_lshl_or_b32 v7, v6, 12, v2
	v_cmp_gt_i32_e32 vcc_lo, 1, v6
	s_delay_alu instid0(VALU_DEP_2) | instskip(NEXT) | instid1(VALU_DEP_1)
	v_cndmask_b32_e32 v3, v7, v3, vcc_lo
	v_dual_lshrrev_b32 v3, 2, v3 :: v_dual_bitop2_b32 v7, 7, v3 bitop3:0x40
	s_delay_alu instid0(VALU_DEP_1) | instskip(SKIP_4) | instid1(VALU_DEP_2)
	v_cmp_lt_i32_e32 vcc_lo, 5, v7
	v_cndmask_b32_e64 v11, 0, 1, vcc_lo
	v_cmp_eq_u32_e32 vcc_lo, 3, v7
	v_cndmask_b32_e64 v7, 0, 1, vcc_lo
	v_cmp_ne_u32_e32 vcc_lo, 0, v2
	v_or_b32_e32 v7, v7, v11
	v_mov_b32_e32 v11, 0x7e00
	s_delay_alu instid0(VALU_DEP_2) | instskip(NEXT) | instid1(VALU_DEP_2)
	v_add_nc_u32_e32 v3, v3, v7
	v_cndmask_b32_e32 v2, 0x7c00, v11, vcc_lo
	v_cmp_gt_i32_e32 vcc_lo, 31, v6
	s_delay_alu instid0(VALU_DEP_3) | instskip(SKIP_1) | instid1(VALU_DEP_2)
	v_cndmask_b32_e32 v3, 0x7c00, v3, vcc_lo
	v_cmp_eq_u32_e32 vcc_lo, 0x40f, v6
	v_dual_cndmask_b32 v2, v3, v2 :: v_dual_lshrrev_b32 v3, 16, v5
	s_delay_alu instid0(VALU_DEP_1)
	v_and_or_b32 v2, 0x8000, v3, v2
	global_store_b16 v[0:1], v2, off
.LBB7_1953:
	s_mov_b32 s0, 0
.LBB7_1954:
	s_delay_alu instid0(SALU_CYCLE_1)
	s_and_not1_b32 vcc_lo, exec_lo, s0
	s_cbranch_vccnz .LBB7_1970
; %bb.1955:
	s_cmp_lt_i32 s2, 2
	s_mov_b32 s0, -1
	s_cbranch_scc1 .LBB7_1965
; %bb.1956:
	s_cmp_lt_i32 s2, 3
	s_cbranch_scc1 .LBB7_1962
; %bb.1957:
	s_cmp_gt_i32 s2, 3
	s_cbranch_scc0 .LBB7_1959
; %bb.1958:
	s_wait_xcnt 0x0
	v_trunc_f64_e32 v[2:3], v[4:5]
	s_mov_b32 s0, 0
	s_delay_alu instid0(VALU_DEP_1) | instskip(NEXT) | instid1(VALU_DEP_1)
	v_ldexp_f64 v[6:7], v[2:3], 0xffffffe0
	v_floor_f64_e32 v[6:7], v[6:7]
	s_delay_alu instid0(VALU_DEP_1) | instskip(SKIP_1) | instid1(VALU_DEP_2)
	v_fmamk_f64 v[2:3], v[6:7], 0xc1f00000, v[2:3]
	v_cvt_i32_f64_e32 v7, v[6:7]
	v_cvt_u32_f64_e32 v6, v[2:3]
	global_store_b64 v[0:1], v[6:7], off
.LBB7_1959:
	s_and_not1_b32 vcc_lo, exec_lo, s0
	s_cbranch_vccnz .LBB7_1961
; %bb.1960:
	s_wait_xcnt 0x0
	v_cvt_i32_f64_e32 v2, v[4:5]
	global_store_b32 v[0:1], v2, off
.LBB7_1961:
	s_mov_b32 s0, 0
.LBB7_1962:
	s_delay_alu instid0(SALU_CYCLE_1)
	s_and_not1_b32 vcc_lo, exec_lo, s0
	s_cbranch_vccnz .LBB7_1964
; %bb.1963:
	s_wait_xcnt 0x0
	v_cvt_i32_f64_e32 v2, v[4:5]
	global_store_b16 v[0:1], v2, off
.LBB7_1964:
	s_mov_b32 s0, 0
.LBB7_1965:
	s_delay_alu instid0(SALU_CYCLE_1)
	s_and_not1_b32 vcc_lo, exec_lo, s0
	s_cbranch_vccnz .LBB7_1970
; %bb.1966:
	s_cmp_gt_i32 s2, 0
	s_mov_b32 s0, -1
	s_cbranch_scc0 .LBB7_1968
; %bb.1967:
	s_wait_xcnt 0x0
	v_cvt_i32_f64_e32 v2, v[4:5]
	s_mov_b32 s0, 0
	global_store_b8 v[0:1], v2, off
.LBB7_1968:
	s_and_not1_b32 vcc_lo, exec_lo, s0
	s_cbranch_vccnz .LBB7_1970
; %bb.1969:
	s_wait_xcnt 0x0
	v_trunc_f64_e32 v[2:3], v[4:5]
	s_delay_alu instid0(VALU_DEP_1) | instskip(NEXT) | instid1(VALU_DEP_1)
	v_ldexp_f64 v[4:5], v[2:3], 0xffffffe0
	v_floor_f64_e32 v[4:5], v[4:5]
	s_delay_alu instid0(VALU_DEP_1) | instskip(NEXT) | instid1(VALU_DEP_1)
	v_fmamk_f64 v[2:3], v[4:5], 0xc1f00000, v[2:3]
	v_cvt_u32_f64_e32 v2, v[2:3]
	global_store_b8 v[0:1], v2, off
.LBB7_1970:
	s_mov_b32 s6, -1
.LBB7_1971:
	s_delay_alu instid0(SALU_CYCLE_1)
	s_and_not1_b32 vcc_lo, exec_lo, s6
	s_cbranch_vccnz .LBB7_2167
; %bb.1972:
	v_mov_b32_e32 v11, 0
	s_cmp_lt_i32 s2, 11
	s_wait_xcnt 0x0
	s_delay_alu instid0(VALU_DEP_1)
	v_add_nc_u64_e32 v[0:1], s[4:5], v[10:11]
	s_cbranch_scc1 .LBB7_2050
; %bb.1973:
	s_mov_b32 s7, -1
	s_mov_b32 s3, 0
	s_cmp_gt_i32 s2, 25
	s_mov_b32 s6, 0
	s_mov_b32 s0, 0
	s_cbranch_scc0 .LBB7_2006
; %bb.1974:
	s_cmp_gt_i32 s2, 28
	s_cbranch_scc0 .LBB7_1989
; %bb.1975:
	s_cmp_gt_i32 s2, 43
	;; [unrolled: 3-line block ×3, first 2 shown]
	s_cbranch_scc0 .LBB7_1979
; %bb.1977:
	s_mov_b32 s0, -1
	s_mov_b32 s7, 0
	s_cmp_eq_u32 s2, 46
	s_cbranch_scc0 .LBB7_1979
; %bb.1978:
	v_cvt_f32_f64_e32 v2, v[8:9]
	s_mov_b32 s0, 0
	s_mov_b32 s6, -1
	s_delay_alu instid0(VALU_DEP_1) | instskip(SKIP_1) | instid1(VALU_DEP_2)
	v_bfe_u32 v3, v2, 16, 1
	v_cmp_o_f32_e32 vcc_lo, v2, v2
	v_add3_u32 v3, v2, v3, 0x7fff
	s_delay_alu instid0(VALU_DEP_1) | instskip(NEXT) | instid1(VALU_DEP_1)
	v_lshrrev_b32_e32 v3, 16, v3
	v_cndmask_b32_e32 v2, 0x7fc0, v3, vcc_lo
	global_store_b32 v[0:1], v2, off
.LBB7_1979:
	s_and_b32 vcc_lo, exec_lo, s7
	s_cbranch_vccz .LBB7_1984
; %bb.1980:
	s_cmp_eq_u32 s2, 44
	s_mov_b32 s0, -1
	s_cbranch_scc0 .LBB7_1984
; %bb.1981:
	s_wait_xcnt 0x0
	v_cvt_f32_f64_e32 v2, v[8:9]
	v_mov_b32_e32 v3, 0xff
	s_mov_b32 s6, exec_lo
	s_delay_alu instid0(VALU_DEP_2) | instskip(NEXT) | instid1(VALU_DEP_1)
	v_bfe_u32 v4, v2, 23, 8
	v_cmpx_ne_u32_e32 0xff, v4
	s_cbranch_execz .LBB7_1983
; %bb.1982:
	v_and_b32_e32 v3, 0x400000, v2
	v_and_or_b32 v4, 0x3fffff, v2, v4
	v_lshrrev_b32_e32 v2, 23, v2
	s_delay_alu instid0(VALU_DEP_3) | instskip(NEXT) | instid1(VALU_DEP_3)
	v_cmp_ne_u32_e32 vcc_lo, 0, v3
	v_cmp_ne_u32_e64 s0, 0, v4
	s_and_b32 s0, vcc_lo, s0
	s_delay_alu instid0(SALU_CYCLE_1) | instskip(NEXT) | instid1(VALU_DEP_1)
	v_cndmask_b32_e64 v3, 0, 1, s0
	v_add_nc_u32_e32 v3, v2, v3
.LBB7_1983:
	s_or_b32 exec_lo, exec_lo, s6
	s_mov_b32 s0, 0
	s_mov_b32 s6, -1
	global_store_b8 v[0:1], v3, off
.LBB7_1984:
	s_mov_b32 s7, 0
.LBB7_1985:
	s_delay_alu instid0(SALU_CYCLE_1)
	s_and_b32 vcc_lo, exec_lo, s7
	s_cbranch_vccz .LBB7_1988
; %bb.1986:
	s_cmp_eq_u32 s2, 29
	s_mov_b32 s0, -1
	s_cbranch_scc0 .LBB7_1988
; %bb.1987:
	s_wait_xcnt 0x0
	v_trunc_f64_e32 v[2:3], v[8:9]
	s_mov_b32 s0, 0
	s_mov_b32 s6, -1
	s_delay_alu instid0(VALU_DEP_1) | instskip(NEXT) | instid1(VALU_DEP_1)
	v_ldexp_f64 v[4:5], v[2:3], 0xffffffe0
	v_floor_f64_e32 v[4:5], v[4:5]
	s_delay_alu instid0(VALU_DEP_1) | instskip(SKIP_1) | instid1(VALU_DEP_2)
	v_fmamk_f64 v[2:3], v[4:5], 0xc1f00000, v[2:3]
	v_cvt_u32_f64_e32 v5, v[4:5]
	v_cvt_u32_f64_e32 v4, v[2:3]
	global_store_b64 v[0:1], v[4:5], off
.LBB7_1988:
	s_mov_b32 s7, 0
.LBB7_1989:
	s_delay_alu instid0(SALU_CYCLE_1)
	s_and_b32 vcc_lo, exec_lo, s7
	s_cbranch_vccz .LBB7_2005
; %bb.1990:
	s_cmp_lt_i32 s2, 27
	s_mov_b32 s6, -1
	s_cbranch_scc1 .LBB7_1996
; %bb.1991:
	s_wait_xcnt 0x0
	v_cvt_u32_f64_e32 v2, v[8:9]
	s_cmp_gt_i32 s2, 27
	s_cbranch_scc0 .LBB7_1993
; %bb.1992:
	s_mov_b32 s6, 0
	global_store_b32 v[0:1], v2, off
.LBB7_1993:
	s_and_not1_b32 vcc_lo, exec_lo, s6
	s_cbranch_vccnz .LBB7_1995
; %bb.1994:
	global_store_b16 v[0:1], v2, off
.LBB7_1995:
	s_mov_b32 s6, 0
.LBB7_1996:
	s_delay_alu instid0(SALU_CYCLE_1)
	s_and_not1_b32 vcc_lo, exec_lo, s6
	s_cbranch_vccnz .LBB7_2004
; %bb.1997:
	s_wait_xcnt 0x0
	v_cvt_f32_f64_e32 v2, v[8:9]
	v_mov_b32_e32 v4, 0x80
	s_mov_b32 s6, exec_lo
	s_delay_alu instid0(VALU_DEP_2) | instskip(NEXT) | instid1(VALU_DEP_1)
	v_and_b32_e32 v3, 0x7fffffff, v2
	v_cmpx_gt_u32_e32 0x43800000, v3
	s_cbranch_execz .LBB7_2003
; %bb.1998:
	v_cmp_lt_u32_e32 vcc_lo, 0x3bffffff, v3
	s_mov_b32 s7, 0
                                        ; implicit-def: $vgpr3
	s_and_saveexec_b32 s8, vcc_lo
	s_delay_alu instid0(SALU_CYCLE_1)
	s_xor_b32 s8, exec_lo, s8
	s_cbranch_execz .LBB7_2180
; %bb.1999:
	v_bfe_u32 v3, v2, 20, 1
	s_mov_b32 s7, exec_lo
	s_delay_alu instid0(VALU_DEP_1) | instskip(NEXT) | instid1(VALU_DEP_1)
	v_add3_u32 v3, v2, v3, 0x487ffff
	v_lshrrev_b32_e32 v3, 20, v3
	s_and_not1_saveexec_b32 s8, s8
	s_cbranch_execnz .LBB7_2181
.LBB7_2000:
	s_or_b32 exec_lo, exec_lo, s8
	v_mov_b32_e32 v4, 0
	s_and_saveexec_b32 s8, s7
.LBB7_2001:
	v_lshrrev_b32_e32 v2, 24, v2
	s_delay_alu instid0(VALU_DEP_1)
	v_and_or_b32 v4, 0x80, v2, v3
.LBB7_2002:
	s_or_b32 exec_lo, exec_lo, s8
.LBB7_2003:
	s_delay_alu instid0(SALU_CYCLE_1)
	s_or_b32 exec_lo, exec_lo, s6
	global_store_b8 v[0:1], v4, off
.LBB7_2004:
	s_mov_b32 s6, -1
.LBB7_2005:
	s_mov_b32 s7, 0
.LBB7_2006:
	s_delay_alu instid0(SALU_CYCLE_1)
	s_and_b32 vcc_lo, exec_lo, s7
	s_cbranch_vccz .LBB7_2046
; %bb.2007:
	s_cmp_gt_i32 s2, 22
	s_mov_b32 s3, -1
	s_cbranch_scc0 .LBB7_2039
; %bb.2008:
	s_cmp_lt_i32 s2, 24
	s_cbranch_scc1 .LBB7_2028
; %bb.2009:
	s_cmp_gt_i32 s2, 24
	s_cbranch_scc0 .LBB7_2017
; %bb.2010:
	s_wait_xcnt 0x0
	v_cvt_f32_f64_e32 v2, v[8:9]
	v_mov_b32_e32 v4, 0x80
	s_mov_b32 s3, exec_lo
	s_delay_alu instid0(VALU_DEP_2) | instskip(NEXT) | instid1(VALU_DEP_1)
	v_and_b32_e32 v3, 0x7fffffff, v2
	v_cmpx_gt_u32_e32 0x47800000, v3
	s_cbranch_execz .LBB7_2016
; %bb.2011:
	v_cmp_lt_u32_e32 vcc_lo, 0x37ffffff, v3
	s_mov_b32 s6, 0
                                        ; implicit-def: $vgpr3
	s_and_saveexec_b32 s7, vcc_lo
	s_delay_alu instid0(SALU_CYCLE_1)
	s_xor_b32 s7, exec_lo, s7
	s_cbranch_execz .LBB7_2183
; %bb.2012:
	v_bfe_u32 v3, v2, 21, 1
	s_mov_b32 s6, exec_lo
	s_delay_alu instid0(VALU_DEP_1) | instskip(NEXT) | instid1(VALU_DEP_1)
	v_add3_u32 v3, v2, v3, 0x88fffff
	v_lshrrev_b32_e32 v3, 21, v3
	s_and_not1_saveexec_b32 s7, s7
	s_cbranch_execnz .LBB7_2184
.LBB7_2013:
	s_or_b32 exec_lo, exec_lo, s7
	v_mov_b32_e32 v4, 0
	s_and_saveexec_b32 s7, s6
.LBB7_2014:
	v_lshrrev_b32_e32 v2, 24, v2
	s_delay_alu instid0(VALU_DEP_1)
	v_and_or_b32 v4, 0x80, v2, v3
.LBB7_2015:
	s_or_b32 exec_lo, exec_lo, s7
.LBB7_2016:
	s_delay_alu instid0(SALU_CYCLE_1)
	s_or_b32 exec_lo, exec_lo, s3
	s_mov_b32 s3, 0
	global_store_b8 v[0:1], v4, off
.LBB7_2017:
	s_and_b32 vcc_lo, exec_lo, s3
	s_cbranch_vccz .LBB7_2027
; %bb.2018:
	s_wait_xcnt 0x0
	v_cvt_f32_f64_e32 v2, v[8:9]
	s_mov_b32 s3, exec_lo
                                        ; implicit-def: $vgpr3
	s_delay_alu instid0(VALU_DEP_1) | instskip(NEXT) | instid1(VALU_DEP_1)
	v_and_b32_e32 v4, 0x7fffffff, v2
	v_cmpx_gt_u32_e32 0x43f00000, v4
	s_xor_b32 s3, exec_lo, s3
	s_cbranch_execz .LBB7_2024
; %bb.2019:
	s_mov_b32 s6, exec_lo
                                        ; implicit-def: $vgpr3
	v_cmpx_lt_u32_e32 0x3c7fffff, v4
	s_xor_b32 s6, exec_lo, s6
; %bb.2020:
	v_bfe_u32 v3, v2, 20, 1
	s_delay_alu instid0(VALU_DEP_1) | instskip(NEXT) | instid1(VALU_DEP_1)
	v_add3_u32 v3, v2, v3, 0x407ffff
	v_and_b32_e32 v4, 0xff00000, v3
	v_lshrrev_b32_e32 v3, 20, v3
	s_delay_alu instid0(VALU_DEP_2) | instskip(NEXT) | instid1(VALU_DEP_2)
	v_cmp_ne_u32_e32 vcc_lo, 0x7f00000, v4
	v_cndmask_b32_e32 v3, 0x7e, v3, vcc_lo
; %bb.2021:
	s_and_not1_saveexec_b32 s6, s6
; %bb.2022:
	v_add_f32_e64 v3, 0x46800000, |v2|
; %bb.2023:
	s_or_b32 exec_lo, exec_lo, s6
                                        ; implicit-def: $vgpr4
.LBB7_2024:
	s_and_not1_saveexec_b32 s3, s3
; %bb.2025:
	v_mov_b32_e32 v3, 0x7f
	v_cmp_lt_u32_e32 vcc_lo, 0x7f800000, v4
	s_delay_alu instid0(VALU_DEP_2)
	v_cndmask_b32_e32 v3, 0x7e, v3, vcc_lo
; %bb.2026:
	s_or_b32 exec_lo, exec_lo, s3
	v_lshrrev_b32_e32 v2, 24, v2
	s_delay_alu instid0(VALU_DEP_1)
	v_and_or_b32 v2, 0x80, v2, v3
	global_store_b8 v[0:1], v2, off
.LBB7_2027:
	s_mov_b32 s3, 0
.LBB7_2028:
	s_delay_alu instid0(SALU_CYCLE_1)
	s_and_not1_b32 vcc_lo, exec_lo, s3
	s_cbranch_vccnz .LBB7_2038
; %bb.2029:
	s_wait_xcnt 0x0
	v_cvt_f32_f64_e32 v2, v[8:9]
	s_mov_b32 s3, exec_lo
                                        ; implicit-def: $vgpr3
	s_delay_alu instid0(VALU_DEP_1) | instskip(NEXT) | instid1(VALU_DEP_1)
	v_and_b32_e32 v4, 0x7fffffff, v2
	v_cmpx_gt_u32_e32 0x47800000, v4
	s_xor_b32 s3, exec_lo, s3
	s_cbranch_execz .LBB7_2035
; %bb.2030:
	s_mov_b32 s6, exec_lo
                                        ; implicit-def: $vgpr3
	v_cmpx_lt_u32_e32 0x387fffff, v4
	s_xor_b32 s6, exec_lo, s6
; %bb.2031:
	v_bfe_u32 v3, v2, 21, 1
	s_delay_alu instid0(VALU_DEP_1) | instskip(NEXT) | instid1(VALU_DEP_1)
	v_add3_u32 v3, v2, v3, 0x80fffff
	v_lshrrev_b32_e32 v3, 21, v3
; %bb.2032:
	s_and_not1_saveexec_b32 s6, s6
; %bb.2033:
	v_add_f32_e64 v3, 0x43000000, |v2|
; %bb.2034:
	s_or_b32 exec_lo, exec_lo, s6
                                        ; implicit-def: $vgpr4
.LBB7_2035:
	s_and_not1_saveexec_b32 s3, s3
; %bb.2036:
	v_mov_b32_e32 v3, 0x7f
	v_cmp_lt_u32_e32 vcc_lo, 0x7f800000, v4
	s_delay_alu instid0(VALU_DEP_2)
	v_cndmask_b32_e32 v3, 0x7c, v3, vcc_lo
; %bb.2037:
	s_or_b32 exec_lo, exec_lo, s3
	v_lshrrev_b32_e32 v2, 24, v2
	s_delay_alu instid0(VALU_DEP_1)
	v_and_or_b32 v2, 0x80, v2, v3
	global_store_b8 v[0:1], v2, off
.LBB7_2038:
	s_mov_b32 s3, 0
	s_mov_b32 s6, -1
.LBB7_2039:
	s_and_not1_b32 vcc_lo, exec_lo, s3
	s_mov_b32 s3, 0
	s_cbranch_vccnz .LBB7_2046
; %bb.2040:
	s_cmp_gt_i32 s2, 14
	s_mov_b32 s3, -1
	s_cbranch_scc0 .LBB7_2044
; %bb.2041:
	s_cmp_eq_u32 s2, 15
	s_mov_b32 s0, -1
	s_cbranch_scc0 .LBB7_2043
; %bb.2042:
	s_wait_xcnt 0x0
	v_cvt_f32_f64_e32 v2, v[8:9]
	s_mov_b32 s0, 0
	s_mov_b32 s6, -1
	s_delay_alu instid0(VALU_DEP_1) | instskip(SKIP_1) | instid1(VALU_DEP_2)
	v_bfe_u32 v3, v2, 16, 1
	v_cmp_o_f32_e32 vcc_lo, v2, v2
	v_add3_u32 v3, v2, v3, 0x7fff
	s_delay_alu instid0(VALU_DEP_1) | instskip(NEXT) | instid1(VALU_DEP_1)
	v_lshrrev_b32_e32 v3, 16, v3
	v_cndmask_b32_e32 v2, 0x7fc0, v3, vcc_lo
	global_store_b16 v[0:1], v2, off
.LBB7_2043:
	s_mov_b32 s3, 0
.LBB7_2044:
	s_delay_alu instid0(SALU_CYCLE_1)
	s_and_b32 vcc_lo, exec_lo, s3
	s_mov_b32 s3, 0
	s_cbranch_vccz .LBB7_2046
; %bb.2045:
	s_cmp_lg_u32 s2, 11
	s_mov_b32 s3, -1
	s_cselect_b32 s0, -1, 0
.LBB7_2046:
	s_delay_alu instid0(SALU_CYCLE_1)
	s_and_b32 vcc_lo, exec_lo, s0
	s_cbranch_vccnz .LBB7_2182
; %bb.2047:
	s_and_not1_b32 vcc_lo, exec_lo, s3
	s_cbranch_vccnz .LBB7_2049
.LBB7_2048:
	v_cmp_neq_f64_e32 vcc_lo, 0, v[8:9]
	s_mov_b32 s6, -1
	s_wait_xcnt 0x0
	v_cndmask_b32_e64 v2, 0, 1, vcc_lo
	global_store_b8 v[0:1], v2, off
.LBB7_2049:
	s_mov_b32 s0, 0
	s_branch .LBB7_2051
.LBB7_2050:
	s_mov_b32 s0, -1
	s_mov_b32 s6, 0
.LBB7_2051:
	s_and_b32 vcc_lo, exec_lo, s0
	s_cbranch_vccz .LBB7_2090
; %bb.2052:
	s_cmp_lt_i32 s2, 5
	s_mov_b32 s0, -1
	s_cbranch_scc1 .LBB7_2073
; %bb.2053:
	s_cmp_lt_i32 s2, 8
	s_cbranch_scc1 .LBB7_2063
; %bb.2054:
	s_cmp_lt_i32 s2, 9
	s_cbranch_scc1 .LBB7_2060
; %bb.2055:
	s_cmp_gt_i32 s2, 9
	s_cbranch_scc0 .LBB7_2057
; %bb.2056:
	v_mov_b32_e32 v10, 0
	s_mov_b32 s0, 0
	s_delay_alu instid0(VALU_DEP_1)
	v_mov_b32_e32 v11, v10
	global_store_b128 v[0:1], v[8:11], off
.LBB7_2057:
	s_and_not1_b32 vcc_lo, exec_lo, s0
	s_cbranch_vccnz .LBB7_2059
; %bb.2058:
	s_wait_xcnt 0x0
	v_cvt_f32_f64_e32 v2, v[8:9]
	v_mov_b32_e32 v3, 0
	global_store_b64 v[0:1], v[2:3], off
.LBB7_2059:
	s_mov_b32 s0, 0
.LBB7_2060:
	s_delay_alu instid0(SALU_CYCLE_1)
	s_and_not1_b32 vcc_lo, exec_lo, s0
	s_cbranch_vccnz .LBB7_2062
; %bb.2061:
	s_wait_xcnt 0x0
	v_and_or_b32 v2, 0x1ff, v9, v8
	v_lshrrev_b32_e32 v3, 8, v9
	v_bfe_u32 v4, v9, 20, 11
	s_delay_alu instid0(VALU_DEP_3) | instskip(NEXT) | instid1(VALU_DEP_2)
	v_cmp_ne_u32_e32 vcc_lo, 0, v2
	v_sub_nc_u32_e32 v5, 0x3f1, v4
	v_add_nc_u32_e32 v4, 0xfffffc10, v4
	v_cndmask_b32_e64 v2, 0, 1, vcc_lo
	s_delay_alu instid0(VALU_DEP_1) | instskip(NEXT) | instid1(VALU_DEP_4)
	v_and_or_b32 v2, 0xffe, v3, v2
	v_med3_i32 v3, v5, 0, 13
	s_delay_alu instid0(VALU_DEP_2) | instskip(NEXT) | instid1(VALU_DEP_1)
	v_or_b32_e32 v5, 0x1000, v2
	v_lshrrev_b32_e32 v6, v3, v5
	s_delay_alu instid0(VALU_DEP_1) | instskip(NEXT) | instid1(VALU_DEP_1)
	v_lshlrev_b32_e32 v3, v3, v6
	v_cmp_ne_u32_e32 vcc_lo, v3, v5
	v_lshl_or_b32 v5, v4, 12, v2
	v_cndmask_b32_e64 v3, 0, 1, vcc_lo
	v_cmp_gt_i32_e32 vcc_lo, 1, v4
	s_delay_alu instid0(VALU_DEP_2) | instskip(NEXT) | instid1(VALU_DEP_1)
	v_or_b32_e32 v3, v6, v3
	v_cndmask_b32_e32 v3, v5, v3, vcc_lo
	s_delay_alu instid0(VALU_DEP_1) | instskip(NEXT) | instid1(VALU_DEP_1)
	v_dual_lshrrev_b32 v3, 2, v3 :: v_dual_bitop2_b32 v5, 7, v3 bitop3:0x40
	v_cmp_lt_i32_e32 vcc_lo, 5, v5
	v_cndmask_b32_e64 v6, 0, 1, vcc_lo
	v_cmp_eq_u32_e32 vcc_lo, 3, v5
	v_cndmask_b32_e64 v5, 0, 1, vcc_lo
	v_cmp_ne_u32_e32 vcc_lo, 0, v2
	s_delay_alu instid0(VALU_DEP_2) | instskip(NEXT) | instid1(VALU_DEP_1)
	v_or_b32_e32 v5, v5, v6
	v_dual_mov_b32 v6, 0x7e00 :: v_dual_add_nc_u32 v3, v3, v5
	s_delay_alu instid0(VALU_DEP_1) | instskip(SKIP_2) | instid1(VALU_DEP_4)
	v_cndmask_b32_e32 v2, 0x7c00, v6, vcc_lo
	v_cmp_gt_i32_e32 vcc_lo, 31, v4
	v_lshrrev_b32_e32 v5, 16, v9
	v_cndmask_b32_e32 v3, 0x7c00, v3, vcc_lo
	v_cmp_eq_u32_e32 vcc_lo, 0x40f, v4
	s_delay_alu instid0(VALU_DEP_2) | instskip(NEXT) | instid1(VALU_DEP_4)
	v_cndmask_b32_e32 v2, v3, v2, vcc_lo
	v_and_b32_e32 v3, 0x8000, v5
	s_delay_alu instid0(VALU_DEP_1)
	v_bitop3_b32 v2, v3, 0xffff, v2 bitop3:0xc8
	global_store_b32 v[0:1], v2, off
.LBB7_2062:
	s_mov_b32 s0, 0
.LBB7_2063:
	s_delay_alu instid0(SALU_CYCLE_1)
	s_and_not1_b32 vcc_lo, exec_lo, s0
	s_cbranch_vccnz .LBB7_2072
; %bb.2064:
	s_cmp_lt_i32 s2, 6
	s_mov_b32 s0, -1
	s_cbranch_scc1 .LBB7_2070
; %bb.2065:
	s_cmp_gt_i32 s2, 6
	s_cbranch_scc0 .LBB7_2067
; %bb.2066:
	s_mov_b32 s0, 0
	global_store_b64 v[0:1], v[8:9], off
.LBB7_2067:
	s_and_not1_b32 vcc_lo, exec_lo, s0
	s_cbranch_vccnz .LBB7_2069
; %bb.2068:
	s_wait_xcnt 0x0
	v_cvt_f32_f64_e32 v2, v[8:9]
	global_store_b32 v[0:1], v2, off
.LBB7_2069:
	s_mov_b32 s0, 0
.LBB7_2070:
	s_delay_alu instid0(SALU_CYCLE_1)
	s_and_not1_b32 vcc_lo, exec_lo, s0
	s_cbranch_vccnz .LBB7_2072
; %bb.2071:
	s_wait_xcnt 0x0
	v_and_or_b32 v2, 0x1ff, v9, v8
	v_lshrrev_b32_e32 v3, 8, v9
	v_bfe_u32 v4, v9, 20, 11
	s_delay_alu instid0(VALU_DEP_3) | instskip(NEXT) | instid1(VALU_DEP_2)
	v_cmp_ne_u32_e32 vcc_lo, 0, v2
	v_sub_nc_u32_e32 v5, 0x3f1, v4
	v_add_nc_u32_e32 v4, 0xfffffc10, v4
	v_cndmask_b32_e64 v2, 0, 1, vcc_lo
	s_delay_alu instid0(VALU_DEP_1) | instskip(NEXT) | instid1(VALU_DEP_4)
	v_and_or_b32 v2, 0xffe, v3, v2
	v_med3_i32 v3, v5, 0, 13
	s_delay_alu instid0(VALU_DEP_2) | instskip(NEXT) | instid1(VALU_DEP_1)
	v_or_b32_e32 v5, 0x1000, v2
	v_lshrrev_b32_e32 v6, v3, v5
	s_delay_alu instid0(VALU_DEP_1) | instskip(NEXT) | instid1(VALU_DEP_1)
	v_lshlrev_b32_e32 v3, v3, v6
	v_cmp_ne_u32_e32 vcc_lo, v3, v5
	v_lshl_or_b32 v5, v4, 12, v2
	v_cndmask_b32_e64 v3, 0, 1, vcc_lo
	v_cmp_gt_i32_e32 vcc_lo, 1, v4
	s_delay_alu instid0(VALU_DEP_2) | instskip(NEXT) | instid1(VALU_DEP_1)
	v_or_b32_e32 v3, v6, v3
	v_cndmask_b32_e32 v3, v5, v3, vcc_lo
	s_delay_alu instid0(VALU_DEP_1) | instskip(NEXT) | instid1(VALU_DEP_1)
	v_dual_lshrrev_b32 v3, 2, v3 :: v_dual_bitop2_b32 v5, 7, v3 bitop3:0x40
	v_cmp_lt_i32_e32 vcc_lo, 5, v5
	v_cndmask_b32_e64 v6, 0, 1, vcc_lo
	v_cmp_eq_u32_e32 vcc_lo, 3, v5
	v_cndmask_b32_e64 v5, 0, 1, vcc_lo
	v_cmp_ne_u32_e32 vcc_lo, 0, v2
	s_delay_alu instid0(VALU_DEP_2) | instskip(NEXT) | instid1(VALU_DEP_1)
	v_or_b32_e32 v5, v5, v6
	v_dual_mov_b32 v6, 0x7e00 :: v_dual_add_nc_u32 v3, v3, v5
	s_delay_alu instid0(VALU_DEP_1) | instskip(SKIP_1) | instid1(VALU_DEP_3)
	v_cndmask_b32_e32 v2, 0x7c00, v6, vcc_lo
	v_cmp_gt_i32_e32 vcc_lo, 31, v4
	v_cndmask_b32_e32 v3, 0x7c00, v3, vcc_lo
	v_cmp_eq_u32_e32 vcc_lo, 0x40f, v4
	s_delay_alu instid0(VALU_DEP_2) | instskip(NEXT) | instid1(VALU_DEP_1)
	v_dual_cndmask_b32 v2, v3, v2 :: v_dual_lshrrev_b32 v3, 16, v9
	v_and_or_b32 v2, 0x8000, v3, v2
	global_store_b16 v[0:1], v2, off
.LBB7_2072:
	s_mov_b32 s0, 0
.LBB7_2073:
	s_delay_alu instid0(SALU_CYCLE_1)
	s_and_not1_b32 vcc_lo, exec_lo, s0
	s_cbranch_vccnz .LBB7_2089
; %bb.2074:
	s_cmp_lt_i32 s2, 2
	s_mov_b32 s0, -1
	s_cbranch_scc1 .LBB7_2084
; %bb.2075:
	s_cmp_lt_i32 s2, 3
	s_cbranch_scc1 .LBB7_2081
; %bb.2076:
	s_cmp_gt_i32 s2, 3
	s_cbranch_scc0 .LBB7_2078
; %bb.2077:
	s_wait_xcnt 0x0
	v_trunc_f64_e32 v[2:3], v[8:9]
	s_mov_b32 s0, 0
	s_delay_alu instid0(VALU_DEP_1) | instskip(NEXT) | instid1(VALU_DEP_1)
	v_ldexp_f64 v[4:5], v[2:3], 0xffffffe0
	v_floor_f64_e32 v[4:5], v[4:5]
	s_delay_alu instid0(VALU_DEP_1) | instskip(SKIP_1) | instid1(VALU_DEP_2)
	v_fmamk_f64 v[2:3], v[4:5], 0xc1f00000, v[2:3]
	v_cvt_i32_f64_e32 v5, v[4:5]
	v_cvt_u32_f64_e32 v4, v[2:3]
	global_store_b64 v[0:1], v[4:5], off
.LBB7_2078:
	s_and_not1_b32 vcc_lo, exec_lo, s0
	s_cbranch_vccnz .LBB7_2080
; %bb.2079:
	s_wait_xcnt 0x0
	v_cvt_i32_f64_e32 v2, v[8:9]
	global_store_b32 v[0:1], v2, off
.LBB7_2080:
	s_mov_b32 s0, 0
.LBB7_2081:
	s_delay_alu instid0(SALU_CYCLE_1)
	s_and_not1_b32 vcc_lo, exec_lo, s0
	s_cbranch_vccnz .LBB7_2083
; %bb.2082:
	s_wait_xcnt 0x0
	v_cvt_i32_f64_e32 v2, v[8:9]
	global_store_b16 v[0:1], v2, off
.LBB7_2083:
	s_mov_b32 s0, 0
.LBB7_2084:
	s_delay_alu instid0(SALU_CYCLE_1)
	s_and_not1_b32 vcc_lo, exec_lo, s0
	s_cbranch_vccnz .LBB7_2089
; %bb.2085:
	s_cmp_gt_i32 s2, 0
	s_mov_b32 s0, -1
	s_cbranch_scc0 .LBB7_2087
; %bb.2086:
	s_wait_xcnt 0x0
	v_cvt_i32_f64_e32 v2, v[8:9]
	s_mov_b32 s0, 0
	global_store_b8 v[0:1], v2, off
.LBB7_2087:
	s_and_not1_b32 vcc_lo, exec_lo, s0
	s_cbranch_vccnz .LBB7_2089
; %bb.2088:
	s_wait_xcnt 0x0
	v_trunc_f64_e32 v[2:3], v[8:9]
	s_delay_alu instid0(VALU_DEP_1) | instskip(NEXT) | instid1(VALU_DEP_1)
	v_ldexp_f64 v[4:5], v[2:3], 0xffffffe0
	v_floor_f64_e32 v[4:5], v[4:5]
	s_delay_alu instid0(VALU_DEP_1) | instskip(NEXT) | instid1(VALU_DEP_1)
	v_fmamk_f64 v[2:3], v[4:5], 0xc1f00000, v[2:3]
	v_cvt_u32_f64_e32 v2, v[2:3]
	global_store_b8 v[0:1], v2, off
.LBB7_2089:
	s_mov_b32 s6, -1
.LBB7_2090:
	s_delay_alu instid0(SALU_CYCLE_1)
	s_and_not1_b32 vcc_lo, exec_lo, s6
	s_cbranch_vccnz .LBB7_2167
; %bb.2091:
	v_mov_b32_e32 v15, 0
	s_cmp_lt_i32 s2, 11
	s_wait_xcnt 0x0
	s_delay_alu instid0(VALU_DEP_1)
	v_add_nc_u64_e32 v[0:1], s[4:5], v[14:15]
	s_cbranch_scc1 .LBB7_2168
; %bb.2092:
	s_mov_b32 s4, -1
	s_mov_b32 s3, 0
	s_cmp_gt_i32 s2, 25
	s_mov_b32 s0, 0
	s_cbranch_scc0 .LBB7_2125
; %bb.2093:
	s_cmp_gt_i32 s2, 28
	s_cbranch_scc0 .LBB7_2109
; %bb.2094:
	s_cmp_gt_i32 s2, 43
	;; [unrolled: 3-line block ×3, first 2 shown]
	s_cbranch_scc0 .LBB7_2099
; %bb.2096:
	s_cmp_eq_u32 s2, 46
	s_mov_b32 s0, -1
	s_cbranch_scc0 .LBB7_2098
; %bb.2097:
	v_cvt_f32_f64_e32 v2, v[12:13]
	s_mov_b32 s0, 0
	s_delay_alu instid0(VALU_DEP_1) | instskip(SKIP_1) | instid1(VALU_DEP_2)
	v_bfe_u32 v3, v2, 16, 1
	v_cmp_o_f32_e32 vcc_lo, v2, v2
	v_add3_u32 v3, v2, v3, 0x7fff
	s_delay_alu instid0(VALU_DEP_1) | instskip(NEXT) | instid1(VALU_DEP_1)
	v_lshrrev_b32_e32 v3, 16, v3
	v_cndmask_b32_e32 v2, 0x7fc0, v3, vcc_lo
	global_store_b32 v[0:1], v2, off
.LBB7_2098:
	s_mov_b32 s4, 0
.LBB7_2099:
	s_delay_alu instid0(SALU_CYCLE_1)
	s_and_b32 vcc_lo, exec_lo, s4
	s_cbranch_vccz .LBB7_2104
; %bb.2100:
	s_cmp_eq_u32 s2, 44
	s_mov_b32 s0, -1
	s_cbranch_scc0 .LBB7_2104
; %bb.2101:
	s_wait_xcnt 0x0
	v_cvt_f32_f64_e32 v2, v[12:13]
	v_mov_b32_e32 v3, 0xff
	s_mov_b32 s4, exec_lo
	s_delay_alu instid0(VALU_DEP_2) | instskip(NEXT) | instid1(VALU_DEP_1)
	v_bfe_u32 v4, v2, 23, 8
	v_cmpx_ne_u32_e32 0xff, v4
	s_cbranch_execz .LBB7_2103
; %bb.2102:
	v_and_b32_e32 v3, 0x400000, v2
	v_and_or_b32 v4, 0x3fffff, v2, v4
	v_lshrrev_b32_e32 v2, 23, v2
	s_delay_alu instid0(VALU_DEP_3) | instskip(NEXT) | instid1(VALU_DEP_3)
	v_cmp_ne_u32_e32 vcc_lo, 0, v3
	v_cmp_ne_u32_e64 s0, 0, v4
	s_and_b32 s0, vcc_lo, s0
	s_delay_alu instid0(SALU_CYCLE_1) | instskip(NEXT) | instid1(VALU_DEP_1)
	v_cndmask_b32_e64 v3, 0, 1, s0
	v_add_nc_u32_e32 v3, v2, v3
.LBB7_2103:
	s_or_b32 exec_lo, exec_lo, s4
	s_mov_b32 s0, 0
	global_store_b8 v[0:1], v3, off
.LBB7_2104:
	s_mov_b32 s4, 0
.LBB7_2105:
	s_delay_alu instid0(SALU_CYCLE_1)
	s_and_b32 vcc_lo, exec_lo, s4
	s_cbranch_vccz .LBB7_2108
; %bb.2106:
	s_cmp_eq_u32 s2, 29
	s_mov_b32 s0, -1
	s_cbranch_scc0 .LBB7_2108
; %bb.2107:
	s_wait_xcnt 0x0
	v_trunc_f64_e32 v[2:3], v[12:13]
	s_mov_b32 s0, 0
	s_delay_alu instid0(VALU_DEP_1) | instskip(NEXT) | instid1(VALU_DEP_1)
	v_ldexp_f64 v[4:5], v[2:3], 0xffffffe0
	v_floor_f64_e32 v[4:5], v[4:5]
	s_delay_alu instid0(VALU_DEP_1) | instskip(SKIP_1) | instid1(VALU_DEP_2)
	v_fmamk_f64 v[2:3], v[4:5], 0xc1f00000, v[2:3]
	v_cvt_u32_f64_e32 v5, v[4:5]
	v_cvt_u32_f64_e32 v4, v[2:3]
	global_store_b64 v[0:1], v[4:5], off
.LBB7_2108:
	s_mov_b32 s4, 0
.LBB7_2109:
	s_delay_alu instid0(SALU_CYCLE_1)
	s_and_b32 vcc_lo, exec_lo, s4
	s_cbranch_vccz .LBB7_2124
; %bb.2110:
	s_cmp_lt_i32 s2, 27
	s_mov_b32 s4, -1
	s_cbranch_scc1 .LBB7_2116
; %bb.2111:
	s_cmp_gt_i32 s2, 27
	s_cbranch_scc0 .LBB7_2113
; %bb.2112:
	s_wait_xcnt 0x0
	v_cvt_u32_f64_e32 v2, v[12:13]
	s_mov_b32 s4, 0
	global_store_b32 v[0:1], v2, off
.LBB7_2113:
	s_and_not1_b32 vcc_lo, exec_lo, s4
	s_cbranch_vccnz .LBB7_2115
; %bb.2114:
	s_wait_xcnt 0x0
	v_cvt_u32_f64_e32 v2, v[12:13]
	global_store_b16 v[0:1], v2, off
.LBB7_2115:
	s_mov_b32 s4, 0
.LBB7_2116:
	s_delay_alu instid0(SALU_CYCLE_1)
	s_and_not1_b32 vcc_lo, exec_lo, s4
	s_cbranch_vccnz .LBB7_2124
; %bb.2117:
	s_wait_xcnt 0x0
	v_cvt_f32_f64_e32 v2, v[12:13]
	v_mov_b32_e32 v4, 0x80
	s_mov_b32 s4, exec_lo
	s_delay_alu instid0(VALU_DEP_2) | instskip(NEXT) | instid1(VALU_DEP_1)
	v_and_b32_e32 v3, 0x7fffffff, v2
	v_cmpx_gt_u32_e32 0x43800000, v3
	s_cbranch_execz .LBB7_2123
; %bb.2118:
	v_cmp_lt_u32_e32 vcc_lo, 0x3bffffff, v3
	s_mov_b32 s5, 0
                                        ; implicit-def: $vgpr3
	s_and_saveexec_b32 s6, vcc_lo
	s_delay_alu instid0(SALU_CYCLE_1)
	s_xor_b32 s6, exec_lo, s6
	s_cbranch_execz .LBB7_2185
; %bb.2119:
	v_bfe_u32 v3, v2, 20, 1
	s_mov_b32 s5, exec_lo
	s_delay_alu instid0(VALU_DEP_1) | instskip(NEXT) | instid1(VALU_DEP_1)
	v_add3_u32 v3, v2, v3, 0x487ffff
	v_lshrrev_b32_e32 v3, 20, v3
	s_and_not1_saveexec_b32 s6, s6
	s_cbranch_execnz .LBB7_2186
.LBB7_2120:
	s_or_b32 exec_lo, exec_lo, s6
	v_mov_b32_e32 v4, 0
	s_and_saveexec_b32 s6, s5
.LBB7_2121:
	v_lshrrev_b32_e32 v2, 24, v2
	s_delay_alu instid0(VALU_DEP_1)
	v_and_or_b32 v4, 0x80, v2, v3
.LBB7_2122:
	s_or_b32 exec_lo, exec_lo, s6
.LBB7_2123:
	s_delay_alu instid0(SALU_CYCLE_1)
	s_or_b32 exec_lo, exec_lo, s4
	global_store_b8 v[0:1], v4, off
.LBB7_2124:
	s_mov_b32 s4, 0
.LBB7_2125:
	s_delay_alu instid0(SALU_CYCLE_1)
	s_and_b32 vcc_lo, exec_lo, s4
	s_cbranch_vccz .LBB7_2165
; %bb.2126:
	s_cmp_gt_i32 s2, 22
	s_mov_b32 s3, -1
	s_cbranch_scc0 .LBB7_2158
; %bb.2127:
	s_cmp_lt_i32 s2, 24
	s_cbranch_scc1 .LBB7_2147
; %bb.2128:
	s_cmp_gt_i32 s2, 24
	s_cbranch_scc0 .LBB7_2136
; %bb.2129:
	s_wait_xcnt 0x0
	v_cvt_f32_f64_e32 v2, v[12:13]
	v_mov_b32_e32 v4, 0x80
	s_mov_b32 s3, exec_lo
	s_delay_alu instid0(VALU_DEP_2) | instskip(NEXT) | instid1(VALU_DEP_1)
	v_and_b32_e32 v3, 0x7fffffff, v2
	v_cmpx_gt_u32_e32 0x47800000, v3
	s_cbranch_execz .LBB7_2135
; %bb.2130:
	v_cmp_lt_u32_e32 vcc_lo, 0x37ffffff, v3
	s_mov_b32 s4, 0
                                        ; implicit-def: $vgpr3
	s_and_saveexec_b32 s5, vcc_lo
	s_delay_alu instid0(SALU_CYCLE_1)
	s_xor_b32 s5, exec_lo, s5
	s_cbranch_execz .LBB7_2188
; %bb.2131:
	v_bfe_u32 v3, v2, 21, 1
	s_mov_b32 s4, exec_lo
	s_delay_alu instid0(VALU_DEP_1) | instskip(NEXT) | instid1(VALU_DEP_1)
	v_add3_u32 v3, v2, v3, 0x88fffff
	v_lshrrev_b32_e32 v3, 21, v3
	s_and_not1_saveexec_b32 s5, s5
	s_cbranch_execnz .LBB7_2189
.LBB7_2132:
	s_or_b32 exec_lo, exec_lo, s5
	v_mov_b32_e32 v4, 0
	s_and_saveexec_b32 s5, s4
.LBB7_2133:
	v_lshrrev_b32_e32 v2, 24, v2
	s_delay_alu instid0(VALU_DEP_1)
	v_and_or_b32 v4, 0x80, v2, v3
.LBB7_2134:
	s_or_b32 exec_lo, exec_lo, s5
.LBB7_2135:
	s_delay_alu instid0(SALU_CYCLE_1)
	s_or_b32 exec_lo, exec_lo, s3
	s_mov_b32 s3, 0
	global_store_b8 v[0:1], v4, off
.LBB7_2136:
	s_and_b32 vcc_lo, exec_lo, s3
	s_cbranch_vccz .LBB7_2146
; %bb.2137:
	s_wait_xcnt 0x0
	v_cvt_f32_f64_e32 v2, v[12:13]
	s_mov_b32 s3, exec_lo
                                        ; implicit-def: $vgpr3
	s_delay_alu instid0(VALU_DEP_1) | instskip(NEXT) | instid1(VALU_DEP_1)
	v_and_b32_e32 v4, 0x7fffffff, v2
	v_cmpx_gt_u32_e32 0x43f00000, v4
	s_xor_b32 s3, exec_lo, s3
	s_cbranch_execz .LBB7_2143
; %bb.2138:
	s_mov_b32 s4, exec_lo
                                        ; implicit-def: $vgpr3
	v_cmpx_lt_u32_e32 0x3c7fffff, v4
	s_xor_b32 s4, exec_lo, s4
; %bb.2139:
	v_bfe_u32 v3, v2, 20, 1
	s_delay_alu instid0(VALU_DEP_1) | instskip(NEXT) | instid1(VALU_DEP_1)
	v_add3_u32 v3, v2, v3, 0x407ffff
	v_and_b32_e32 v4, 0xff00000, v3
	v_lshrrev_b32_e32 v3, 20, v3
	s_delay_alu instid0(VALU_DEP_2) | instskip(NEXT) | instid1(VALU_DEP_2)
	v_cmp_ne_u32_e32 vcc_lo, 0x7f00000, v4
	v_cndmask_b32_e32 v3, 0x7e, v3, vcc_lo
; %bb.2140:
	s_and_not1_saveexec_b32 s4, s4
; %bb.2141:
	v_add_f32_e64 v3, 0x46800000, |v2|
; %bb.2142:
	s_or_b32 exec_lo, exec_lo, s4
                                        ; implicit-def: $vgpr4
.LBB7_2143:
	s_and_not1_saveexec_b32 s3, s3
; %bb.2144:
	v_mov_b32_e32 v3, 0x7f
	v_cmp_lt_u32_e32 vcc_lo, 0x7f800000, v4
	s_delay_alu instid0(VALU_DEP_2)
	v_cndmask_b32_e32 v3, 0x7e, v3, vcc_lo
; %bb.2145:
	s_or_b32 exec_lo, exec_lo, s3
	v_lshrrev_b32_e32 v2, 24, v2
	s_delay_alu instid0(VALU_DEP_1)
	v_and_or_b32 v2, 0x80, v2, v3
	global_store_b8 v[0:1], v2, off
.LBB7_2146:
	s_mov_b32 s3, 0
.LBB7_2147:
	s_delay_alu instid0(SALU_CYCLE_1)
	s_and_not1_b32 vcc_lo, exec_lo, s3
	s_cbranch_vccnz .LBB7_2157
; %bb.2148:
	s_wait_xcnt 0x0
	v_cvt_f32_f64_e32 v2, v[12:13]
	s_mov_b32 s3, exec_lo
                                        ; implicit-def: $vgpr3
	s_delay_alu instid0(VALU_DEP_1) | instskip(NEXT) | instid1(VALU_DEP_1)
	v_and_b32_e32 v4, 0x7fffffff, v2
	v_cmpx_gt_u32_e32 0x47800000, v4
	s_xor_b32 s3, exec_lo, s3
	s_cbranch_execz .LBB7_2154
; %bb.2149:
	s_mov_b32 s4, exec_lo
                                        ; implicit-def: $vgpr3
	v_cmpx_lt_u32_e32 0x387fffff, v4
	s_xor_b32 s4, exec_lo, s4
; %bb.2150:
	v_bfe_u32 v3, v2, 21, 1
	s_delay_alu instid0(VALU_DEP_1) | instskip(NEXT) | instid1(VALU_DEP_1)
	v_add3_u32 v3, v2, v3, 0x80fffff
	v_lshrrev_b32_e32 v3, 21, v3
; %bb.2151:
	s_and_not1_saveexec_b32 s4, s4
; %bb.2152:
	v_add_f32_e64 v3, 0x43000000, |v2|
; %bb.2153:
	s_or_b32 exec_lo, exec_lo, s4
                                        ; implicit-def: $vgpr4
.LBB7_2154:
	s_and_not1_saveexec_b32 s3, s3
; %bb.2155:
	v_mov_b32_e32 v3, 0x7f
	v_cmp_lt_u32_e32 vcc_lo, 0x7f800000, v4
	s_delay_alu instid0(VALU_DEP_2)
	v_cndmask_b32_e32 v3, 0x7c, v3, vcc_lo
; %bb.2156:
	s_or_b32 exec_lo, exec_lo, s3
	v_lshrrev_b32_e32 v2, 24, v2
	s_delay_alu instid0(VALU_DEP_1)
	v_and_or_b32 v2, 0x80, v2, v3
	global_store_b8 v[0:1], v2, off
.LBB7_2157:
	s_mov_b32 s3, 0
.LBB7_2158:
	s_delay_alu instid0(SALU_CYCLE_1)
	s_and_not1_b32 vcc_lo, exec_lo, s3
	s_mov_b32 s3, 0
	s_cbranch_vccnz .LBB7_2165
; %bb.2159:
	s_cmp_gt_i32 s2, 14
	s_mov_b32 s3, -1
	s_cbranch_scc0 .LBB7_2163
; %bb.2160:
	s_cmp_eq_u32 s2, 15
	s_mov_b32 s0, -1
	s_cbranch_scc0 .LBB7_2162
; %bb.2161:
	s_wait_xcnt 0x0
	v_cvt_f32_f64_e32 v2, v[12:13]
	s_mov_b32 s0, 0
	s_delay_alu instid0(VALU_DEP_1) | instskip(SKIP_1) | instid1(VALU_DEP_2)
	v_bfe_u32 v3, v2, 16, 1
	v_cmp_o_f32_e32 vcc_lo, v2, v2
	v_add3_u32 v3, v2, v3, 0x7fff
	s_delay_alu instid0(VALU_DEP_1) | instskip(NEXT) | instid1(VALU_DEP_1)
	v_lshrrev_b32_e32 v3, 16, v3
	v_cndmask_b32_e32 v2, 0x7fc0, v3, vcc_lo
	global_store_b16 v[0:1], v2, off
.LBB7_2162:
	s_mov_b32 s3, 0
.LBB7_2163:
	s_delay_alu instid0(SALU_CYCLE_1)
	s_and_b32 vcc_lo, exec_lo, s3
	s_mov_b32 s3, 0
	s_cbranch_vccz .LBB7_2165
; %bb.2164:
	s_cmp_lg_u32 s2, 11
	s_mov_b32 s3, -1
	s_cselect_b32 s0, -1, 0
.LBB7_2165:
	s_delay_alu instid0(SALU_CYCLE_1)
	s_and_b32 vcc_lo, exec_lo, s0
	s_cbranch_vccnz .LBB7_2187
.LBB7_2166:
	s_mov_b32 s0, 0
	s_branch .LBB7_1768
.LBB7_2167:
	s_mov_b32 s0, 0
	s_mov_b32 s3, 0
                                        ; implicit-def: $vgpr0_vgpr1
                                        ; implicit-def: $sgpr1
	s_branch .LBB7_1768
.LBB7_2168:
	s_mov_b32 s3, 0
	s_mov_b32 s0, -1
	s_branch .LBB7_1768
.LBB7_2169:
	s_or_b32 s14, s14, exec_lo
	s_trap 2
	s_cbranch_execz .LBB7_1635
	s_branch .LBB7_1636
.LBB7_2170:
	s_and_not1_saveexec_b32 s8, s8
	s_cbranch_execz .LBB7_1717
.LBB7_2171:
	v_add_f32_e64 v3, 0x46000000, |v2|
	s_and_not1_b32 s7, s7, exec_lo
	s_delay_alu instid0(VALU_DEP_1) | instskip(NEXT) | instid1(VALU_DEP_1)
	v_and_b32_e32 v3, 0xff, v3
	v_cmp_ne_u32_e32 vcc_lo, 0, v3
	s_and_b32 s9, vcc_lo, exec_lo
	s_delay_alu instid0(SALU_CYCLE_1)
	s_or_b32 s7, s7, s9
	s_or_b32 exec_lo, exec_lo, s8
	v_mov_b32_e32 v7, 0
	s_and_saveexec_b32 s8, s7
	s_cbranch_execnz .LBB7_1718
	s_branch .LBB7_1719
.LBB7_2172:
	s_or_b32 s14, s14, exec_lo
	s_trap 2
	s_cbranch_execz .LBB7_1765
	s_branch .LBB7_1766
.LBB7_2173:
	s_and_not1_saveexec_b32 s7, s7
	s_cbranch_execz .LBB7_1730
.LBB7_2174:
	v_add_f32_e64 v3, 0x42800000, |v2|
	s_and_not1_b32 s6, s6, exec_lo
	s_delay_alu instid0(VALU_DEP_1) | instskip(NEXT) | instid1(VALU_DEP_1)
	v_and_b32_e32 v3, 0xff, v3
	v_cmp_ne_u32_e32 vcc_lo, 0, v3
	s_and_b32 s8, vcc_lo, exec_lo
	s_delay_alu instid0(SALU_CYCLE_1)
	s_or_b32 s6, s6, s8
	s_or_b32 exec_lo, exec_lo, s7
	v_mov_b32_e32 v7, 0
	s_and_saveexec_b32 s7, s6
	s_cbranch_execnz .LBB7_1731
	s_branch .LBB7_1732
.LBB7_2175:
	s_and_not1_saveexec_b32 s8, s8
	s_cbranch_execz .LBB7_1881
.LBB7_2176:
	v_add_f32_e64 v3, 0x46000000, |v2|
	s_and_not1_b32 s7, s7, exec_lo
	s_delay_alu instid0(VALU_DEP_1) | instskip(NEXT) | instid1(VALU_DEP_1)
	v_and_b32_e32 v3, 0xff, v3
	v_cmp_ne_u32_e32 vcc_lo, 0, v3
	s_and_b32 s9, vcc_lo, exec_lo
	s_delay_alu instid0(SALU_CYCLE_1)
	s_or_b32 s7, s7, s9
	s_or_b32 exec_lo, exec_lo, s8
	v_mov_b32_e32 v6, 0
	s_and_saveexec_b32 s8, s7
	s_cbranch_execnz .LBB7_1882
	s_branch .LBB7_1883
.LBB7_2177:
	s_or_b32 s14, s14, exec_lo
	s_trap 2
	s_cbranch_execz .LBB7_1929
	s_branch .LBB7_1930
.LBB7_2178:
	s_and_not1_saveexec_b32 s7, s7
	s_cbranch_execz .LBB7_1894
.LBB7_2179:
	v_add_f32_e64 v3, 0x42800000, |v2|
	s_and_not1_b32 s6, s6, exec_lo
	s_delay_alu instid0(VALU_DEP_1) | instskip(NEXT) | instid1(VALU_DEP_1)
	v_and_b32_e32 v3, 0xff, v3
	v_cmp_ne_u32_e32 vcc_lo, 0, v3
	s_and_b32 s8, vcc_lo, exec_lo
	s_delay_alu instid0(SALU_CYCLE_1)
	s_or_b32 s6, s6, s8
	s_or_b32 exec_lo, exec_lo, s7
	v_mov_b32_e32 v6, 0
	s_and_saveexec_b32 s7, s6
	s_cbranch_execnz .LBB7_1895
	s_branch .LBB7_1896
.LBB7_2180:
	s_and_not1_saveexec_b32 s8, s8
	s_cbranch_execz .LBB7_2000
.LBB7_2181:
	v_add_f32_e64 v3, 0x46000000, |v2|
	s_and_not1_b32 s7, s7, exec_lo
	s_delay_alu instid0(VALU_DEP_1) | instskip(NEXT) | instid1(VALU_DEP_1)
	v_and_b32_e32 v3, 0xff, v3
	v_cmp_ne_u32_e32 vcc_lo, 0, v3
	s_and_b32 s9, vcc_lo, exec_lo
	s_delay_alu instid0(SALU_CYCLE_1)
	s_or_b32 s7, s7, s9
	s_or_b32 exec_lo, exec_lo, s8
	v_mov_b32_e32 v4, 0
	s_and_saveexec_b32 s8, s7
	s_cbranch_execnz .LBB7_2001
	s_branch .LBB7_2002
.LBB7_2182:
	s_or_b32 s14, s14, exec_lo
	s_trap 2
	s_cbranch_execz .LBB7_2048
	s_branch .LBB7_2049
.LBB7_2183:
	s_and_not1_saveexec_b32 s7, s7
	s_cbranch_execz .LBB7_2013
.LBB7_2184:
	v_add_f32_e64 v3, 0x42800000, |v2|
	s_and_not1_b32 s6, s6, exec_lo
	s_delay_alu instid0(VALU_DEP_1) | instskip(NEXT) | instid1(VALU_DEP_1)
	v_and_b32_e32 v3, 0xff, v3
	v_cmp_ne_u32_e32 vcc_lo, 0, v3
	s_and_b32 s8, vcc_lo, exec_lo
	s_delay_alu instid0(SALU_CYCLE_1)
	s_or_b32 s6, s6, s8
	s_or_b32 exec_lo, exec_lo, s7
	v_mov_b32_e32 v4, 0
	s_and_saveexec_b32 s7, s6
	s_cbranch_execnz .LBB7_2014
	s_branch .LBB7_2015
.LBB7_2185:
	s_and_not1_saveexec_b32 s6, s6
	s_cbranch_execz .LBB7_2120
.LBB7_2186:
	v_add_f32_e64 v3, 0x46000000, |v2|
	s_and_not1_b32 s5, s5, exec_lo
	s_delay_alu instid0(VALU_DEP_1) | instskip(NEXT) | instid1(VALU_DEP_1)
	v_and_b32_e32 v3, 0xff, v3
	v_cmp_ne_u32_e32 vcc_lo, 0, v3
	s_and_b32 s7, vcc_lo, exec_lo
	s_delay_alu instid0(SALU_CYCLE_1)
	s_or_b32 s5, s5, s7
	s_or_b32 exec_lo, exec_lo, s6
	v_mov_b32_e32 v4, 0
	s_and_saveexec_b32 s6, s5
	s_cbranch_execnz .LBB7_2121
	s_branch .LBB7_2122
.LBB7_2187:
	s_mov_b32 s3, 0
	s_or_b32 s14, s14, exec_lo
	s_trap 2
	s_branch .LBB7_2166
.LBB7_2188:
	s_and_not1_saveexec_b32 s5, s5
	s_cbranch_execz .LBB7_2132
.LBB7_2189:
	v_add_f32_e64 v3, 0x42800000, |v2|
	s_and_not1_b32 s4, s4, exec_lo
	s_delay_alu instid0(VALU_DEP_1) | instskip(NEXT) | instid1(VALU_DEP_1)
	v_and_b32_e32 v3, 0xff, v3
	v_cmp_ne_u32_e32 vcc_lo, 0, v3
	s_and_b32 s6, vcc_lo, exec_lo
	s_delay_alu instid0(SALU_CYCLE_1)
	s_or_b32 s4, s4, s6
	s_or_b32 exec_lo, exec_lo, s5
	v_mov_b32_e32 v4, 0
	s_and_saveexec_b32 s5, s4
	s_cbranch_execnz .LBB7_2133
	s_branch .LBB7_2134
	.section	.rodata,"a",@progbits
	.p2align	6, 0x0
	.amdhsa_kernel _ZN2at6native32elementwise_kernel_manual_unrollILi128ELi4EZNS0_15gpu_kernel_implIZZZNS0_12_GLOBAL__N_115softplus_kernelERNS_18TensorIteratorBaseERKN3c106ScalarES9_ENKUlvE_clEvENKUlvE_clEvEUldE_EEvS5_RKT_EUlibE0_EEviT1_
		.amdhsa_group_segment_fixed_size 0
		.amdhsa_private_segment_fixed_size 0
		.amdhsa_kernarg_size 376
		.amdhsa_user_sgpr_count 2
		.amdhsa_user_sgpr_dispatch_ptr 0
		.amdhsa_user_sgpr_queue_ptr 0
		.amdhsa_user_sgpr_kernarg_segment_ptr 1
		.amdhsa_user_sgpr_dispatch_id 0
		.amdhsa_user_sgpr_kernarg_preload_length 0
		.amdhsa_user_sgpr_kernarg_preload_offset 0
		.amdhsa_user_sgpr_private_segment_size 0
		.amdhsa_wavefront_size32 1
		.amdhsa_uses_dynamic_stack 0
		.amdhsa_enable_private_segment 0
		.amdhsa_system_sgpr_workgroup_id_x 1
		.amdhsa_system_sgpr_workgroup_id_y 0
		.amdhsa_system_sgpr_workgroup_id_z 0
		.amdhsa_system_sgpr_workgroup_info 0
		.amdhsa_system_vgpr_workitem_id 0
		.amdhsa_next_free_vgpr 38
		.amdhsa_next_free_sgpr 72
		.amdhsa_named_barrier_count 0
		.amdhsa_reserve_vcc 1
		.amdhsa_float_round_mode_32 0
		.amdhsa_float_round_mode_16_64 0
		.amdhsa_float_denorm_mode_32 3
		.amdhsa_float_denorm_mode_16_64 3
		.amdhsa_fp16_overflow 0
		.amdhsa_memory_ordered 1
		.amdhsa_forward_progress 1
		.amdhsa_inst_pref_size 255
		.amdhsa_round_robin_scheduling 0
		.amdhsa_exception_fp_ieee_invalid_op 0
		.amdhsa_exception_fp_denorm_src 0
		.amdhsa_exception_fp_ieee_div_zero 0
		.amdhsa_exception_fp_ieee_overflow 0
		.amdhsa_exception_fp_ieee_underflow 0
		.amdhsa_exception_fp_ieee_inexact 0
		.amdhsa_exception_int_div_zero 0
	.end_amdhsa_kernel
	.section	.text._ZN2at6native32elementwise_kernel_manual_unrollILi128ELi4EZNS0_15gpu_kernel_implIZZZNS0_12_GLOBAL__N_115softplus_kernelERNS_18TensorIteratorBaseERKN3c106ScalarES9_ENKUlvE_clEvENKUlvE_clEvEUldE_EEvS5_RKT_EUlibE0_EEviT1_,"axG",@progbits,_ZN2at6native32elementwise_kernel_manual_unrollILi128ELi4EZNS0_15gpu_kernel_implIZZZNS0_12_GLOBAL__N_115softplus_kernelERNS_18TensorIteratorBaseERKN3c106ScalarES9_ENKUlvE_clEvENKUlvE_clEvEUldE_EEvS5_RKT_EUlibE0_EEviT1_,comdat
.Lfunc_end7:
	.size	_ZN2at6native32elementwise_kernel_manual_unrollILi128ELi4EZNS0_15gpu_kernel_implIZZZNS0_12_GLOBAL__N_115softplus_kernelERNS_18TensorIteratorBaseERKN3c106ScalarES9_ENKUlvE_clEvENKUlvE_clEvEUldE_EEvS5_RKT_EUlibE0_EEviT1_, .Lfunc_end7-_ZN2at6native32elementwise_kernel_manual_unrollILi128ELi4EZNS0_15gpu_kernel_implIZZZNS0_12_GLOBAL__N_115softplus_kernelERNS_18TensorIteratorBaseERKN3c106ScalarES9_ENKUlvE_clEvENKUlvE_clEvEUldE_EEvS5_RKT_EUlibE0_EEviT1_
                                        ; -- End function
	.set _ZN2at6native32elementwise_kernel_manual_unrollILi128ELi4EZNS0_15gpu_kernel_implIZZZNS0_12_GLOBAL__N_115softplus_kernelERNS_18TensorIteratorBaseERKN3c106ScalarES9_ENKUlvE_clEvENKUlvE_clEvEUldE_EEvS5_RKT_EUlibE0_EEviT1_.num_vgpr, 38
	.set _ZN2at6native32elementwise_kernel_manual_unrollILi128ELi4EZNS0_15gpu_kernel_implIZZZNS0_12_GLOBAL__N_115softplus_kernelERNS_18TensorIteratorBaseERKN3c106ScalarES9_ENKUlvE_clEvENKUlvE_clEvEUldE_EEvS5_RKT_EUlibE0_EEviT1_.num_agpr, 0
	.set _ZN2at6native32elementwise_kernel_manual_unrollILi128ELi4EZNS0_15gpu_kernel_implIZZZNS0_12_GLOBAL__N_115softplus_kernelERNS_18TensorIteratorBaseERKN3c106ScalarES9_ENKUlvE_clEvENKUlvE_clEvEUldE_EEvS5_RKT_EUlibE0_EEviT1_.numbered_sgpr, 72
	.set _ZN2at6native32elementwise_kernel_manual_unrollILi128ELi4EZNS0_15gpu_kernel_implIZZZNS0_12_GLOBAL__N_115softplus_kernelERNS_18TensorIteratorBaseERKN3c106ScalarES9_ENKUlvE_clEvENKUlvE_clEvEUldE_EEvS5_RKT_EUlibE0_EEviT1_.num_named_barrier, 0
	.set _ZN2at6native32elementwise_kernel_manual_unrollILi128ELi4EZNS0_15gpu_kernel_implIZZZNS0_12_GLOBAL__N_115softplus_kernelERNS_18TensorIteratorBaseERKN3c106ScalarES9_ENKUlvE_clEvENKUlvE_clEvEUldE_EEvS5_RKT_EUlibE0_EEviT1_.private_seg_size, 0
	.set _ZN2at6native32elementwise_kernel_manual_unrollILi128ELi4EZNS0_15gpu_kernel_implIZZZNS0_12_GLOBAL__N_115softplus_kernelERNS_18TensorIteratorBaseERKN3c106ScalarES9_ENKUlvE_clEvENKUlvE_clEvEUldE_EEvS5_RKT_EUlibE0_EEviT1_.uses_vcc, 1
	.set _ZN2at6native32elementwise_kernel_manual_unrollILi128ELi4EZNS0_15gpu_kernel_implIZZZNS0_12_GLOBAL__N_115softplus_kernelERNS_18TensorIteratorBaseERKN3c106ScalarES9_ENKUlvE_clEvENKUlvE_clEvEUldE_EEvS5_RKT_EUlibE0_EEviT1_.uses_flat_scratch, 0
	.set _ZN2at6native32elementwise_kernel_manual_unrollILi128ELi4EZNS0_15gpu_kernel_implIZZZNS0_12_GLOBAL__N_115softplus_kernelERNS_18TensorIteratorBaseERKN3c106ScalarES9_ENKUlvE_clEvENKUlvE_clEvEUldE_EEvS5_RKT_EUlibE0_EEviT1_.has_dyn_sized_stack, 0
	.set _ZN2at6native32elementwise_kernel_manual_unrollILi128ELi4EZNS0_15gpu_kernel_implIZZZNS0_12_GLOBAL__N_115softplus_kernelERNS_18TensorIteratorBaseERKN3c106ScalarES9_ENKUlvE_clEvENKUlvE_clEvEUldE_EEvS5_RKT_EUlibE0_EEviT1_.has_recursion, 0
	.set _ZN2at6native32elementwise_kernel_manual_unrollILi128ELi4EZNS0_15gpu_kernel_implIZZZNS0_12_GLOBAL__N_115softplus_kernelERNS_18TensorIteratorBaseERKN3c106ScalarES9_ENKUlvE_clEvENKUlvE_clEvEUldE_EEvS5_RKT_EUlibE0_EEviT1_.has_indirect_call, 0
	.section	.AMDGPU.csdata,"",@progbits
; Kernel info:
; codeLenInByte = 58792
; TotalNumSgprs: 74
; NumVgprs: 38
; ScratchSize: 0
; MemoryBound: 1
; FloatMode: 240
; IeeeMode: 1
; LDSByteSize: 0 bytes/workgroup (compile time only)
; SGPRBlocks: 0
; VGPRBlocks: 2
; NumSGPRsForWavesPerEU: 74
; NumVGPRsForWavesPerEU: 38
; NamedBarCnt: 0
; Occupancy: 16
; WaveLimiterHint : 1
; COMPUTE_PGM_RSRC2:SCRATCH_EN: 0
; COMPUTE_PGM_RSRC2:USER_SGPR: 2
; COMPUTE_PGM_RSRC2:TRAP_HANDLER: 0
; COMPUTE_PGM_RSRC2:TGID_X_EN: 1
; COMPUTE_PGM_RSRC2:TGID_Y_EN: 0
; COMPUTE_PGM_RSRC2:TGID_Z_EN: 0
; COMPUTE_PGM_RSRC2:TIDIG_COMP_CNT: 0
	.section	.text._ZN2at6native29vectorized_elementwise_kernelILi16EZZZNS0_12_GLOBAL__N_115softplus_kernelERNS_18TensorIteratorBaseERKN3c106ScalarES8_ENKUlvE_clEvENKUlvE0_clEvEUlfE_St5arrayIPcLm2EEEEviT0_T1_,"axG",@progbits,_ZN2at6native29vectorized_elementwise_kernelILi16EZZZNS0_12_GLOBAL__N_115softplus_kernelERNS_18TensorIteratorBaseERKN3c106ScalarES8_ENKUlvE_clEvENKUlvE0_clEvEUlfE_St5arrayIPcLm2EEEEviT0_T1_,comdat
	.globl	_ZN2at6native29vectorized_elementwise_kernelILi16EZZZNS0_12_GLOBAL__N_115softplus_kernelERNS_18TensorIteratorBaseERKN3c106ScalarES8_ENKUlvE_clEvENKUlvE0_clEvEUlfE_St5arrayIPcLm2EEEEviT0_T1_ ; -- Begin function _ZN2at6native29vectorized_elementwise_kernelILi16EZZZNS0_12_GLOBAL__N_115softplus_kernelERNS_18TensorIteratorBaseERKN3c106ScalarES8_ENKUlvE_clEvENKUlvE0_clEvEUlfE_St5arrayIPcLm2EEEEviT0_T1_
	.p2align	8
	.type	_ZN2at6native29vectorized_elementwise_kernelILi16EZZZNS0_12_GLOBAL__N_115softplus_kernelERNS_18TensorIteratorBaseERKN3c106ScalarES8_ENKUlvE_clEvENKUlvE0_clEvEUlfE_St5arrayIPcLm2EEEEviT0_T1_,@function
_ZN2at6native29vectorized_elementwise_kernelILi16EZZZNS0_12_GLOBAL__N_115softplus_kernelERNS_18TensorIteratorBaseERKN3c106ScalarES8_ENKUlvE_clEvENKUlvE0_clEvEUlfE_St5arrayIPcLm2EEEEviT0_T1_: ; @_ZN2at6native29vectorized_elementwise_kernelILi16EZZZNS0_12_GLOBAL__N_115softplus_kernelERNS_18TensorIteratorBaseERKN3c106ScalarES8_ENKUlvE_clEvENKUlvE0_clEvEUlfE_St5arrayIPcLm2EEEEviT0_T1_
; %bb.0:
	s_clause 0x1
	s_load_b96 s[8:10], s[0:1], 0x0
	s_load_b128 s[4:7], s[0:1], 0x10
	s_wait_xcnt 0x0
	s_bfe_u32 s0, ttmp6, 0x4000c
	s_and_b32 s1, ttmp6, 15
	s_add_co_i32 s0, s0, 1
	s_getreg_b32 s2, hwreg(HW_REG_IB_STS2, 6, 4)
	s_mul_i32 s0, ttmp9, s0
	s_delay_alu instid0(SALU_CYCLE_1) | instskip(SKIP_2) | instid1(SALU_CYCLE_1)
	s_add_co_i32 s1, s1, s0
	s_cmp_eq_u32 s2, 0
	s_cselect_b32 s0, ttmp9, s1
	s_lshl_b32 s2, s0, 10
	s_mov_b32 s0, -1
	s_wait_kmcnt 0x0
	s_sub_co_i32 s8, s8, s2
	s_delay_alu instid0(SALU_CYCLE_1)
	s_cmp_gt_i32 s8, 0x3ff
	s_cbranch_scc0 .LBB8_10
; %bb.1:
	s_ashr_i32 s3, s2, 31
	s_delay_alu instid0(SALU_CYCLE_1)
	s_lshl_b64 s[0:1], s[2:3], 2
	s_mov_b32 s3, exec_lo
	s_add_nc_u64 s[12:13], s[6:7], s[0:1]
	global_load_b128 v[2:5], v0, s[12:13] scale_offset
	s_wait_loadcnt 0x0
	v_mul_f32_e32 v1, s9, v2
	s_delay_alu instid0(VALU_DEP_1)
	v_cmpx_nlt_f32_e32 s10, v1
	s_cbranch_execz .LBB8_3
; %bb.2:
	v_mul_f32_e32 v2, 0x3fb8aa3b, v1
	v_cmp_ngt_f32_e32 vcc_lo, 0xc2ce8ed0, v1
	s_mov_b32 s11, 0x3e9b6dac
	s_delay_alu instid0(VALU_DEP_2) | instskip(SKIP_1) | instid1(VALU_DEP_1)
	v_rndne_f32_e32 v6, v2
	v_fma_f32 v7, 0x3fb8aa3b, v1, -v2
	v_dual_sub_f32 v2, v2, v6 :: v_dual_fmamk_f32 v7, v1, 0x32a5705f, v7
	v_cvt_i32_f32_e32 v6, v6
	s_delay_alu instid0(VALU_DEP_2) | instskip(NEXT) | instid1(VALU_DEP_1)
	v_add_f32_e32 v2, v2, v7
	v_exp_f32_e32 v2, v2
	v_nop
	s_delay_alu instid0(TRANS32_DEP_1) | instskip(NEXT) | instid1(VALU_DEP_1)
	v_ldexp_f32 v2, v2, v6
	v_cndmask_b32_e32 v2, 0, v2, vcc_lo
	v_cmp_nlt_f32_e32 vcc_lo, 0x42b17218, v1
	s_delay_alu instid0(VALU_DEP_2) | instskip(NEXT) | instid1(VALU_DEP_1)
	v_cndmask_b32_e32 v22, 0x7f800000, v2, vcc_lo
	v_add_f32_e32 v1, 1.0, v22
	s_delay_alu instid0(VALU_DEP_1) | instskip(NEXT) | instid1(VALU_DEP_1)
	v_cvt_f64_f32_e32 v[6:7], v1
	v_frexp_exp_i32_f64_e32 v2, v[6:7]
	v_frexp_mant_f32_e32 v6, v1
	s_delay_alu instid0(VALU_DEP_1) | instskip(SKIP_1) | instid1(VALU_DEP_1)
	v_cmp_gt_f32_e32 vcc_lo, 0x3f2aaaab, v6
	v_add_f32_e32 v6, -1.0, v1
	v_sub_f32_e32 v8, v6, v1
	s_delay_alu instid0(VALU_DEP_1) | instskip(SKIP_1) | instid1(VALU_DEP_1)
	v_add_f32_e32 v8, 1.0, v8
	v_subrev_co_ci_u32_e64 v2, null, 0, v2, vcc_lo
	v_sub_nc_u32_e32 v7, 0, v2
	v_sub_f32_e32 v6, v22, v6
	v_cmp_neq_f32_e32 vcc_lo, 0x7f800000, v22
	s_delay_alu instid0(VALU_DEP_3) | instskip(NEXT) | instid1(VALU_DEP_1)
	v_ldexp_f32 v1, v1, v7
	v_dual_add_f32 v6, v6, v8 :: v_dual_add_f32 v9, 1.0, v1
	s_delay_alu instid0(VALU_DEP_1) | instskip(NEXT) | instid1(VALU_DEP_2)
	v_ldexp_f32 v6, v6, v7
	v_add_f32_e32 v8, -1.0, v9
	s_delay_alu instid0(VALU_DEP_1) | instskip(NEXT) | instid1(VALU_DEP_1)
	v_dual_add_f32 v11, -1.0, v1 :: v_dual_sub_f32 v7, v1, v8
	v_add_f32_e32 v10, v6, v7
	s_delay_alu instid0(VALU_DEP_1) | instskip(NEXT) | instid1(VALU_DEP_1)
	v_dual_add_f32 v8, 1.0, v11 :: v_dual_add_f32 v12, v9, v10
	v_rcp_f32_e32 v13, v12
	s_delay_alu instid0(VALU_DEP_1) | instskip(NEXT) | instid1(VALU_DEP_1)
	v_sub_f32_e32 v1, v1, v8
	v_dual_add_f32 v1, v6, v1 :: v_dual_sub_f32 v6, v9, v12
	s_delay_alu instid0(VALU_DEP_1)
	v_add_f32_e32 v7, v11, v1
	s_delay_alu instid0(TRANS32_DEP_1) | instid1(VALU_DEP_1)
	v_mul_f32_e32 v14, v7, v13
	s_delay_alu instid0(VALU_DEP_1) | instskip(NEXT) | instid1(VALU_DEP_4)
	v_mul_f32_e32 v8, v12, v14
	v_dual_add_f32 v15, v10, v6 :: v_dual_sub_f32 v16, v11, v7
	s_delay_alu instid0(VALU_DEP_2) | instskip(NEXT) | instid1(VALU_DEP_1)
	v_fma_f32 v10, v14, v12, -v8
	v_dual_add_f32 v1, v1, v16 :: v_dual_fmac_f32 v10, v14, v15
	s_delay_alu instid0(VALU_DEP_1) | instskip(NEXT) | instid1(VALU_DEP_1)
	v_add_f32_e32 v6, v8, v10
	v_dual_sub_f32 v9, v7, v6 :: v_dual_mov_b32 v11, v6
	s_delay_alu instid0(VALU_DEP_1) | instskip(NEXT) | instid1(VALU_DEP_1)
	v_pk_add_f32 v[6:7], v[6:7], v[8:9] neg_lo:[0,1] neg_hi:[0,1]
	v_pk_add_f32 v[6:7], v[6:7], v[10:11] neg_lo:[0,1] neg_hi:[0,1]
	s_delay_alu instid0(VALU_DEP_1) | instskip(NEXT) | instid1(VALU_DEP_1)
	v_add_f32_e32 v1, v1, v7
	v_add_f32_e32 v1, v6, v1
	s_delay_alu instid0(VALU_DEP_1) | instskip(NEXT) | instid1(VALU_DEP_1)
	v_add_f32_e32 v7, v9, v1
	v_mul_f32_e32 v16, v13, v7
	s_delay_alu instid0(VALU_DEP_1) | instskip(NEXT) | instid1(VALU_DEP_1)
	v_mul_f32_e32 v10, v12, v16
	v_dual_fma_f32 v8, v16, v12, -v10 :: v_dual_sub_f32 v12, v9, v7
	s_delay_alu instid0(VALU_DEP_1) | instskip(NEXT) | instid1(VALU_DEP_1)
	v_fmac_f32_e32 v8, v16, v15
	v_add_f32_e32 v6, v10, v8
	s_delay_alu instid0(VALU_DEP_1) | instskip(NEXT) | instid1(VALU_DEP_1)
	v_dual_sub_f32 v11, v7, v6 :: v_dual_mov_b32 v9, v6
	v_pk_add_f32 v[6:7], v[6:7], v[10:11] neg_lo:[0,1] neg_hi:[0,1]
	v_add_f32_e32 v10, v14, v16
	v_add_f32_e32 v1, v1, v12
	s_delay_alu instid0(VALU_DEP_3) | instskip(SKIP_1) | instid1(VALU_DEP_2)
	v_pk_add_f32 v[6:7], v[6:7], v[8:9] neg_lo:[0,1] neg_hi:[0,1]
	v_cvt_f32_i32_e32 v8, v2
	v_add_f32_e32 v1, v1, v7
	s_delay_alu instid0(VALU_DEP_1) | instskip(NEXT) | instid1(VALU_DEP_1)
	v_add_f32_e32 v1, v6, v1
	v_dual_sub_f32 v6, v10, v14 :: v_dual_add_f32 v1, v11, v1
	s_delay_alu instid0(VALU_DEP_1) | instskip(NEXT) | instid1(VALU_DEP_1)
	v_dual_sub_f32 v6, v16, v6 :: v_dual_mul_f32 v1, v13, v1
	v_dual_add_f32 v1, v6, v1 :: v_dual_mov_b32 v6, 0x3f317218
	s_delay_alu instid0(VALU_DEP_1) | instskip(NEXT) | instid1(VALU_DEP_1)
	v_add_f32_e32 v11, v10, v1
	v_mul_f32_e32 v7, v11, v11
	s_delay_alu instid0(VALU_DEP_1) | instskip(NEXT) | instid1(VALU_DEP_1)
	v_dual_fmaak_f32 v12, s11, v7, 0x3ecc95a3 :: v_dual_mul_f32 v9, v11, v7
	v_fmaak_f32 v7, v7, v12, 0x3f2aaada
	s_delay_alu instid0(VALU_DEP_1) | instskip(NEXT) | instid1(VALU_DEP_1)
	v_pk_mul_f32 v[6:7], v[8:9], v[6:7]
	v_fma_f32 v2, 0x3f317218, v8, -v6
	v_mov_b32_e32 v12, v6
	s_delay_alu instid0(VALU_DEP_2) | instskip(SKIP_2) | instid1(VALU_DEP_2)
	v_fmamk_f32 v8, v8, 0xb102e308, v2
	v_ldexp_f32 v9, v11, 1
	v_sub_f32_e32 v2, v11, v10
	v_pk_add_f32 v[10:11], v[6:7], v[8:9]
	s_delay_alu instid0(VALU_DEP_1) | instskip(NEXT) | instid1(VALU_DEP_1)
	v_dual_sub_f32 v1, v1, v2 :: v_dual_sub_f32 v2, v11, v9
	v_ldexp_f32 v1, v1, 1
	s_delay_alu instid0(VALU_DEP_3) | instskip(NEXT) | instid1(VALU_DEP_3)
	v_dual_mov_b32 v9, v10 :: v_dual_mov_b32 v20, v11
	v_sub_f32_e32 v2, v7, v2
	v_pk_add_f32 v[6:7], v[10:11], v[6:7] neg_lo:[0,1] neg_hi:[0,1]
	s_delay_alu instid0(VALU_DEP_2) | instskip(NEXT) | instid1(VALU_DEP_1)
	v_add_f32_e32 v13, v1, v2
	v_pk_add_f32 v[14:15], v[10:11], v[12:13]
	s_delay_alu instid0(VALU_DEP_1) | instskip(NEXT) | instid1(VALU_DEP_1)
	v_mov_b32_e32 v7, v15
	v_pk_add_f32 v[16:17], v[8:9], v[6:7]
	v_mov_b32_e32 v16, v15
	v_pk_add_f32 v[6:7], v[8:9], v[6:7] neg_lo:[0,1] neg_hi:[0,1]
	s_delay_alu instid0(VALU_DEP_3) | instskip(NEXT) | instid1(VALU_DEP_1)
	v_dual_mov_b32 v2, v17 :: v_dual_mov_b32 v7, v17
	v_pk_add_f32 v[18:19], v[2:3], v[10:11] neg_lo:[0,1] neg_hi:[0,1]
	v_dual_mov_b32 v11, v10 :: v_dual_mov_b32 v10, v13
	s_delay_alu instid0(VALU_DEP_2) | instskip(NEXT) | instid1(VALU_DEP_1)
	v_dual_mov_b32 v1, v18 :: v_dual_mov_b32 v21, v18
	v_pk_add_f32 v[12:13], v[14:15], v[0:1] neg_lo:[0,1] neg_hi:[0,1]
	s_delay_alu instid0(VALU_DEP_2) | instskip(SKIP_1) | instid1(VALU_DEP_2)
	v_pk_add_f32 v[8:9], v[16:17], v[20:21] neg_lo:[0,1] neg_hi:[0,1]
	v_mov_b32_e32 v12, v6
	v_pk_add_f32 v[8:9], v[10:11], v[8:9] neg_lo:[0,1] neg_hi:[0,1]
	s_delay_alu instid0(VALU_DEP_1) | instskip(NEXT) | instid1(VALU_DEP_1)
	v_pk_add_f32 v[10:11], v[12:13], v[8:9]
	v_mov_b32_e32 v12, v11
	s_delay_alu instid0(VALU_DEP_1) | instskip(NEXT) | instid1(VALU_DEP_1)
	v_pk_add_f32 v[12:13], v[10:11], v[12:13]
	v_pk_add_f32 v[14:15], v[2:3], v[12:13]
	s_delay_alu instid0(VALU_DEP_1) | instskip(NEXT) | instid1(VALU_DEP_1)
	v_mov_b32_e32 v11, v14
	v_pk_add_f32 v[16:17], v[10:11], v[6:7] neg_lo:[0,1] neg_hi:[0,1]
	s_delay_alu instid0(VALU_DEP_1) | instskip(NEXT) | instid1(VALU_DEP_1)
	v_dual_mov_b32 v9, v12 :: v_dual_sub_f32 v1, v10, v16
	v_pk_add_f32 v[8:9], v[8:9], v[16:17] neg_lo:[0,1] neg_hi:[0,1]
	s_delay_alu instid0(VALU_DEP_2) | instskip(NEXT) | instid1(VALU_DEP_1)
	v_sub_f32_e32 v1, v6, v1
	v_add_f32_e32 v1, v8, v1
	s_delay_alu instid0(VALU_DEP_1) | instskip(NEXT) | instid1(VALU_DEP_1)
	v_add_f32_e32 v1, v1, v9
	v_add_f32_e32 v1, v14, v1
	s_delay_alu instid0(VALU_DEP_1) | instskip(SKIP_1) | instid1(VALU_DEP_2)
	v_cndmask_b32_e32 v1, 0x7f800000, v1, vcc_lo
	v_cmp_gt_f32_e64 vcc_lo, 0x33800000, |v22|
	v_cndmask_b32_e32 v1, v1, v22, vcc_lo
	s_delay_alu instid0(VALU_DEP_1) | instskip(NEXT) | instid1(VALU_DEP_1)
	v_div_scale_f32 v2, null, s9, s9, v1
	v_rcp_f32_e32 v6, v2
	v_nop
	s_delay_alu instid0(TRANS32_DEP_1) | instskip(NEXT) | instid1(VALU_DEP_1)
	v_fma_f32 v7, -v2, v6, 1.0
	v_fmac_f32_e32 v6, v7, v6
	v_div_scale_f32 v7, vcc_lo, v1, s9, v1
	s_delay_alu instid0(VALU_DEP_1) | instskip(NEXT) | instid1(VALU_DEP_1)
	v_mul_f32_e32 v8, v7, v6
	v_fma_f32 v9, -v2, v8, v7
	s_delay_alu instid0(VALU_DEP_1) | instskip(NEXT) | instid1(VALU_DEP_1)
	v_fmac_f32_e32 v8, v9, v6
	v_fma_f32 v2, -v2, v8, v7
	s_delay_alu instid0(VALU_DEP_1) | instskip(NEXT) | instid1(VALU_DEP_1)
	v_div_fmas_f32 v2, v2, v6, v8
	v_div_fixup_f32 v2, v2, s9, v1
.LBB8_3:
	s_or_b32 exec_lo, exec_lo, s3
	v_mul_f32_e32 v1, s9, v3
	s_mov_b32 s3, exec_lo
	s_delay_alu instid0(VALU_DEP_1)
	v_cmpx_nlt_f32_e32 s10, v1
	s_cbranch_execz .LBB8_5
; %bb.4:
	v_mul_f32_e32 v3, 0x3fb8aa3b, v1
	v_cmp_ngt_f32_e32 vcc_lo, 0xc2ce8ed0, v1
	s_mov_b32 s11, 0x3e9b6dac
	s_delay_alu instid0(VALU_DEP_2) | instskip(SKIP_1) | instid1(VALU_DEP_2)
	v_rndne_f32_e32 v6, v3
	v_fma_f32 v7, 0x3fb8aa3b, v1, -v3
	v_sub_f32_e32 v3, v3, v6
	s_delay_alu instid0(VALU_DEP_2) | instskip(SKIP_1) | instid1(VALU_DEP_2)
	v_fmamk_f32 v7, v1, 0x32a5705f, v7
	v_cvt_i32_f32_e32 v6, v6
	v_add_f32_e32 v3, v3, v7
	s_delay_alu instid0(VALU_DEP_1) | instskip(SKIP_1) | instid1(TRANS32_DEP_1)
	v_exp_f32_e32 v3, v3
	v_nop
	v_ldexp_f32 v3, v3, v6
	s_delay_alu instid0(VALU_DEP_1) | instskip(SKIP_1) | instid1(VALU_DEP_2)
	v_cndmask_b32_e32 v3, 0, v3, vcc_lo
	v_cmp_nlt_f32_e32 vcc_lo, 0x42b17218, v1
	v_cndmask_b32_e32 v3, 0x7f800000, v3, vcc_lo
	s_delay_alu instid0(VALU_DEP_1) | instskip(NEXT) | instid1(VALU_DEP_1)
	v_add_f32_e32 v1, 1.0, v3
	v_cvt_f64_f32_e32 v[6:7], v1
	s_delay_alu instid0(VALU_DEP_1) | instskip(SKIP_1) | instid1(VALU_DEP_1)
	v_frexp_exp_i32_f64_e32 v6, v[6:7]
	v_frexp_mant_f32_e32 v7, v1
	v_cmp_gt_f32_e32 vcc_lo, 0x3f2aaaab, v7
	s_delay_alu instid0(VALU_DEP_3) | instskip(NEXT) | instid1(VALU_DEP_1)
	v_subrev_co_ci_u32_e64 v12, null, 0, v6, vcc_lo
	v_dual_add_f32 v6, -1.0, v1 :: v_dual_sub_nc_u32 v7, 0, v12
	s_delay_alu instid0(VALU_DEP_1) | instskip(NEXT) | instid1(VALU_DEP_2)
	v_dual_sub_f32 v8, v6, v1 :: v_dual_sub_f32 v6, v3, v6
	v_ldexp_f32 v1, v1, v7
	s_delay_alu instid0(VALU_DEP_1) | instskip(NEXT) | instid1(VALU_DEP_1)
	v_dual_add_f32 v8, 1.0, v8 :: v_dual_add_f32 v9, 1.0, v1
	v_add_f32_e32 v6, v6, v8
	v_cmp_neq_f32_e32 vcc_lo, 0x7f800000, v3
	s_delay_alu instid0(VALU_DEP_2) | instskip(NEXT) | instid1(VALU_DEP_4)
	v_ldexp_f32 v6, v6, v7
	v_add_f32_e32 v8, -1.0, v9
	s_delay_alu instid0(VALU_DEP_1) | instskip(NEXT) | instid1(VALU_DEP_1)
	v_dual_add_f32 v11, -1.0, v1 :: v_dual_sub_f32 v7, v1, v8
	v_add_f32_e32 v10, v6, v7
	s_delay_alu instid0(VALU_DEP_1) | instskip(NEXT) | instid1(VALU_DEP_1)
	v_dual_add_f32 v8, 1.0, v11 :: v_dual_add_f32 v13, v9, v10
	v_rcp_f32_e32 v14, v13
	s_delay_alu instid0(VALU_DEP_1) | instskip(NEXT) | instid1(VALU_DEP_1)
	v_sub_f32_e32 v1, v1, v8
	v_add_f32_e32 v1, v6, v1
	v_sub_f32_e32 v6, v9, v13
	s_delay_alu instid0(VALU_DEP_1)
	v_dual_add_f32 v7, v11, v1 :: v_dual_add_f32 v16, v10, v6
	s_delay_alu instid0(TRANS32_DEP_1) | instid1(VALU_DEP_1)
	v_mul_f32_e32 v15, v7, v14
	v_sub_f32_e32 v17, v11, v7
	s_delay_alu instid0(VALU_DEP_2) | instskip(NEXT) | instid1(VALU_DEP_2)
	v_mul_f32_e32 v8, v13, v15
	v_add_f32_e32 v1, v1, v17
	s_delay_alu instid0(VALU_DEP_2) | instskip(NEXT) | instid1(VALU_DEP_1)
	v_fma_f32 v10, v15, v13, -v8
	v_fmac_f32_e32 v10, v15, v16
	s_delay_alu instid0(VALU_DEP_1) | instskip(NEXT) | instid1(VALU_DEP_1)
	v_add_f32_e32 v6, v8, v10
	v_dual_sub_f32 v9, v7, v6 :: v_dual_mov_b32 v11, v6
	s_delay_alu instid0(VALU_DEP_1) | instskip(NEXT) | instid1(VALU_DEP_1)
	v_pk_add_f32 v[6:7], v[6:7], v[8:9] neg_lo:[0,1] neg_hi:[0,1]
	v_pk_add_f32 v[6:7], v[6:7], v[10:11] neg_lo:[0,1] neg_hi:[0,1]
	s_delay_alu instid0(VALU_DEP_1) | instskip(NEXT) | instid1(VALU_DEP_1)
	v_add_f32_e32 v1, v1, v7
	v_add_f32_e32 v1, v6, v1
	s_delay_alu instid0(VALU_DEP_1) | instskip(NEXT) | instid1(VALU_DEP_1)
	v_add_f32_e32 v7, v9, v1
	v_mul_f32_e32 v17, v14, v7
	s_delay_alu instid0(VALU_DEP_1) | instskip(NEXT) | instid1(VALU_DEP_1)
	v_mul_f32_e32 v10, v13, v17
	v_fma_f32 v8, v17, v13, -v10
	s_delay_alu instid0(VALU_DEP_1) | instskip(NEXT) | instid1(VALU_DEP_1)
	v_fmac_f32_e32 v8, v17, v16
	v_dual_add_f32 v6, v10, v8 :: v_dual_sub_f32 v13, v9, v7
	s_delay_alu instid0(VALU_DEP_1) | instskip(NEXT) | instid1(VALU_DEP_1)
	v_dual_sub_f32 v11, v7, v6 :: v_dual_mov_b32 v9, v6
	v_pk_add_f32 v[6:7], v[6:7], v[10:11] neg_lo:[0,1] neg_hi:[0,1]
	v_add_f32_e32 v10, v15, v17
	s_delay_alu instid0(VALU_DEP_4) | instskip(NEXT) | instid1(VALU_DEP_3)
	v_add_f32_e32 v1, v1, v13
	v_pk_add_f32 v[6:7], v[6:7], v[8:9] neg_lo:[0,1] neg_hi:[0,1]
	v_cvt_f32_i32_e32 v8, v12
	s_delay_alu instid0(VALU_DEP_2) | instskip(NEXT) | instid1(VALU_DEP_1)
	v_add_f32_e32 v1, v1, v7
	v_add_f32_e32 v1, v6, v1
	v_sub_f32_e32 v6, v10, v15
	s_delay_alu instid0(VALU_DEP_1) | instskip(NEXT) | instid1(VALU_DEP_1)
	v_dual_sub_f32 v6, v17, v6 :: v_dual_add_f32 v1, v11, v1
	v_mul_f32_e32 v1, v14, v1
	s_delay_alu instid0(VALU_DEP_1) | instskip(NEXT) | instid1(VALU_DEP_1)
	v_dual_add_f32 v1, v6, v1 :: v_dual_mov_b32 v6, 0x3f317218
	v_add_f32_e32 v11, v10, v1
	s_delay_alu instid0(VALU_DEP_1) | instskip(NEXT) | instid1(VALU_DEP_1)
	v_mul_f32_e32 v7, v11, v11
	v_fmaak_f32 v13, s11, v7, 0x3ecc95a3
	v_mul_f32_e32 v9, v11, v7
	s_delay_alu instid0(VALU_DEP_2) | instskip(NEXT) | instid1(VALU_DEP_1)
	v_fmaak_f32 v7, v7, v13, 0x3f2aaada
	v_pk_mul_f32 v[6:7], v[8:9], v[6:7]
	s_delay_alu instid0(VALU_DEP_1) | instskip(NEXT) | instid1(VALU_DEP_1)
	v_fma_f32 v12, 0x3f317218, v8, -v6
	v_fmamk_f32 v8, v8, 0xb102e308, v12
	v_sub_f32_e32 v12, v11, v10
	s_delay_alu instid0(VALU_DEP_1) | instskip(SKIP_2) | instid1(VALU_DEP_3)
	v_sub_f32_e32 v1, v1, v12
	v_ldexp_f32 v9, v11, 1
	v_mov_b32_e32 v12, v6
	v_ldexp_f32 v1, v1, 1
	s_delay_alu instid0(VALU_DEP_3) | instskip(NEXT) | instid1(VALU_DEP_1)
	v_pk_add_f32 v[10:11], v[6:7], v[8:9]
	v_dual_sub_f32 v9, v11, v9 :: v_dual_mov_b32 v20, v11
	s_delay_alu instid0(VALU_DEP_1) | instskip(NEXT) | instid1(VALU_DEP_3)
	v_sub_f32_e32 v9, v7, v9
	v_pk_add_f32 v[6:7], v[10:11], v[6:7] neg_lo:[0,1] neg_hi:[0,1]
	s_delay_alu instid0(VALU_DEP_2) | instskip(NEXT) | instid1(VALU_DEP_1)
	v_dual_add_f32 v13, v1, v9 :: v_dual_mov_b32 v9, v10
	v_pk_add_f32 v[14:15], v[10:11], v[12:13]
	s_delay_alu instid0(VALU_DEP_1) | instskip(NEXT) | instid1(VALU_DEP_1)
	v_mov_b32_e32 v7, v15
	v_pk_add_f32 v[16:17], v[8:9], v[6:7]
	v_mov_b32_e32 v16, v15
	v_pk_add_f32 v[6:7], v[8:9], v[6:7] neg_lo:[0,1] neg_hi:[0,1]
	s_delay_alu instid0(VALU_DEP_3) | instskip(NEXT) | instid1(VALU_DEP_1)
	v_dual_mov_b32 v12, v17 :: v_dual_mov_b32 v7, v17
	v_pk_add_f32 v[18:19], v[12:13], v[10:11] neg_lo:[0,1] neg_hi:[0,1]
	v_dual_mov_b32 v11, v10 :: v_dual_mov_b32 v10, v13
	s_delay_alu instid0(VALU_DEP_2) | instskip(NEXT) | instid1(VALU_DEP_1)
	v_dual_mov_b32 v1, v18 :: v_dual_mov_b32 v21, v18
	v_pk_add_f32 v[14:15], v[14:15], v[0:1] neg_lo:[0,1] neg_hi:[0,1]
	s_delay_alu instid0(VALU_DEP_2) | instskip(SKIP_1) | instid1(VALU_DEP_2)
	v_pk_add_f32 v[8:9], v[16:17], v[20:21] neg_lo:[0,1] neg_hi:[0,1]
	v_mov_b32_e32 v14, v6
	v_pk_add_f32 v[8:9], v[10:11], v[8:9] neg_lo:[0,1] neg_hi:[0,1]
	s_delay_alu instid0(VALU_DEP_1) | instskip(NEXT) | instid1(VALU_DEP_1)
	v_pk_add_f32 v[10:11], v[14:15], v[8:9]
	v_mov_b32_e32 v14, v11
	s_delay_alu instid0(VALU_DEP_1) | instskip(NEXT) | instid1(VALU_DEP_1)
	v_pk_add_f32 v[14:15], v[10:11], v[14:15]
	v_pk_add_f32 v[12:13], v[12:13], v[14:15]
	s_delay_alu instid0(VALU_DEP_1) | instskip(NEXT) | instid1(VALU_DEP_1)
	v_mov_b32_e32 v11, v12
	v_pk_add_f32 v[16:17], v[10:11], v[6:7] neg_lo:[0,1] neg_hi:[0,1]
	s_delay_alu instid0(VALU_DEP_1) | instskip(NEXT) | instid1(VALU_DEP_1)
	v_sub_f32_e32 v1, v10, v16
	v_sub_f32_e32 v1, v6, v1
	v_mov_b32_e32 v9, v14
	s_delay_alu instid0(VALU_DEP_1) | instskip(NEXT) | instid1(VALU_DEP_1)
	v_pk_add_f32 v[8:9], v[8:9], v[16:17] neg_lo:[0,1] neg_hi:[0,1]
	v_add_f32_e32 v1, v8, v1
	s_delay_alu instid0(VALU_DEP_1) | instskip(NEXT) | instid1(VALU_DEP_1)
	v_add_f32_e32 v1, v1, v9
	v_add_f32_e32 v1, v12, v1
	s_delay_alu instid0(VALU_DEP_1) | instskip(SKIP_1) | instid1(VALU_DEP_2)
	v_cndmask_b32_e32 v1, 0x7f800000, v1, vcc_lo
	v_cmp_gt_f32_e64 vcc_lo, 0x33800000, |v3|
	v_cndmask_b32_e32 v1, v1, v3, vcc_lo
	s_delay_alu instid0(VALU_DEP_1) | instskip(NEXT) | instid1(VALU_DEP_1)
	v_div_scale_f32 v3, null, s9, s9, v1
	v_rcp_f32_e32 v6, v3
	v_nop
	s_delay_alu instid0(TRANS32_DEP_1) | instskip(NEXT) | instid1(VALU_DEP_1)
	v_fma_f32 v7, -v3, v6, 1.0
	v_fmac_f32_e32 v6, v7, v6
	v_div_scale_f32 v7, vcc_lo, v1, s9, v1
	s_delay_alu instid0(VALU_DEP_1) | instskip(NEXT) | instid1(VALU_DEP_1)
	v_mul_f32_e32 v8, v7, v6
	v_fma_f32 v9, -v3, v8, v7
	s_delay_alu instid0(VALU_DEP_1) | instskip(NEXT) | instid1(VALU_DEP_1)
	v_fmac_f32_e32 v8, v9, v6
	v_fma_f32 v3, -v3, v8, v7
	s_delay_alu instid0(VALU_DEP_1) | instskip(NEXT) | instid1(VALU_DEP_1)
	v_div_fmas_f32 v3, v3, v6, v8
	v_div_fixup_f32 v3, v3, s9, v1
.LBB8_5:
	s_or_b32 exec_lo, exec_lo, s3
	v_mul_f32_e32 v1, s9, v4
	s_mov_b32 s3, exec_lo
	s_delay_alu instid0(VALU_DEP_1)
	v_cmpx_nlt_f32_e32 s10, v1
	s_cbranch_execz .LBB8_7
; %bb.6:
	v_mul_f32_e32 v4, 0x3fb8aa3b, v1
	v_cmp_ngt_f32_e32 vcc_lo, 0xc2ce8ed0, v1
	s_mov_b32 s11, 0x3e9b6dac
	s_delay_alu instid0(VALU_DEP_2) | instskip(SKIP_1) | instid1(VALU_DEP_1)
	v_rndne_f32_e32 v6, v4
	v_fma_f32 v7, 0x3fb8aa3b, v1, -v4
	v_dual_sub_f32 v4, v4, v6 :: v_dual_fmamk_f32 v7, v1, 0x32a5705f, v7
	v_cvt_i32_f32_e32 v6, v6
	s_delay_alu instid0(VALU_DEP_2) | instskip(NEXT) | instid1(VALU_DEP_1)
	v_add_f32_e32 v4, v4, v7
	v_exp_f32_e32 v4, v4
	v_nop
	s_delay_alu instid0(TRANS32_DEP_1) | instskip(NEXT) | instid1(VALU_DEP_1)
	v_ldexp_f32 v4, v4, v6
	v_cndmask_b32_e32 v4, 0, v4, vcc_lo
	v_cmp_nlt_f32_e32 vcc_lo, 0x42b17218, v1
	s_delay_alu instid0(VALU_DEP_2) | instskip(NEXT) | instid1(VALU_DEP_1)
	v_cndmask_b32_e32 v22, 0x7f800000, v4, vcc_lo
	v_add_f32_e32 v1, 1.0, v22
	s_delay_alu instid0(VALU_DEP_1) | instskip(NEXT) | instid1(VALU_DEP_1)
	v_cvt_f64_f32_e32 v[6:7], v1
	v_frexp_exp_i32_f64_e32 v4, v[6:7]
	v_frexp_mant_f32_e32 v6, v1
	s_delay_alu instid0(VALU_DEP_1) | instskip(SKIP_1) | instid1(VALU_DEP_1)
	v_cmp_gt_f32_e32 vcc_lo, 0x3f2aaaab, v6
	v_add_f32_e32 v6, -1.0, v1
	v_sub_f32_e32 v8, v6, v1
	s_delay_alu instid0(VALU_DEP_1) | instskip(SKIP_1) | instid1(VALU_DEP_1)
	v_add_f32_e32 v8, 1.0, v8
	v_subrev_co_ci_u32_e64 v4, null, 0, v4, vcc_lo
	v_dual_sub_f32 v6, v22, v6 :: v_dual_sub_nc_u32 v7, 0, v4
	v_cmp_neq_f32_e32 vcc_lo, 0x7f800000, v22
	s_delay_alu instid0(VALU_DEP_2) | instskip(NEXT) | instid1(VALU_DEP_1)
	v_ldexp_f32 v1, v1, v7
	v_dual_add_f32 v6, v6, v8 :: v_dual_add_f32 v9, 1.0, v1
	s_delay_alu instid0(VALU_DEP_1) | instskip(NEXT) | instid1(VALU_DEP_2)
	v_ldexp_f32 v6, v6, v7
	v_add_f32_e32 v8, -1.0, v9
	s_delay_alu instid0(VALU_DEP_1) | instskip(NEXT) | instid1(VALU_DEP_1)
	v_dual_add_f32 v11, -1.0, v1 :: v_dual_sub_f32 v7, v1, v8
	v_add_f32_e32 v10, v6, v7
	s_delay_alu instid0(VALU_DEP_1) | instskip(NEXT) | instid1(VALU_DEP_1)
	v_dual_add_f32 v8, 1.0, v11 :: v_dual_add_f32 v12, v9, v10
	v_rcp_f32_e32 v13, v12
	s_delay_alu instid0(VALU_DEP_1) | instskip(NEXT) | instid1(VALU_DEP_1)
	v_sub_f32_e32 v1, v1, v8
	v_dual_add_f32 v1, v6, v1 :: v_dual_sub_f32 v6, v9, v12
	s_delay_alu instid0(VALU_DEP_1)
	v_add_f32_e32 v7, v11, v1
	s_delay_alu instid0(TRANS32_DEP_1) | instid1(VALU_DEP_1)
	v_mul_f32_e32 v14, v7, v13
	s_delay_alu instid0(VALU_DEP_1) | instskip(NEXT) | instid1(VALU_DEP_4)
	v_mul_f32_e32 v8, v12, v14
	v_dual_add_f32 v15, v10, v6 :: v_dual_sub_f32 v16, v11, v7
	s_delay_alu instid0(VALU_DEP_2) | instskip(NEXT) | instid1(VALU_DEP_1)
	v_fma_f32 v10, v14, v12, -v8
	v_dual_add_f32 v1, v1, v16 :: v_dual_fmac_f32 v10, v14, v15
	s_delay_alu instid0(VALU_DEP_1) | instskip(NEXT) | instid1(VALU_DEP_1)
	v_add_f32_e32 v6, v8, v10
	v_dual_sub_f32 v9, v7, v6 :: v_dual_mov_b32 v11, v6
	s_delay_alu instid0(VALU_DEP_1) | instskip(NEXT) | instid1(VALU_DEP_1)
	v_pk_add_f32 v[6:7], v[6:7], v[8:9] neg_lo:[0,1] neg_hi:[0,1]
	v_pk_add_f32 v[6:7], v[6:7], v[10:11] neg_lo:[0,1] neg_hi:[0,1]
	s_delay_alu instid0(VALU_DEP_1) | instskip(NEXT) | instid1(VALU_DEP_1)
	v_add_f32_e32 v1, v1, v7
	v_add_f32_e32 v1, v6, v1
	s_delay_alu instid0(VALU_DEP_1) | instskip(NEXT) | instid1(VALU_DEP_1)
	v_add_f32_e32 v7, v9, v1
	v_mul_f32_e32 v16, v13, v7
	s_delay_alu instid0(VALU_DEP_1) | instskip(NEXT) | instid1(VALU_DEP_1)
	v_mul_f32_e32 v10, v12, v16
	v_dual_fma_f32 v8, v16, v12, -v10 :: v_dual_sub_f32 v12, v9, v7
	s_delay_alu instid0(VALU_DEP_1) | instskip(NEXT) | instid1(VALU_DEP_1)
	v_fmac_f32_e32 v8, v16, v15
	v_add_f32_e32 v6, v10, v8
	s_delay_alu instid0(VALU_DEP_1) | instskip(NEXT) | instid1(VALU_DEP_1)
	v_dual_sub_f32 v11, v7, v6 :: v_dual_mov_b32 v9, v6
	v_pk_add_f32 v[6:7], v[6:7], v[10:11] neg_lo:[0,1] neg_hi:[0,1]
	v_add_f32_e32 v10, v14, v16
	v_add_f32_e32 v1, v1, v12
	s_delay_alu instid0(VALU_DEP_3) | instskip(SKIP_1) | instid1(VALU_DEP_2)
	v_pk_add_f32 v[6:7], v[6:7], v[8:9] neg_lo:[0,1] neg_hi:[0,1]
	v_cvt_f32_i32_e32 v8, v4
	v_add_f32_e32 v1, v1, v7
	s_delay_alu instid0(VALU_DEP_1) | instskip(NEXT) | instid1(VALU_DEP_1)
	v_add_f32_e32 v1, v6, v1
	v_dual_sub_f32 v6, v10, v14 :: v_dual_add_f32 v1, v11, v1
	s_delay_alu instid0(VALU_DEP_1) | instskip(NEXT) | instid1(VALU_DEP_1)
	v_dual_sub_f32 v6, v16, v6 :: v_dual_mul_f32 v1, v13, v1
	v_dual_add_f32 v1, v6, v1 :: v_dual_mov_b32 v6, 0x3f317218
	s_delay_alu instid0(VALU_DEP_1) | instskip(NEXT) | instid1(VALU_DEP_1)
	v_add_f32_e32 v11, v10, v1
	v_mul_f32_e32 v7, v11, v11
	s_delay_alu instid0(VALU_DEP_1) | instskip(NEXT) | instid1(VALU_DEP_1)
	v_dual_fmaak_f32 v12, s11, v7, 0x3ecc95a3 :: v_dual_mul_f32 v9, v11, v7
	v_fmaak_f32 v7, v7, v12, 0x3f2aaada
	s_delay_alu instid0(VALU_DEP_1) | instskip(NEXT) | instid1(VALU_DEP_1)
	v_pk_mul_f32 v[6:7], v[8:9], v[6:7]
	v_fma_f32 v4, 0x3f317218, v8, -v6
	v_mov_b32_e32 v12, v6
	s_delay_alu instid0(VALU_DEP_2) | instskip(SKIP_2) | instid1(VALU_DEP_2)
	v_fmamk_f32 v8, v8, 0xb102e308, v4
	v_ldexp_f32 v9, v11, 1
	v_sub_f32_e32 v4, v11, v10
	v_pk_add_f32 v[10:11], v[6:7], v[8:9]
	s_delay_alu instid0(VALU_DEP_1) | instskip(NEXT) | instid1(VALU_DEP_1)
	v_dual_sub_f32 v1, v1, v4 :: v_dual_sub_f32 v4, v11, v9
	v_ldexp_f32 v1, v1, 1
	s_delay_alu instid0(VALU_DEP_3) | instskip(NEXT) | instid1(VALU_DEP_3)
	v_dual_mov_b32 v9, v10 :: v_dual_mov_b32 v20, v11
	v_sub_f32_e32 v4, v7, v4
	v_pk_add_f32 v[6:7], v[10:11], v[6:7] neg_lo:[0,1] neg_hi:[0,1]
	s_delay_alu instid0(VALU_DEP_2) | instskip(NEXT) | instid1(VALU_DEP_1)
	v_add_f32_e32 v13, v1, v4
	v_pk_add_f32 v[14:15], v[10:11], v[12:13]
	s_delay_alu instid0(VALU_DEP_1) | instskip(NEXT) | instid1(VALU_DEP_1)
	v_mov_b32_e32 v7, v15
	v_pk_add_f32 v[16:17], v[8:9], v[6:7]
	v_mov_b32_e32 v16, v15
	v_pk_add_f32 v[6:7], v[8:9], v[6:7] neg_lo:[0,1] neg_hi:[0,1]
	s_delay_alu instid0(VALU_DEP_3) | instskip(NEXT) | instid1(VALU_DEP_1)
	v_dual_mov_b32 v4, v17 :: v_dual_mov_b32 v7, v17
	v_pk_add_f32 v[18:19], v[4:5], v[10:11] neg_lo:[0,1] neg_hi:[0,1]
	v_dual_mov_b32 v11, v10 :: v_dual_mov_b32 v10, v13
	s_delay_alu instid0(VALU_DEP_2) | instskip(NEXT) | instid1(VALU_DEP_1)
	v_dual_mov_b32 v1, v18 :: v_dual_mov_b32 v21, v18
	v_pk_add_f32 v[12:13], v[14:15], v[0:1] neg_lo:[0,1] neg_hi:[0,1]
	s_delay_alu instid0(VALU_DEP_2) | instskip(SKIP_1) | instid1(VALU_DEP_2)
	v_pk_add_f32 v[8:9], v[16:17], v[20:21] neg_lo:[0,1] neg_hi:[0,1]
	v_mov_b32_e32 v12, v6
	v_pk_add_f32 v[8:9], v[10:11], v[8:9] neg_lo:[0,1] neg_hi:[0,1]
	s_delay_alu instid0(VALU_DEP_1) | instskip(NEXT) | instid1(VALU_DEP_1)
	v_pk_add_f32 v[10:11], v[12:13], v[8:9]
	v_mov_b32_e32 v12, v11
	s_delay_alu instid0(VALU_DEP_1) | instskip(NEXT) | instid1(VALU_DEP_1)
	v_pk_add_f32 v[12:13], v[10:11], v[12:13]
	v_pk_add_f32 v[14:15], v[4:5], v[12:13]
	s_delay_alu instid0(VALU_DEP_1) | instskip(NEXT) | instid1(VALU_DEP_1)
	v_mov_b32_e32 v11, v14
	v_pk_add_f32 v[16:17], v[10:11], v[6:7] neg_lo:[0,1] neg_hi:[0,1]
	s_delay_alu instid0(VALU_DEP_1) | instskip(NEXT) | instid1(VALU_DEP_1)
	v_dual_mov_b32 v9, v12 :: v_dual_sub_f32 v1, v10, v16
	v_pk_add_f32 v[8:9], v[8:9], v[16:17] neg_lo:[0,1] neg_hi:[0,1]
	s_delay_alu instid0(VALU_DEP_2) | instskip(NEXT) | instid1(VALU_DEP_1)
	v_sub_f32_e32 v1, v6, v1
	v_add_f32_e32 v1, v8, v1
	s_delay_alu instid0(VALU_DEP_1) | instskip(NEXT) | instid1(VALU_DEP_1)
	v_add_f32_e32 v1, v1, v9
	v_add_f32_e32 v1, v14, v1
	s_delay_alu instid0(VALU_DEP_1) | instskip(SKIP_1) | instid1(VALU_DEP_2)
	v_cndmask_b32_e32 v1, 0x7f800000, v1, vcc_lo
	v_cmp_gt_f32_e64 vcc_lo, 0x33800000, |v22|
	v_cndmask_b32_e32 v1, v1, v22, vcc_lo
	s_delay_alu instid0(VALU_DEP_1) | instskip(NEXT) | instid1(VALU_DEP_1)
	v_div_scale_f32 v4, null, s9, s9, v1
	v_rcp_f32_e32 v6, v4
	v_nop
	s_delay_alu instid0(TRANS32_DEP_1) | instskip(NEXT) | instid1(VALU_DEP_1)
	v_fma_f32 v7, -v4, v6, 1.0
	v_fmac_f32_e32 v6, v7, v6
	v_div_scale_f32 v7, vcc_lo, v1, s9, v1
	s_delay_alu instid0(VALU_DEP_1) | instskip(NEXT) | instid1(VALU_DEP_1)
	v_mul_f32_e32 v8, v7, v6
	v_fma_f32 v9, -v4, v8, v7
	s_delay_alu instid0(VALU_DEP_1) | instskip(NEXT) | instid1(VALU_DEP_1)
	v_fmac_f32_e32 v8, v9, v6
	v_fma_f32 v4, -v4, v8, v7
	s_delay_alu instid0(VALU_DEP_1) | instskip(NEXT) | instid1(VALU_DEP_1)
	v_div_fmas_f32 v4, v4, v6, v8
	v_div_fixup_f32 v4, v4, s9, v1
.LBB8_7:
	s_or_b32 exec_lo, exec_lo, s3
	v_mul_f32_e32 v1, s9, v5
	s_mov_b32 s3, exec_lo
	s_delay_alu instid0(VALU_DEP_1)
	v_cmpx_nlt_f32_e32 s10, v1
	s_cbranch_execz .LBB8_9
; %bb.8:
	v_mul_f32_e32 v5, 0x3fb8aa3b, v1
	v_cmp_ngt_f32_e32 vcc_lo, 0xc2ce8ed0, v1
	s_mov_b32 s11, 0x3e9b6dac
	s_delay_alu instid0(VALU_DEP_2) | instskip(SKIP_1) | instid1(VALU_DEP_2)
	v_rndne_f32_e32 v6, v5
	v_fma_f32 v7, 0x3fb8aa3b, v1, -v5
	v_sub_f32_e32 v5, v5, v6
	s_delay_alu instid0(VALU_DEP_2) | instskip(SKIP_1) | instid1(VALU_DEP_2)
	v_fmamk_f32 v7, v1, 0x32a5705f, v7
	v_cvt_i32_f32_e32 v6, v6
	v_add_f32_e32 v5, v5, v7
	s_delay_alu instid0(VALU_DEP_1) | instskip(SKIP_1) | instid1(TRANS32_DEP_1)
	v_exp_f32_e32 v5, v5
	v_nop
	v_ldexp_f32 v5, v5, v6
	s_delay_alu instid0(VALU_DEP_1) | instskip(SKIP_1) | instid1(VALU_DEP_2)
	v_cndmask_b32_e32 v5, 0, v5, vcc_lo
	v_cmp_nlt_f32_e32 vcc_lo, 0x42b17218, v1
	v_cndmask_b32_e32 v5, 0x7f800000, v5, vcc_lo
	s_delay_alu instid0(VALU_DEP_1) | instskip(NEXT) | instid1(VALU_DEP_1)
	v_add_f32_e32 v1, 1.0, v5
	v_cvt_f64_f32_e32 v[6:7], v1
	s_delay_alu instid0(VALU_DEP_1) | instskip(SKIP_1) | instid1(VALU_DEP_1)
	v_frexp_exp_i32_f64_e32 v6, v[6:7]
	v_frexp_mant_f32_e32 v7, v1
	v_cmp_gt_f32_e32 vcc_lo, 0x3f2aaaab, v7
	s_delay_alu instid0(VALU_DEP_3) | instskip(NEXT) | instid1(VALU_DEP_1)
	v_subrev_co_ci_u32_e64 v12, null, 0, v6, vcc_lo
	v_dual_add_f32 v6, -1.0, v1 :: v_dual_sub_nc_u32 v7, 0, v12
	s_delay_alu instid0(VALU_DEP_1) | instskip(NEXT) | instid1(VALU_DEP_2)
	v_dual_sub_f32 v8, v6, v1 :: v_dual_sub_f32 v6, v5, v6
	v_ldexp_f32 v1, v1, v7
	s_delay_alu instid0(VALU_DEP_1) | instskip(NEXT) | instid1(VALU_DEP_1)
	v_dual_add_f32 v8, 1.0, v8 :: v_dual_add_f32 v9, 1.0, v1
	v_dual_add_f32 v11, -1.0, v1 :: v_dual_add_f32 v6, v6, v8
	s_delay_alu instid0(VALU_DEP_1) | instskip(NEXT) | instid1(VALU_DEP_3)
	v_ldexp_f32 v6, v6, v7
	v_add_f32_e32 v8, -1.0, v9
	s_delay_alu instid0(VALU_DEP_1) | instskip(SKIP_1) | instid1(VALU_DEP_2)
	v_dual_sub_f32 v7, v1, v8 :: v_dual_add_f32 v8, 1.0, v11
	v_cmp_neq_f32_e32 vcc_lo, 0x7f800000, v5
	v_dual_sub_f32 v1, v1, v8 :: v_dual_add_f32 v10, v6, v7
	s_delay_alu instid0(VALU_DEP_1) | instskip(NEXT) | instid1(VALU_DEP_1)
	v_dual_add_f32 v1, v6, v1 :: v_dual_add_f32 v13, v9, v10
	v_add_f32_e32 v7, v11, v1
	s_delay_alu instid0(VALU_DEP_2) | instskip(SKIP_1) | instid1(TRANS32_DEP_1)
	v_rcp_f32_e32 v14, v13
	v_nop
	v_dual_sub_f32 v6, v9, v13 :: v_dual_mul_f32 v15, v7, v14
	s_delay_alu instid0(VALU_DEP_1) | instskip(SKIP_1) | instid1(VALU_DEP_2)
	v_dual_mul_f32 v8, v13, v15 :: v_dual_add_f32 v16, v10, v6
	v_sub_f32_e32 v17, v11, v7
	v_fma_f32 v10, v15, v13, -v8
	s_delay_alu instid0(VALU_DEP_1) | instskip(NEXT) | instid1(VALU_DEP_1)
	v_dual_add_f32 v1, v1, v17 :: v_dual_fmac_f32 v10, v15, v16
	v_add_f32_e32 v6, v8, v10
	s_delay_alu instid0(VALU_DEP_1) | instskip(NEXT) | instid1(VALU_DEP_1)
	v_dual_sub_f32 v9, v7, v6 :: v_dual_mov_b32 v11, v6
	v_pk_add_f32 v[6:7], v[6:7], v[8:9] neg_lo:[0,1] neg_hi:[0,1]
	s_delay_alu instid0(VALU_DEP_1) | instskip(NEXT) | instid1(VALU_DEP_1)
	v_pk_add_f32 v[6:7], v[6:7], v[10:11] neg_lo:[0,1] neg_hi:[0,1]
	v_add_f32_e32 v1, v1, v7
	s_delay_alu instid0(VALU_DEP_1) | instskip(NEXT) | instid1(VALU_DEP_1)
	v_add_f32_e32 v1, v6, v1
	v_add_f32_e32 v7, v9, v1
	s_delay_alu instid0(VALU_DEP_1) | instskip(NEXT) | instid1(VALU_DEP_1)
	v_mul_f32_e32 v17, v14, v7
	v_mul_f32_e32 v10, v13, v17
	s_delay_alu instid0(VALU_DEP_1) | instskip(NEXT) | instid1(VALU_DEP_1)
	v_fma_f32 v8, v17, v13, -v10
	v_fmac_f32_e32 v8, v17, v16
	s_delay_alu instid0(VALU_DEP_1) | instskip(NEXT) | instid1(VALU_DEP_1)
	v_dual_add_f32 v6, v10, v8 :: v_dual_sub_f32 v13, v9, v7
	v_dual_sub_f32 v11, v7, v6 :: v_dual_mov_b32 v9, v6
	s_delay_alu instid0(VALU_DEP_1) | instskip(SKIP_1) | instid1(VALU_DEP_4)
	v_pk_add_f32 v[6:7], v[6:7], v[10:11] neg_lo:[0,1] neg_hi:[0,1]
	v_add_f32_e32 v10, v15, v17
	v_add_f32_e32 v1, v1, v13
	s_delay_alu instid0(VALU_DEP_3) | instskip(SKIP_1) | instid1(VALU_DEP_2)
	v_pk_add_f32 v[6:7], v[6:7], v[8:9] neg_lo:[0,1] neg_hi:[0,1]
	v_cvt_f32_i32_e32 v8, v12
	v_add_f32_e32 v1, v1, v7
	s_delay_alu instid0(VALU_DEP_1) | instskip(SKIP_1) | instid1(VALU_DEP_1)
	v_add_f32_e32 v1, v6, v1
	v_sub_f32_e32 v6, v10, v15
	v_dual_sub_f32 v6, v17, v6 :: v_dual_add_f32 v1, v11, v1
	s_delay_alu instid0(VALU_DEP_1) | instskip(NEXT) | instid1(VALU_DEP_1)
	v_mul_f32_e32 v1, v14, v1
	v_dual_add_f32 v1, v6, v1 :: v_dual_mov_b32 v6, 0x3f317218
	s_delay_alu instid0(VALU_DEP_1) | instskip(NEXT) | instid1(VALU_DEP_1)
	v_add_f32_e32 v11, v10, v1
	v_mul_f32_e32 v7, v11, v11
	s_delay_alu instid0(VALU_DEP_1) | instskip(SKIP_1) | instid1(VALU_DEP_2)
	v_fmaak_f32 v13, s11, v7, 0x3ecc95a3
	v_mul_f32_e32 v9, v11, v7
	v_fmaak_f32 v7, v7, v13, 0x3f2aaada
	s_delay_alu instid0(VALU_DEP_1) | instskip(NEXT) | instid1(VALU_DEP_1)
	v_pk_mul_f32 v[6:7], v[8:9], v[6:7]
	v_fma_f32 v12, 0x3f317218, v8, -v6
	s_delay_alu instid0(VALU_DEP_1) | instskip(SKIP_1) | instid1(VALU_DEP_1)
	v_fmamk_f32 v8, v8, 0xb102e308, v12
	v_sub_f32_e32 v12, v11, v10
	v_sub_f32_e32 v1, v1, v12
	v_ldexp_f32 v9, v11, 1
	v_mov_b32_e32 v12, v6
	s_delay_alu instid0(VALU_DEP_3) | instskip(NEXT) | instid1(VALU_DEP_3)
	v_ldexp_f32 v1, v1, 1
	v_pk_add_f32 v[10:11], v[6:7], v[8:9]
	s_delay_alu instid0(VALU_DEP_1) | instskip(NEXT) | instid1(VALU_DEP_1)
	v_dual_sub_f32 v9, v11, v9 :: v_dual_mov_b32 v20, v11
	v_sub_f32_e32 v9, v7, v9
	s_delay_alu instid0(VALU_DEP_3) | instskip(NEXT) | instid1(VALU_DEP_2)
	v_pk_add_f32 v[6:7], v[10:11], v[6:7] neg_lo:[0,1] neg_hi:[0,1]
	v_dual_add_f32 v13, v1, v9 :: v_dual_mov_b32 v9, v10
	s_delay_alu instid0(VALU_DEP_1) | instskip(NEXT) | instid1(VALU_DEP_1)
	v_pk_add_f32 v[14:15], v[10:11], v[12:13]
	v_mov_b32_e32 v7, v15
	s_delay_alu instid0(VALU_DEP_1) | instskip(SKIP_2) | instid1(VALU_DEP_3)
	v_pk_add_f32 v[16:17], v[8:9], v[6:7]
	v_mov_b32_e32 v16, v15
	v_pk_add_f32 v[6:7], v[8:9], v[6:7] neg_lo:[0,1] neg_hi:[0,1]
	v_dual_mov_b32 v12, v17 :: v_dual_mov_b32 v7, v17
	s_delay_alu instid0(VALU_DEP_1) | instskip(SKIP_1) | instid1(VALU_DEP_2)
	v_pk_add_f32 v[18:19], v[12:13], v[10:11] neg_lo:[0,1] neg_hi:[0,1]
	v_dual_mov_b32 v11, v10 :: v_dual_mov_b32 v10, v13
	v_dual_mov_b32 v1, v18 :: v_dual_mov_b32 v21, v18
	s_delay_alu instid0(VALU_DEP_1) | instskip(NEXT) | instid1(VALU_DEP_2)
	v_pk_add_f32 v[14:15], v[14:15], v[0:1] neg_lo:[0,1] neg_hi:[0,1]
	v_pk_add_f32 v[8:9], v[16:17], v[20:21] neg_lo:[0,1] neg_hi:[0,1]
	v_mov_b32_e32 v14, v6
	s_delay_alu instid0(VALU_DEP_2) | instskip(NEXT) | instid1(VALU_DEP_1)
	v_pk_add_f32 v[8:9], v[10:11], v[8:9] neg_lo:[0,1] neg_hi:[0,1]
	v_pk_add_f32 v[10:11], v[14:15], v[8:9]
	s_delay_alu instid0(VALU_DEP_1) | instskip(NEXT) | instid1(VALU_DEP_1)
	v_mov_b32_e32 v14, v11
	v_pk_add_f32 v[14:15], v[10:11], v[14:15]
	s_delay_alu instid0(VALU_DEP_1) | instskip(NEXT) | instid1(VALU_DEP_1)
	v_pk_add_f32 v[12:13], v[12:13], v[14:15]
	v_mov_b32_e32 v11, v12
	s_delay_alu instid0(VALU_DEP_1) | instskip(NEXT) | instid1(VALU_DEP_1)
	v_pk_add_f32 v[16:17], v[10:11], v[6:7] neg_lo:[0,1] neg_hi:[0,1]
	v_sub_f32_e32 v1, v10, v16
	s_delay_alu instid0(VALU_DEP_1) | instskip(SKIP_1) | instid1(VALU_DEP_1)
	v_sub_f32_e32 v1, v6, v1
	v_mov_b32_e32 v9, v14
	v_pk_add_f32 v[8:9], v[8:9], v[16:17] neg_lo:[0,1] neg_hi:[0,1]
	s_delay_alu instid0(VALU_DEP_1) | instskip(NEXT) | instid1(VALU_DEP_1)
	v_add_f32_e32 v1, v8, v1
	v_add_f32_e32 v1, v1, v9
	s_delay_alu instid0(VALU_DEP_1) | instskip(NEXT) | instid1(VALU_DEP_1)
	v_add_f32_e32 v1, v12, v1
	v_cndmask_b32_e32 v1, 0x7f800000, v1, vcc_lo
	v_cmp_gt_f32_e64 vcc_lo, 0x33800000, |v5|
	s_delay_alu instid0(VALU_DEP_2) | instskip(NEXT) | instid1(VALU_DEP_1)
	v_cndmask_b32_e32 v1, v1, v5, vcc_lo
	v_div_scale_f32 v5, null, s9, s9, v1
	s_delay_alu instid0(VALU_DEP_1) | instskip(SKIP_1) | instid1(TRANS32_DEP_1)
	v_rcp_f32_e32 v6, v5
	v_nop
	v_fma_f32 v7, -v5, v6, 1.0
	s_delay_alu instid0(VALU_DEP_1) | instskip(SKIP_1) | instid1(VALU_DEP_1)
	v_fmac_f32_e32 v6, v7, v6
	v_div_scale_f32 v7, vcc_lo, v1, s9, v1
	v_mul_f32_e32 v8, v7, v6
	s_delay_alu instid0(VALU_DEP_1) | instskip(NEXT) | instid1(VALU_DEP_1)
	v_fma_f32 v9, -v5, v8, v7
	v_fmac_f32_e32 v8, v9, v6
	s_delay_alu instid0(VALU_DEP_1) | instskip(NEXT) | instid1(VALU_DEP_1)
	v_fma_f32 v5, -v5, v8, v7
	v_div_fmas_f32 v5, v5, v6, v8
	s_delay_alu instid0(VALU_DEP_1)
	v_div_fixup_f32 v5, v5, s9, v1
.LBB8_9:
	s_or_b32 exec_lo, exec_lo, s3
	s_add_nc_u64 s[12:13], s[4:5], s[0:1]
	s_mov_b32 s0, 0
	global_store_b128 v0, v[2:5], s[12:13] scale_offset
.LBB8_10:
	s_and_b32 vcc_lo, exec_lo, s0
	s_cbranch_vccz .LBB8_37
; %bb.11:
	v_cmp_gt_i32_e64 s0, s8, v0
	v_dual_mov_b32 v13, 0 :: v_dual_bitop2_b32 v1, s2, v0 bitop3:0x54
	v_or_b32_e32 v10, 0x100, v0
	s_wait_xcnt 0x0
	v_dual_mov_b32 v6, 0 :: v_dual_mov_b32 v2, v0
	s_and_saveexec_b32 s1, s0
	s_cbranch_execz .LBB8_13
; %bb.12:
	global_load_b32 v6, v1, s[6:7] scale_offset
	v_or_b32_e32 v2, 0x100, v0
.LBB8_13:
	s_wait_xcnt 0x0
	s_or_b32 exec_lo, exec_lo, s1
	s_delay_alu instid0(SALU_CYCLE_1) | instskip(NEXT) | instid1(VALU_DEP_1)
	s_mov_b32 s1, exec_lo
	v_cmpx_gt_i32_e64 s8, v2
	s_cbranch_execz .LBB8_15
; %bb.14:
	v_add_nc_u32_e32 v3, s2, v2
	v_add_nc_u32_e32 v2, 0x100, v2
	global_load_b32 v13, v3, s[6:7] scale_offset
.LBB8_15:
	s_wait_xcnt 0x0
	s_or_b32 exec_lo, exec_lo, s1
	v_dual_mov_b32 v11, 0 :: v_dual_mov_b32 v12, 0
	s_mov_b32 s1, exec_lo
	v_cmpx_gt_i32_e64 s8, v2
	s_cbranch_execz .LBB8_17
; %bb.16:
	v_add_nc_u32_e32 v3, s2, v2
	v_add_nc_u32_e32 v2, 0x100, v2
	global_load_b32 v12, v3, s[6:7] scale_offset
.LBB8_17:
	s_wait_xcnt 0x0
	s_or_b32 exec_lo, exec_lo, s1
	s_delay_alu instid0(SALU_CYCLE_1)
	s_mov_b32 s1, exec_lo
	v_cmpx_gt_i32_e64 s8, v2
	s_cbranch_execz .LBB8_19
; %bb.18:
	v_add_nc_u32_e32 v2, s2, v2
	global_load_b32 v11, v2, s[6:7] scale_offset
.LBB8_19:
	s_wait_xcnt 0x0
	s_or_b32 exec_lo, exec_lo, s1
	v_mov_b32_e32 v2, 0
	s_delay_alu instid0(VALU_DEP_1)
	v_dual_mov_b32 v3, v2 :: v_dual_mov_b32 v4, v2
	v_mov_b32_e32 v5, v2
	s_and_saveexec_b32 s1, s0
	s_cbranch_execz .LBB8_23
; %bb.20:
	s_wait_loadcnt 0x0
	v_mul_f32_e32 v2, s9, v6
	s_mov_b32 s3, exec_lo
	s_delay_alu instid0(VALU_DEP_1)
	v_cmpx_nlt_f32_e32 s10, v2
	s_cbranch_execz .LBB8_22
; %bb.21:
	v_mul_f32_e32 v3, 0x3fb8aa3b, v2
	v_cmp_ngt_f32_e32 vcc_lo, 0xc2ce8ed0, v2
	s_mov_b32 s6, 0x3e9b6dac
	s_delay_alu instid0(VALU_DEP_2) | instskip(SKIP_1) | instid1(VALU_DEP_2)
	v_rndne_f32_e32 v4, v3
	v_fma_f32 v5, 0x3fb8aa3b, v2, -v3
	v_sub_f32_e32 v3, v3, v4
	s_delay_alu instid0(VALU_DEP_2) | instskip(SKIP_1) | instid1(VALU_DEP_2)
	v_fmamk_f32 v5, v2, 0x32a5705f, v5
	v_cvt_i32_f32_e32 v4, v4
	v_add_f32_e32 v3, v3, v5
	s_delay_alu instid0(VALU_DEP_1) | instskip(SKIP_1) | instid1(TRANS32_DEP_1)
	v_exp_f32_e32 v3, v3
	v_nop
	v_ldexp_f32 v3, v3, v4
	s_delay_alu instid0(VALU_DEP_1) | instskip(SKIP_1) | instid1(VALU_DEP_2)
	v_cndmask_b32_e32 v3, 0, v3, vcc_lo
	v_cmp_nlt_f32_e32 vcc_lo, 0x42b17218, v2
	v_cndmask_b32_e32 v22, 0x7f800000, v3, vcc_lo
	s_delay_alu instid0(VALU_DEP_1) | instskip(NEXT) | instid1(VALU_DEP_1)
	v_add_f32_e32 v4, 1.0, v22
	v_cvt_f64_f32_e32 v[2:3], v4
	s_delay_alu instid0(VALU_DEP_1) | instskip(SKIP_1) | instid1(VALU_DEP_1)
	v_frexp_exp_i32_f64_e32 v2, v[2:3]
	v_frexp_mant_f32_e32 v3, v4
	v_cmp_gt_f32_e32 vcc_lo, 0x3f2aaaab, v3
	s_delay_alu instid0(VALU_DEP_3) | instskip(SKIP_1) | instid1(VALU_DEP_2)
	v_subrev_co_ci_u32_e64 v8, null, 0, v2, vcc_lo
	v_add_f32_e32 v2, -1.0, v4
	v_sub_nc_u32_e32 v3, 0, v8
	v_cmp_neq_f32_e32 vcc_lo, 0x7f800000, v22
	s_delay_alu instid0(VALU_DEP_3) | instskip(SKIP_1) | instid1(VALU_DEP_4)
	v_sub_f32_e32 v5, v2, v4
	v_sub_f32_e32 v2, v22, v2
	v_ldexp_f32 v4, v4, v3
	s_delay_alu instid0(VALU_DEP_1) | instskip(NEXT) | instid1(VALU_DEP_1)
	v_dual_add_f32 v5, 1.0, v5 :: v_dual_add_f32 v7, -1.0, v4
	v_dual_add_f32 v6, 1.0, v4 :: v_dual_add_f32 v2, v2, v5
	s_delay_alu instid0(VALU_DEP_1) | instskip(NEXT) | instid1(VALU_DEP_2)
	v_add_f32_e32 v5, -1.0, v6
	v_ldexp_f32 v2, v2, v3
	s_delay_alu instid0(VALU_DEP_2) | instskip(NEXT) | instid1(VALU_DEP_1)
	v_dual_sub_f32 v3, v4, v5 :: v_dual_add_f32 v5, 1.0, v7
	v_dual_add_f32 v9, v2, v3 :: v_dual_sub_f32 v3, v4, v5
	s_delay_alu instid0(VALU_DEP_1) | instskip(NEXT) | instid1(VALU_DEP_1)
	v_add_f32_e32 v15, v2, v3
	v_dual_add_f32 v14, v6, v9 :: v_dual_add_f32 v3, v7, v15
	s_delay_alu instid0(VALU_DEP_1) | instskip(NEXT) | instid1(VALU_DEP_1)
	v_rcp_f32_e32 v16, v14
	v_sub_f32_e32 v18, v7, v3
	s_delay_alu instid0(TRANS32_DEP_1) | instskip(NEXT) | instid1(VALU_DEP_1)
	v_mul_f32_e32 v17, v3, v16
	v_mul_f32_e32 v4, v14, v17
	s_delay_alu instid0(VALU_DEP_1) | instskip(NEXT) | instid1(VALU_DEP_1)
	v_dual_sub_f32 v2, v6, v14 :: v_dual_fma_f32 v6, v17, v14, -v4
	v_add_f32_e32 v9, v9, v2
	s_delay_alu instid0(VALU_DEP_1) | instskip(NEXT) | instid1(VALU_DEP_1)
	v_fmac_f32_e32 v6, v17, v9
	v_add_f32_e32 v2, v4, v6
	s_delay_alu instid0(VALU_DEP_1) | instskip(NEXT) | instid1(VALU_DEP_1)
	v_dual_sub_f32 v5, v3, v2 :: v_dual_mov_b32 v7, v2
	v_pk_add_f32 v[2:3], v[2:3], v[4:5] neg_lo:[0,1] neg_hi:[0,1]
	v_add_f32_e32 v4, v15, v18
	s_delay_alu instid0(VALU_DEP_2) | instskip(NEXT) | instid1(VALU_DEP_1)
	v_pk_add_f32 v[2:3], v[2:3], v[6:7] neg_lo:[0,1] neg_hi:[0,1]
	v_add_f32_e32 v3, v4, v3
	s_delay_alu instid0(VALU_DEP_1) | instskip(NEXT) | instid1(VALU_DEP_1)
	v_add_f32_e32 v15, v2, v3
	v_add_f32_e32 v3, v5, v15
	s_delay_alu instid0(VALU_DEP_1) | instskip(NEXT) | instid1(VALU_DEP_1)
	v_mul_f32_e32 v18, v16, v3
	v_mul_f32_e32 v6, v14, v18
	s_delay_alu instid0(VALU_DEP_1) | instskip(NEXT) | instid1(VALU_DEP_1)
	v_fma_f32 v4, v18, v14, -v6
	v_dual_fmac_f32 v4, v18, v9 :: v_dual_sub_f32 v9, v5, v3
	s_delay_alu instid0(VALU_DEP_1) | instskip(NEXT) | instid1(VALU_DEP_1)
	v_add_f32_e32 v2, v6, v4
	v_dual_sub_f32 v7, v3, v2 :: v_dual_mov_b32 v5, v2
	s_delay_alu instid0(VALU_DEP_1) | instskip(NEXT) | instid1(VALU_DEP_4)
	v_pk_add_f32 v[2:3], v[2:3], v[6:7] neg_lo:[0,1] neg_hi:[0,1]
	v_add_f32_e32 v6, v15, v9
	s_delay_alu instid0(VALU_DEP_2) | instskip(SKIP_1) | instid1(VALU_DEP_2)
	v_pk_add_f32 v[2:3], v[2:3], v[4:5] neg_lo:[0,1] neg_hi:[0,1]
	v_cvt_f32_i32_e32 v4, v8
	v_dual_add_f32 v3, v6, v3 :: v_dual_add_f32 v6, v17, v18
	s_delay_alu instid0(VALU_DEP_1) | instskip(NEXT) | instid1(VALU_DEP_1)
	v_add_f32_e32 v2, v2, v3
	v_dual_sub_f32 v3, v6, v17 :: v_dual_add_f32 v2, v7, v2
	s_delay_alu instid0(VALU_DEP_1) | instskip(NEXT) | instid1(VALU_DEP_1)
	v_dual_sub_f32 v3, v18, v3 :: v_dual_mul_f32 v2, v16, v2
	v_dual_add_f32 v9, v3, v2 :: v_dual_mov_b32 v2, 0x3f317218
	s_delay_alu instid0(VALU_DEP_1) | instskip(NEXT) | instid1(VALU_DEP_1)
	v_add_f32_e32 v7, v6, v9
	v_mul_f32_e32 v3, v7, v7
	s_delay_alu instid0(VALU_DEP_1) | instskip(NEXT) | instid1(VALU_DEP_1)
	v_dual_fmaak_f32 v14, s6, v3, 0x3ecc95a3 :: v_dual_mul_f32 v5, v7, v3
	v_fmaak_f32 v3, v3, v14, 0x3f2aaada
	s_delay_alu instid0(VALU_DEP_1) | instskip(SKIP_1) | instid1(VALU_DEP_2)
	v_pk_mul_f32 v[2:3], v[4:5], v[2:3]
	v_ldexp_f32 v5, v7, 1
	v_fma_f32 v8, 0x3f317218, v4, -v2
	s_delay_alu instid0(VALU_DEP_1) | instskip(SKIP_1) | instid1(VALU_DEP_2)
	v_fmamk_f32 v4, v4, 0xb102e308, v8
	v_sub_f32_e32 v8, v7, v6
	v_pk_add_f32 v[6:7], v[2:3], v[4:5]
	s_delay_alu instid0(VALU_DEP_1) | instskip(NEXT) | instid1(VALU_DEP_1)
	v_dual_sub_f32 v5, v7, v5 :: v_dual_sub_f32 v8, v9, v8
	v_sub_f32_e32 v5, v3, v5
	s_delay_alu instid0(VALU_DEP_2) | instskip(SKIP_2) | instid1(VALU_DEP_3)
	v_ldexp_f32 v9, v8, 1
	v_mov_b32_e32 v8, v2
	v_pk_add_f32 v[2:3], v[6:7], v[2:3] neg_lo:[0,1] neg_hi:[0,1]
	v_dual_add_f32 v9, v9, v5 :: v_dual_mov_b32 v5, v6
	s_delay_alu instid0(VALU_DEP_1) | instskip(NEXT) | instid1(VALU_DEP_1)
	v_pk_add_f32 v[14:15], v[6:7], v[8:9]
	v_dual_mov_b32 v20, v7 :: v_dual_mov_b32 v3, v15
	s_delay_alu instid0(VALU_DEP_1) | instskip(NEXT) | instid1(VALU_DEP_1)
	v_pk_add_f32 v[16:17], v[4:5], v[2:3]
	v_dual_mov_b32 v16, v15 :: v_dual_mov_b32 v8, v17
	v_pk_add_f32 v[2:3], v[4:5], v[2:3] neg_lo:[0,1] neg_hi:[0,1]
	v_mov_b32_e32 v3, v17
	s_delay_alu instid0(VALU_DEP_3) | instskip(SKIP_1) | instid1(VALU_DEP_2)
	v_pk_add_f32 v[18:19], v[8:9], v[6:7] neg_lo:[0,1] neg_hi:[0,1]
	v_dual_mov_b32 v7, v6 :: v_dual_mov_b32 v6, v9
	v_dual_mov_b32 v9, v18 :: v_dual_mov_b32 v21, v18
	s_delay_alu instid0(VALU_DEP_1) | instskip(NEXT) | instid1(VALU_DEP_2)
	v_pk_add_f32 v[14:15], v[14:15], v[8:9] neg_lo:[0,1] neg_hi:[0,1]
	v_pk_add_f32 v[4:5], v[16:17], v[20:21] neg_lo:[0,1] neg_hi:[0,1]
	v_mov_b32_e32 v14, v2
	s_delay_alu instid0(VALU_DEP_2) | instskip(NEXT) | instid1(VALU_DEP_1)
	v_pk_add_f32 v[4:5], v[6:7], v[4:5] neg_lo:[0,1] neg_hi:[0,1]
	v_pk_add_f32 v[6:7], v[14:15], v[4:5]
	s_delay_alu instid0(VALU_DEP_1) | instskip(NEXT) | instid1(VALU_DEP_1)
	v_mov_b32_e32 v14, v7
	v_pk_add_f32 v[14:15], v[6:7], v[14:15]
	s_delay_alu instid0(VALU_DEP_1) | instskip(NEXT) | instid1(VALU_DEP_1)
	v_pk_add_f32 v[8:9], v[8:9], v[14:15]
	v_mov_b32_e32 v7, v8
	s_delay_alu instid0(VALU_DEP_1) | instskip(NEXT) | instid1(VALU_DEP_1)
	v_pk_add_f32 v[16:17], v[6:7], v[2:3] neg_lo:[0,1] neg_hi:[0,1]
	v_sub_f32_e32 v3, v6, v16
	s_delay_alu instid0(VALU_DEP_1) | instskip(SKIP_1) | instid1(VALU_DEP_1)
	v_sub_f32_e32 v2, v2, v3
	v_mov_b32_e32 v5, v14
	v_pk_add_f32 v[4:5], v[4:5], v[16:17] neg_lo:[0,1] neg_hi:[0,1]
	s_delay_alu instid0(VALU_DEP_1) | instskip(NEXT) | instid1(VALU_DEP_1)
	v_add_f32_e32 v2, v4, v2
	v_add_f32_e32 v2, v2, v5
	s_delay_alu instid0(VALU_DEP_1) | instskip(NEXT) | instid1(VALU_DEP_1)
	v_add_f32_e32 v2, v8, v2
	v_cndmask_b32_e32 v2, 0x7f800000, v2, vcc_lo
	v_cmp_gt_f32_e64 vcc_lo, 0x33800000, |v22|
	s_delay_alu instid0(VALU_DEP_2) | instskip(NEXT) | instid1(VALU_DEP_1)
	v_cndmask_b32_e32 v2, v2, v22, vcc_lo
	v_div_scale_f32 v3, null, s9, s9, v2
	s_delay_alu instid0(VALU_DEP_1) | instskip(SKIP_1) | instid1(TRANS32_DEP_1)
	v_rcp_f32_e32 v4, v3
	v_nop
	v_fma_f32 v5, -v3, v4, 1.0
	s_delay_alu instid0(VALU_DEP_1) | instskip(SKIP_1) | instid1(VALU_DEP_1)
	v_fmac_f32_e32 v4, v5, v4
	v_div_scale_f32 v5, vcc_lo, v2, s9, v2
	v_mul_f32_e32 v6, v5, v4
	s_delay_alu instid0(VALU_DEP_1) | instskip(NEXT) | instid1(VALU_DEP_1)
	v_fma_f32 v7, -v3, v6, v5
	v_fmac_f32_e32 v6, v7, v4
	s_delay_alu instid0(VALU_DEP_1) | instskip(NEXT) | instid1(VALU_DEP_1)
	v_fma_f32 v3, -v3, v6, v5
	v_div_fmas_f32 v3, v3, v4, v6
	s_delay_alu instid0(VALU_DEP_1)
	v_div_fixup_f32 v6, v3, s9, v2
.LBB8_22:
	s_or_b32 exec_lo, exec_lo, s3
	v_mov_b32_e32 v7, 0
	s_delay_alu instid0(VALU_DEP_1) | instskip(NEXT) | instid1(VALU_DEP_3)
	v_dual_mov_b32 v8, v7 :: v_dual_mov_b32 v9, v7
	v_mov_b64_e32 v[2:3], v[6:7]
	s_delay_alu instid0(VALU_DEP_2)
	v_mov_b64_e32 v[4:5], v[8:9]
.LBB8_23:
	s_or_b32 exec_lo, exec_lo, s1
	s_delay_alu instid0(SALU_CYCLE_1)
	s_mov_b32 s1, exec_lo
	v_cmpx_gt_i32_e64 s8, v10
	s_cbranch_execz .LBB8_27
; %bb.24:
	s_wait_loadcnt 0x0
	v_mul_f32_e32 v3, s9, v13
	s_mov_b32 s3, exec_lo
	s_delay_alu instid0(VALU_DEP_1)
	v_cmpx_nlt_f32_e32 s10, v3
	s_cbranch_execz .LBB8_26
; %bb.25:
	v_mul_f32_e32 v6, 0x3fb8aa3b, v3
	v_cmp_ngt_f32_e32 vcc_lo, 0xc2ce8ed0, v3
	s_mov_b32 s6, 0x3e9b6dac
	s_delay_alu instid0(VALU_DEP_2) | instskip(SKIP_1) | instid1(VALU_DEP_2)
	v_rndne_f32_e32 v7, v6
	v_fma_f32 v8, 0x3fb8aa3b, v3, -v6
	v_sub_f32_e32 v6, v6, v7
	s_delay_alu instid0(VALU_DEP_2) | instskip(SKIP_1) | instid1(VALU_DEP_2)
	v_fmamk_f32 v8, v3, 0x32a5705f, v8
	v_cvt_i32_f32_e32 v7, v7
	v_add_f32_e32 v6, v6, v8
	s_delay_alu instid0(VALU_DEP_1) | instskip(SKIP_1) | instid1(TRANS32_DEP_1)
	v_exp_f32_e32 v6, v6
	v_nop
	v_ldexp_f32 v6, v6, v7
	s_delay_alu instid0(VALU_DEP_1) | instskip(SKIP_1) | instid1(VALU_DEP_2)
	v_cndmask_b32_e32 v6, 0, v6, vcc_lo
	v_cmp_nlt_f32_e32 vcc_lo, 0x42b17218, v3
	v_cndmask_b32_e32 v13, 0x7f800000, v6, vcc_lo
	s_delay_alu instid0(VALU_DEP_1) | instskip(NEXT) | instid1(VALU_DEP_1)
	v_add_f32_e32 v3, 1.0, v13
	v_cvt_f64_f32_e32 v[6:7], v3
	s_delay_alu instid0(VALU_DEP_1) | instskip(SKIP_1) | instid1(VALU_DEP_1)
	v_frexp_exp_i32_f64_e32 v6, v[6:7]
	v_frexp_mant_f32_e32 v7, v3
	v_cmp_gt_f32_e32 vcc_lo, 0x3f2aaaab, v7
	s_delay_alu instid0(VALU_DEP_3) | instskip(SKIP_2) | instid1(VALU_DEP_2)
	v_subrev_co_ci_u32_e64 v16, null, 0, v6, vcc_lo
	v_add_f32_e32 v6, -1.0, v3
	v_cmp_neq_f32_e32 vcc_lo, 0x7f800000, v13
	v_dual_sub_f32 v8, v6, v3 :: v_dual_sub_nc_u32 v7, 0, v16
	v_sub_f32_e32 v6, v13, v6
	s_delay_alu instid0(VALU_DEP_2) | instskip(NEXT) | instid1(VALU_DEP_1)
	v_ldexp_f32 v3, v3, v7
	v_dual_add_f32 v8, 1.0, v8 :: v_dual_add_f32 v9, 1.0, v3
	s_delay_alu instid0(VALU_DEP_1) | instskip(NEXT) | instid1(VALU_DEP_2)
	v_dual_add_f32 v15, -1.0, v3 :: v_dual_add_f32 v6, v6, v8
	v_add_f32_e32 v8, -1.0, v9
	s_delay_alu instid0(VALU_DEP_2) | instskip(NEXT) | instid1(VALU_DEP_2)
	v_ldexp_f32 v6, v6, v7
	v_dual_sub_f32 v7, v3, v8 :: v_dual_add_f32 v8, 1.0, v15
	s_delay_alu instid0(VALU_DEP_1) | instskip(NEXT) | instid1(VALU_DEP_1)
	v_dual_add_f32 v14, v6, v7 :: v_dual_sub_f32 v3, v3, v8
	v_dual_add_f32 v17, v9, v14 :: v_dual_add_f32 v3, v6, v3
	s_delay_alu instid0(VALU_DEP_1) | instskip(NEXT) | instid1(VALU_DEP_1)
	v_rcp_f32_e32 v18, v17
	v_dual_add_f32 v7, v15, v3 :: v_dual_sub_f32 v6, v9, v17
	s_delay_alu instid0(VALU_DEP_1) | instskip(NEXT) | instid1(TRANS32_DEP_1)
	v_sub_f32_e32 v21, v15, v7
	v_mul_f32_e32 v19, v7, v18
	s_delay_alu instid0(VALU_DEP_2) | instskip(NEXT) | instid1(VALU_DEP_2)
	v_dual_add_f32 v20, v14, v6 :: v_dual_add_f32 v3, v3, v21
	v_mul_f32_e32 v8, v17, v19
	s_delay_alu instid0(VALU_DEP_1) | instskip(NEXT) | instid1(VALU_DEP_1)
	v_fma_f32 v14, v19, v17, -v8
	v_fmac_f32_e32 v14, v19, v20
	s_delay_alu instid0(VALU_DEP_1) | instskip(NEXT) | instid1(VALU_DEP_1)
	v_add_f32_e32 v6, v8, v14
	v_dual_sub_f32 v9, v7, v6 :: v_dual_mov_b32 v15, v6
	s_delay_alu instid0(VALU_DEP_1) | instskip(NEXT) | instid1(VALU_DEP_1)
	v_pk_add_f32 v[6:7], v[6:7], v[8:9] neg_lo:[0,1] neg_hi:[0,1]
	v_pk_add_f32 v[6:7], v[6:7], v[14:15] neg_lo:[0,1] neg_hi:[0,1]
	s_delay_alu instid0(VALU_DEP_1) | instskip(NEXT) | instid1(VALU_DEP_1)
	v_add_f32_e32 v3, v3, v7
	v_add_f32_e32 v3, v6, v3
	s_delay_alu instid0(VALU_DEP_1) | instskip(NEXT) | instid1(VALU_DEP_1)
	v_add_f32_e32 v7, v9, v3
	v_mul_f32_e32 v21, v18, v7
	s_delay_alu instid0(VALU_DEP_1) | instskip(NEXT) | instid1(VALU_DEP_1)
	v_mul_f32_e32 v14, v17, v21
	v_fma_f32 v8, v21, v17, -v14
	v_sub_f32_e32 v17, v9, v7
	s_delay_alu instid0(VALU_DEP_1) | instskip(NEXT) | instid1(VALU_DEP_1)
	v_dual_fmac_f32 v8, v21, v20 :: v_dual_add_f32 v3, v3, v17
	v_add_f32_e32 v6, v14, v8
	s_delay_alu instid0(VALU_DEP_1) | instskip(NEXT) | instid1(VALU_DEP_1)
	v_dual_sub_f32 v15, v7, v6 :: v_dual_mov_b32 v9, v6
	v_pk_add_f32 v[6:7], v[6:7], v[14:15] neg_lo:[0,1] neg_hi:[0,1]
	s_delay_alu instid0(VALU_DEP_1) | instskip(SKIP_1) | instid1(VALU_DEP_2)
	v_pk_add_f32 v[6:7], v[6:7], v[8:9] neg_lo:[0,1] neg_hi:[0,1]
	v_cvt_f32_i32_e32 v8, v16
	v_add_f32_e32 v3, v3, v7
	s_delay_alu instid0(VALU_DEP_1) | instskip(NEXT) | instid1(VALU_DEP_1)
	v_dual_add_f32 v14, v19, v21 :: v_dual_add_f32 v3, v6, v3
	v_sub_f32_e32 v6, v14, v19
	s_delay_alu instid0(VALU_DEP_1) | instskip(NEXT) | instid1(VALU_DEP_1)
	v_dual_add_f32 v3, v15, v3 :: v_dual_sub_f32 v6, v21, v6
	v_mul_f32_e32 v3, v18, v3
	s_delay_alu instid0(VALU_DEP_1) | instskip(NEXT) | instid1(VALU_DEP_1)
	v_dual_add_f32 v3, v6, v3 :: v_dual_mov_b32 v6, 0x3f317218
	v_add_f32_e32 v15, v14, v3
	s_delay_alu instid0(VALU_DEP_1) | instskip(NEXT) | instid1(VALU_DEP_1)
	v_mul_f32_e32 v7, v15, v15
	v_fmaak_f32 v17, s6, v7, 0x3ecc95a3
	v_mul_f32_e32 v9, v15, v7
	s_delay_alu instid0(VALU_DEP_2) | instskip(NEXT) | instid1(VALU_DEP_1)
	v_fmaak_f32 v7, v7, v17, 0x3f2aaada
	v_pk_mul_f32 v[6:7], v[8:9], v[6:7]
	s_delay_alu instid0(VALU_DEP_1) | instskip(NEXT) | instid1(VALU_DEP_1)
	v_fma_f32 v16, 0x3f317218, v8, -v6
	v_fmamk_f32 v8, v8, 0xb102e308, v16
	v_sub_f32_e32 v16, v15, v14
	s_delay_alu instid0(VALU_DEP_1) | instskip(SKIP_2) | instid1(VALU_DEP_3)
	v_sub_f32_e32 v3, v3, v16
	v_ldexp_f32 v9, v15, 1
	v_mov_b32_e32 v16, v6
	v_ldexp_f32 v3, v3, 1
	s_delay_alu instid0(VALU_DEP_3) | instskip(NEXT) | instid1(VALU_DEP_1)
	v_pk_add_f32 v[14:15], v[6:7], v[8:9]
	v_dual_sub_f32 v9, v15, v9 :: v_dual_mov_b32 v24, v15
	s_delay_alu instid0(VALU_DEP_1) | instskip(NEXT) | instid1(VALU_DEP_3)
	v_sub_f32_e32 v9, v7, v9
	v_pk_add_f32 v[6:7], v[14:15], v[6:7] neg_lo:[0,1] neg_hi:[0,1]
	s_delay_alu instid0(VALU_DEP_2) | instskip(NEXT) | instid1(VALU_DEP_1)
	v_dual_add_f32 v17, v3, v9 :: v_dual_mov_b32 v9, v14
	v_pk_add_f32 v[18:19], v[14:15], v[16:17]
	s_delay_alu instid0(VALU_DEP_1) | instskip(NEXT) | instid1(VALU_DEP_1)
	v_mov_b32_e32 v7, v19
	v_pk_add_f32 v[20:21], v[8:9], v[6:7]
	v_mov_b32_e32 v20, v19
	v_pk_add_f32 v[6:7], v[8:9], v[6:7] neg_lo:[0,1] neg_hi:[0,1]
	s_delay_alu instid0(VALU_DEP_3) | instskip(NEXT) | instid1(VALU_DEP_1)
	v_dual_mov_b32 v16, v21 :: v_dual_mov_b32 v7, v21
	v_pk_add_f32 v[22:23], v[16:17], v[14:15] neg_lo:[0,1] neg_hi:[0,1]
	v_dual_mov_b32 v15, v14 :: v_dual_mov_b32 v14, v17
	s_delay_alu instid0(VALU_DEP_2) | instskip(NEXT) | instid1(VALU_DEP_1)
	v_dual_mov_b32 v3, v22 :: v_dual_mov_b32 v25, v22
	v_pk_add_f32 v[18:19], v[18:19], v[2:3] neg_lo:[0,1] neg_hi:[0,1]
	s_delay_alu instid0(VALU_DEP_2) | instskip(SKIP_1) | instid1(VALU_DEP_2)
	v_pk_add_f32 v[8:9], v[20:21], v[24:25] neg_lo:[0,1] neg_hi:[0,1]
	v_mov_b32_e32 v18, v6
	v_pk_add_f32 v[8:9], v[14:15], v[8:9] neg_lo:[0,1] neg_hi:[0,1]
	s_delay_alu instid0(VALU_DEP_1) | instskip(NEXT) | instid1(VALU_DEP_1)
	v_pk_add_f32 v[14:15], v[18:19], v[8:9]
	v_mov_b32_e32 v18, v15
	s_delay_alu instid0(VALU_DEP_1) | instskip(NEXT) | instid1(VALU_DEP_1)
	v_pk_add_f32 v[18:19], v[14:15], v[18:19]
	v_pk_add_f32 v[16:17], v[16:17], v[18:19]
	s_delay_alu instid0(VALU_DEP_1) | instskip(NEXT) | instid1(VALU_DEP_1)
	v_mov_b32_e32 v15, v16
	v_pk_add_f32 v[20:21], v[14:15], v[6:7] neg_lo:[0,1] neg_hi:[0,1]
	s_delay_alu instid0(VALU_DEP_1) | instskip(NEXT) | instid1(VALU_DEP_1)
	v_sub_f32_e32 v3, v14, v20
	v_sub_f32_e32 v3, v6, v3
	v_mov_b32_e32 v9, v18
	s_delay_alu instid0(VALU_DEP_1) | instskip(NEXT) | instid1(VALU_DEP_1)
	v_pk_add_f32 v[8:9], v[8:9], v[20:21] neg_lo:[0,1] neg_hi:[0,1]
	v_add_f32_e32 v3, v8, v3
	s_delay_alu instid0(VALU_DEP_1) | instskip(NEXT) | instid1(VALU_DEP_1)
	v_add_f32_e32 v3, v3, v9
	v_add_f32_e32 v3, v16, v3
	s_delay_alu instid0(VALU_DEP_1) | instskip(SKIP_1) | instid1(VALU_DEP_2)
	v_cndmask_b32_e32 v3, 0x7f800000, v3, vcc_lo
	v_cmp_gt_f32_e64 vcc_lo, 0x33800000, |v13|
	v_cndmask_b32_e32 v3, v3, v13, vcc_lo
	s_delay_alu instid0(VALU_DEP_1) | instskip(NEXT) | instid1(VALU_DEP_1)
	v_div_scale_f32 v6, null, s9, s9, v3
	v_rcp_f32_e32 v7, v6
	v_nop
	s_delay_alu instid0(TRANS32_DEP_1) | instskip(NEXT) | instid1(VALU_DEP_1)
	v_fma_f32 v8, -v6, v7, 1.0
	v_fmac_f32_e32 v7, v8, v7
	v_div_scale_f32 v8, vcc_lo, v3, s9, v3
	s_delay_alu instid0(VALU_DEP_1) | instskip(NEXT) | instid1(VALU_DEP_1)
	v_mul_f32_e32 v9, v8, v7
	v_fma_f32 v13, -v6, v9, v8
	s_delay_alu instid0(VALU_DEP_1) | instskip(NEXT) | instid1(VALU_DEP_1)
	v_fmac_f32_e32 v9, v13, v7
	v_fma_f32 v6, -v6, v9, v8
	s_delay_alu instid0(VALU_DEP_1) | instskip(NEXT) | instid1(VALU_DEP_1)
	v_div_fmas_f32 v6, v6, v7, v9
	v_div_fixup_f32 v13, v6, s9, v3
.LBB8_26:
	s_or_b32 exec_lo, exec_lo, s3
	s_delay_alu instid0(VALU_DEP_1)
	v_mov_b32_e32 v3, v13
.LBB8_27:
	s_or_b32 exec_lo, exec_lo, s1
	s_wait_loadcnt 0x0
	v_or_b32_e32 v6, 0x200, v0
	s_mov_b32 s1, exec_lo
	s_delay_alu instid0(VALU_DEP_1)
	v_cmpx_gt_i32_e64 s8, v6
	s_cbranch_execz .LBB8_31
; %bb.28:
	v_mul_f32_e32 v4, s9, v12
	s_mov_b32 s3, exec_lo
	s_delay_alu instid0(VALU_DEP_1)
	v_cmpx_nlt_f32_e32 s10, v4
	s_cbranch_execz .LBB8_30
; %bb.29:
	v_mul_f32_e32 v6, 0x3fb8aa3b, v4
	v_cmp_ngt_f32_e32 vcc_lo, 0xc2ce8ed0, v4
	s_mov_b32 s6, 0x3e9b6dac
	s_delay_alu instid0(VALU_DEP_2) | instskip(SKIP_1) | instid1(VALU_DEP_2)
	v_rndne_f32_e32 v7, v6
	v_fma_f32 v8, 0x3fb8aa3b, v4, -v6
	v_sub_f32_e32 v6, v6, v7
	s_delay_alu instid0(VALU_DEP_2) | instskip(SKIP_1) | instid1(VALU_DEP_2)
	v_fmamk_f32 v8, v4, 0x32a5705f, v8
	v_cvt_i32_f32_e32 v7, v7
	v_add_f32_e32 v6, v6, v8
	s_delay_alu instid0(VALU_DEP_1) | instskip(SKIP_1) | instid1(TRANS32_DEP_1)
	v_exp_f32_e32 v6, v6
	v_nop
	v_ldexp_f32 v6, v6, v7
	s_delay_alu instid0(VALU_DEP_1) | instskip(SKIP_1) | instid1(VALU_DEP_2)
	v_cndmask_b32_e32 v6, 0, v6, vcc_lo
	v_cmp_nlt_f32_e32 vcc_lo, 0x42b17218, v4
	v_cndmask_b32_e32 v24, 0x7f800000, v6, vcc_lo
	s_delay_alu instid0(VALU_DEP_1) | instskip(NEXT) | instid1(VALU_DEP_1)
	v_add_f32_e32 v4, 1.0, v24
	v_cvt_f64_f32_e32 v[6:7], v4
	s_delay_alu instid0(VALU_DEP_1) | instskip(SKIP_1) | instid1(VALU_DEP_1)
	v_frexp_exp_i32_f64_e32 v6, v[6:7]
	v_frexp_mant_f32_e32 v7, v4
	v_cmp_gt_f32_e32 vcc_lo, 0x3f2aaaab, v7
	s_delay_alu instid0(VALU_DEP_3) | instskip(NEXT) | instid1(VALU_DEP_1)
	v_subrev_co_ci_u32_e64 v14, null, 0, v6, vcc_lo
	v_dual_add_f32 v6, -1.0, v4 :: v_dual_sub_nc_u32 v7, 0, v14
	s_delay_alu instid0(VALU_DEP_1) | instskip(NEXT) | instid1(VALU_DEP_2)
	v_sub_f32_e32 v8, v6, v4
	v_ldexp_f32 v4, v4, v7
	s_delay_alu instid0(VALU_DEP_1) | instskip(NEXT) | instid1(VALU_DEP_3)
	v_dual_add_f32 v9, 1.0, v4 :: v_dual_add_f32 v13, -1.0, v4
	v_dual_sub_f32 v6, v24, v6 :: v_dual_add_f32 v8, 1.0, v8
	v_cmp_neq_f32_e32 vcc_lo, 0x7f800000, v24
	s_delay_alu instid0(VALU_DEP_2) | instskip(NEXT) | instid1(VALU_DEP_1)
	v_dual_add_f32 v6, v6, v8 :: v_dual_add_f32 v8, -1.0, v9
	v_ldexp_f32 v6, v6, v7
	s_delay_alu instid0(VALU_DEP_2) | instskip(NEXT) | instid1(VALU_DEP_1)
	v_dual_sub_f32 v7, v4, v8 :: v_dual_add_f32 v8, 1.0, v13
	v_dual_add_f32 v12, v6, v7 :: v_dual_sub_f32 v4, v4, v8
	s_delay_alu instid0(VALU_DEP_1) | instskip(NEXT) | instid1(VALU_DEP_1)
	v_add_f32_e32 v15, v9, v12
	v_dual_add_f32 v4, v6, v4 :: v_dual_sub_f32 v6, v9, v15
	s_delay_alu instid0(VALU_DEP_1) | instskip(SKIP_1) | instid1(VALU_DEP_2)
	v_add_f32_e32 v18, v12, v6
	v_rcp_f32_e32 v16, v15
	v_add_f32_e32 v7, v13, v4
	s_delay_alu instid0(TRANS32_DEP_1) | instid1(VALU_DEP_1)
	v_mul_f32_e32 v17, v7, v16
	s_delay_alu instid0(VALU_DEP_1) | instskip(NEXT) | instid1(VALU_DEP_1)
	v_dual_mul_f32 v8, v15, v17 :: v_dual_sub_f32 v19, v13, v7
	v_fma_f32 v12, v17, v15, -v8
	s_delay_alu instid0(VALU_DEP_1) | instskip(NEXT) | instid1(VALU_DEP_1)
	v_dual_add_f32 v4, v4, v19 :: v_dual_fmac_f32 v12, v17, v18
	v_add_f32_e32 v6, v8, v12
	s_delay_alu instid0(VALU_DEP_1) | instskip(NEXT) | instid1(VALU_DEP_1)
	v_dual_sub_f32 v9, v7, v6 :: v_dual_mov_b32 v13, v6
	v_pk_add_f32 v[6:7], v[6:7], v[8:9] neg_lo:[0,1] neg_hi:[0,1]
	s_delay_alu instid0(VALU_DEP_1) | instskip(NEXT) | instid1(VALU_DEP_1)
	v_pk_add_f32 v[6:7], v[6:7], v[12:13] neg_lo:[0,1] neg_hi:[0,1]
	v_add_f32_e32 v4, v4, v7
	s_delay_alu instid0(VALU_DEP_1) | instskip(NEXT) | instid1(VALU_DEP_1)
	v_add_f32_e32 v4, v6, v4
	v_add_f32_e32 v7, v9, v4
	s_delay_alu instid0(VALU_DEP_1) | instskip(NEXT) | instid1(VALU_DEP_1)
	v_mul_f32_e32 v19, v16, v7
	v_mul_f32_e32 v12, v15, v19
	s_delay_alu instid0(VALU_DEP_1) | instskip(NEXT) | instid1(VALU_DEP_1)
	v_fma_f32 v8, v19, v15, -v12
	v_dual_sub_f32 v15, v9, v7 :: v_dual_fmac_f32 v8, v19, v18
	s_delay_alu instid0(VALU_DEP_1) | instskip(NEXT) | instid1(VALU_DEP_2)
	v_add_f32_e32 v4, v4, v15
	v_add_f32_e32 v6, v12, v8
	s_delay_alu instid0(VALU_DEP_1) | instskip(NEXT) | instid1(VALU_DEP_1)
	v_dual_sub_f32 v13, v7, v6 :: v_dual_mov_b32 v9, v6
	v_pk_add_f32 v[6:7], v[6:7], v[12:13] neg_lo:[0,1] neg_hi:[0,1]
	v_add_f32_e32 v12, v17, v19
	s_delay_alu instid0(VALU_DEP_2) | instskip(SKIP_1) | instid1(VALU_DEP_2)
	v_pk_add_f32 v[6:7], v[6:7], v[8:9] neg_lo:[0,1] neg_hi:[0,1]
	v_cvt_f32_i32_e32 v8, v14
	v_add_f32_e32 v4, v4, v7
	s_delay_alu instid0(VALU_DEP_1) | instskip(NEXT) | instid1(VALU_DEP_1)
	v_dual_add_f32 v4, v6, v4 :: v_dual_sub_f32 v6, v12, v17
	v_dual_add_f32 v4, v13, v4 :: v_dual_sub_f32 v6, v19, v6
	s_delay_alu instid0(VALU_DEP_1) | instskip(NEXT) | instid1(VALU_DEP_1)
	v_mul_f32_e32 v4, v16, v4
	v_add_f32_e32 v4, v6, v4
	s_delay_alu instid0(VALU_DEP_1) | instskip(NEXT) | instid1(VALU_DEP_1)
	v_dual_mov_b32 v6, 0x3f317218 :: v_dual_add_f32 v13, v12, v4
	v_mul_f32_e32 v7, v13, v13
	s_delay_alu instid0(VALU_DEP_1) | instskip(SKIP_1) | instid1(VALU_DEP_2)
	v_fmaak_f32 v15, s6, v7, 0x3ecc95a3
	v_mul_f32_e32 v9, v13, v7
	v_fmaak_f32 v7, v7, v15, 0x3f2aaada
	s_delay_alu instid0(VALU_DEP_1) | instskip(SKIP_1) | instid1(VALU_DEP_2)
	v_pk_mul_f32 v[6:7], v[8:9], v[6:7]
	v_ldexp_f32 v9, v13, 1
	v_fma_f32 v14, 0x3f317218, v8, -v6
	s_delay_alu instid0(VALU_DEP_1) | instskip(SKIP_1) | instid1(VALU_DEP_2)
	v_fmamk_f32 v8, v8, 0xb102e308, v14
	v_sub_f32_e32 v14, v13, v12
	v_pk_add_f32 v[12:13], v[6:7], v[8:9]
	s_delay_alu instid0(VALU_DEP_1) | instskip(NEXT) | instid1(VALU_DEP_1)
	v_sub_f32_e32 v9, v13, v9
	v_dual_sub_f32 v9, v7, v9 :: v_dual_sub_f32 v4, v4, v14
	v_mov_b32_e32 v14, v6
	s_delay_alu instid0(VALU_DEP_4) | instskip(NEXT) | instid1(VALU_DEP_3)
	v_pk_add_f32 v[6:7], v[12:13], v[6:7] neg_lo:[0,1] neg_hi:[0,1]
	v_ldexp_f32 v4, v4, 1
	s_delay_alu instid0(VALU_DEP_1) | instskip(SKIP_1) | instid1(VALU_DEP_2)
	v_add_f32_e32 v15, v4, v9
	v_mov_b32_e32 v9, v12
	v_pk_add_f32 v[16:17], v[12:13], v[14:15]
	s_delay_alu instid0(VALU_DEP_1) | instskip(NEXT) | instid1(VALU_DEP_1)
	v_dual_mov_b32 v22, v13 :: v_dual_mov_b32 v7, v17
	v_pk_add_f32 v[18:19], v[8:9], v[6:7]
	s_delay_alu instid0(VALU_DEP_1) | instskip(SKIP_2) | instid1(VALU_DEP_3)
	v_dual_mov_b32 v18, v17 :: v_dual_mov_b32 v4, v19
	v_pk_add_f32 v[6:7], v[8:9], v[6:7] neg_lo:[0,1] neg_hi:[0,1]
	v_mov_b32_e32 v7, v19
	v_pk_add_f32 v[20:21], v[4:5], v[12:13] neg_lo:[0,1] neg_hi:[0,1]
	v_dual_mov_b32 v13, v12 :: v_dual_mov_b32 v12, v15
	s_delay_alu instid0(VALU_DEP_2) | instskip(NEXT) | instid1(VALU_DEP_1)
	v_dual_mov_b32 v15, v20 :: v_dual_mov_b32 v23, v20
	v_pk_add_f32 v[14:15], v[16:17], v[14:15] neg_lo:[0,1] neg_hi:[0,1]
	s_delay_alu instid0(VALU_DEP_2) | instskip(SKIP_1) | instid1(VALU_DEP_2)
	v_pk_add_f32 v[8:9], v[18:19], v[22:23] neg_lo:[0,1] neg_hi:[0,1]
	v_mov_b32_e32 v14, v6
	v_pk_add_f32 v[8:9], v[12:13], v[8:9] neg_lo:[0,1] neg_hi:[0,1]
	s_delay_alu instid0(VALU_DEP_1) | instskip(NEXT) | instid1(VALU_DEP_1)
	v_pk_add_f32 v[12:13], v[14:15], v[8:9]
	v_mov_b32_e32 v14, v13
	s_delay_alu instid0(VALU_DEP_1) | instskip(NEXT) | instid1(VALU_DEP_1)
	v_pk_add_f32 v[14:15], v[12:13], v[14:15]
	v_pk_add_f32 v[16:17], v[4:5], v[14:15]
	s_delay_alu instid0(VALU_DEP_1) | instskip(NEXT) | instid1(VALU_DEP_1)
	v_mov_b32_e32 v13, v16
	v_pk_add_f32 v[18:19], v[12:13], v[6:7] neg_lo:[0,1] neg_hi:[0,1]
	s_delay_alu instid0(VALU_DEP_1) | instskip(NEXT) | instid1(VALU_DEP_1)
	v_dual_mov_b32 v9, v14 :: v_dual_sub_f32 v4, v12, v18
	v_pk_add_f32 v[8:9], v[8:9], v[18:19] neg_lo:[0,1] neg_hi:[0,1]
	s_delay_alu instid0(VALU_DEP_2) | instskip(NEXT) | instid1(VALU_DEP_1)
	v_sub_f32_e32 v4, v6, v4
	v_add_f32_e32 v4, v8, v4
	s_delay_alu instid0(VALU_DEP_1) | instskip(NEXT) | instid1(VALU_DEP_1)
	v_add_f32_e32 v4, v4, v9
	v_add_f32_e32 v4, v16, v4
	s_delay_alu instid0(VALU_DEP_1) | instskip(SKIP_1) | instid1(VALU_DEP_2)
	v_cndmask_b32_e32 v4, 0x7f800000, v4, vcc_lo
	v_cmp_gt_f32_e64 vcc_lo, 0x33800000, |v24|
	v_cndmask_b32_e32 v4, v4, v24, vcc_lo
	s_delay_alu instid0(VALU_DEP_1) | instskip(NEXT) | instid1(VALU_DEP_1)
	v_div_scale_f32 v6, null, s9, s9, v4
	v_rcp_f32_e32 v7, v6
	v_nop
	s_delay_alu instid0(TRANS32_DEP_1) | instskip(NEXT) | instid1(VALU_DEP_1)
	v_fma_f32 v8, -v6, v7, 1.0
	v_fmac_f32_e32 v7, v8, v7
	v_div_scale_f32 v8, vcc_lo, v4, s9, v4
	s_delay_alu instid0(VALU_DEP_1) | instskip(NEXT) | instid1(VALU_DEP_1)
	v_mul_f32_e32 v9, v8, v7
	v_fma_f32 v12, -v6, v9, v8
	s_delay_alu instid0(VALU_DEP_1) | instskip(NEXT) | instid1(VALU_DEP_1)
	v_fmac_f32_e32 v9, v12, v7
	v_fma_f32 v6, -v6, v9, v8
	s_delay_alu instid0(VALU_DEP_1) | instskip(NEXT) | instid1(VALU_DEP_1)
	v_div_fmas_f32 v6, v6, v7, v9
	v_div_fixup_f32 v12, v6, s9, v4
.LBB8_30:
	s_or_b32 exec_lo, exec_lo, s3
	s_delay_alu instid0(VALU_DEP_1)
	v_mov_b32_e32 v4, v12
.LBB8_31:
	s_or_b32 exec_lo, exec_lo, s1
	v_or_b32_e32 v6, 0x300, v0
	s_mov_b32 s1, exec_lo
	s_delay_alu instid0(VALU_DEP_1)
	v_cmpx_gt_i32_e64 s8, v6
	s_cbranch_execnz .LBB8_38
; %bb.32:
	s_or_b32 exec_lo, exec_lo, s1
	s_and_saveexec_b32 s1, s0
	s_delay_alu instid0(SALU_CYCLE_1)
	s_xor_b32 s0, exec_lo, s1
	s_cbranch_execnz .LBB8_41
.LBB8_33:
	s_or_b32 exec_lo, exec_lo, s0
	s_delay_alu instid0(SALU_CYCLE_1)
	s_mov_b32 s0, exec_lo
	v_cmpx_gt_i32_e64 s8, v0
	s_cbranch_execnz .LBB8_42
.LBB8_34:
	s_or_b32 exec_lo, exec_lo, s0
	s_delay_alu instid0(SALU_CYCLE_1)
	s_mov_b32 s0, exec_lo
	v_cmpx_gt_i32_e64 s8, v0
	s_cbranch_execnz .LBB8_43
.LBB8_35:
	s_or_b32 exec_lo, exec_lo, s0
	s_delay_alu instid0(SALU_CYCLE_1)
	s_mov_b32 s0, exec_lo
	v_cmpx_gt_i32_e64 s8, v0
	s_cbranch_execz .LBB8_37
.LBB8_36:
	v_add_nc_u32_e32 v0, s2, v0
	global_store_b32 v0, v5, s[4:5] scale_offset
.LBB8_37:
	s_endpgm
.LBB8_38:
	v_mul_f32_e32 v5, s9, v11
	s_mov_b32 s3, exec_lo
	s_delay_alu instid0(VALU_DEP_1)
	v_cmpx_nlt_f32_e32 s10, v5
	s_cbranch_execz .LBB8_40
; %bb.39:
	v_mul_f32_e32 v6, 0x3fb8aa3b, v5
	v_cmp_ngt_f32_e32 vcc_lo, 0xc2ce8ed0, v5
	s_mov_b32 s6, 0x3e9b6dac
	s_delay_alu instid0(VALU_DEP_2) | instskip(SKIP_1) | instid1(VALU_DEP_2)
	v_rndne_f32_e32 v7, v6
	v_fma_f32 v8, 0x3fb8aa3b, v5, -v6
	v_sub_f32_e32 v6, v6, v7
	s_delay_alu instid0(VALU_DEP_2) | instskip(SKIP_1) | instid1(VALU_DEP_2)
	v_fmamk_f32 v8, v5, 0x32a5705f, v8
	v_cvt_i32_f32_e32 v7, v7
	v_add_f32_e32 v6, v6, v8
	s_delay_alu instid0(VALU_DEP_1) | instskip(SKIP_1) | instid1(TRANS32_DEP_1)
	v_exp_f32_e32 v6, v6
	v_nop
	v_ldexp_f32 v6, v6, v7
	s_delay_alu instid0(VALU_DEP_1) | instskip(SKIP_1) | instid1(VALU_DEP_2)
	v_cndmask_b32_e32 v6, 0, v6, vcc_lo
	v_cmp_nlt_f32_e32 vcc_lo, 0x42b17218, v5
	v_cndmask_b32_e32 v11, 0x7f800000, v6, vcc_lo
	s_delay_alu instid0(VALU_DEP_1) | instskip(NEXT) | instid1(VALU_DEP_1)
	v_add_f32_e32 v5, 1.0, v11
	v_cvt_f64_f32_e32 v[6:7], v5
	s_delay_alu instid0(VALU_DEP_1) | instskip(SKIP_1) | instid1(VALU_DEP_1)
	v_frexp_exp_i32_f64_e32 v6, v[6:7]
	v_frexp_mant_f32_e32 v7, v5
	v_cmp_gt_f32_e32 vcc_lo, 0x3f2aaaab, v7
	s_delay_alu instid0(VALU_DEP_3) | instskip(SKIP_2) | instid1(VALU_DEP_2)
	v_subrev_co_ci_u32_e64 v14, null, 0, v6, vcc_lo
	v_add_f32_e32 v6, -1.0, v5
	v_cmp_neq_f32_e32 vcc_lo, 0x7f800000, v11
	v_dual_sub_f32 v8, v6, v5 :: v_dual_sub_nc_u32 v7, 0, v14
	v_sub_f32_e32 v6, v11, v6
	s_delay_alu instid0(VALU_DEP_2) | instskip(NEXT) | instid1(VALU_DEP_1)
	v_ldexp_f32 v5, v5, v7
	v_dual_add_f32 v8, 1.0, v8 :: v_dual_add_f32 v9, 1.0, v5
	s_delay_alu instid0(VALU_DEP_1) | instskip(NEXT) | instid1(VALU_DEP_2)
	v_dual_add_f32 v13, -1.0, v5 :: v_dual_add_f32 v6, v6, v8
	v_add_f32_e32 v8, -1.0, v9
	s_delay_alu instid0(VALU_DEP_2) | instskip(NEXT) | instid1(VALU_DEP_2)
	v_ldexp_f32 v6, v6, v7
	v_dual_sub_f32 v7, v5, v8 :: v_dual_add_f32 v8, 1.0, v13
	s_delay_alu instid0(VALU_DEP_1) | instskip(NEXT) | instid1(VALU_DEP_1)
	v_dual_add_f32 v12, v6, v7 :: v_dual_sub_f32 v5, v5, v8
	v_dual_add_f32 v15, v9, v12 :: v_dual_add_f32 v5, v6, v5
	s_delay_alu instid0(VALU_DEP_1) | instskip(SKIP_1) | instid1(VALU_DEP_1)
	v_rcp_f32_e32 v16, v15
	v_sub_f32_e32 v6, v9, v15
	v_dual_add_f32 v7, v13, v5 :: v_dual_add_f32 v18, v12, v6
	s_delay_alu instid0(TRANS32_DEP_1) | instid1(VALU_DEP_1)
	v_dual_mul_f32 v17, v7, v16 :: v_dual_sub_f32 v19, v13, v7
	s_delay_alu instid0(VALU_DEP_1) | instskip(NEXT) | instid1(VALU_DEP_1)
	v_dual_mul_f32 v8, v15, v17 :: v_dual_add_f32 v5, v5, v19
	v_fma_f32 v12, v17, v15, -v8
	s_delay_alu instid0(VALU_DEP_1) | instskip(NEXT) | instid1(VALU_DEP_1)
	v_fmac_f32_e32 v12, v17, v18
	v_add_f32_e32 v6, v8, v12
	s_delay_alu instid0(VALU_DEP_1) | instskip(NEXT) | instid1(VALU_DEP_1)
	v_dual_sub_f32 v9, v7, v6 :: v_dual_mov_b32 v13, v6
	v_pk_add_f32 v[6:7], v[6:7], v[8:9] neg_lo:[0,1] neg_hi:[0,1]
	s_delay_alu instid0(VALU_DEP_1) | instskip(NEXT) | instid1(VALU_DEP_1)
	v_pk_add_f32 v[6:7], v[6:7], v[12:13] neg_lo:[0,1] neg_hi:[0,1]
	v_add_f32_e32 v5, v5, v7
	s_delay_alu instid0(VALU_DEP_1) | instskip(NEXT) | instid1(VALU_DEP_1)
	v_add_f32_e32 v5, v6, v5
	v_add_f32_e32 v7, v9, v5
	s_delay_alu instid0(VALU_DEP_1) | instskip(NEXT) | instid1(VALU_DEP_1)
	v_mul_f32_e32 v19, v16, v7
	v_mul_f32_e32 v12, v15, v19
	s_delay_alu instid0(VALU_DEP_1) | instskip(NEXT) | instid1(VALU_DEP_1)
	v_fma_f32 v8, v19, v15, -v12
	v_dual_sub_f32 v15, v9, v7 :: v_dual_fmac_f32 v8, v19, v18
	s_delay_alu instid0(VALU_DEP_1) | instskip(NEXT) | instid1(VALU_DEP_1)
	v_dual_add_f32 v5, v5, v15 :: v_dual_add_f32 v6, v12, v8
	v_dual_sub_f32 v13, v7, v6 :: v_dual_mov_b32 v9, v6
	s_delay_alu instid0(VALU_DEP_1) | instskip(NEXT) | instid1(VALU_DEP_1)
	v_pk_add_f32 v[6:7], v[6:7], v[12:13] neg_lo:[0,1] neg_hi:[0,1]
	v_pk_add_f32 v[6:7], v[6:7], v[8:9] neg_lo:[0,1] neg_hi:[0,1]
	v_add_f32_e32 v12, v17, v19
	v_cvt_f32_i32_e32 v8, v14
	s_delay_alu instid0(VALU_DEP_3) | instskip(NEXT) | instid1(VALU_DEP_1)
	v_add_f32_e32 v5, v5, v7
	v_add_f32_e32 v5, v6, v5
	s_delay_alu instid0(VALU_DEP_4) | instskip(NEXT) | instid1(VALU_DEP_1)
	v_sub_f32_e32 v6, v12, v17
	v_dual_add_f32 v5, v13, v5 :: v_dual_sub_f32 v6, v19, v6
	s_delay_alu instid0(VALU_DEP_1) | instskip(NEXT) | instid1(VALU_DEP_1)
	v_mul_f32_e32 v5, v16, v5
	v_dual_add_f32 v5, v6, v5 :: v_dual_mov_b32 v6, 0x3f317218
	s_delay_alu instid0(VALU_DEP_1) | instskip(NEXT) | instid1(VALU_DEP_1)
	v_add_f32_e32 v13, v12, v5
	v_mul_f32_e32 v7, v13, v13
	s_delay_alu instid0(VALU_DEP_1) | instskip(SKIP_1) | instid1(VALU_DEP_2)
	v_fmaak_f32 v15, s6, v7, 0x3ecc95a3
	v_mul_f32_e32 v9, v13, v7
	v_fmaak_f32 v7, v7, v15, 0x3f2aaada
	s_delay_alu instid0(VALU_DEP_1) | instskip(NEXT) | instid1(VALU_DEP_1)
	v_pk_mul_f32 v[6:7], v[8:9], v[6:7]
	v_fma_f32 v14, 0x3f317218, v8, -v6
	s_delay_alu instid0(VALU_DEP_1) | instskip(SKIP_1) | instid1(VALU_DEP_1)
	v_fmamk_f32 v8, v8, 0xb102e308, v14
	v_sub_f32_e32 v14, v13, v12
	v_sub_f32_e32 v5, v5, v14
	v_ldexp_f32 v9, v13, 1
	v_mov_b32_e32 v14, v6
	s_delay_alu instid0(VALU_DEP_3) | instskip(NEXT) | instid1(VALU_DEP_3)
	v_ldexp_f32 v5, v5, 1
	v_pk_add_f32 v[12:13], v[6:7], v[8:9]
	s_delay_alu instid0(VALU_DEP_1) | instskip(NEXT) | instid1(VALU_DEP_1)
	v_sub_f32_e32 v9, v13, v9
	v_sub_f32_e32 v9, v7, v9
	s_delay_alu instid0(VALU_DEP_3) | instskip(NEXT) | instid1(VALU_DEP_2)
	v_pk_add_f32 v[6:7], v[12:13], v[6:7] neg_lo:[0,1] neg_hi:[0,1]
	v_dual_add_f32 v15, v5, v9 :: v_dual_mov_b32 v9, v12
	s_delay_alu instid0(VALU_DEP_1) | instskip(NEXT) | instid1(VALU_DEP_1)
	v_pk_add_f32 v[16:17], v[12:13], v[14:15]
	v_dual_mov_b32 v22, v13 :: v_dual_mov_b32 v7, v17
	s_delay_alu instid0(VALU_DEP_1) | instskip(SKIP_2) | instid1(VALU_DEP_3)
	v_pk_add_f32 v[18:19], v[8:9], v[6:7]
	v_mov_b32_e32 v18, v17
	v_pk_add_f32 v[6:7], v[8:9], v[6:7] neg_lo:[0,1] neg_hi:[0,1]
	v_dual_mov_b32 v14, v19 :: v_dual_mov_b32 v7, v19
	s_delay_alu instid0(VALU_DEP_1) | instskip(SKIP_1) | instid1(VALU_DEP_2)
	v_pk_add_f32 v[20:21], v[14:15], v[12:13] neg_lo:[0,1] neg_hi:[0,1]
	v_dual_mov_b32 v13, v12 :: v_dual_mov_b32 v12, v15
	v_dual_mov_b32 v5, v20 :: v_dual_mov_b32 v23, v20
	s_delay_alu instid0(VALU_DEP_1) | instskip(NEXT) | instid1(VALU_DEP_2)
	v_pk_add_f32 v[16:17], v[16:17], v[4:5] neg_lo:[0,1] neg_hi:[0,1]
	v_pk_add_f32 v[8:9], v[18:19], v[22:23] neg_lo:[0,1] neg_hi:[0,1]
	v_mov_b32_e32 v16, v6
	s_delay_alu instid0(VALU_DEP_2) | instskip(NEXT) | instid1(VALU_DEP_1)
	v_pk_add_f32 v[8:9], v[12:13], v[8:9] neg_lo:[0,1] neg_hi:[0,1]
	v_pk_add_f32 v[12:13], v[16:17], v[8:9]
	s_delay_alu instid0(VALU_DEP_1) | instskip(NEXT) | instid1(VALU_DEP_1)
	v_mov_b32_e32 v16, v13
	v_pk_add_f32 v[16:17], v[12:13], v[16:17]
	s_delay_alu instid0(VALU_DEP_1) | instskip(NEXT) | instid1(VALU_DEP_1)
	v_pk_add_f32 v[14:15], v[14:15], v[16:17]
	v_mov_b32_e32 v13, v14
	s_delay_alu instid0(VALU_DEP_1) | instskip(NEXT) | instid1(VALU_DEP_1)
	v_pk_add_f32 v[18:19], v[12:13], v[6:7] neg_lo:[0,1] neg_hi:[0,1]
	v_sub_f32_e32 v5, v12, v18
	s_delay_alu instid0(VALU_DEP_1) | instskip(NEXT) | instid1(VALU_DEP_1)
	v_dual_mov_b32 v9, v16 :: v_dual_sub_f32 v5, v6, v5
	v_pk_add_f32 v[8:9], v[8:9], v[18:19] neg_lo:[0,1] neg_hi:[0,1]
	s_delay_alu instid0(VALU_DEP_1) | instskip(NEXT) | instid1(VALU_DEP_1)
	v_add_f32_e32 v5, v8, v5
	v_add_f32_e32 v5, v5, v9
	s_delay_alu instid0(VALU_DEP_1) | instskip(NEXT) | instid1(VALU_DEP_1)
	v_add_f32_e32 v5, v14, v5
	v_cndmask_b32_e32 v5, 0x7f800000, v5, vcc_lo
	v_cmp_gt_f32_e64 vcc_lo, 0x33800000, |v11|
	s_delay_alu instid0(VALU_DEP_2) | instskip(NEXT) | instid1(VALU_DEP_1)
	v_cndmask_b32_e32 v5, v5, v11, vcc_lo
	v_div_scale_f32 v6, null, s9, s9, v5
	s_delay_alu instid0(VALU_DEP_1) | instskip(SKIP_1) | instid1(TRANS32_DEP_1)
	v_rcp_f32_e32 v7, v6
	v_nop
	v_fma_f32 v8, -v6, v7, 1.0
	s_delay_alu instid0(VALU_DEP_1) | instskip(SKIP_1) | instid1(VALU_DEP_1)
	v_fmac_f32_e32 v7, v8, v7
	v_div_scale_f32 v8, vcc_lo, v5, s9, v5
	v_mul_f32_e32 v9, v8, v7
	s_delay_alu instid0(VALU_DEP_1) | instskip(NEXT) | instid1(VALU_DEP_1)
	v_fma_f32 v11, -v6, v9, v8
	v_fmac_f32_e32 v9, v11, v7
	s_delay_alu instid0(VALU_DEP_1) | instskip(NEXT) | instid1(VALU_DEP_1)
	v_fma_f32 v6, -v6, v9, v8
	v_div_fmas_f32 v6, v6, v7, v9
	s_delay_alu instid0(VALU_DEP_1)
	v_div_fixup_f32 v11, v6, s9, v5
.LBB8_40:
	s_or_b32 exec_lo, exec_lo, s3
	s_delay_alu instid0(VALU_DEP_1) | instskip(SKIP_2) | instid1(SALU_CYCLE_1)
	v_mov_b32_e32 v5, v11
	s_or_b32 exec_lo, exec_lo, s1
	s_and_saveexec_b32 s1, s0
	s_xor_b32 s0, exec_lo, s1
	s_cbranch_execz .LBB8_33
.LBB8_41:
	v_mov_b32_e32 v0, v10
	global_store_b32 v1, v2, s[4:5] scale_offset
	s_wait_xcnt 0x0
	s_or_b32 exec_lo, exec_lo, s0
	s_delay_alu instid0(SALU_CYCLE_1)
	s_mov_b32 s0, exec_lo
	v_cmpx_gt_i32_e64 s8, v0
	s_cbranch_execz .LBB8_34
.LBB8_42:
	v_add_nc_u32_e32 v1, s2, v0
	v_add_nc_u32_e32 v0, 0x100, v0
	global_store_b32 v1, v3, s[4:5] scale_offset
	s_wait_xcnt 0x0
	s_or_b32 exec_lo, exec_lo, s0
	s_delay_alu instid0(SALU_CYCLE_1)
	s_mov_b32 s0, exec_lo
	v_cmpx_gt_i32_e64 s8, v0
	s_cbranch_execz .LBB8_35
.LBB8_43:
	v_add_nc_u32_e32 v1, s2, v0
	v_add_nc_u32_e32 v0, 0x100, v0
	global_store_b32 v1, v4, s[4:5] scale_offset
	s_wait_xcnt 0x0
	s_or_b32 exec_lo, exec_lo, s0
	s_delay_alu instid0(SALU_CYCLE_1)
	s_mov_b32 s0, exec_lo
	v_cmpx_gt_i32_e64 s8, v0
	s_cbranch_execnz .LBB8_36
	s_branch .LBB8_37
	.section	.rodata,"a",@progbits
	.p2align	6, 0x0
	.amdhsa_kernel _ZN2at6native29vectorized_elementwise_kernelILi16EZZZNS0_12_GLOBAL__N_115softplus_kernelERNS_18TensorIteratorBaseERKN3c106ScalarES8_ENKUlvE_clEvENKUlvE0_clEvEUlfE_St5arrayIPcLm2EEEEviT0_T1_
		.amdhsa_group_segment_fixed_size 0
		.amdhsa_private_segment_fixed_size 0
		.amdhsa_kernarg_size 32
		.amdhsa_user_sgpr_count 2
		.amdhsa_user_sgpr_dispatch_ptr 0
		.amdhsa_user_sgpr_queue_ptr 0
		.amdhsa_user_sgpr_kernarg_segment_ptr 1
		.amdhsa_user_sgpr_dispatch_id 0
		.amdhsa_user_sgpr_kernarg_preload_length 0
		.amdhsa_user_sgpr_kernarg_preload_offset 0
		.amdhsa_user_sgpr_private_segment_size 0
		.amdhsa_wavefront_size32 1
		.amdhsa_uses_dynamic_stack 0
		.amdhsa_enable_private_segment 0
		.amdhsa_system_sgpr_workgroup_id_x 1
		.amdhsa_system_sgpr_workgroup_id_y 0
		.amdhsa_system_sgpr_workgroup_id_z 0
		.amdhsa_system_sgpr_workgroup_info 0
		.amdhsa_system_vgpr_workitem_id 0
		.amdhsa_next_free_vgpr 26
		.amdhsa_next_free_sgpr 14
		.amdhsa_named_barrier_count 0
		.amdhsa_reserve_vcc 1
		.amdhsa_float_round_mode_32 0
		.amdhsa_float_round_mode_16_64 0
		.amdhsa_float_denorm_mode_32 3
		.amdhsa_float_denorm_mode_16_64 3
		.amdhsa_fp16_overflow 0
		.amdhsa_memory_ordered 1
		.amdhsa_forward_progress 1
		.amdhsa_inst_pref_size 72
		.amdhsa_round_robin_scheduling 0
		.amdhsa_exception_fp_ieee_invalid_op 0
		.amdhsa_exception_fp_denorm_src 0
		.amdhsa_exception_fp_ieee_div_zero 0
		.amdhsa_exception_fp_ieee_overflow 0
		.amdhsa_exception_fp_ieee_underflow 0
		.amdhsa_exception_fp_ieee_inexact 0
		.amdhsa_exception_int_div_zero 0
	.end_amdhsa_kernel
	.section	.text._ZN2at6native29vectorized_elementwise_kernelILi16EZZZNS0_12_GLOBAL__N_115softplus_kernelERNS_18TensorIteratorBaseERKN3c106ScalarES8_ENKUlvE_clEvENKUlvE0_clEvEUlfE_St5arrayIPcLm2EEEEviT0_T1_,"axG",@progbits,_ZN2at6native29vectorized_elementwise_kernelILi16EZZZNS0_12_GLOBAL__N_115softplus_kernelERNS_18TensorIteratorBaseERKN3c106ScalarES8_ENKUlvE_clEvENKUlvE0_clEvEUlfE_St5arrayIPcLm2EEEEviT0_T1_,comdat
.Lfunc_end8:
	.size	_ZN2at6native29vectorized_elementwise_kernelILi16EZZZNS0_12_GLOBAL__N_115softplus_kernelERNS_18TensorIteratorBaseERKN3c106ScalarES8_ENKUlvE_clEvENKUlvE0_clEvEUlfE_St5arrayIPcLm2EEEEviT0_T1_, .Lfunc_end8-_ZN2at6native29vectorized_elementwise_kernelILi16EZZZNS0_12_GLOBAL__N_115softplus_kernelERNS_18TensorIteratorBaseERKN3c106ScalarES8_ENKUlvE_clEvENKUlvE0_clEvEUlfE_St5arrayIPcLm2EEEEviT0_T1_
                                        ; -- End function
	.set _ZN2at6native29vectorized_elementwise_kernelILi16EZZZNS0_12_GLOBAL__N_115softplus_kernelERNS_18TensorIteratorBaseERKN3c106ScalarES8_ENKUlvE_clEvENKUlvE0_clEvEUlfE_St5arrayIPcLm2EEEEviT0_T1_.num_vgpr, 26
	.set _ZN2at6native29vectorized_elementwise_kernelILi16EZZZNS0_12_GLOBAL__N_115softplus_kernelERNS_18TensorIteratorBaseERKN3c106ScalarES8_ENKUlvE_clEvENKUlvE0_clEvEUlfE_St5arrayIPcLm2EEEEviT0_T1_.num_agpr, 0
	.set _ZN2at6native29vectorized_elementwise_kernelILi16EZZZNS0_12_GLOBAL__N_115softplus_kernelERNS_18TensorIteratorBaseERKN3c106ScalarES8_ENKUlvE_clEvENKUlvE0_clEvEUlfE_St5arrayIPcLm2EEEEviT0_T1_.numbered_sgpr, 14
	.set _ZN2at6native29vectorized_elementwise_kernelILi16EZZZNS0_12_GLOBAL__N_115softplus_kernelERNS_18TensorIteratorBaseERKN3c106ScalarES8_ENKUlvE_clEvENKUlvE0_clEvEUlfE_St5arrayIPcLm2EEEEviT0_T1_.num_named_barrier, 0
	.set _ZN2at6native29vectorized_elementwise_kernelILi16EZZZNS0_12_GLOBAL__N_115softplus_kernelERNS_18TensorIteratorBaseERKN3c106ScalarES8_ENKUlvE_clEvENKUlvE0_clEvEUlfE_St5arrayIPcLm2EEEEviT0_T1_.private_seg_size, 0
	.set _ZN2at6native29vectorized_elementwise_kernelILi16EZZZNS0_12_GLOBAL__N_115softplus_kernelERNS_18TensorIteratorBaseERKN3c106ScalarES8_ENKUlvE_clEvENKUlvE0_clEvEUlfE_St5arrayIPcLm2EEEEviT0_T1_.uses_vcc, 1
	.set _ZN2at6native29vectorized_elementwise_kernelILi16EZZZNS0_12_GLOBAL__N_115softplus_kernelERNS_18TensorIteratorBaseERKN3c106ScalarES8_ENKUlvE_clEvENKUlvE0_clEvEUlfE_St5arrayIPcLm2EEEEviT0_T1_.uses_flat_scratch, 0
	.set _ZN2at6native29vectorized_elementwise_kernelILi16EZZZNS0_12_GLOBAL__N_115softplus_kernelERNS_18TensorIteratorBaseERKN3c106ScalarES8_ENKUlvE_clEvENKUlvE0_clEvEUlfE_St5arrayIPcLm2EEEEviT0_T1_.has_dyn_sized_stack, 0
	.set _ZN2at6native29vectorized_elementwise_kernelILi16EZZZNS0_12_GLOBAL__N_115softplus_kernelERNS_18TensorIteratorBaseERKN3c106ScalarES8_ENKUlvE_clEvENKUlvE0_clEvEUlfE_St5arrayIPcLm2EEEEviT0_T1_.has_recursion, 0
	.set _ZN2at6native29vectorized_elementwise_kernelILi16EZZZNS0_12_GLOBAL__N_115softplus_kernelERNS_18TensorIteratorBaseERKN3c106ScalarES8_ENKUlvE_clEvENKUlvE0_clEvEUlfE_St5arrayIPcLm2EEEEviT0_T1_.has_indirect_call, 0
	.section	.AMDGPU.csdata,"",@progbits
; Kernel info:
; codeLenInByte = 9092
; TotalNumSgprs: 16
; NumVgprs: 26
; ScratchSize: 0
; MemoryBound: 0
; FloatMode: 240
; IeeeMode: 1
; LDSByteSize: 0 bytes/workgroup (compile time only)
; SGPRBlocks: 0
; VGPRBlocks: 1
; NumSGPRsForWavesPerEU: 16
; NumVGPRsForWavesPerEU: 26
; NamedBarCnt: 0
; Occupancy: 16
; WaveLimiterHint : 0
; COMPUTE_PGM_RSRC2:SCRATCH_EN: 0
; COMPUTE_PGM_RSRC2:USER_SGPR: 2
; COMPUTE_PGM_RSRC2:TRAP_HANDLER: 0
; COMPUTE_PGM_RSRC2:TGID_X_EN: 1
; COMPUTE_PGM_RSRC2:TGID_Y_EN: 0
; COMPUTE_PGM_RSRC2:TGID_Z_EN: 0
; COMPUTE_PGM_RSRC2:TIDIG_COMP_CNT: 0
	.section	.text._ZN2at6native29vectorized_elementwise_kernelILi8EZZZNS0_12_GLOBAL__N_115softplus_kernelERNS_18TensorIteratorBaseERKN3c106ScalarES8_ENKUlvE_clEvENKUlvE0_clEvEUlfE_St5arrayIPcLm2EEEEviT0_T1_,"axG",@progbits,_ZN2at6native29vectorized_elementwise_kernelILi8EZZZNS0_12_GLOBAL__N_115softplus_kernelERNS_18TensorIteratorBaseERKN3c106ScalarES8_ENKUlvE_clEvENKUlvE0_clEvEUlfE_St5arrayIPcLm2EEEEviT0_T1_,comdat
	.globl	_ZN2at6native29vectorized_elementwise_kernelILi8EZZZNS0_12_GLOBAL__N_115softplus_kernelERNS_18TensorIteratorBaseERKN3c106ScalarES8_ENKUlvE_clEvENKUlvE0_clEvEUlfE_St5arrayIPcLm2EEEEviT0_T1_ ; -- Begin function _ZN2at6native29vectorized_elementwise_kernelILi8EZZZNS0_12_GLOBAL__N_115softplus_kernelERNS_18TensorIteratorBaseERKN3c106ScalarES8_ENKUlvE_clEvENKUlvE0_clEvEUlfE_St5arrayIPcLm2EEEEviT0_T1_
	.p2align	8
	.type	_ZN2at6native29vectorized_elementwise_kernelILi8EZZZNS0_12_GLOBAL__N_115softplus_kernelERNS_18TensorIteratorBaseERKN3c106ScalarES8_ENKUlvE_clEvENKUlvE0_clEvEUlfE_St5arrayIPcLm2EEEEviT0_T1_,@function
_ZN2at6native29vectorized_elementwise_kernelILi8EZZZNS0_12_GLOBAL__N_115softplus_kernelERNS_18TensorIteratorBaseERKN3c106ScalarES8_ENKUlvE_clEvENKUlvE0_clEvEUlfE_St5arrayIPcLm2EEEEviT0_T1_: ; @_ZN2at6native29vectorized_elementwise_kernelILi8EZZZNS0_12_GLOBAL__N_115softplus_kernelERNS_18TensorIteratorBaseERKN3c106ScalarES8_ENKUlvE_clEvENKUlvE0_clEvEUlfE_St5arrayIPcLm2EEEEviT0_T1_
; %bb.0:
	s_clause 0x1
	s_load_b96 s[8:10], s[0:1], 0x0
	s_load_b128 s[4:7], s[0:1], 0x10
	s_wait_xcnt 0x0
	s_bfe_u32 s0, ttmp6, 0x4000c
	s_and_b32 s1, ttmp6, 15
	s_add_co_i32 s0, s0, 1
	s_getreg_b32 s2, hwreg(HW_REG_IB_STS2, 6, 4)
	s_mul_i32 s0, ttmp9, s0
	s_delay_alu instid0(SALU_CYCLE_1) | instskip(SKIP_2) | instid1(SALU_CYCLE_1)
	s_add_co_i32 s1, s1, s0
	s_cmp_eq_u32 s2, 0
	s_cselect_b32 s0, ttmp9, s1
	s_lshl_b32 s2, s0, 10
	s_mov_b32 s0, -1
	s_wait_kmcnt 0x0
	s_sub_co_i32 s8, s8, s2
	s_delay_alu instid0(SALU_CYCLE_1)
	s_cmp_gt_i32 s8, 0x3ff
	s_cbranch_scc0 .LBB9_10
; %bb.1:
	s_ashr_i32 s3, s2, 31
	s_delay_alu instid0(SALU_CYCLE_1)
	s_lshl_b64 s[0:1], s[2:3], 2
	s_mov_b32 s3, exec_lo
	s_add_nc_u64 s[12:13], s[6:7], s[0:1]
	global_load_b128 v[2:5], v0, s[12:13] scale_offset
	s_wait_loadcnt 0x0
	v_mul_f32_e32 v1, s9, v2
	s_delay_alu instid0(VALU_DEP_1)
	v_cmpx_nlt_f32_e32 s10, v1
	s_cbranch_execz .LBB9_3
; %bb.2:
	v_mul_f32_e32 v2, 0x3fb8aa3b, v1
	v_cmp_ngt_f32_e32 vcc_lo, 0xc2ce8ed0, v1
	s_mov_b32 s11, 0x3e9b6dac
	s_delay_alu instid0(VALU_DEP_2) | instskip(SKIP_1) | instid1(VALU_DEP_1)
	v_rndne_f32_e32 v6, v2
	v_fma_f32 v7, 0x3fb8aa3b, v1, -v2
	v_dual_sub_f32 v2, v2, v6 :: v_dual_fmamk_f32 v7, v1, 0x32a5705f, v7
	v_cvt_i32_f32_e32 v6, v6
	s_delay_alu instid0(VALU_DEP_2) | instskip(NEXT) | instid1(VALU_DEP_1)
	v_add_f32_e32 v2, v2, v7
	v_exp_f32_e32 v2, v2
	v_nop
	s_delay_alu instid0(TRANS32_DEP_1) | instskip(NEXT) | instid1(VALU_DEP_1)
	v_ldexp_f32 v2, v2, v6
	v_cndmask_b32_e32 v2, 0, v2, vcc_lo
	v_cmp_nlt_f32_e32 vcc_lo, 0x42b17218, v1
	s_delay_alu instid0(VALU_DEP_2) | instskip(NEXT) | instid1(VALU_DEP_1)
	v_cndmask_b32_e32 v22, 0x7f800000, v2, vcc_lo
	v_add_f32_e32 v1, 1.0, v22
	s_delay_alu instid0(VALU_DEP_1) | instskip(NEXT) | instid1(VALU_DEP_1)
	v_cvt_f64_f32_e32 v[6:7], v1
	v_frexp_exp_i32_f64_e32 v2, v[6:7]
	v_frexp_mant_f32_e32 v6, v1
	s_delay_alu instid0(VALU_DEP_1) | instskip(SKIP_1) | instid1(VALU_DEP_1)
	v_cmp_gt_f32_e32 vcc_lo, 0x3f2aaaab, v6
	v_add_f32_e32 v6, -1.0, v1
	v_sub_f32_e32 v8, v6, v1
	s_delay_alu instid0(VALU_DEP_1) | instskip(SKIP_1) | instid1(VALU_DEP_1)
	v_add_f32_e32 v8, 1.0, v8
	v_subrev_co_ci_u32_e64 v2, null, 0, v2, vcc_lo
	v_sub_nc_u32_e32 v7, 0, v2
	v_sub_f32_e32 v6, v22, v6
	v_cmp_neq_f32_e32 vcc_lo, 0x7f800000, v22
	s_delay_alu instid0(VALU_DEP_3) | instskip(NEXT) | instid1(VALU_DEP_1)
	v_ldexp_f32 v1, v1, v7
	v_dual_add_f32 v6, v6, v8 :: v_dual_add_f32 v9, 1.0, v1
	s_delay_alu instid0(VALU_DEP_1) | instskip(NEXT) | instid1(VALU_DEP_2)
	v_ldexp_f32 v6, v6, v7
	v_add_f32_e32 v8, -1.0, v9
	s_delay_alu instid0(VALU_DEP_1) | instskip(NEXT) | instid1(VALU_DEP_1)
	v_dual_add_f32 v11, -1.0, v1 :: v_dual_sub_f32 v7, v1, v8
	v_add_f32_e32 v10, v6, v7
	s_delay_alu instid0(VALU_DEP_1) | instskip(NEXT) | instid1(VALU_DEP_1)
	v_dual_add_f32 v8, 1.0, v11 :: v_dual_add_f32 v12, v9, v10
	v_rcp_f32_e32 v13, v12
	s_delay_alu instid0(VALU_DEP_1) | instskip(NEXT) | instid1(VALU_DEP_1)
	v_sub_f32_e32 v1, v1, v8
	v_dual_add_f32 v1, v6, v1 :: v_dual_sub_f32 v6, v9, v12
	s_delay_alu instid0(VALU_DEP_1)
	v_add_f32_e32 v7, v11, v1
	s_delay_alu instid0(TRANS32_DEP_1) | instid1(VALU_DEP_1)
	v_mul_f32_e32 v14, v7, v13
	s_delay_alu instid0(VALU_DEP_1) | instskip(NEXT) | instid1(VALU_DEP_4)
	v_mul_f32_e32 v8, v12, v14
	v_dual_add_f32 v15, v10, v6 :: v_dual_sub_f32 v16, v11, v7
	s_delay_alu instid0(VALU_DEP_2) | instskip(NEXT) | instid1(VALU_DEP_1)
	v_fma_f32 v10, v14, v12, -v8
	v_dual_add_f32 v1, v1, v16 :: v_dual_fmac_f32 v10, v14, v15
	s_delay_alu instid0(VALU_DEP_1) | instskip(NEXT) | instid1(VALU_DEP_1)
	v_add_f32_e32 v6, v8, v10
	v_dual_sub_f32 v9, v7, v6 :: v_dual_mov_b32 v11, v6
	s_delay_alu instid0(VALU_DEP_1) | instskip(NEXT) | instid1(VALU_DEP_1)
	v_pk_add_f32 v[6:7], v[6:7], v[8:9] neg_lo:[0,1] neg_hi:[0,1]
	v_pk_add_f32 v[6:7], v[6:7], v[10:11] neg_lo:[0,1] neg_hi:[0,1]
	s_delay_alu instid0(VALU_DEP_1) | instskip(NEXT) | instid1(VALU_DEP_1)
	v_add_f32_e32 v1, v1, v7
	v_add_f32_e32 v1, v6, v1
	s_delay_alu instid0(VALU_DEP_1) | instskip(NEXT) | instid1(VALU_DEP_1)
	v_add_f32_e32 v7, v9, v1
	v_mul_f32_e32 v16, v13, v7
	s_delay_alu instid0(VALU_DEP_1) | instskip(NEXT) | instid1(VALU_DEP_1)
	v_mul_f32_e32 v10, v12, v16
	v_dual_fma_f32 v8, v16, v12, -v10 :: v_dual_sub_f32 v12, v9, v7
	s_delay_alu instid0(VALU_DEP_1) | instskip(NEXT) | instid1(VALU_DEP_1)
	v_fmac_f32_e32 v8, v16, v15
	v_add_f32_e32 v6, v10, v8
	s_delay_alu instid0(VALU_DEP_1) | instskip(NEXT) | instid1(VALU_DEP_1)
	v_dual_sub_f32 v11, v7, v6 :: v_dual_mov_b32 v9, v6
	v_pk_add_f32 v[6:7], v[6:7], v[10:11] neg_lo:[0,1] neg_hi:[0,1]
	v_add_f32_e32 v10, v14, v16
	v_add_f32_e32 v1, v1, v12
	s_delay_alu instid0(VALU_DEP_3) | instskip(SKIP_1) | instid1(VALU_DEP_2)
	v_pk_add_f32 v[6:7], v[6:7], v[8:9] neg_lo:[0,1] neg_hi:[0,1]
	v_cvt_f32_i32_e32 v8, v2
	v_add_f32_e32 v1, v1, v7
	s_delay_alu instid0(VALU_DEP_1) | instskip(NEXT) | instid1(VALU_DEP_1)
	v_add_f32_e32 v1, v6, v1
	v_dual_sub_f32 v6, v10, v14 :: v_dual_add_f32 v1, v11, v1
	s_delay_alu instid0(VALU_DEP_1) | instskip(NEXT) | instid1(VALU_DEP_1)
	v_dual_sub_f32 v6, v16, v6 :: v_dual_mul_f32 v1, v13, v1
	v_dual_add_f32 v1, v6, v1 :: v_dual_mov_b32 v6, 0x3f317218
	s_delay_alu instid0(VALU_DEP_1) | instskip(NEXT) | instid1(VALU_DEP_1)
	v_add_f32_e32 v11, v10, v1
	v_mul_f32_e32 v7, v11, v11
	s_delay_alu instid0(VALU_DEP_1) | instskip(NEXT) | instid1(VALU_DEP_1)
	v_dual_fmaak_f32 v12, s11, v7, 0x3ecc95a3 :: v_dual_mul_f32 v9, v11, v7
	v_fmaak_f32 v7, v7, v12, 0x3f2aaada
	s_delay_alu instid0(VALU_DEP_1) | instskip(NEXT) | instid1(VALU_DEP_1)
	v_pk_mul_f32 v[6:7], v[8:9], v[6:7]
	v_fma_f32 v2, 0x3f317218, v8, -v6
	v_mov_b32_e32 v12, v6
	s_delay_alu instid0(VALU_DEP_2) | instskip(SKIP_2) | instid1(VALU_DEP_2)
	v_fmamk_f32 v8, v8, 0xb102e308, v2
	v_ldexp_f32 v9, v11, 1
	v_sub_f32_e32 v2, v11, v10
	v_pk_add_f32 v[10:11], v[6:7], v[8:9]
	s_delay_alu instid0(VALU_DEP_1) | instskip(NEXT) | instid1(VALU_DEP_1)
	v_dual_sub_f32 v1, v1, v2 :: v_dual_sub_f32 v2, v11, v9
	v_ldexp_f32 v1, v1, 1
	s_delay_alu instid0(VALU_DEP_3) | instskip(NEXT) | instid1(VALU_DEP_3)
	v_dual_mov_b32 v9, v10 :: v_dual_mov_b32 v20, v11
	v_sub_f32_e32 v2, v7, v2
	v_pk_add_f32 v[6:7], v[10:11], v[6:7] neg_lo:[0,1] neg_hi:[0,1]
	s_delay_alu instid0(VALU_DEP_2) | instskip(NEXT) | instid1(VALU_DEP_1)
	v_add_f32_e32 v13, v1, v2
	v_pk_add_f32 v[14:15], v[10:11], v[12:13]
	s_delay_alu instid0(VALU_DEP_1) | instskip(NEXT) | instid1(VALU_DEP_1)
	v_mov_b32_e32 v7, v15
	v_pk_add_f32 v[16:17], v[8:9], v[6:7]
	v_mov_b32_e32 v16, v15
	v_pk_add_f32 v[6:7], v[8:9], v[6:7] neg_lo:[0,1] neg_hi:[0,1]
	s_delay_alu instid0(VALU_DEP_3) | instskip(NEXT) | instid1(VALU_DEP_1)
	v_dual_mov_b32 v2, v17 :: v_dual_mov_b32 v7, v17
	v_pk_add_f32 v[18:19], v[2:3], v[10:11] neg_lo:[0,1] neg_hi:[0,1]
	v_dual_mov_b32 v11, v10 :: v_dual_mov_b32 v10, v13
	s_delay_alu instid0(VALU_DEP_2) | instskip(NEXT) | instid1(VALU_DEP_1)
	v_dual_mov_b32 v1, v18 :: v_dual_mov_b32 v21, v18
	v_pk_add_f32 v[12:13], v[14:15], v[0:1] neg_lo:[0,1] neg_hi:[0,1]
	s_delay_alu instid0(VALU_DEP_2) | instskip(SKIP_1) | instid1(VALU_DEP_2)
	v_pk_add_f32 v[8:9], v[16:17], v[20:21] neg_lo:[0,1] neg_hi:[0,1]
	v_mov_b32_e32 v12, v6
	v_pk_add_f32 v[8:9], v[10:11], v[8:9] neg_lo:[0,1] neg_hi:[0,1]
	s_delay_alu instid0(VALU_DEP_1) | instskip(NEXT) | instid1(VALU_DEP_1)
	v_pk_add_f32 v[10:11], v[12:13], v[8:9]
	v_mov_b32_e32 v12, v11
	s_delay_alu instid0(VALU_DEP_1) | instskip(NEXT) | instid1(VALU_DEP_1)
	v_pk_add_f32 v[12:13], v[10:11], v[12:13]
	v_pk_add_f32 v[14:15], v[2:3], v[12:13]
	s_delay_alu instid0(VALU_DEP_1) | instskip(NEXT) | instid1(VALU_DEP_1)
	v_mov_b32_e32 v11, v14
	v_pk_add_f32 v[16:17], v[10:11], v[6:7] neg_lo:[0,1] neg_hi:[0,1]
	s_delay_alu instid0(VALU_DEP_1) | instskip(NEXT) | instid1(VALU_DEP_1)
	v_dual_mov_b32 v9, v12 :: v_dual_sub_f32 v1, v10, v16
	v_pk_add_f32 v[8:9], v[8:9], v[16:17] neg_lo:[0,1] neg_hi:[0,1]
	s_delay_alu instid0(VALU_DEP_2) | instskip(NEXT) | instid1(VALU_DEP_1)
	v_sub_f32_e32 v1, v6, v1
	v_add_f32_e32 v1, v8, v1
	s_delay_alu instid0(VALU_DEP_1) | instskip(NEXT) | instid1(VALU_DEP_1)
	v_add_f32_e32 v1, v1, v9
	v_add_f32_e32 v1, v14, v1
	s_delay_alu instid0(VALU_DEP_1) | instskip(SKIP_1) | instid1(VALU_DEP_2)
	v_cndmask_b32_e32 v1, 0x7f800000, v1, vcc_lo
	v_cmp_gt_f32_e64 vcc_lo, 0x33800000, |v22|
	v_cndmask_b32_e32 v1, v1, v22, vcc_lo
	s_delay_alu instid0(VALU_DEP_1) | instskip(NEXT) | instid1(VALU_DEP_1)
	v_div_scale_f32 v2, null, s9, s9, v1
	v_rcp_f32_e32 v6, v2
	v_nop
	s_delay_alu instid0(TRANS32_DEP_1) | instskip(NEXT) | instid1(VALU_DEP_1)
	v_fma_f32 v7, -v2, v6, 1.0
	v_fmac_f32_e32 v6, v7, v6
	v_div_scale_f32 v7, vcc_lo, v1, s9, v1
	s_delay_alu instid0(VALU_DEP_1) | instskip(NEXT) | instid1(VALU_DEP_1)
	v_mul_f32_e32 v8, v7, v6
	v_fma_f32 v9, -v2, v8, v7
	s_delay_alu instid0(VALU_DEP_1) | instskip(NEXT) | instid1(VALU_DEP_1)
	v_fmac_f32_e32 v8, v9, v6
	v_fma_f32 v2, -v2, v8, v7
	s_delay_alu instid0(VALU_DEP_1) | instskip(NEXT) | instid1(VALU_DEP_1)
	v_div_fmas_f32 v2, v2, v6, v8
	v_div_fixup_f32 v2, v2, s9, v1
.LBB9_3:
	s_or_b32 exec_lo, exec_lo, s3
	v_mul_f32_e32 v1, s9, v3
	s_mov_b32 s3, exec_lo
	s_delay_alu instid0(VALU_DEP_1)
	v_cmpx_nlt_f32_e32 s10, v1
	s_cbranch_execz .LBB9_5
; %bb.4:
	v_mul_f32_e32 v3, 0x3fb8aa3b, v1
	v_cmp_ngt_f32_e32 vcc_lo, 0xc2ce8ed0, v1
	s_mov_b32 s11, 0x3e9b6dac
	s_delay_alu instid0(VALU_DEP_2) | instskip(SKIP_1) | instid1(VALU_DEP_2)
	v_rndne_f32_e32 v6, v3
	v_fma_f32 v7, 0x3fb8aa3b, v1, -v3
	v_sub_f32_e32 v3, v3, v6
	s_delay_alu instid0(VALU_DEP_2) | instskip(SKIP_1) | instid1(VALU_DEP_2)
	v_fmamk_f32 v7, v1, 0x32a5705f, v7
	v_cvt_i32_f32_e32 v6, v6
	v_add_f32_e32 v3, v3, v7
	s_delay_alu instid0(VALU_DEP_1) | instskip(SKIP_1) | instid1(TRANS32_DEP_1)
	v_exp_f32_e32 v3, v3
	v_nop
	v_ldexp_f32 v3, v3, v6
	s_delay_alu instid0(VALU_DEP_1) | instskip(SKIP_1) | instid1(VALU_DEP_2)
	v_cndmask_b32_e32 v3, 0, v3, vcc_lo
	v_cmp_nlt_f32_e32 vcc_lo, 0x42b17218, v1
	v_cndmask_b32_e32 v3, 0x7f800000, v3, vcc_lo
	s_delay_alu instid0(VALU_DEP_1) | instskip(NEXT) | instid1(VALU_DEP_1)
	v_add_f32_e32 v1, 1.0, v3
	v_cvt_f64_f32_e32 v[6:7], v1
	s_delay_alu instid0(VALU_DEP_1) | instskip(SKIP_1) | instid1(VALU_DEP_1)
	v_frexp_exp_i32_f64_e32 v6, v[6:7]
	v_frexp_mant_f32_e32 v7, v1
	v_cmp_gt_f32_e32 vcc_lo, 0x3f2aaaab, v7
	s_delay_alu instid0(VALU_DEP_3) | instskip(NEXT) | instid1(VALU_DEP_1)
	v_subrev_co_ci_u32_e64 v12, null, 0, v6, vcc_lo
	v_dual_add_f32 v6, -1.0, v1 :: v_dual_sub_nc_u32 v7, 0, v12
	s_delay_alu instid0(VALU_DEP_1) | instskip(NEXT) | instid1(VALU_DEP_2)
	v_dual_sub_f32 v8, v6, v1 :: v_dual_sub_f32 v6, v3, v6
	v_ldexp_f32 v1, v1, v7
	s_delay_alu instid0(VALU_DEP_1) | instskip(NEXT) | instid1(VALU_DEP_1)
	v_dual_add_f32 v8, 1.0, v8 :: v_dual_add_f32 v9, 1.0, v1
	v_add_f32_e32 v6, v6, v8
	v_cmp_neq_f32_e32 vcc_lo, 0x7f800000, v3
	s_delay_alu instid0(VALU_DEP_2) | instskip(NEXT) | instid1(VALU_DEP_4)
	v_ldexp_f32 v6, v6, v7
	v_add_f32_e32 v8, -1.0, v9
	s_delay_alu instid0(VALU_DEP_1) | instskip(NEXT) | instid1(VALU_DEP_1)
	v_dual_add_f32 v11, -1.0, v1 :: v_dual_sub_f32 v7, v1, v8
	v_add_f32_e32 v10, v6, v7
	s_delay_alu instid0(VALU_DEP_1) | instskip(NEXT) | instid1(VALU_DEP_1)
	v_dual_add_f32 v8, 1.0, v11 :: v_dual_add_f32 v13, v9, v10
	v_rcp_f32_e32 v14, v13
	s_delay_alu instid0(VALU_DEP_1) | instskip(NEXT) | instid1(VALU_DEP_1)
	v_sub_f32_e32 v1, v1, v8
	v_add_f32_e32 v1, v6, v1
	v_sub_f32_e32 v6, v9, v13
	s_delay_alu instid0(VALU_DEP_1)
	v_dual_add_f32 v7, v11, v1 :: v_dual_add_f32 v16, v10, v6
	s_delay_alu instid0(TRANS32_DEP_1) | instid1(VALU_DEP_1)
	v_mul_f32_e32 v15, v7, v14
	v_sub_f32_e32 v17, v11, v7
	s_delay_alu instid0(VALU_DEP_2) | instskip(NEXT) | instid1(VALU_DEP_2)
	v_mul_f32_e32 v8, v13, v15
	v_add_f32_e32 v1, v1, v17
	s_delay_alu instid0(VALU_DEP_2) | instskip(NEXT) | instid1(VALU_DEP_1)
	v_fma_f32 v10, v15, v13, -v8
	v_fmac_f32_e32 v10, v15, v16
	s_delay_alu instid0(VALU_DEP_1) | instskip(NEXT) | instid1(VALU_DEP_1)
	v_add_f32_e32 v6, v8, v10
	v_dual_sub_f32 v9, v7, v6 :: v_dual_mov_b32 v11, v6
	s_delay_alu instid0(VALU_DEP_1) | instskip(NEXT) | instid1(VALU_DEP_1)
	v_pk_add_f32 v[6:7], v[6:7], v[8:9] neg_lo:[0,1] neg_hi:[0,1]
	v_pk_add_f32 v[6:7], v[6:7], v[10:11] neg_lo:[0,1] neg_hi:[0,1]
	s_delay_alu instid0(VALU_DEP_1) | instskip(NEXT) | instid1(VALU_DEP_1)
	v_add_f32_e32 v1, v1, v7
	v_add_f32_e32 v1, v6, v1
	s_delay_alu instid0(VALU_DEP_1) | instskip(NEXT) | instid1(VALU_DEP_1)
	v_add_f32_e32 v7, v9, v1
	v_mul_f32_e32 v17, v14, v7
	s_delay_alu instid0(VALU_DEP_1) | instskip(NEXT) | instid1(VALU_DEP_1)
	v_mul_f32_e32 v10, v13, v17
	v_fma_f32 v8, v17, v13, -v10
	s_delay_alu instid0(VALU_DEP_1) | instskip(NEXT) | instid1(VALU_DEP_1)
	v_fmac_f32_e32 v8, v17, v16
	v_dual_add_f32 v6, v10, v8 :: v_dual_sub_f32 v13, v9, v7
	s_delay_alu instid0(VALU_DEP_1) | instskip(NEXT) | instid1(VALU_DEP_1)
	v_dual_sub_f32 v11, v7, v6 :: v_dual_mov_b32 v9, v6
	v_pk_add_f32 v[6:7], v[6:7], v[10:11] neg_lo:[0,1] neg_hi:[0,1]
	v_add_f32_e32 v10, v15, v17
	s_delay_alu instid0(VALU_DEP_4) | instskip(NEXT) | instid1(VALU_DEP_3)
	v_add_f32_e32 v1, v1, v13
	v_pk_add_f32 v[6:7], v[6:7], v[8:9] neg_lo:[0,1] neg_hi:[0,1]
	v_cvt_f32_i32_e32 v8, v12
	s_delay_alu instid0(VALU_DEP_2) | instskip(NEXT) | instid1(VALU_DEP_1)
	v_add_f32_e32 v1, v1, v7
	v_add_f32_e32 v1, v6, v1
	v_sub_f32_e32 v6, v10, v15
	s_delay_alu instid0(VALU_DEP_1) | instskip(NEXT) | instid1(VALU_DEP_1)
	v_dual_sub_f32 v6, v17, v6 :: v_dual_add_f32 v1, v11, v1
	v_mul_f32_e32 v1, v14, v1
	s_delay_alu instid0(VALU_DEP_1) | instskip(NEXT) | instid1(VALU_DEP_1)
	v_dual_add_f32 v1, v6, v1 :: v_dual_mov_b32 v6, 0x3f317218
	v_add_f32_e32 v11, v10, v1
	s_delay_alu instid0(VALU_DEP_1) | instskip(NEXT) | instid1(VALU_DEP_1)
	v_mul_f32_e32 v7, v11, v11
	v_fmaak_f32 v13, s11, v7, 0x3ecc95a3
	v_mul_f32_e32 v9, v11, v7
	s_delay_alu instid0(VALU_DEP_2) | instskip(NEXT) | instid1(VALU_DEP_1)
	v_fmaak_f32 v7, v7, v13, 0x3f2aaada
	v_pk_mul_f32 v[6:7], v[8:9], v[6:7]
	s_delay_alu instid0(VALU_DEP_1) | instskip(NEXT) | instid1(VALU_DEP_1)
	v_fma_f32 v12, 0x3f317218, v8, -v6
	v_fmamk_f32 v8, v8, 0xb102e308, v12
	v_sub_f32_e32 v12, v11, v10
	s_delay_alu instid0(VALU_DEP_1) | instskip(SKIP_2) | instid1(VALU_DEP_3)
	v_sub_f32_e32 v1, v1, v12
	v_ldexp_f32 v9, v11, 1
	v_mov_b32_e32 v12, v6
	v_ldexp_f32 v1, v1, 1
	s_delay_alu instid0(VALU_DEP_3) | instskip(NEXT) | instid1(VALU_DEP_1)
	v_pk_add_f32 v[10:11], v[6:7], v[8:9]
	v_dual_sub_f32 v9, v11, v9 :: v_dual_mov_b32 v20, v11
	s_delay_alu instid0(VALU_DEP_1) | instskip(NEXT) | instid1(VALU_DEP_3)
	v_sub_f32_e32 v9, v7, v9
	v_pk_add_f32 v[6:7], v[10:11], v[6:7] neg_lo:[0,1] neg_hi:[0,1]
	s_delay_alu instid0(VALU_DEP_2) | instskip(NEXT) | instid1(VALU_DEP_1)
	v_dual_add_f32 v13, v1, v9 :: v_dual_mov_b32 v9, v10
	v_pk_add_f32 v[14:15], v[10:11], v[12:13]
	s_delay_alu instid0(VALU_DEP_1) | instskip(NEXT) | instid1(VALU_DEP_1)
	v_mov_b32_e32 v7, v15
	v_pk_add_f32 v[16:17], v[8:9], v[6:7]
	v_mov_b32_e32 v16, v15
	v_pk_add_f32 v[6:7], v[8:9], v[6:7] neg_lo:[0,1] neg_hi:[0,1]
	s_delay_alu instid0(VALU_DEP_3) | instskip(NEXT) | instid1(VALU_DEP_1)
	v_dual_mov_b32 v12, v17 :: v_dual_mov_b32 v7, v17
	v_pk_add_f32 v[18:19], v[12:13], v[10:11] neg_lo:[0,1] neg_hi:[0,1]
	v_dual_mov_b32 v11, v10 :: v_dual_mov_b32 v10, v13
	s_delay_alu instid0(VALU_DEP_2) | instskip(NEXT) | instid1(VALU_DEP_1)
	v_dual_mov_b32 v1, v18 :: v_dual_mov_b32 v21, v18
	v_pk_add_f32 v[14:15], v[14:15], v[0:1] neg_lo:[0,1] neg_hi:[0,1]
	s_delay_alu instid0(VALU_DEP_2) | instskip(SKIP_1) | instid1(VALU_DEP_2)
	v_pk_add_f32 v[8:9], v[16:17], v[20:21] neg_lo:[0,1] neg_hi:[0,1]
	v_mov_b32_e32 v14, v6
	v_pk_add_f32 v[8:9], v[10:11], v[8:9] neg_lo:[0,1] neg_hi:[0,1]
	s_delay_alu instid0(VALU_DEP_1) | instskip(NEXT) | instid1(VALU_DEP_1)
	v_pk_add_f32 v[10:11], v[14:15], v[8:9]
	v_mov_b32_e32 v14, v11
	s_delay_alu instid0(VALU_DEP_1) | instskip(NEXT) | instid1(VALU_DEP_1)
	v_pk_add_f32 v[14:15], v[10:11], v[14:15]
	v_pk_add_f32 v[12:13], v[12:13], v[14:15]
	s_delay_alu instid0(VALU_DEP_1) | instskip(NEXT) | instid1(VALU_DEP_1)
	v_mov_b32_e32 v11, v12
	v_pk_add_f32 v[16:17], v[10:11], v[6:7] neg_lo:[0,1] neg_hi:[0,1]
	s_delay_alu instid0(VALU_DEP_1) | instskip(NEXT) | instid1(VALU_DEP_1)
	v_sub_f32_e32 v1, v10, v16
	v_sub_f32_e32 v1, v6, v1
	v_mov_b32_e32 v9, v14
	s_delay_alu instid0(VALU_DEP_1) | instskip(NEXT) | instid1(VALU_DEP_1)
	v_pk_add_f32 v[8:9], v[8:9], v[16:17] neg_lo:[0,1] neg_hi:[0,1]
	v_add_f32_e32 v1, v8, v1
	s_delay_alu instid0(VALU_DEP_1) | instskip(NEXT) | instid1(VALU_DEP_1)
	v_add_f32_e32 v1, v1, v9
	v_add_f32_e32 v1, v12, v1
	s_delay_alu instid0(VALU_DEP_1) | instskip(SKIP_1) | instid1(VALU_DEP_2)
	v_cndmask_b32_e32 v1, 0x7f800000, v1, vcc_lo
	v_cmp_gt_f32_e64 vcc_lo, 0x33800000, |v3|
	v_cndmask_b32_e32 v1, v1, v3, vcc_lo
	s_delay_alu instid0(VALU_DEP_1) | instskip(NEXT) | instid1(VALU_DEP_1)
	v_div_scale_f32 v3, null, s9, s9, v1
	v_rcp_f32_e32 v6, v3
	v_nop
	s_delay_alu instid0(TRANS32_DEP_1) | instskip(NEXT) | instid1(VALU_DEP_1)
	v_fma_f32 v7, -v3, v6, 1.0
	v_fmac_f32_e32 v6, v7, v6
	v_div_scale_f32 v7, vcc_lo, v1, s9, v1
	s_delay_alu instid0(VALU_DEP_1) | instskip(NEXT) | instid1(VALU_DEP_1)
	v_mul_f32_e32 v8, v7, v6
	v_fma_f32 v9, -v3, v8, v7
	s_delay_alu instid0(VALU_DEP_1) | instskip(NEXT) | instid1(VALU_DEP_1)
	v_fmac_f32_e32 v8, v9, v6
	v_fma_f32 v3, -v3, v8, v7
	s_delay_alu instid0(VALU_DEP_1) | instskip(NEXT) | instid1(VALU_DEP_1)
	v_div_fmas_f32 v3, v3, v6, v8
	v_div_fixup_f32 v3, v3, s9, v1
.LBB9_5:
	s_or_b32 exec_lo, exec_lo, s3
	v_mul_f32_e32 v1, s9, v4
	s_mov_b32 s3, exec_lo
	s_delay_alu instid0(VALU_DEP_1)
	v_cmpx_nlt_f32_e32 s10, v1
	s_cbranch_execz .LBB9_7
; %bb.6:
	v_mul_f32_e32 v4, 0x3fb8aa3b, v1
	v_cmp_ngt_f32_e32 vcc_lo, 0xc2ce8ed0, v1
	s_mov_b32 s11, 0x3e9b6dac
	s_delay_alu instid0(VALU_DEP_2) | instskip(SKIP_1) | instid1(VALU_DEP_1)
	v_rndne_f32_e32 v6, v4
	v_fma_f32 v7, 0x3fb8aa3b, v1, -v4
	v_dual_sub_f32 v4, v4, v6 :: v_dual_fmamk_f32 v7, v1, 0x32a5705f, v7
	v_cvt_i32_f32_e32 v6, v6
	s_delay_alu instid0(VALU_DEP_2) | instskip(NEXT) | instid1(VALU_DEP_1)
	v_add_f32_e32 v4, v4, v7
	v_exp_f32_e32 v4, v4
	v_nop
	s_delay_alu instid0(TRANS32_DEP_1) | instskip(NEXT) | instid1(VALU_DEP_1)
	v_ldexp_f32 v4, v4, v6
	v_cndmask_b32_e32 v4, 0, v4, vcc_lo
	v_cmp_nlt_f32_e32 vcc_lo, 0x42b17218, v1
	s_delay_alu instid0(VALU_DEP_2) | instskip(NEXT) | instid1(VALU_DEP_1)
	v_cndmask_b32_e32 v22, 0x7f800000, v4, vcc_lo
	v_add_f32_e32 v1, 1.0, v22
	s_delay_alu instid0(VALU_DEP_1) | instskip(NEXT) | instid1(VALU_DEP_1)
	v_cvt_f64_f32_e32 v[6:7], v1
	v_frexp_exp_i32_f64_e32 v4, v[6:7]
	v_frexp_mant_f32_e32 v6, v1
	s_delay_alu instid0(VALU_DEP_1) | instskip(SKIP_1) | instid1(VALU_DEP_1)
	v_cmp_gt_f32_e32 vcc_lo, 0x3f2aaaab, v6
	v_add_f32_e32 v6, -1.0, v1
	v_sub_f32_e32 v8, v6, v1
	s_delay_alu instid0(VALU_DEP_1) | instskip(SKIP_1) | instid1(VALU_DEP_1)
	v_add_f32_e32 v8, 1.0, v8
	v_subrev_co_ci_u32_e64 v4, null, 0, v4, vcc_lo
	v_dual_sub_f32 v6, v22, v6 :: v_dual_sub_nc_u32 v7, 0, v4
	v_cmp_neq_f32_e32 vcc_lo, 0x7f800000, v22
	s_delay_alu instid0(VALU_DEP_2) | instskip(NEXT) | instid1(VALU_DEP_1)
	v_ldexp_f32 v1, v1, v7
	v_dual_add_f32 v6, v6, v8 :: v_dual_add_f32 v9, 1.0, v1
	s_delay_alu instid0(VALU_DEP_1) | instskip(NEXT) | instid1(VALU_DEP_2)
	v_ldexp_f32 v6, v6, v7
	v_add_f32_e32 v8, -1.0, v9
	s_delay_alu instid0(VALU_DEP_1) | instskip(NEXT) | instid1(VALU_DEP_1)
	v_dual_add_f32 v11, -1.0, v1 :: v_dual_sub_f32 v7, v1, v8
	v_add_f32_e32 v10, v6, v7
	s_delay_alu instid0(VALU_DEP_1) | instskip(NEXT) | instid1(VALU_DEP_1)
	v_dual_add_f32 v8, 1.0, v11 :: v_dual_add_f32 v12, v9, v10
	v_rcp_f32_e32 v13, v12
	s_delay_alu instid0(VALU_DEP_1) | instskip(NEXT) | instid1(VALU_DEP_1)
	v_sub_f32_e32 v1, v1, v8
	v_dual_add_f32 v1, v6, v1 :: v_dual_sub_f32 v6, v9, v12
	s_delay_alu instid0(VALU_DEP_1)
	v_add_f32_e32 v7, v11, v1
	s_delay_alu instid0(TRANS32_DEP_1) | instid1(VALU_DEP_1)
	v_mul_f32_e32 v14, v7, v13
	s_delay_alu instid0(VALU_DEP_1) | instskip(NEXT) | instid1(VALU_DEP_4)
	v_mul_f32_e32 v8, v12, v14
	v_dual_add_f32 v15, v10, v6 :: v_dual_sub_f32 v16, v11, v7
	s_delay_alu instid0(VALU_DEP_2) | instskip(NEXT) | instid1(VALU_DEP_1)
	v_fma_f32 v10, v14, v12, -v8
	v_dual_add_f32 v1, v1, v16 :: v_dual_fmac_f32 v10, v14, v15
	s_delay_alu instid0(VALU_DEP_1) | instskip(NEXT) | instid1(VALU_DEP_1)
	v_add_f32_e32 v6, v8, v10
	v_dual_sub_f32 v9, v7, v6 :: v_dual_mov_b32 v11, v6
	s_delay_alu instid0(VALU_DEP_1) | instskip(NEXT) | instid1(VALU_DEP_1)
	v_pk_add_f32 v[6:7], v[6:7], v[8:9] neg_lo:[0,1] neg_hi:[0,1]
	v_pk_add_f32 v[6:7], v[6:7], v[10:11] neg_lo:[0,1] neg_hi:[0,1]
	s_delay_alu instid0(VALU_DEP_1) | instskip(NEXT) | instid1(VALU_DEP_1)
	v_add_f32_e32 v1, v1, v7
	v_add_f32_e32 v1, v6, v1
	s_delay_alu instid0(VALU_DEP_1) | instskip(NEXT) | instid1(VALU_DEP_1)
	v_add_f32_e32 v7, v9, v1
	v_mul_f32_e32 v16, v13, v7
	s_delay_alu instid0(VALU_DEP_1) | instskip(NEXT) | instid1(VALU_DEP_1)
	v_mul_f32_e32 v10, v12, v16
	v_dual_fma_f32 v8, v16, v12, -v10 :: v_dual_sub_f32 v12, v9, v7
	s_delay_alu instid0(VALU_DEP_1) | instskip(NEXT) | instid1(VALU_DEP_1)
	v_fmac_f32_e32 v8, v16, v15
	v_add_f32_e32 v6, v10, v8
	s_delay_alu instid0(VALU_DEP_1) | instskip(NEXT) | instid1(VALU_DEP_1)
	v_dual_sub_f32 v11, v7, v6 :: v_dual_mov_b32 v9, v6
	v_pk_add_f32 v[6:7], v[6:7], v[10:11] neg_lo:[0,1] neg_hi:[0,1]
	v_add_f32_e32 v10, v14, v16
	v_add_f32_e32 v1, v1, v12
	s_delay_alu instid0(VALU_DEP_3) | instskip(SKIP_1) | instid1(VALU_DEP_2)
	v_pk_add_f32 v[6:7], v[6:7], v[8:9] neg_lo:[0,1] neg_hi:[0,1]
	v_cvt_f32_i32_e32 v8, v4
	v_add_f32_e32 v1, v1, v7
	s_delay_alu instid0(VALU_DEP_1) | instskip(NEXT) | instid1(VALU_DEP_1)
	v_add_f32_e32 v1, v6, v1
	v_dual_sub_f32 v6, v10, v14 :: v_dual_add_f32 v1, v11, v1
	s_delay_alu instid0(VALU_DEP_1) | instskip(NEXT) | instid1(VALU_DEP_1)
	v_dual_sub_f32 v6, v16, v6 :: v_dual_mul_f32 v1, v13, v1
	v_dual_add_f32 v1, v6, v1 :: v_dual_mov_b32 v6, 0x3f317218
	s_delay_alu instid0(VALU_DEP_1) | instskip(NEXT) | instid1(VALU_DEP_1)
	v_add_f32_e32 v11, v10, v1
	v_mul_f32_e32 v7, v11, v11
	s_delay_alu instid0(VALU_DEP_1) | instskip(NEXT) | instid1(VALU_DEP_1)
	v_dual_fmaak_f32 v12, s11, v7, 0x3ecc95a3 :: v_dual_mul_f32 v9, v11, v7
	v_fmaak_f32 v7, v7, v12, 0x3f2aaada
	s_delay_alu instid0(VALU_DEP_1) | instskip(NEXT) | instid1(VALU_DEP_1)
	v_pk_mul_f32 v[6:7], v[8:9], v[6:7]
	v_fma_f32 v4, 0x3f317218, v8, -v6
	v_mov_b32_e32 v12, v6
	s_delay_alu instid0(VALU_DEP_2) | instskip(SKIP_2) | instid1(VALU_DEP_2)
	v_fmamk_f32 v8, v8, 0xb102e308, v4
	v_ldexp_f32 v9, v11, 1
	v_sub_f32_e32 v4, v11, v10
	v_pk_add_f32 v[10:11], v[6:7], v[8:9]
	s_delay_alu instid0(VALU_DEP_1) | instskip(NEXT) | instid1(VALU_DEP_1)
	v_dual_sub_f32 v1, v1, v4 :: v_dual_sub_f32 v4, v11, v9
	v_ldexp_f32 v1, v1, 1
	s_delay_alu instid0(VALU_DEP_3) | instskip(NEXT) | instid1(VALU_DEP_3)
	v_dual_mov_b32 v9, v10 :: v_dual_mov_b32 v20, v11
	v_sub_f32_e32 v4, v7, v4
	v_pk_add_f32 v[6:7], v[10:11], v[6:7] neg_lo:[0,1] neg_hi:[0,1]
	s_delay_alu instid0(VALU_DEP_2) | instskip(NEXT) | instid1(VALU_DEP_1)
	v_add_f32_e32 v13, v1, v4
	v_pk_add_f32 v[14:15], v[10:11], v[12:13]
	s_delay_alu instid0(VALU_DEP_1) | instskip(NEXT) | instid1(VALU_DEP_1)
	v_mov_b32_e32 v7, v15
	v_pk_add_f32 v[16:17], v[8:9], v[6:7]
	v_mov_b32_e32 v16, v15
	v_pk_add_f32 v[6:7], v[8:9], v[6:7] neg_lo:[0,1] neg_hi:[0,1]
	s_delay_alu instid0(VALU_DEP_3) | instskip(NEXT) | instid1(VALU_DEP_1)
	v_dual_mov_b32 v4, v17 :: v_dual_mov_b32 v7, v17
	v_pk_add_f32 v[18:19], v[4:5], v[10:11] neg_lo:[0,1] neg_hi:[0,1]
	v_dual_mov_b32 v11, v10 :: v_dual_mov_b32 v10, v13
	s_delay_alu instid0(VALU_DEP_2) | instskip(NEXT) | instid1(VALU_DEP_1)
	v_dual_mov_b32 v1, v18 :: v_dual_mov_b32 v21, v18
	v_pk_add_f32 v[12:13], v[14:15], v[0:1] neg_lo:[0,1] neg_hi:[0,1]
	s_delay_alu instid0(VALU_DEP_2) | instskip(SKIP_1) | instid1(VALU_DEP_2)
	v_pk_add_f32 v[8:9], v[16:17], v[20:21] neg_lo:[0,1] neg_hi:[0,1]
	v_mov_b32_e32 v12, v6
	v_pk_add_f32 v[8:9], v[10:11], v[8:9] neg_lo:[0,1] neg_hi:[0,1]
	s_delay_alu instid0(VALU_DEP_1) | instskip(NEXT) | instid1(VALU_DEP_1)
	v_pk_add_f32 v[10:11], v[12:13], v[8:9]
	v_mov_b32_e32 v12, v11
	s_delay_alu instid0(VALU_DEP_1) | instskip(NEXT) | instid1(VALU_DEP_1)
	v_pk_add_f32 v[12:13], v[10:11], v[12:13]
	v_pk_add_f32 v[14:15], v[4:5], v[12:13]
	s_delay_alu instid0(VALU_DEP_1) | instskip(NEXT) | instid1(VALU_DEP_1)
	v_mov_b32_e32 v11, v14
	v_pk_add_f32 v[16:17], v[10:11], v[6:7] neg_lo:[0,1] neg_hi:[0,1]
	s_delay_alu instid0(VALU_DEP_1) | instskip(NEXT) | instid1(VALU_DEP_1)
	v_dual_mov_b32 v9, v12 :: v_dual_sub_f32 v1, v10, v16
	v_pk_add_f32 v[8:9], v[8:9], v[16:17] neg_lo:[0,1] neg_hi:[0,1]
	s_delay_alu instid0(VALU_DEP_2) | instskip(NEXT) | instid1(VALU_DEP_1)
	v_sub_f32_e32 v1, v6, v1
	v_add_f32_e32 v1, v8, v1
	s_delay_alu instid0(VALU_DEP_1) | instskip(NEXT) | instid1(VALU_DEP_1)
	v_add_f32_e32 v1, v1, v9
	v_add_f32_e32 v1, v14, v1
	s_delay_alu instid0(VALU_DEP_1) | instskip(SKIP_1) | instid1(VALU_DEP_2)
	v_cndmask_b32_e32 v1, 0x7f800000, v1, vcc_lo
	v_cmp_gt_f32_e64 vcc_lo, 0x33800000, |v22|
	v_cndmask_b32_e32 v1, v1, v22, vcc_lo
	s_delay_alu instid0(VALU_DEP_1) | instskip(NEXT) | instid1(VALU_DEP_1)
	v_div_scale_f32 v4, null, s9, s9, v1
	v_rcp_f32_e32 v6, v4
	v_nop
	s_delay_alu instid0(TRANS32_DEP_1) | instskip(NEXT) | instid1(VALU_DEP_1)
	v_fma_f32 v7, -v4, v6, 1.0
	v_fmac_f32_e32 v6, v7, v6
	v_div_scale_f32 v7, vcc_lo, v1, s9, v1
	s_delay_alu instid0(VALU_DEP_1) | instskip(NEXT) | instid1(VALU_DEP_1)
	v_mul_f32_e32 v8, v7, v6
	v_fma_f32 v9, -v4, v8, v7
	s_delay_alu instid0(VALU_DEP_1) | instskip(NEXT) | instid1(VALU_DEP_1)
	v_fmac_f32_e32 v8, v9, v6
	v_fma_f32 v4, -v4, v8, v7
	s_delay_alu instid0(VALU_DEP_1) | instskip(NEXT) | instid1(VALU_DEP_1)
	v_div_fmas_f32 v4, v4, v6, v8
	v_div_fixup_f32 v4, v4, s9, v1
.LBB9_7:
	s_or_b32 exec_lo, exec_lo, s3
	v_mul_f32_e32 v1, s9, v5
	s_mov_b32 s3, exec_lo
	s_delay_alu instid0(VALU_DEP_1)
	v_cmpx_nlt_f32_e32 s10, v1
	s_cbranch_execz .LBB9_9
; %bb.8:
	v_mul_f32_e32 v5, 0x3fb8aa3b, v1
	v_cmp_ngt_f32_e32 vcc_lo, 0xc2ce8ed0, v1
	s_mov_b32 s11, 0x3e9b6dac
	s_delay_alu instid0(VALU_DEP_2) | instskip(SKIP_1) | instid1(VALU_DEP_2)
	v_rndne_f32_e32 v6, v5
	v_fma_f32 v7, 0x3fb8aa3b, v1, -v5
	v_sub_f32_e32 v5, v5, v6
	s_delay_alu instid0(VALU_DEP_2) | instskip(SKIP_1) | instid1(VALU_DEP_2)
	v_fmamk_f32 v7, v1, 0x32a5705f, v7
	v_cvt_i32_f32_e32 v6, v6
	v_add_f32_e32 v5, v5, v7
	s_delay_alu instid0(VALU_DEP_1) | instskip(SKIP_1) | instid1(TRANS32_DEP_1)
	v_exp_f32_e32 v5, v5
	v_nop
	v_ldexp_f32 v5, v5, v6
	s_delay_alu instid0(VALU_DEP_1) | instskip(SKIP_1) | instid1(VALU_DEP_2)
	v_cndmask_b32_e32 v5, 0, v5, vcc_lo
	v_cmp_nlt_f32_e32 vcc_lo, 0x42b17218, v1
	v_cndmask_b32_e32 v5, 0x7f800000, v5, vcc_lo
	s_delay_alu instid0(VALU_DEP_1) | instskip(NEXT) | instid1(VALU_DEP_1)
	v_add_f32_e32 v1, 1.0, v5
	v_cvt_f64_f32_e32 v[6:7], v1
	s_delay_alu instid0(VALU_DEP_1) | instskip(SKIP_1) | instid1(VALU_DEP_1)
	v_frexp_exp_i32_f64_e32 v6, v[6:7]
	v_frexp_mant_f32_e32 v7, v1
	v_cmp_gt_f32_e32 vcc_lo, 0x3f2aaaab, v7
	s_delay_alu instid0(VALU_DEP_3) | instskip(NEXT) | instid1(VALU_DEP_1)
	v_subrev_co_ci_u32_e64 v12, null, 0, v6, vcc_lo
	v_dual_add_f32 v6, -1.0, v1 :: v_dual_sub_nc_u32 v7, 0, v12
	s_delay_alu instid0(VALU_DEP_1) | instskip(NEXT) | instid1(VALU_DEP_2)
	v_dual_sub_f32 v8, v6, v1 :: v_dual_sub_f32 v6, v5, v6
	v_ldexp_f32 v1, v1, v7
	s_delay_alu instid0(VALU_DEP_1) | instskip(NEXT) | instid1(VALU_DEP_1)
	v_dual_add_f32 v8, 1.0, v8 :: v_dual_add_f32 v9, 1.0, v1
	v_dual_add_f32 v11, -1.0, v1 :: v_dual_add_f32 v6, v6, v8
	s_delay_alu instid0(VALU_DEP_1) | instskip(NEXT) | instid1(VALU_DEP_3)
	v_ldexp_f32 v6, v6, v7
	v_add_f32_e32 v8, -1.0, v9
	s_delay_alu instid0(VALU_DEP_1) | instskip(SKIP_1) | instid1(VALU_DEP_2)
	v_dual_sub_f32 v7, v1, v8 :: v_dual_add_f32 v8, 1.0, v11
	v_cmp_neq_f32_e32 vcc_lo, 0x7f800000, v5
	v_dual_sub_f32 v1, v1, v8 :: v_dual_add_f32 v10, v6, v7
	s_delay_alu instid0(VALU_DEP_1) | instskip(NEXT) | instid1(VALU_DEP_1)
	v_dual_add_f32 v1, v6, v1 :: v_dual_add_f32 v13, v9, v10
	v_add_f32_e32 v7, v11, v1
	s_delay_alu instid0(VALU_DEP_2) | instskip(SKIP_1) | instid1(TRANS32_DEP_1)
	v_rcp_f32_e32 v14, v13
	v_nop
	v_dual_sub_f32 v6, v9, v13 :: v_dual_mul_f32 v15, v7, v14
	s_delay_alu instid0(VALU_DEP_1) | instskip(SKIP_1) | instid1(VALU_DEP_2)
	v_dual_mul_f32 v8, v13, v15 :: v_dual_add_f32 v16, v10, v6
	v_sub_f32_e32 v17, v11, v7
	v_fma_f32 v10, v15, v13, -v8
	s_delay_alu instid0(VALU_DEP_1) | instskip(NEXT) | instid1(VALU_DEP_1)
	v_dual_add_f32 v1, v1, v17 :: v_dual_fmac_f32 v10, v15, v16
	v_add_f32_e32 v6, v8, v10
	s_delay_alu instid0(VALU_DEP_1) | instskip(NEXT) | instid1(VALU_DEP_1)
	v_dual_sub_f32 v9, v7, v6 :: v_dual_mov_b32 v11, v6
	v_pk_add_f32 v[6:7], v[6:7], v[8:9] neg_lo:[0,1] neg_hi:[0,1]
	s_delay_alu instid0(VALU_DEP_1) | instskip(NEXT) | instid1(VALU_DEP_1)
	v_pk_add_f32 v[6:7], v[6:7], v[10:11] neg_lo:[0,1] neg_hi:[0,1]
	v_add_f32_e32 v1, v1, v7
	s_delay_alu instid0(VALU_DEP_1) | instskip(NEXT) | instid1(VALU_DEP_1)
	v_add_f32_e32 v1, v6, v1
	v_add_f32_e32 v7, v9, v1
	s_delay_alu instid0(VALU_DEP_1) | instskip(NEXT) | instid1(VALU_DEP_1)
	v_mul_f32_e32 v17, v14, v7
	v_mul_f32_e32 v10, v13, v17
	s_delay_alu instid0(VALU_DEP_1) | instskip(NEXT) | instid1(VALU_DEP_1)
	v_fma_f32 v8, v17, v13, -v10
	v_fmac_f32_e32 v8, v17, v16
	s_delay_alu instid0(VALU_DEP_1) | instskip(NEXT) | instid1(VALU_DEP_1)
	v_dual_add_f32 v6, v10, v8 :: v_dual_sub_f32 v13, v9, v7
	v_dual_sub_f32 v11, v7, v6 :: v_dual_mov_b32 v9, v6
	s_delay_alu instid0(VALU_DEP_1) | instskip(SKIP_1) | instid1(VALU_DEP_4)
	v_pk_add_f32 v[6:7], v[6:7], v[10:11] neg_lo:[0,1] neg_hi:[0,1]
	v_add_f32_e32 v10, v15, v17
	v_add_f32_e32 v1, v1, v13
	s_delay_alu instid0(VALU_DEP_3) | instskip(SKIP_1) | instid1(VALU_DEP_2)
	v_pk_add_f32 v[6:7], v[6:7], v[8:9] neg_lo:[0,1] neg_hi:[0,1]
	v_cvt_f32_i32_e32 v8, v12
	v_add_f32_e32 v1, v1, v7
	s_delay_alu instid0(VALU_DEP_1) | instskip(SKIP_1) | instid1(VALU_DEP_1)
	v_add_f32_e32 v1, v6, v1
	v_sub_f32_e32 v6, v10, v15
	v_dual_sub_f32 v6, v17, v6 :: v_dual_add_f32 v1, v11, v1
	s_delay_alu instid0(VALU_DEP_1) | instskip(NEXT) | instid1(VALU_DEP_1)
	v_mul_f32_e32 v1, v14, v1
	v_dual_add_f32 v1, v6, v1 :: v_dual_mov_b32 v6, 0x3f317218
	s_delay_alu instid0(VALU_DEP_1) | instskip(NEXT) | instid1(VALU_DEP_1)
	v_add_f32_e32 v11, v10, v1
	v_mul_f32_e32 v7, v11, v11
	s_delay_alu instid0(VALU_DEP_1) | instskip(SKIP_1) | instid1(VALU_DEP_2)
	v_fmaak_f32 v13, s11, v7, 0x3ecc95a3
	v_mul_f32_e32 v9, v11, v7
	v_fmaak_f32 v7, v7, v13, 0x3f2aaada
	s_delay_alu instid0(VALU_DEP_1) | instskip(NEXT) | instid1(VALU_DEP_1)
	v_pk_mul_f32 v[6:7], v[8:9], v[6:7]
	v_fma_f32 v12, 0x3f317218, v8, -v6
	s_delay_alu instid0(VALU_DEP_1) | instskip(SKIP_1) | instid1(VALU_DEP_1)
	v_fmamk_f32 v8, v8, 0xb102e308, v12
	v_sub_f32_e32 v12, v11, v10
	v_sub_f32_e32 v1, v1, v12
	v_ldexp_f32 v9, v11, 1
	v_mov_b32_e32 v12, v6
	s_delay_alu instid0(VALU_DEP_3) | instskip(NEXT) | instid1(VALU_DEP_3)
	v_ldexp_f32 v1, v1, 1
	v_pk_add_f32 v[10:11], v[6:7], v[8:9]
	s_delay_alu instid0(VALU_DEP_1) | instskip(NEXT) | instid1(VALU_DEP_1)
	v_dual_sub_f32 v9, v11, v9 :: v_dual_mov_b32 v20, v11
	v_sub_f32_e32 v9, v7, v9
	s_delay_alu instid0(VALU_DEP_3) | instskip(NEXT) | instid1(VALU_DEP_2)
	v_pk_add_f32 v[6:7], v[10:11], v[6:7] neg_lo:[0,1] neg_hi:[0,1]
	v_dual_add_f32 v13, v1, v9 :: v_dual_mov_b32 v9, v10
	s_delay_alu instid0(VALU_DEP_1) | instskip(NEXT) | instid1(VALU_DEP_1)
	v_pk_add_f32 v[14:15], v[10:11], v[12:13]
	v_mov_b32_e32 v7, v15
	s_delay_alu instid0(VALU_DEP_1) | instskip(SKIP_2) | instid1(VALU_DEP_3)
	v_pk_add_f32 v[16:17], v[8:9], v[6:7]
	v_mov_b32_e32 v16, v15
	v_pk_add_f32 v[6:7], v[8:9], v[6:7] neg_lo:[0,1] neg_hi:[0,1]
	v_dual_mov_b32 v12, v17 :: v_dual_mov_b32 v7, v17
	s_delay_alu instid0(VALU_DEP_1) | instskip(SKIP_1) | instid1(VALU_DEP_2)
	v_pk_add_f32 v[18:19], v[12:13], v[10:11] neg_lo:[0,1] neg_hi:[0,1]
	v_dual_mov_b32 v11, v10 :: v_dual_mov_b32 v10, v13
	v_dual_mov_b32 v1, v18 :: v_dual_mov_b32 v21, v18
	s_delay_alu instid0(VALU_DEP_1) | instskip(NEXT) | instid1(VALU_DEP_2)
	v_pk_add_f32 v[14:15], v[14:15], v[0:1] neg_lo:[0,1] neg_hi:[0,1]
	v_pk_add_f32 v[8:9], v[16:17], v[20:21] neg_lo:[0,1] neg_hi:[0,1]
	v_mov_b32_e32 v14, v6
	s_delay_alu instid0(VALU_DEP_2) | instskip(NEXT) | instid1(VALU_DEP_1)
	v_pk_add_f32 v[8:9], v[10:11], v[8:9] neg_lo:[0,1] neg_hi:[0,1]
	v_pk_add_f32 v[10:11], v[14:15], v[8:9]
	s_delay_alu instid0(VALU_DEP_1) | instskip(NEXT) | instid1(VALU_DEP_1)
	v_mov_b32_e32 v14, v11
	v_pk_add_f32 v[14:15], v[10:11], v[14:15]
	s_delay_alu instid0(VALU_DEP_1) | instskip(NEXT) | instid1(VALU_DEP_1)
	v_pk_add_f32 v[12:13], v[12:13], v[14:15]
	v_mov_b32_e32 v11, v12
	s_delay_alu instid0(VALU_DEP_1) | instskip(NEXT) | instid1(VALU_DEP_1)
	v_pk_add_f32 v[16:17], v[10:11], v[6:7] neg_lo:[0,1] neg_hi:[0,1]
	v_sub_f32_e32 v1, v10, v16
	s_delay_alu instid0(VALU_DEP_1) | instskip(SKIP_1) | instid1(VALU_DEP_1)
	v_sub_f32_e32 v1, v6, v1
	v_mov_b32_e32 v9, v14
	v_pk_add_f32 v[8:9], v[8:9], v[16:17] neg_lo:[0,1] neg_hi:[0,1]
	s_delay_alu instid0(VALU_DEP_1) | instskip(NEXT) | instid1(VALU_DEP_1)
	v_add_f32_e32 v1, v8, v1
	v_add_f32_e32 v1, v1, v9
	s_delay_alu instid0(VALU_DEP_1) | instskip(NEXT) | instid1(VALU_DEP_1)
	v_add_f32_e32 v1, v12, v1
	v_cndmask_b32_e32 v1, 0x7f800000, v1, vcc_lo
	v_cmp_gt_f32_e64 vcc_lo, 0x33800000, |v5|
	s_delay_alu instid0(VALU_DEP_2) | instskip(NEXT) | instid1(VALU_DEP_1)
	v_cndmask_b32_e32 v1, v1, v5, vcc_lo
	v_div_scale_f32 v5, null, s9, s9, v1
	s_delay_alu instid0(VALU_DEP_1) | instskip(SKIP_1) | instid1(TRANS32_DEP_1)
	v_rcp_f32_e32 v6, v5
	v_nop
	v_fma_f32 v7, -v5, v6, 1.0
	s_delay_alu instid0(VALU_DEP_1) | instskip(SKIP_1) | instid1(VALU_DEP_1)
	v_fmac_f32_e32 v6, v7, v6
	v_div_scale_f32 v7, vcc_lo, v1, s9, v1
	v_mul_f32_e32 v8, v7, v6
	s_delay_alu instid0(VALU_DEP_1) | instskip(NEXT) | instid1(VALU_DEP_1)
	v_fma_f32 v9, -v5, v8, v7
	v_fmac_f32_e32 v8, v9, v6
	s_delay_alu instid0(VALU_DEP_1) | instskip(NEXT) | instid1(VALU_DEP_1)
	v_fma_f32 v5, -v5, v8, v7
	v_div_fmas_f32 v5, v5, v6, v8
	s_delay_alu instid0(VALU_DEP_1)
	v_div_fixup_f32 v5, v5, s9, v1
.LBB9_9:
	s_or_b32 exec_lo, exec_lo, s3
	s_add_nc_u64 s[12:13], s[4:5], s[0:1]
	s_mov_b32 s0, 0
	global_store_b128 v0, v[2:5], s[12:13] scale_offset
.LBB9_10:
	s_and_b32 vcc_lo, exec_lo, s0
	s_cbranch_vccz .LBB9_37
; %bb.11:
	v_cmp_gt_i32_e64 s0, s8, v0
	v_dual_mov_b32 v13, 0 :: v_dual_bitop2_b32 v1, s2, v0 bitop3:0x54
	v_or_b32_e32 v10, 0x100, v0
	s_wait_xcnt 0x0
	v_dual_mov_b32 v6, 0 :: v_dual_mov_b32 v2, v0
	s_and_saveexec_b32 s1, s0
	s_cbranch_execz .LBB9_13
; %bb.12:
	global_load_b32 v6, v1, s[6:7] scale_offset
	v_or_b32_e32 v2, 0x100, v0
.LBB9_13:
	s_wait_xcnt 0x0
	s_or_b32 exec_lo, exec_lo, s1
	s_delay_alu instid0(SALU_CYCLE_1) | instskip(NEXT) | instid1(VALU_DEP_1)
	s_mov_b32 s1, exec_lo
	v_cmpx_gt_i32_e64 s8, v2
	s_cbranch_execz .LBB9_15
; %bb.14:
	v_add_nc_u32_e32 v3, s2, v2
	v_add_nc_u32_e32 v2, 0x100, v2
	global_load_b32 v13, v3, s[6:7] scale_offset
.LBB9_15:
	s_wait_xcnt 0x0
	s_or_b32 exec_lo, exec_lo, s1
	v_dual_mov_b32 v11, 0 :: v_dual_mov_b32 v12, 0
	s_mov_b32 s1, exec_lo
	v_cmpx_gt_i32_e64 s8, v2
	s_cbranch_execz .LBB9_17
; %bb.16:
	v_add_nc_u32_e32 v3, s2, v2
	v_add_nc_u32_e32 v2, 0x100, v2
	global_load_b32 v12, v3, s[6:7] scale_offset
.LBB9_17:
	s_wait_xcnt 0x0
	s_or_b32 exec_lo, exec_lo, s1
	s_delay_alu instid0(SALU_CYCLE_1)
	s_mov_b32 s1, exec_lo
	v_cmpx_gt_i32_e64 s8, v2
	s_cbranch_execz .LBB9_19
; %bb.18:
	v_add_nc_u32_e32 v2, s2, v2
	global_load_b32 v11, v2, s[6:7] scale_offset
.LBB9_19:
	s_wait_xcnt 0x0
	s_or_b32 exec_lo, exec_lo, s1
	v_mov_b32_e32 v2, 0
	s_delay_alu instid0(VALU_DEP_1)
	v_dual_mov_b32 v3, v2 :: v_dual_mov_b32 v4, v2
	v_mov_b32_e32 v5, v2
	s_and_saveexec_b32 s1, s0
	s_cbranch_execz .LBB9_23
; %bb.20:
	s_wait_loadcnt 0x0
	v_mul_f32_e32 v2, s9, v6
	s_mov_b32 s3, exec_lo
	s_delay_alu instid0(VALU_DEP_1)
	v_cmpx_nlt_f32_e32 s10, v2
	s_cbranch_execz .LBB9_22
; %bb.21:
	v_mul_f32_e32 v3, 0x3fb8aa3b, v2
	v_cmp_ngt_f32_e32 vcc_lo, 0xc2ce8ed0, v2
	s_mov_b32 s6, 0x3e9b6dac
	s_delay_alu instid0(VALU_DEP_2) | instskip(SKIP_1) | instid1(VALU_DEP_2)
	v_rndne_f32_e32 v4, v3
	v_fma_f32 v5, 0x3fb8aa3b, v2, -v3
	v_sub_f32_e32 v3, v3, v4
	s_delay_alu instid0(VALU_DEP_2) | instskip(SKIP_1) | instid1(VALU_DEP_2)
	v_fmamk_f32 v5, v2, 0x32a5705f, v5
	v_cvt_i32_f32_e32 v4, v4
	v_add_f32_e32 v3, v3, v5
	s_delay_alu instid0(VALU_DEP_1) | instskip(SKIP_1) | instid1(TRANS32_DEP_1)
	v_exp_f32_e32 v3, v3
	v_nop
	v_ldexp_f32 v3, v3, v4
	s_delay_alu instid0(VALU_DEP_1) | instskip(SKIP_1) | instid1(VALU_DEP_2)
	v_cndmask_b32_e32 v3, 0, v3, vcc_lo
	v_cmp_nlt_f32_e32 vcc_lo, 0x42b17218, v2
	v_cndmask_b32_e32 v22, 0x7f800000, v3, vcc_lo
	s_delay_alu instid0(VALU_DEP_1) | instskip(NEXT) | instid1(VALU_DEP_1)
	v_add_f32_e32 v4, 1.0, v22
	v_cvt_f64_f32_e32 v[2:3], v4
	s_delay_alu instid0(VALU_DEP_1) | instskip(SKIP_1) | instid1(VALU_DEP_1)
	v_frexp_exp_i32_f64_e32 v2, v[2:3]
	v_frexp_mant_f32_e32 v3, v4
	v_cmp_gt_f32_e32 vcc_lo, 0x3f2aaaab, v3
	s_delay_alu instid0(VALU_DEP_3) | instskip(SKIP_1) | instid1(VALU_DEP_2)
	v_subrev_co_ci_u32_e64 v8, null, 0, v2, vcc_lo
	v_add_f32_e32 v2, -1.0, v4
	v_sub_nc_u32_e32 v3, 0, v8
	v_cmp_neq_f32_e32 vcc_lo, 0x7f800000, v22
	s_delay_alu instid0(VALU_DEP_3) | instskip(SKIP_1) | instid1(VALU_DEP_4)
	v_sub_f32_e32 v5, v2, v4
	v_sub_f32_e32 v2, v22, v2
	v_ldexp_f32 v4, v4, v3
	s_delay_alu instid0(VALU_DEP_1) | instskip(NEXT) | instid1(VALU_DEP_1)
	v_dual_add_f32 v5, 1.0, v5 :: v_dual_add_f32 v7, -1.0, v4
	v_dual_add_f32 v6, 1.0, v4 :: v_dual_add_f32 v2, v2, v5
	s_delay_alu instid0(VALU_DEP_1) | instskip(NEXT) | instid1(VALU_DEP_2)
	v_add_f32_e32 v5, -1.0, v6
	v_ldexp_f32 v2, v2, v3
	s_delay_alu instid0(VALU_DEP_2) | instskip(NEXT) | instid1(VALU_DEP_1)
	v_dual_sub_f32 v3, v4, v5 :: v_dual_add_f32 v5, 1.0, v7
	v_dual_add_f32 v9, v2, v3 :: v_dual_sub_f32 v3, v4, v5
	s_delay_alu instid0(VALU_DEP_1) | instskip(NEXT) | instid1(VALU_DEP_1)
	v_add_f32_e32 v15, v2, v3
	v_dual_add_f32 v14, v6, v9 :: v_dual_add_f32 v3, v7, v15
	s_delay_alu instid0(VALU_DEP_1) | instskip(NEXT) | instid1(VALU_DEP_1)
	v_rcp_f32_e32 v16, v14
	v_sub_f32_e32 v18, v7, v3
	s_delay_alu instid0(TRANS32_DEP_1) | instskip(NEXT) | instid1(VALU_DEP_1)
	v_mul_f32_e32 v17, v3, v16
	v_mul_f32_e32 v4, v14, v17
	s_delay_alu instid0(VALU_DEP_1) | instskip(NEXT) | instid1(VALU_DEP_1)
	v_dual_sub_f32 v2, v6, v14 :: v_dual_fma_f32 v6, v17, v14, -v4
	v_add_f32_e32 v9, v9, v2
	s_delay_alu instid0(VALU_DEP_1) | instskip(NEXT) | instid1(VALU_DEP_1)
	v_fmac_f32_e32 v6, v17, v9
	v_add_f32_e32 v2, v4, v6
	s_delay_alu instid0(VALU_DEP_1) | instskip(NEXT) | instid1(VALU_DEP_1)
	v_dual_sub_f32 v5, v3, v2 :: v_dual_mov_b32 v7, v2
	v_pk_add_f32 v[2:3], v[2:3], v[4:5] neg_lo:[0,1] neg_hi:[0,1]
	v_add_f32_e32 v4, v15, v18
	s_delay_alu instid0(VALU_DEP_2) | instskip(NEXT) | instid1(VALU_DEP_1)
	v_pk_add_f32 v[2:3], v[2:3], v[6:7] neg_lo:[0,1] neg_hi:[0,1]
	v_add_f32_e32 v3, v4, v3
	s_delay_alu instid0(VALU_DEP_1) | instskip(NEXT) | instid1(VALU_DEP_1)
	v_add_f32_e32 v15, v2, v3
	v_add_f32_e32 v3, v5, v15
	s_delay_alu instid0(VALU_DEP_1) | instskip(NEXT) | instid1(VALU_DEP_1)
	v_mul_f32_e32 v18, v16, v3
	v_mul_f32_e32 v6, v14, v18
	s_delay_alu instid0(VALU_DEP_1) | instskip(NEXT) | instid1(VALU_DEP_1)
	v_fma_f32 v4, v18, v14, -v6
	v_dual_fmac_f32 v4, v18, v9 :: v_dual_sub_f32 v9, v5, v3
	s_delay_alu instid0(VALU_DEP_1) | instskip(NEXT) | instid1(VALU_DEP_1)
	v_add_f32_e32 v2, v6, v4
	v_dual_sub_f32 v7, v3, v2 :: v_dual_mov_b32 v5, v2
	s_delay_alu instid0(VALU_DEP_1) | instskip(NEXT) | instid1(VALU_DEP_4)
	v_pk_add_f32 v[2:3], v[2:3], v[6:7] neg_lo:[0,1] neg_hi:[0,1]
	v_add_f32_e32 v6, v15, v9
	s_delay_alu instid0(VALU_DEP_2) | instskip(SKIP_1) | instid1(VALU_DEP_2)
	v_pk_add_f32 v[2:3], v[2:3], v[4:5] neg_lo:[0,1] neg_hi:[0,1]
	v_cvt_f32_i32_e32 v4, v8
	v_dual_add_f32 v3, v6, v3 :: v_dual_add_f32 v6, v17, v18
	s_delay_alu instid0(VALU_DEP_1) | instskip(NEXT) | instid1(VALU_DEP_1)
	v_add_f32_e32 v2, v2, v3
	v_dual_sub_f32 v3, v6, v17 :: v_dual_add_f32 v2, v7, v2
	s_delay_alu instid0(VALU_DEP_1) | instskip(NEXT) | instid1(VALU_DEP_1)
	v_dual_sub_f32 v3, v18, v3 :: v_dual_mul_f32 v2, v16, v2
	v_dual_add_f32 v9, v3, v2 :: v_dual_mov_b32 v2, 0x3f317218
	s_delay_alu instid0(VALU_DEP_1) | instskip(NEXT) | instid1(VALU_DEP_1)
	v_add_f32_e32 v7, v6, v9
	v_mul_f32_e32 v3, v7, v7
	s_delay_alu instid0(VALU_DEP_1) | instskip(NEXT) | instid1(VALU_DEP_1)
	v_dual_fmaak_f32 v14, s6, v3, 0x3ecc95a3 :: v_dual_mul_f32 v5, v7, v3
	v_fmaak_f32 v3, v3, v14, 0x3f2aaada
	s_delay_alu instid0(VALU_DEP_1) | instskip(SKIP_1) | instid1(VALU_DEP_2)
	v_pk_mul_f32 v[2:3], v[4:5], v[2:3]
	v_ldexp_f32 v5, v7, 1
	v_fma_f32 v8, 0x3f317218, v4, -v2
	s_delay_alu instid0(VALU_DEP_1) | instskip(SKIP_1) | instid1(VALU_DEP_2)
	v_fmamk_f32 v4, v4, 0xb102e308, v8
	v_sub_f32_e32 v8, v7, v6
	v_pk_add_f32 v[6:7], v[2:3], v[4:5]
	s_delay_alu instid0(VALU_DEP_1) | instskip(NEXT) | instid1(VALU_DEP_1)
	v_dual_sub_f32 v5, v7, v5 :: v_dual_sub_f32 v8, v9, v8
	v_sub_f32_e32 v5, v3, v5
	s_delay_alu instid0(VALU_DEP_2) | instskip(SKIP_2) | instid1(VALU_DEP_3)
	v_ldexp_f32 v9, v8, 1
	v_mov_b32_e32 v8, v2
	v_pk_add_f32 v[2:3], v[6:7], v[2:3] neg_lo:[0,1] neg_hi:[0,1]
	v_dual_add_f32 v9, v9, v5 :: v_dual_mov_b32 v5, v6
	s_delay_alu instid0(VALU_DEP_1) | instskip(NEXT) | instid1(VALU_DEP_1)
	v_pk_add_f32 v[14:15], v[6:7], v[8:9]
	v_dual_mov_b32 v20, v7 :: v_dual_mov_b32 v3, v15
	s_delay_alu instid0(VALU_DEP_1) | instskip(NEXT) | instid1(VALU_DEP_1)
	v_pk_add_f32 v[16:17], v[4:5], v[2:3]
	v_dual_mov_b32 v16, v15 :: v_dual_mov_b32 v8, v17
	v_pk_add_f32 v[2:3], v[4:5], v[2:3] neg_lo:[0,1] neg_hi:[0,1]
	v_mov_b32_e32 v3, v17
	s_delay_alu instid0(VALU_DEP_3) | instskip(SKIP_1) | instid1(VALU_DEP_2)
	v_pk_add_f32 v[18:19], v[8:9], v[6:7] neg_lo:[0,1] neg_hi:[0,1]
	v_dual_mov_b32 v7, v6 :: v_dual_mov_b32 v6, v9
	v_dual_mov_b32 v9, v18 :: v_dual_mov_b32 v21, v18
	s_delay_alu instid0(VALU_DEP_1) | instskip(NEXT) | instid1(VALU_DEP_2)
	v_pk_add_f32 v[14:15], v[14:15], v[8:9] neg_lo:[0,1] neg_hi:[0,1]
	v_pk_add_f32 v[4:5], v[16:17], v[20:21] neg_lo:[0,1] neg_hi:[0,1]
	v_mov_b32_e32 v14, v2
	s_delay_alu instid0(VALU_DEP_2) | instskip(NEXT) | instid1(VALU_DEP_1)
	v_pk_add_f32 v[4:5], v[6:7], v[4:5] neg_lo:[0,1] neg_hi:[0,1]
	v_pk_add_f32 v[6:7], v[14:15], v[4:5]
	s_delay_alu instid0(VALU_DEP_1) | instskip(NEXT) | instid1(VALU_DEP_1)
	v_mov_b32_e32 v14, v7
	v_pk_add_f32 v[14:15], v[6:7], v[14:15]
	s_delay_alu instid0(VALU_DEP_1) | instskip(NEXT) | instid1(VALU_DEP_1)
	v_pk_add_f32 v[8:9], v[8:9], v[14:15]
	v_mov_b32_e32 v7, v8
	s_delay_alu instid0(VALU_DEP_1) | instskip(NEXT) | instid1(VALU_DEP_1)
	v_pk_add_f32 v[16:17], v[6:7], v[2:3] neg_lo:[0,1] neg_hi:[0,1]
	v_sub_f32_e32 v3, v6, v16
	s_delay_alu instid0(VALU_DEP_1) | instskip(SKIP_1) | instid1(VALU_DEP_1)
	v_sub_f32_e32 v2, v2, v3
	v_mov_b32_e32 v5, v14
	v_pk_add_f32 v[4:5], v[4:5], v[16:17] neg_lo:[0,1] neg_hi:[0,1]
	s_delay_alu instid0(VALU_DEP_1) | instskip(NEXT) | instid1(VALU_DEP_1)
	v_add_f32_e32 v2, v4, v2
	v_add_f32_e32 v2, v2, v5
	s_delay_alu instid0(VALU_DEP_1) | instskip(NEXT) | instid1(VALU_DEP_1)
	v_add_f32_e32 v2, v8, v2
	v_cndmask_b32_e32 v2, 0x7f800000, v2, vcc_lo
	v_cmp_gt_f32_e64 vcc_lo, 0x33800000, |v22|
	s_delay_alu instid0(VALU_DEP_2) | instskip(NEXT) | instid1(VALU_DEP_1)
	v_cndmask_b32_e32 v2, v2, v22, vcc_lo
	v_div_scale_f32 v3, null, s9, s9, v2
	s_delay_alu instid0(VALU_DEP_1) | instskip(SKIP_1) | instid1(TRANS32_DEP_1)
	v_rcp_f32_e32 v4, v3
	v_nop
	v_fma_f32 v5, -v3, v4, 1.0
	s_delay_alu instid0(VALU_DEP_1) | instskip(SKIP_1) | instid1(VALU_DEP_1)
	v_fmac_f32_e32 v4, v5, v4
	v_div_scale_f32 v5, vcc_lo, v2, s9, v2
	v_mul_f32_e32 v6, v5, v4
	s_delay_alu instid0(VALU_DEP_1) | instskip(NEXT) | instid1(VALU_DEP_1)
	v_fma_f32 v7, -v3, v6, v5
	v_fmac_f32_e32 v6, v7, v4
	s_delay_alu instid0(VALU_DEP_1) | instskip(NEXT) | instid1(VALU_DEP_1)
	v_fma_f32 v3, -v3, v6, v5
	v_div_fmas_f32 v3, v3, v4, v6
	s_delay_alu instid0(VALU_DEP_1)
	v_div_fixup_f32 v6, v3, s9, v2
.LBB9_22:
	s_or_b32 exec_lo, exec_lo, s3
	v_mov_b32_e32 v7, 0
	s_delay_alu instid0(VALU_DEP_1) | instskip(NEXT) | instid1(VALU_DEP_3)
	v_dual_mov_b32 v8, v7 :: v_dual_mov_b32 v9, v7
	v_mov_b64_e32 v[2:3], v[6:7]
	s_delay_alu instid0(VALU_DEP_2)
	v_mov_b64_e32 v[4:5], v[8:9]
.LBB9_23:
	s_or_b32 exec_lo, exec_lo, s1
	s_delay_alu instid0(SALU_CYCLE_1)
	s_mov_b32 s1, exec_lo
	v_cmpx_gt_i32_e64 s8, v10
	s_cbranch_execz .LBB9_27
; %bb.24:
	s_wait_loadcnt 0x0
	v_mul_f32_e32 v3, s9, v13
	s_mov_b32 s3, exec_lo
	s_delay_alu instid0(VALU_DEP_1)
	v_cmpx_nlt_f32_e32 s10, v3
	s_cbranch_execz .LBB9_26
; %bb.25:
	v_mul_f32_e32 v6, 0x3fb8aa3b, v3
	v_cmp_ngt_f32_e32 vcc_lo, 0xc2ce8ed0, v3
	s_mov_b32 s6, 0x3e9b6dac
	s_delay_alu instid0(VALU_DEP_2) | instskip(SKIP_1) | instid1(VALU_DEP_2)
	v_rndne_f32_e32 v7, v6
	v_fma_f32 v8, 0x3fb8aa3b, v3, -v6
	v_sub_f32_e32 v6, v6, v7
	s_delay_alu instid0(VALU_DEP_2) | instskip(SKIP_1) | instid1(VALU_DEP_2)
	v_fmamk_f32 v8, v3, 0x32a5705f, v8
	v_cvt_i32_f32_e32 v7, v7
	v_add_f32_e32 v6, v6, v8
	s_delay_alu instid0(VALU_DEP_1) | instskip(SKIP_1) | instid1(TRANS32_DEP_1)
	v_exp_f32_e32 v6, v6
	v_nop
	v_ldexp_f32 v6, v6, v7
	s_delay_alu instid0(VALU_DEP_1) | instskip(SKIP_1) | instid1(VALU_DEP_2)
	v_cndmask_b32_e32 v6, 0, v6, vcc_lo
	v_cmp_nlt_f32_e32 vcc_lo, 0x42b17218, v3
	v_cndmask_b32_e32 v13, 0x7f800000, v6, vcc_lo
	s_delay_alu instid0(VALU_DEP_1) | instskip(NEXT) | instid1(VALU_DEP_1)
	v_add_f32_e32 v3, 1.0, v13
	v_cvt_f64_f32_e32 v[6:7], v3
	s_delay_alu instid0(VALU_DEP_1) | instskip(SKIP_1) | instid1(VALU_DEP_1)
	v_frexp_exp_i32_f64_e32 v6, v[6:7]
	v_frexp_mant_f32_e32 v7, v3
	v_cmp_gt_f32_e32 vcc_lo, 0x3f2aaaab, v7
	s_delay_alu instid0(VALU_DEP_3) | instskip(SKIP_2) | instid1(VALU_DEP_2)
	v_subrev_co_ci_u32_e64 v16, null, 0, v6, vcc_lo
	v_add_f32_e32 v6, -1.0, v3
	v_cmp_neq_f32_e32 vcc_lo, 0x7f800000, v13
	v_dual_sub_f32 v8, v6, v3 :: v_dual_sub_nc_u32 v7, 0, v16
	v_sub_f32_e32 v6, v13, v6
	s_delay_alu instid0(VALU_DEP_2) | instskip(NEXT) | instid1(VALU_DEP_1)
	v_ldexp_f32 v3, v3, v7
	v_dual_add_f32 v8, 1.0, v8 :: v_dual_add_f32 v9, 1.0, v3
	s_delay_alu instid0(VALU_DEP_1) | instskip(NEXT) | instid1(VALU_DEP_2)
	v_dual_add_f32 v15, -1.0, v3 :: v_dual_add_f32 v6, v6, v8
	v_add_f32_e32 v8, -1.0, v9
	s_delay_alu instid0(VALU_DEP_2) | instskip(NEXT) | instid1(VALU_DEP_2)
	v_ldexp_f32 v6, v6, v7
	v_dual_sub_f32 v7, v3, v8 :: v_dual_add_f32 v8, 1.0, v15
	s_delay_alu instid0(VALU_DEP_1) | instskip(NEXT) | instid1(VALU_DEP_1)
	v_dual_add_f32 v14, v6, v7 :: v_dual_sub_f32 v3, v3, v8
	v_dual_add_f32 v17, v9, v14 :: v_dual_add_f32 v3, v6, v3
	s_delay_alu instid0(VALU_DEP_1) | instskip(NEXT) | instid1(VALU_DEP_1)
	v_rcp_f32_e32 v18, v17
	v_dual_add_f32 v7, v15, v3 :: v_dual_sub_f32 v6, v9, v17
	s_delay_alu instid0(VALU_DEP_1) | instskip(NEXT) | instid1(TRANS32_DEP_1)
	v_sub_f32_e32 v21, v15, v7
	v_mul_f32_e32 v19, v7, v18
	s_delay_alu instid0(VALU_DEP_2) | instskip(NEXT) | instid1(VALU_DEP_2)
	v_dual_add_f32 v20, v14, v6 :: v_dual_add_f32 v3, v3, v21
	v_mul_f32_e32 v8, v17, v19
	s_delay_alu instid0(VALU_DEP_1) | instskip(NEXT) | instid1(VALU_DEP_1)
	v_fma_f32 v14, v19, v17, -v8
	v_fmac_f32_e32 v14, v19, v20
	s_delay_alu instid0(VALU_DEP_1) | instskip(NEXT) | instid1(VALU_DEP_1)
	v_add_f32_e32 v6, v8, v14
	v_dual_sub_f32 v9, v7, v6 :: v_dual_mov_b32 v15, v6
	s_delay_alu instid0(VALU_DEP_1) | instskip(NEXT) | instid1(VALU_DEP_1)
	v_pk_add_f32 v[6:7], v[6:7], v[8:9] neg_lo:[0,1] neg_hi:[0,1]
	v_pk_add_f32 v[6:7], v[6:7], v[14:15] neg_lo:[0,1] neg_hi:[0,1]
	s_delay_alu instid0(VALU_DEP_1) | instskip(NEXT) | instid1(VALU_DEP_1)
	v_add_f32_e32 v3, v3, v7
	v_add_f32_e32 v3, v6, v3
	s_delay_alu instid0(VALU_DEP_1) | instskip(NEXT) | instid1(VALU_DEP_1)
	v_add_f32_e32 v7, v9, v3
	v_mul_f32_e32 v21, v18, v7
	s_delay_alu instid0(VALU_DEP_1) | instskip(NEXT) | instid1(VALU_DEP_1)
	v_mul_f32_e32 v14, v17, v21
	v_fma_f32 v8, v21, v17, -v14
	v_sub_f32_e32 v17, v9, v7
	s_delay_alu instid0(VALU_DEP_1) | instskip(NEXT) | instid1(VALU_DEP_1)
	v_dual_fmac_f32 v8, v21, v20 :: v_dual_add_f32 v3, v3, v17
	v_add_f32_e32 v6, v14, v8
	s_delay_alu instid0(VALU_DEP_1) | instskip(NEXT) | instid1(VALU_DEP_1)
	v_dual_sub_f32 v15, v7, v6 :: v_dual_mov_b32 v9, v6
	v_pk_add_f32 v[6:7], v[6:7], v[14:15] neg_lo:[0,1] neg_hi:[0,1]
	s_delay_alu instid0(VALU_DEP_1) | instskip(SKIP_1) | instid1(VALU_DEP_2)
	v_pk_add_f32 v[6:7], v[6:7], v[8:9] neg_lo:[0,1] neg_hi:[0,1]
	v_cvt_f32_i32_e32 v8, v16
	v_add_f32_e32 v3, v3, v7
	s_delay_alu instid0(VALU_DEP_1) | instskip(NEXT) | instid1(VALU_DEP_1)
	v_dual_add_f32 v14, v19, v21 :: v_dual_add_f32 v3, v6, v3
	v_sub_f32_e32 v6, v14, v19
	s_delay_alu instid0(VALU_DEP_1) | instskip(NEXT) | instid1(VALU_DEP_1)
	v_dual_add_f32 v3, v15, v3 :: v_dual_sub_f32 v6, v21, v6
	v_mul_f32_e32 v3, v18, v3
	s_delay_alu instid0(VALU_DEP_1) | instskip(NEXT) | instid1(VALU_DEP_1)
	v_dual_add_f32 v3, v6, v3 :: v_dual_mov_b32 v6, 0x3f317218
	v_add_f32_e32 v15, v14, v3
	s_delay_alu instid0(VALU_DEP_1) | instskip(NEXT) | instid1(VALU_DEP_1)
	v_mul_f32_e32 v7, v15, v15
	v_fmaak_f32 v17, s6, v7, 0x3ecc95a3
	v_mul_f32_e32 v9, v15, v7
	s_delay_alu instid0(VALU_DEP_2) | instskip(NEXT) | instid1(VALU_DEP_1)
	v_fmaak_f32 v7, v7, v17, 0x3f2aaada
	v_pk_mul_f32 v[6:7], v[8:9], v[6:7]
	s_delay_alu instid0(VALU_DEP_1) | instskip(NEXT) | instid1(VALU_DEP_1)
	v_fma_f32 v16, 0x3f317218, v8, -v6
	v_fmamk_f32 v8, v8, 0xb102e308, v16
	v_sub_f32_e32 v16, v15, v14
	s_delay_alu instid0(VALU_DEP_1) | instskip(SKIP_2) | instid1(VALU_DEP_3)
	v_sub_f32_e32 v3, v3, v16
	v_ldexp_f32 v9, v15, 1
	v_mov_b32_e32 v16, v6
	v_ldexp_f32 v3, v3, 1
	s_delay_alu instid0(VALU_DEP_3) | instskip(NEXT) | instid1(VALU_DEP_1)
	v_pk_add_f32 v[14:15], v[6:7], v[8:9]
	v_dual_sub_f32 v9, v15, v9 :: v_dual_mov_b32 v24, v15
	s_delay_alu instid0(VALU_DEP_1) | instskip(NEXT) | instid1(VALU_DEP_3)
	v_sub_f32_e32 v9, v7, v9
	v_pk_add_f32 v[6:7], v[14:15], v[6:7] neg_lo:[0,1] neg_hi:[0,1]
	s_delay_alu instid0(VALU_DEP_2) | instskip(NEXT) | instid1(VALU_DEP_1)
	v_dual_add_f32 v17, v3, v9 :: v_dual_mov_b32 v9, v14
	v_pk_add_f32 v[18:19], v[14:15], v[16:17]
	s_delay_alu instid0(VALU_DEP_1) | instskip(NEXT) | instid1(VALU_DEP_1)
	v_mov_b32_e32 v7, v19
	v_pk_add_f32 v[20:21], v[8:9], v[6:7]
	v_mov_b32_e32 v20, v19
	v_pk_add_f32 v[6:7], v[8:9], v[6:7] neg_lo:[0,1] neg_hi:[0,1]
	s_delay_alu instid0(VALU_DEP_3) | instskip(NEXT) | instid1(VALU_DEP_1)
	v_dual_mov_b32 v16, v21 :: v_dual_mov_b32 v7, v21
	v_pk_add_f32 v[22:23], v[16:17], v[14:15] neg_lo:[0,1] neg_hi:[0,1]
	v_dual_mov_b32 v15, v14 :: v_dual_mov_b32 v14, v17
	s_delay_alu instid0(VALU_DEP_2) | instskip(NEXT) | instid1(VALU_DEP_1)
	v_dual_mov_b32 v3, v22 :: v_dual_mov_b32 v25, v22
	v_pk_add_f32 v[18:19], v[18:19], v[2:3] neg_lo:[0,1] neg_hi:[0,1]
	s_delay_alu instid0(VALU_DEP_2) | instskip(SKIP_1) | instid1(VALU_DEP_2)
	v_pk_add_f32 v[8:9], v[20:21], v[24:25] neg_lo:[0,1] neg_hi:[0,1]
	v_mov_b32_e32 v18, v6
	v_pk_add_f32 v[8:9], v[14:15], v[8:9] neg_lo:[0,1] neg_hi:[0,1]
	s_delay_alu instid0(VALU_DEP_1) | instskip(NEXT) | instid1(VALU_DEP_1)
	v_pk_add_f32 v[14:15], v[18:19], v[8:9]
	v_mov_b32_e32 v18, v15
	s_delay_alu instid0(VALU_DEP_1) | instskip(NEXT) | instid1(VALU_DEP_1)
	v_pk_add_f32 v[18:19], v[14:15], v[18:19]
	v_pk_add_f32 v[16:17], v[16:17], v[18:19]
	s_delay_alu instid0(VALU_DEP_1) | instskip(NEXT) | instid1(VALU_DEP_1)
	v_mov_b32_e32 v15, v16
	v_pk_add_f32 v[20:21], v[14:15], v[6:7] neg_lo:[0,1] neg_hi:[0,1]
	s_delay_alu instid0(VALU_DEP_1) | instskip(NEXT) | instid1(VALU_DEP_1)
	v_sub_f32_e32 v3, v14, v20
	v_sub_f32_e32 v3, v6, v3
	v_mov_b32_e32 v9, v18
	s_delay_alu instid0(VALU_DEP_1) | instskip(NEXT) | instid1(VALU_DEP_1)
	v_pk_add_f32 v[8:9], v[8:9], v[20:21] neg_lo:[0,1] neg_hi:[0,1]
	v_add_f32_e32 v3, v8, v3
	s_delay_alu instid0(VALU_DEP_1) | instskip(NEXT) | instid1(VALU_DEP_1)
	v_add_f32_e32 v3, v3, v9
	v_add_f32_e32 v3, v16, v3
	s_delay_alu instid0(VALU_DEP_1) | instskip(SKIP_1) | instid1(VALU_DEP_2)
	v_cndmask_b32_e32 v3, 0x7f800000, v3, vcc_lo
	v_cmp_gt_f32_e64 vcc_lo, 0x33800000, |v13|
	v_cndmask_b32_e32 v3, v3, v13, vcc_lo
	s_delay_alu instid0(VALU_DEP_1) | instskip(NEXT) | instid1(VALU_DEP_1)
	v_div_scale_f32 v6, null, s9, s9, v3
	v_rcp_f32_e32 v7, v6
	v_nop
	s_delay_alu instid0(TRANS32_DEP_1) | instskip(NEXT) | instid1(VALU_DEP_1)
	v_fma_f32 v8, -v6, v7, 1.0
	v_fmac_f32_e32 v7, v8, v7
	v_div_scale_f32 v8, vcc_lo, v3, s9, v3
	s_delay_alu instid0(VALU_DEP_1) | instskip(NEXT) | instid1(VALU_DEP_1)
	v_mul_f32_e32 v9, v8, v7
	v_fma_f32 v13, -v6, v9, v8
	s_delay_alu instid0(VALU_DEP_1) | instskip(NEXT) | instid1(VALU_DEP_1)
	v_fmac_f32_e32 v9, v13, v7
	v_fma_f32 v6, -v6, v9, v8
	s_delay_alu instid0(VALU_DEP_1) | instskip(NEXT) | instid1(VALU_DEP_1)
	v_div_fmas_f32 v6, v6, v7, v9
	v_div_fixup_f32 v13, v6, s9, v3
.LBB9_26:
	s_or_b32 exec_lo, exec_lo, s3
	s_delay_alu instid0(VALU_DEP_1)
	v_mov_b32_e32 v3, v13
.LBB9_27:
	s_or_b32 exec_lo, exec_lo, s1
	s_wait_loadcnt 0x0
	v_or_b32_e32 v6, 0x200, v0
	s_mov_b32 s1, exec_lo
	s_delay_alu instid0(VALU_DEP_1)
	v_cmpx_gt_i32_e64 s8, v6
	s_cbranch_execz .LBB9_31
; %bb.28:
	v_mul_f32_e32 v4, s9, v12
	s_mov_b32 s3, exec_lo
	s_delay_alu instid0(VALU_DEP_1)
	v_cmpx_nlt_f32_e32 s10, v4
	s_cbranch_execz .LBB9_30
; %bb.29:
	v_mul_f32_e32 v6, 0x3fb8aa3b, v4
	v_cmp_ngt_f32_e32 vcc_lo, 0xc2ce8ed0, v4
	s_mov_b32 s6, 0x3e9b6dac
	s_delay_alu instid0(VALU_DEP_2) | instskip(SKIP_1) | instid1(VALU_DEP_2)
	v_rndne_f32_e32 v7, v6
	v_fma_f32 v8, 0x3fb8aa3b, v4, -v6
	v_sub_f32_e32 v6, v6, v7
	s_delay_alu instid0(VALU_DEP_2) | instskip(SKIP_1) | instid1(VALU_DEP_2)
	v_fmamk_f32 v8, v4, 0x32a5705f, v8
	v_cvt_i32_f32_e32 v7, v7
	v_add_f32_e32 v6, v6, v8
	s_delay_alu instid0(VALU_DEP_1) | instskip(SKIP_1) | instid1(TRANS32_DEP_1)
	v_exp_f32_e32 v6, v6
	v_nop
	v_ldexp_f32 v6, v6, v7
	s_delay_alu instid0(VALU_DEP_1) | instskip(SKIP_1) | instid1(VALU_DEP_2)
	v_cndmask_b32_e32 v6, 0, v6, vcc_lo
	v_cmp_nlt_f32_e32 vcc_lo, 0x42b17218, v4
	v_cndmask_b32_e32 v24, 0x7f800000, v6, vcc_lo
	s_delay_alu instid0(VALU_DEP_1) | instskip(NEXT) | instid1(VALU_DEP_1)
	v_add_f32_e32 v4, 1.0, v24
	v_cvt_f64_f32_e32 v[6:7], v4
	s_delay_alu instid0(VALU_DEP_1) | instskip(SKIP_1) | instid1(VALU_DEP_1)
	v_frexp_exp_i32_f64_e32 v6, v[6:7]
	v_frexp_mant_f32_e32 v7, v4
	v_cmp_gt_f32_e32 vcc_lo, 0x3f2aaaab, v7
	s_delay_alu instid0(VALU_DEP_3) | instskip(NEXT) | instid1(VALU_DEP_1)
	v_subrev_co_ci_u32_e64 v14, null, 0, v6, vcc_lo
	v_dual_add_f32 v6, -1.0, v4 :: v_dual_sub_nc_u32 v7, 0, v14
	s_delay_alu instid0(VALU_DEP_1) | instskip(NEXT) | instid1(VALU_DEP_2)
	v_sub_f32_e32 v8, v6, v4
	v_ldexp_f32 v4, v4, v7
	s_delay_alu instid0(VALU_DEP_1) | instskip(NEXT) | instid1(VALU_DEP_3)
	v_dual_add_f32 v9, 1.0, v4 :: v_dual_add_f32 v13, -1.0, v4
	v_dual_sub_f32 v6, v24, v6 :: v_dual_add_f32 v8, 1.0, v8
	v_cmp_neq_f32_e32 vcc_lo, 0x7f800000, v24
	s_delay_alu instid0(VALU_DEP_2) | instskip(NEXT) | instid1(VALU_DEP_1)
	v_dual_add_f32 v6, v6, v8 :: v_dual_add_f32 v8, -1.0, v9
	v_ldexp_f32 v6, v6, v7
	s_delay_alu instid0(VALU_DEP_2) | instskip(NEXT) | instid1(VALU_DEP_1)
	v_dual_sub_f32 v7, v4, v8 :: v_dual_add_f32 v8, 1.0, v13
	v_dual_add_f32 v12, v6, v7 :: v_dual_sub_f32 v4, v4, v8
	s_delay_alu instid0(VALU_DEP_1) | instskip(NEXT) | instid1(VALU_DEP_1)
	v_add_f32_e32 v15, v9, v12
	v_dual_add_f32 v4, v6, v4 :: v_dual_sub_f32 v6, v9, v15
	s_delay_alu instid0(VALU_DEP_1) | instskip(SKIP_1) | instid1(VALU_DEP_2)
	v_add_f32_e32 v18, v12, v6
	v_rcp_f32_e32 v16, v15
	v_add_f32_e32 v7, v13, v4
	s_delay_alu instid0(TRANS32_DEP_1) | instid1(VALU_DEP_1)
	v_mul_f32_e32 v17, v7, v16
	s_delay_alu instid0(VALU_DEP_1) | instskip(NEXT) | instid1(VALU_DEP_1)
	v_dual_mul_f32 v8, v15, v17 :: v_dual_sub_f32 v19, v13, v7
	v_fma_f32 v12, v17, v15, -v8
	s_delay_alu instid0(VALU_DEP_1) | instskip(NEXT) | instid1(VALU_DEP_1)
	v_dual_add_f32 v4, v4, v19 :: v_dual_fmac_f32 v12, v17, v18
	v_add_f32_e32 v6, v8, v12
	s_delay_alu instid0(VALU_DEP_1) | instskip(NEXT) | instid1(VALU_DEP_1)
	v_dual_sub_f32 v9, v7, v6 :: v_dual_mov_b32 v13, v6
	v_pk_add_f32 v[6:7], v[6:7], v[8:9] neg_lo:[0,1] neg_hi:[0,1]
	s_delay_alu instid0(VALU_DEP_1) | instskip(NEXT) | instid1(VALU_DEP_1)
	v_pk_add_f32 v[6:7], v[6:7], v[12:13] neg_lo:[0,1] neg_hi:[0,1]
	v_add_f32_e32 v4, v4, v7
	s_delay_alu instid0(VALU_DEP_1) | instskip(NEXT) | instid1(VALU_DEP_1)
	v_add_f32_e32 v4, v6, v4
	v_add_f32_e32 v7, v9, v4
	s_delay_alu instid0(VALU_DEP_1) | instskip(NEXT) | instid1(VALU_DEP_1)
	v_mul_f32_e32 v19, v16, v7
	v_mul_f32_e32 v12, v15, v19
	s_delay_alu instid0(VALU_DEP_1) | instskip(NEXT) | instid1(VALU_DEP_1)
	v_fma_f32 v8, v19, v15, -v12
	v_dual_sub_f32 v15, v9, v7 :: v_dual_fmac_f32 v8, v19, v18
	s_delay_alu instid0(VALU_DEP_1) | instskip(NEXT) | instid1(VALU_DEP_2)
	v_add_f32_e32 v4, v4, v15
	v_add_f32_e32 v6, v12, v8
	s_delay_alu instid0(VALU_DEP_1) | instskip(NEXT) | instid1(VALU_DEP_1)
	v_dual_sub_f32 v13, v7, v6 :: v_dual_mov_b32 v9, v6
	v_pk_add_f32 v[6:7], v[6:7], v[12:13] neg_lo:[0,1] neg_hi:[0,1]
	v_add_f32_e32 v12, v17, v19
	s_delay_alu instid0(VALU_DEP_2) | instskip(SKIP_1) | instid1(VALU_DEP_2)
	v_pk_add_f32 v[6:7], v[6:7], v[8:9] neg_lo:[0,1] neg_hi:[0,1]
	v_cvt_f32_i32_e32 v8, v14
	v_add_f32_e32 v4, v4, v7
	s_delay_alu instid0(VALU_DEP_1) | instskip(NEXT) | instid1(VALU_DEP_1)
	v_dual_add_f32 v4, v6, v4 :: v_dual_sub_f32 v6, v12, v17
	v_dual_add_f32 v4, v13, v4 :: v_dual_sub_f32 v6, v19, v6
	s_delay_alu instid0(VALU_DEP_1) | instskip(NEXT) | instid1(VALU_DEP_1)
	v_mul_f32_e32 v4, v16, v4
	v_add_f32_e32 v4, v6, v4
	s_delay_alu instid0(VALU_DEP_1) | instskip(NEXT) | instid1(VALU_DEP_1)
	v_dual_mov_b32 v6, 0x3f317218 :: v_dual_add_f32 v13, v12, v4
	v_mul_f32_e32 v7, v13, v13
	s_delay_alu instid0(VALU_DEP_1) | instskip(SKIP_1) | instid1(VALU_DEP_2)
	v_fmaak_f32 v15, s6, v7, 0x3ecc95a3
	v_mul_f32_e32 v9, v13, v7
	v_fmaak_f32 v7, v7, v15, 0x3f2aaada
	s_delay_alu instid0(VALU_DEP_1) | instskip(SKIP_1) | instid1(VALU_DEP_2)
	v_pk_mul_f32 v[6:7], v[8:9], v[6:7]
	v_ldexp_f32 v9, v13, 1
	v_fma_f32 v14, 0x3f317218, v8, -v6
	s_delay_alu instid0(VALU_DEP_1) | instskip(SKIP_1) | instid1(VALU_DEP_2)
	v_fmamk_f32 v8, v8, 0xb102e308, v14
	v_sub_f32_e32 v14, v13, v12
	v_pk_add_f32 v[12:13], v[6:7], v[8:9]
	s_delay_alu instid0(VALU_DEP_1) | instskip(NEXT) | instid1(VALU_DEP_1)
	v_sub_f32_e32 v9, v13, v9
	v_dual_sub_f32 v9, v7, v9 :: v_dual_sub_f32 v4, v4, v14
	v_mov_b32_e32 v14, v6
	s_delay_alu instid0(VALU_DEP_4) | instskip(NEXT) | instid1(VALU_DEP_3)
	v_pk_add_f32 v[6:7], v[12:13], v[6:7] neg_lo:[0,1] neg_hi:[0,1]
	v_ldexp_f32 v4, v4, 1
	s_delay_alu instid0(VALU_DEP_1) | instskip(SKIP_1) | instid1(VALU_DEP_2)
	v_add_f32_e32 v15, v4, v9
	v_mov_b32_e32 v9, v12
	v_pk_add_f32 v[16:17], v[12:13], v[14:15]
	s_delay_alu instid0(VALU_DEP_1) | instskip(NEXT) | instid1(VALU_DEP_1)
	v_dual_mov_b32 v22, v13 :: v_dual_mov_b32 v7, v17
	v_pk_add_f32 v[18:19], v[8:9], v[6:7]
	s_delay_alu instid0(VALU_DEP_1) | instskip(SKIP_2) | instid1(VALU_DEP_3)
	v_dual_mov_b32 v18, v17 :: v_dual_mov_b32 v4, v19
	v_pk_add_f32 v[6:7], v[8:9], v[6:7] neg_lo:[0,1] neg_hi:[0,1]
	v_mov_b32_e32 v7, v19
	v_pk_add_f32 v[20:21], v[4:5], v[12:13] neg_lo:[0,1] neg_hi:[0,1]
	v_dual_mov_b32 v13, v12 :: v_dual_mov_b32 v12, v15
	s_delay_alu instid0(VALU_DEP_2) | instskip(NEXT) | instid1(VALU_DEP_1)
	v_dual_mov_b32 v15, v20 :: v_dual_mov_b32 v23, v20
	v_pk_add_f32 v[14:15], v[16:17], v[14:15] neg_lo:[0,1] neg_hi:[0,1]
	s_delay_alu instid0(VALU_DEP_2) | instskip(SKIP_1) | instid1(VALU_DEP_2)
	v_pk_add_f32 v[8:9], v[18:19], v[22:23] neg_lo:[0,1] neg_hi:[0,1]
	v_mov_b32_e32 v14, v6
	v_pk_add_f32 v[8:9], v[12:13], v[8:9] neg_lo:[0,1] neg_hi:[0,1]
	s_delay_alu instid0(VALU_DEP_1) | instskip(NEXT) | instid1(VALU_DEP_1)
	v_pk_add_f32 v[12:13], v[14:15], v[8:9]
	v_mov_b32_e32 v14, v13
	s_delay_alu instid0(VALU_DEP_1) | instskip(NEXT) | instid1(VALU_DEP_1)
	v_pk_add_f32 v[14:15], v[12:13], v[14:15]
	v_pk_add_f32 v[16:17], v[4:5], v[14:15]
	s_delay_alu instid0(VALU_DEP_1) | instskip(NEXT) | instid1(VALU_DEP_1)
	v_mov_b32_e32 v13, v16
	v_pk_add_f32 v[18:19], v[12:13], v[6:7] neg_lo:[0,1] neg_hi:[0,1]
	s_delay_alu instid0(VALU_DEP_1) | instskip(NEXT) | instid1(VALU_DEP_1)
	v_dual_mov_b32 v9, v14 :: v_dual_sub_f32 v4, v12, v18
	v_pk_add_f32 v[8:9], v[8:9], v[18:19] neg_lo:[0,1] neg_hi:[0,1]
	s_delay_alu instid0(VALU_DEP_2) | instskip(NEXT) | instid1(VALU_DEP_1)
	v_sub_f32_e32 v4, v6, v4
	v_add_f32_e32 v4, v8, v4
	s_delay_alu instid0(VALU_DEP_1) | instskip(NEXT) | instid1(VALU_DEP_1)
	v_add_f32_e32 v4, v4, v9
	v_add_f32_e32 v4, v16, v4
	s_delay_alu instid0(VALU_DEP_1) | instskip(SKIP_1) | instid1(VALU_DEP_2)
	v_cndmask_b32_e32 v4, 0x7f800000, v4, vcc_lo
	v_cmp_gt_f32_e64 vcc_lo, 0x33800000, |v24|
	v_cndmask_b32_e32 v4, v4, v24, vcc_lo
	s_delay_alu instid0(VALU_DEP_1) | instskip(NEXT) | instid1(VALU_DEP_1)
	v_div_scale_f32 v6, null, s9, s9, v4
	v_rcp_f32_e32 v7, v6
	v_nop
	s_delay_alu instid0(TRANS32_DEP_1) | instskip(NEXT) | instid1(VALU_DEP_1)
	v_fma_f32 v8, -v6, v7, 1.0
	v_fmac_f32_e32 v7, v8, v7
	v_div_scale_f32 v8, vcc_lo, v4, s9, v4
	s_delay_alu instid0(VALU_DEP_1) | instskip(NEXT) | instid1(VALU_DEP_1)
	v_mul_f32_e32 v9, v8, v7
	v_fma_f32 v12, -v6, v9, v8
	s_delay_alu instid0(VALU_DEP_1) | instskip(NEXT) | instid1(VALU_DEP_1)
	v_fmac_f32_e32 v9, v12, v7
	v_fma_f32 v6, -v6, v9, v8
	s_delay_alu instid0(VALU_DEP_1) | instskip(NEXT) | instid1(VALU_DEP_1)
	v_div_fmas_f32 v6, v6, v7, v9
	v_div_fixup_f32 v12, v6, s9, v4
.LBB9_30:
	s_or_b32 exec_lo, exec_lo, s3
	s_delay_alu instid0(VALU_DEP_1)
	v_mov_b32_e32 v4, v12
.LBB9_31:
	s_or_b32 exec_lo, exec_lo, s1
	v_or_b32_e32 v6, 0x300, v0
	s_mov_b32 s1, exec_lo
	s_delay_alu instid0(VALU_DEP_1)
	v_cmpx_gt_i32_e64 s8, v6
	s_cbranch_execnz .LBB9_38
; %bb.32:
	s_or_b32 exec_lo, exec_lo, s1
	s_and_saveexec_b32 s1, s0
	s_delay_alu instid0(SALU_CYCLE_1)
	s_xor_b32 s0, exec_lo, s1
	s_cbranch_execnz .LBB9_41
.LBB9_33:
	s_or_b32 exec_lo, exec_lo, s0
	s_delay_alu instid0(SALU_CYCLE_1)
	s_mov_b32 s0, exec_lo
	v_cmpx_gt_i32_e64 s8, v0
	s_cbranch_execnz .LBB9_42
.LBB9_34:
	s_or_b32 exec_lo, exec_lo, s0
	s_delay_alu instid0(SALU_CYCLE_1)
	s_mov_b32 s0, exec_lo
	v_cmpx_gt_i32_e64 s8, v0
	s_cbranch_execnz .LBB9_43
.LBB9_35:
	s_or_b32 exec_lo, exec_lo, s0
	s_delay_alu instid0(SALU_CYCLE_1)
	s_mov_b32 s0, exec_lo
	v_cmpx_gt_i32_e64 s8, v0
	s_cbranch_execz .LBB9_37
.LBB9_36:
	v_add_nc_u32_e32 v0, s2, v0
	global_store_b32 v0, v5, s[4:5] scale_offset
.LBB9_37:
	s_endpgm
.LBB9_38:
	v_mul_f32_e32 v5, s9, v11
	s_mov_b32 s3, exec_lo
	s_delay_alu instid0(VALU_DEP_1)
	v_cmpx_nlt_f32_e32 s10, v5
	s_cbranch_execz .LBB9_40
; %bb.39:
	v_mul_f32_e32 v6, 0x3fb8aa3b, v5
	v_cmp_ngt_f32_e32 vcc_lo, 0xc2ce8ed0, v5
	s_mov_b32 s6, 0x3e9b6dac
	s_delay_alu instid0(VALU_DEP_2) | instskip(SKIP_1) | instid1(VALU_DEP_2)
	v_rndne_f32_e32 v7, v6
	v_fma_f32 v8, 0x3fb8aa3b, v5, -v6
	v_sub_f32_e32 v6, v6, v7
	s_delay_alu instid0(VALU_DEP_2) | instskip(SKIP_1) | instid1(VALU_DEP_2)
	v_fmamk_f32 v8, v5, 0x32a5705f, v8
	v_cvt_i32_f32_e32 v7, v7
	v_add_f32_e32 v6, v6, v8
	s_delay_alu instid0(VALU_DEP_1) | instskip(SKIP_1) | instid1(TRANS32_DEP_1)
	v_exp_f32_e32 v6, v6
	v_nop
	v_ldexp_f32 v6, v6, v7
	s_delay_alu instid0(VALU_DEP_1) | instskip(SKIP_1) | instid1(VALU_DEP_2)
	v_cndmask_b32_e32 v6, 0, v6, vcc_lo
	v_cmp_nlt_f32_e32 vcc_lo, 0x42b17218, v5
	v_cndmask_b32_e32 v11, 0x7f800000, v6, vcc_lo
	s_delay_alu instid0(VALU_DEP_1) | instskip(NEXT) | instid1(VALU_DEP_1)
	v_add_f32_e32 v5, 1.0, v11
	v_cvt_f64_f32_e32 v[6:7], v5
	s_delay_alu instid0(VALU_DEP_1) | instskip(SKIP_1) | instid1(VALU_DEP_1)
	v_frexp_exp_i32_f64_e32 v6, v[6:7]
	v_frexp_mant_f32_e32 v7, v5
	v_cmp_gt_f32_e32 vcc_lo, 0x3f2aaaab, v7
	s_delay_alu instid0(VALU_DEP_3) | instskip(SKIP_2) | instid1(VALU_DEP_2)
	v_subrev_co_ci_u32_e64 v14, null, 0, v6, vcc_lo
	v_add_f32_e32 v6, -1.0, v5
	v_cmp_neq_f32_e32 vcc_lo, 0x7f800000, v11
	v_dual_sub_f32 v8, v6, v5 :: v_dual_sub_nc_u32 v7, 0, v14
	v_sub_f32_e32 v6, v11, v6
	s_delay_alu instid0(VALU_DEP_2) | instskip(NEXT) | instid1(VALU_DEP_1)
	v_ldexp_f32 v5, v5, v7
	v_dual_add_f32 v8, 1.0, v8 :: v_dual_add_f32 v9, 1.0, v5
	s_delay_alu instid0(VALU_DEP_1) | instskip(NEXT) | instid1(VALU_DEP_2)
	v_dual_add_f32 v13, -1.0, v5 :: v_dual_add_f32 v6, v6, v8
	v_add_f32_e32 v8, -1.0, v9
	s_delay_alu instid0(VALU_DEP_2) | instskip(NEXT) | instid1(VALU_DEP_2)
	v_ldexp_f32 v6, v6, v7
	v_dual_sub_f32 v7, v5, v8 :: v_dual_add_f32 v8, 1.0, v13
	s_delay_alu instid0(VALU_DEP_1) | instskip(NEXT) | instid1(VALU_DEP_1)
	v_dual_add_f32 v12, v6, v7 :: v_dual_sub_f32 v5, v5, v8
	v_dual_add_f32 v15, v9, v12 :: v_dual_add_f32 v5, v6, v5
	s_delay_alu instid0(VALU_DEP_1) | instskip(SKIP_1) | instid1(VALU_DEP_1)
	v_rcp_f32_e32 v16, v15
	v_sub_f32_e32 v6, v9, v15
	v_dual_add_f32 v7, v13, v5 :: v_dual_add_f32 v18, v12, v6
	s_delay_alu instid0(TRANS32_DEP_1) | instid1(VALU_DEP_1)
	v_dual_mul_f32 v17, v7, v16 :: v_dual_sub_f32 v19, v13, v7
	s_delay_alu instid0(VALU_DEP_1) | instskip(NEXT) | instid1(VALU_DEP_1)
	v_dual_mul_f32 v8, v15, v17 :: v_dual_add_f32 v5, v5, v19
	v_fma_f32 v12, v17, v15, -v8
	s_delay_alu instid0(VALU_DEP_1) | instskip(NEXT) | instid1(VALU_DEP_1)
	v_fmac_f32_e32 v12, v17, v18
	v_add_f32_e32 v6, v8, v12
	s_delay_alu instid0(VALU_DEP_1) | instskip(NEXT) | instid1(VALU_DEP_1)
	v_dual_sub_f32 v9, v7, v6 :: v_dual_mov_b32 v13, v6
	v_pk_add_f32 v[6:7], v[6:7], v[8:9] neg_lo:[0,1] neg_hi:[0,1]
	s_delay_alu instid0(VALU_DEP_1) | instskip(NEXT) | instid1(VALU_DEP_1)
	v_pk_add_f32 v[6:7], v[6:7], v[12:13] neg_lo:[0,1] neg_hi:[0,1]
	v_add_f32_e32 v5, v5, v7
	s_delay_alu instid0(VALU_DEP_1) | instskip(NEXT) | instid1(VALU_DEP_1)
	v_add_f32_e32 v5, v6, v5
	v_add_f32_e32 v7, v9, v5
	s_delay_alu instid0(VALU_DEP_1) | instskip(NEXT) | instid1(VALU_DEP_1)
	v_mul_f32_e32 v19, v16, v7
	v_mul_f32_e32 v12, v15, v19
	s_delay_alu instid0(VALU_DEP_1) | instskip(NEXT) | instid1(VALU_DEP_1)
	v_fma_f32 v8, v19, v15, -v12
	v_dual_sub_f32 v15, v9, v7 :: v_dual_fmac_f32 v8, v19, v18
	s_delay_alu instid0(VALU_DEP_1) | instskip(NEXT) | instid1(VALU_DEP_1)
	v_dual_add_f32 v5, v5, v15 :: v_dual_add_f32 v6, v12, v8
	v_dual_sub_f32 v13, v7, v6 :: v_dual_mov_b32 v9, v6
	s_delay_alu instid0(VALU_DEP_1) | instskip(NEXT) | instid1(VALU_DEP_1)
	v_pk_add_f32 v[6:7], v[6:7], v[12:13] neg_lo:[0,1] neg_hi:[0,1]
	v_pk_add_f32 v[6:7], v[6:7], v[8:9] neg_lo:[0,1] neg_hi:[0,1]
	v_add_f32_e32 v12, v17, v19
	v_cvt_f32_i32_e32 v8, v14
	s_delay_alu instid0(VALU_DEP_3) | instskip(NEXT) | instid1(VALU_DEP_1)
	v_add_f32_e32 v5, v5, v7
	v_add_f32_e32 v5, v6, v5
	s_delay_alu instid0(VALU_DEP_4) | instskip(NEXT) | instid1(VALU_DEP_1)
	v_sub_f32_e32 v6, v12, v17
	v_dual_add_f32 v5, v13, v5 :: v_dual_sub_f32 v6, v19, v6
	s_delay_alu instid0(VALU_DEP_1) | instskip(NEXT) | instid1(VALU_DEP_1)
	v_mul_f32_e32 v5, v16, v5
	v_dual_add_f32 v5, v6, v5 :: v_dual_mov_b32 v6, 0x3f317218
	s_delay_alu instid0(VALU_DEP_1) | instskip(NEXT) | instid1(VALU_DEP_1)
	v_add_f32_e32 v13, v12, v5
	v_mul_f32_e32 v7, v13, v13
	s_delay_alu instid0(VALU_DEP_1) | instskip(SKIP_1) | instid1(VALU_DEP_2)
	v_fmaak_f32 v15, s6, v7, 0x3ecc95a3
	v_mul_f32_e32 v9, v13, v7
	v_fmaak_f32 v7, v7, v15, 0x3f2aaada
	s_delay_alu instid0(VALU_DEP_1) | instskip(NEXT) | instid1(VALU_DEP_1)
	v_pk_mul_f32 v[6:7], v[8:9], v[6:7]
	v_fma_f32 v14, 0x3f317218, v8, -v6
	s_delay_alu instid0(VALU_DEP_1) | instskip(SKIP_1) | instid1(VALU_DEP_1)
	v_fmamk_f32 v8, v8, 0xb102e308, v14
	v_sub_f32_e32 v14, v13, v12
	v_sub_f32_e32 v5, v5, v14
	v_ldexp_f32 v9, v13, 1
	v_mov_b32_e32 v14, v6
	s_delay_alu instid0(VALU_DEP_3) | instskip(NEXT) | instid1(VALU_DEP_3)
	v_ldexp_f32 v5, v5, 1
	v_pk_add_f32 v[12:13], v[6:7], v[8:9]
	s_delay_alu instid0(VALU_DEP_1) | instskip(NEXT) | instid1(VALU_DEP_1)
	v_sub_f32_e32 v9, v13, v9
	v_sub_f32_e32 v9, v7, v9
	s_delay_alu instid0(VALU_DEP_3) | instskip(NEXT) | instid1(VALU_DEP_2)
	v_pk_add_f32 v[6:7], v[12:13], v[6:7] neg_lo:[0,1] neg_hi:[0,1]
	v_dual_add_f32 v15, v5, v9 :: v_dual_mov_b32 v9, v12
	s_delay_alu instid0(VALU_DEP_1) | instskip(NEXT) | instid1(VALU_DEP_1)
	v_pk_add_f32 v[16:17], v[12:13], v[14:15]
	v_dual_mov_b32 v22, v13 :: v_dual_mov_b32 v7, v17
	s_delay_alu instid0(VALU_DEP_1) | instskip(SKIP_2) | instid1(VALU_DEP_3)
	v_pk_add_f32 v[18:19], v[8:9], v[6:7]
	v_mov_b32_e32 v18, v17
	v_pk_add_f32 v[6:7], v[8:9], v[6:7] neg_lo:[0,1] neg_hi:[0,1]
	v_dual_mov_b32 v14, v19 :: v_dual_mov_b32 v7, v19
	s_delay_alu instid0(VALU_DEP_1) | instskip(SKIP_1) | instid1(VALU_DEP_2)
	v_pk_add_f32 v[20:21], v[14:15], v[12:13] neg_lo:[0,1] neg_hi:[0,1]
	v_dual_mov_b32 v13, v12 :: v_dual_mov_b32 v12, v15
	v_dual_mov_b32 v5, v20 :: v_dual_mov_b32 v23, v20
	s_delay_alu instid0(VALU_DEP_1) | instskip(NEXT) | instid1(VALU_DEP_2)
	v_pk_add_f32 v[16:17], v[16:17], v[4:5] neg_lo:[0,1] neg_hi:[0,1]
	v_pk_add_f32 v[8:9], v[18:19], v[22:23] neg_lo:[0,1] neg_hi:[0,1]
	v_mov_b32_e32 v16, v6
	s_delay_alu instid0(VALU_DEP_2) | instskip(NEXT) | instid1(VALU_DEP_1)
	v_pk_add_f32 v[8:9], v[12:13], v[8:9] neg_lo:[0,1] neg_hi:[0,1]
	v_pk_add_f32 v[12:13], v[16:17], v[8:9]
	s_delay_alu instid0(VALU_DEP_1) | instskip(NEXT) | instid1(VALU_DEP_1)
	v_mov_b32_e32 v16, v13
	v_pk_add_f32 v[16:17], v[12:13], v[16:17]
	s_delay_alu instid0(VALU_DEP_1) | instskip(NEXT) | instid1(VALU_DEP_1)
	v_pk_add_f32 v[14:15], v[14:15], v[16:17]
	v_mov_b32_e32 v13, v14
	s_delay_alu instid0(VALU_DEP_1) | instskip(NEXT) | instid1(VALU_DEP_1)
	v_pk_add_f32 v[18:19], v[12:13], v[6:7] neg_lo:[0,1] neg_hi:[0,1]
	v_sub_f32_e32 v5, v12, v18
	s_delay_alu instid0(VALU_DEP_1) | instskip(NEXT) | instid1(VALU_DEP_1)
	v_dual_mov_b32 v9, v16 :: v_dual_sub_f32 v5, v6, v5
	v_pk_add_f32 v[8:9], v[8:9], v[18:19] neg_lo:[0,1] neg_hi:[0,1]
	s_delay_alu instid0(VALU_DEP_1) | instskip(NEXT) | instid1(VALU_DEP_1)
	v_add_f32_e32 v5, v8, v5
	v_add_f32_e32 v5, v5, v9
	s_delay_alu instid0(VALU_DEP_1) | instskip(NEXT) | instid1(VALU_DEP_1)
	v_add_f32_e32 v5, v14, v5
	v_cndmask_b32_e32 v5, 0x7f800000, v5, vcc_lo
	v_cmp_gt_f32_e64 vcc_lo, 0x33800000, |v11|
	s_delay_alu instid0(VALU_DEP_2) | instskip(NEXT) | instid1(VALU_DEP_1)
	v_cndmask_b32_e32 v5, v5, v11, vcc_lo
	v_div_scale_f32 v6, null, s9, s9, v5
	s_delay_alu instid0(VALU_DEP_1) | instskip(SKIP_1) | instid1(TRANS32_DEP_1)
	v_rcp_f32_e32 v7, v6
	v_nop
	v_fma_f32 v8, -v6, v7, 1.0
	s_delay_alu instid0(VALU_DEP_1) | instskip(SKIP_1) | instid1(VALU_DEP_1)
	v_fmac_f32_e32 v7, v8, v7
	v_div_scale_f32 v8, vcc_lo, v5, s9, v5
	v_mul_f32_e32 v9, v8, v7
	s_delay_alu instid0(VALU_DEP_1) | instskip(NEXT) | instid1(VALU_DEP_1)
	v_fma_f32 v11, -v6, v9, v8
	v_fmac_f32_e32 v9, v11, v7
	s_delay_alu instid0(VALU_DEP_1) | instskip(NEXT) | instid1(VALU_DEP_1)
	v_fma_f32 v6, -v6, v9, v8
	v_div_fmas_f32 v6, v6, v7, v9
	s_delay_alu instid0(VALU_DEP_1)
	v_div_fixup_f32 v11, v6, s9, v5
.LBB9_40:
	s_or_b32 exec_lo, exec_lo, s3
	s_delay_alu instid0(VALU_DEP_1) | instskip(SKIP_2) | instid1(SALU_CYCLE_1)
	v_mov_b32_e32 v5, v11
	s_or_b32 exec_lo, exec_lo, s1
	s_and_saveexec_b32 s1, s0
	s_xor_b32 s0, exec_lo, s1
	s_cbranch_execz .LBB9_33
.LBB9_41:
	v_mov_b32_e32 v0, v10
	global_store_b32 v1, v2, s[4:5] scale_offset
	s_wait_xcnt 0x0
	s_or_b32 exec_lo, exec_lo, s0
	s_delay_alu instid0(SALU_CYCLE_1)
	s_mov_b32 s0, exec_lo
	v_cmpx_gt_i32_e64 s8, v0
	s_cbranch_execz .LBB9_34
.LBB9_42:
	v_add_nc_u32_e32 v1, s2, v0
	v_add_nc_u32_e32 v0, 0x100, v0
	global_store_b32 v1, v3, s[4:5] scale_offset
	s_wait_xcnt 0x0
	s_or_b32 exec_lo, exec_lo, s0
	s_delay_alu instid0(SALU_CYCLE_1)
	s_mov_b32 s0, exec_lo
	v_cmpx_gt_i32_e64 s8, v0
	s_cbranch_execz .LBB9_35
.LBB9_43:
	v_add_nc_u32_e32 v1, s2, v0
	v_add_nc_u32_e32 v0, 0x100, v0
	global_store_b32 v1, v4, s[4:5] scale_offset
	s_wait_xcnt 0x0
	s_or_b32 exec_lo, exec_lo, s0
	s_delay_alu instid0(SALU_CYCLE_1)
	s_mov_b32 s0, exec_lo
	v_cmpx_gt_i32_e64 s8, v0
	s_cbranch_execnz .LBB9_36
	s_branch .LBB9_37
	.section	.rodata,"a",@progbits
	.p2align	6, 0x0
	.amdhsa_kernel _ZN2at6native29vectorized_elementwise_kernelILi8EZZZNS0_12_GLOBAL__N_115softplus_kernelERNS_18TensorIteratorBaseERKN3c106ScalarES8_ENKUlvE_clEvENKUlvE0_clEvEUlfE_St5arrayIPcLm2EEEEviT0_T1_
		.amdhsa_group_segment_fixed_size 0
		.amdhsa_private_segment_fixed_size 0
		.amdhsa_kernarg_size 32
		.amdhsa_user_sgpr_count 2
		.amdhsa_user_sgpr_dispatch_ptr 0
		.amdhsa_user_sgpr_queue_ptr 0
		.amdhsa_user_sgpr_kernarg_segment_ptr 1
		.amdhsa_user_sgpr_dispatch_id 0
		.amdhsa_user_sgpr_kernarg_preload_length 0
		.amdhsa_user_sgpr_kernarg_preload_offset 0
		.amdhsa_user_sgpr_private_segment_size 0
		.amdhsa_wavefront_size32 1
		.amdhsa_uses_dynamic_stack 0
		.amdhsa_enable_private_segment 0
		.amdhsa_system_sgpr_workgroup_id_x 1
		.amdhsa_system_sgpr_workgroup_id_y 0
		.amdhsa_system_sgpr_workgroup_id_z 0
		.amdhsa_system_sgpr_workgroup_info 0
		.amdhsa_system_vgpr_workitem_id 0
		.amdhsa_next_free_vgpr 26
		.amdhsa_next_free_sgpr 14
		.amdhsa_named_barrier_count 0
		.amdhsa_reserve_vcc 1
		.amdhsa_float_round_mode_32 0
		.amdhsa_float_round_mode_16_64 0
		.amdhsa_float_denorm_mode_32 3
		.amdhsa_float_denorm_mode_16_64 3
		.amdhsa_fp16_overflow 0
		.amdhsa_memory_ordered 1
		.amdhsa_forward_progress 1
		.amdhsa_inst_pref_size 72
		.amdhsa_round_robin_scheduling 0
		.amdhsa_exception_fp_ieee_invalid_op 0
		.amdhsa_exception_fp_denorm_src 0
		.amdhsa_exception_fp_ieee_div_zero 0
		.amdhsa_exception_fp_ieee_overflow 0
		.amdhsa_exception_fp_ieee_underflow 0
		.amdhsa_exception_fp_ieee_inexact 0
		.amdhsa_exception_int_div_zero 0
	.end_amdhsa_kernel
	.section	.text._ZN2at6native29vectorized_elementwise_kernelILi8EZZZNS0_12_GLOBAL__N_115softplus_kernelERNS_18TensorIteratorBaseERKN3c106ScalarES8_ENKUlvE_clEvENKUlvE0_clEvEUlfE_St5arrayIPcLm2EEEEviT0_T1_,"axG",@progbits,_ZN2at6native29vectorized_elementwise_kernelILi8EZZZNS0_12_GLOBAL__N_115softplus_kernelERNS_18TensorIteratorBaseERKN3c106ScalarES8_ENKUlvE_clEvENKUlvE0_clEvEUlfE_St5arrayIPcLm2EEEEviT0_T1_,comdat
.Lfunc_end9:
	.size	_ZN2at6native29vectorized_elementwise_kernelILi8EZZZNS0_12_GLOBAL__N_115softplus_kernelERNS_18TensorIteratorBaseERKN3c106ScalarES8_ENKUlvE_clEvENKUlvE0_clEvEUlfE_St5arrayIPcLm2EEEEviT0_T1_, .Lfunc_end9-_ZN2at6native29vectorized_elementwise_kernelILi8EZZZNS0_12_GLOBAL__N_115softplus_kernelERNS_18TensorIteratorBaseERKN3c106ScalarES8_ENKUlvE_clEvENKUlvE0_clEvEUlfE_St5arrayIPcLm2EEEEviT0_T1_
                                        ; -- End function
	.set _ZN2at6native29vectorized_elementwise_kernelILi8EZZZNS0_12_GLOBAL__N_115softplus_kernelERNS_18TensorIteratorBaseERKN3c106ScalarES8_ENKUlvE_clEvENKUlvE0_clEvEUlfE_St5arrayIPcLm2EEEEviT0_T1_.num_vgpr, 26
	.set _ZN2at6native29vectorized_elementwise_kernelILi8EZZZNS0_12_GLOBAL__N_115softplus_kernelERNS_18TensorIteratorBaseERKN3c106ScalarES8_ENKUlvE_clEvENKUlvE0_clEvEUlfE_St5arrayIPcLm2EEEEviT0_T1_.num_agpr, 0
	.set _ZN2at6native29vectorized_elementwise_kernelILi8EZZZNS0_12_GLOBAL__N_115softplus_kernelERNS_18TensorIteratorBaseERKN3c106ScalarES8_ENKUlvE_clEvENKUlvE0_clEvEUlfE_St5arrayIPcLm2EEEEviT0_T1_.numbered_sgpr, 14
	.set _ZN2at6native29vectorized_elementwise_kernelILi8EZZZNS0_12_GLOBAL__N_115softplus_kernelERNS_18TensorIteratorBaseERKN3c106ScalarES8_ENKUlvE_clEvENKUlvE0_clEvEUlfE_St5arrayIPcLm2EEEEviT0_T1_.num_named_barrier, 0
	.set _ZN2at6native29vectorized_elementwise_kernelILi8EZZZNS0_12_GLOBAL__N_115softplus_kernelERNS_18TensorIteratorBaseERKN3c106ScalarES8_ENKUlvE_clEvENKUlvE0_clEvEUlfE_St5arrayIPcLm2EEEEviT0_T1_.private_seg_size, 0
	.set _ZN2at6native29vectorized_elementwise_kernelILi8EZZZNS0_12_GLOBAL__N_115softplus_kernelERNS_18TensorIteratorBaseERKN3c106ScalarES8_ENKUlvE_clEvENKUlvE0_clEvEUlfE_St5arrayIPcLm2EEEEviT0_T1_.uses_vcc, 1
	.set _ZN2at6native29vectorized_elementwise_kernelILi8EZZZNS0_12_GLOBAL__N_115softplus_kernelERNS_18TensorIteratorBaseERKN3c106ScalarES8_ENKUlvE_clEvENKUlvE0_clEvEUlfE_St5arrayIPcLm2EEEEviT0_T1_.uses_flat_scratch, 0
	.set _ZN2at6native29vectorized_elementwise_kernelILi8EZZZNS0_12_GLOBAL__N_115softplus_kernelERNS_18TensorIteratorBaseERKN3c106ScalarES8_ENKUlvE_clEvENKUlvE0_clEvEUlfE_St5arrayIPcLm2EEEEviT0_T1_.has_dyn_sized_stack, 0
	.set _ZN2at6native29vectorized_elementwise_kernelILi8EZZZNS0_12_GLOBAL__N_115softplus_kernelERNS_18TensorIteratorBaseERKN3c106ScalarES8_ENKUlvE_clEvENKUlvE0_clEvEUlfE_St5arrayIPcLm2EEEEviT0_T1_.has_recursion, 0
	.set _ZN2at6native29vectorized_elementwise_kernelILi8EZZZNS0_12_GLOBAL__N_115softplus_kernelERNS_18TensorIteratorBaseERKN3c106ScalarES8_ENKUlvE_clEvENKUlvE0_clEvEUlfE_St5arrayIPcLm2EEEEviT0_T1_.has_indirect_call, 0
	.section	.AMDGPU.csdata,"",@progbits
; Kernel info:
; codeLenInByte = 9092
; TotalNumSgprs: 16
; NumVgprs: 26
; ScratchSize: 0
; MemoryBound: 0
; FloatMode: 240
; IeeeMode: 1
; LDSByteSize: 0 bytes/workgroup (compile time only)
; SGPRBlocks: 0
; VGPRBlocks: 1
; NumSGPRsForWavesPerEU: 16
; NumVGPRsForWavesPerEU: 26
; NamedBarCnt: 0
; Occupancy: 16
; WaveLimiterHint : 0
; COMPUTE_PGM_RSRC2:SCRATCH_EN: 0
; COMPUTE_PGM_RSRC2:USER_SGPR: 2
; COMPUTE_PGM_RSRC2:TRAP_HANDLER: 0
; COMPUTE_PGM_RSRC2:TGID_X_EN: 1
; COMPUTE_PGM_RSRC2:TGID_Y_EN: 0
; COMPUTE_PGM_RSRC2:TGID_Z_EN: 0
; COMPUTE_PGM_RSRC2:TIDIG_COMP_CNT: 0
	.section	.text._ZN2at6native29vectorized_elementwise_kernelILi4EZZZNS0_12_GLOBAL__N_115softplus_kernelERNS_18TensorIteratorBaseERKN3c106ScalarES8_ENKUlvE_clEvENKUlvE0_clEvEUlfE_St5arrayIPcLm2EEEEviT0_T1_,"axG",@progbits,_ZN2at6native29vectorized_elementwise_kernelILi4EZZZNS0_12_GLOBAL__N_115softplus_kernelERNS_18TensorIteratorBaseERKN3c106ScalarES8_ENKUlvE_clEvENKUlvE0_clEvEUlfE_St5arrayIPcLm2EEEEviT0_T1_,comdat
	.globl	_ZN2at6native29vectorized_elementwise_kernelILi4EZZZNS0_12_GLOBAL__N_115softplus_kernelERNS_18TensorIteratorBaseERKN3c106ScalarES8_ENKUlvE_clEvENKUlvE0_clEvEUlfE_St5arrayIPcLm2EEEEviT0_T1_ ; -- Begin function _ZN2at6native29vectorized_elementwise_kernelILi4EZZZNS0_12_GLOBAL__N_115softplus_kernelERNS_18TensorIteratorBaseERKN3c106ScalarES8_ENKUlvE_clEvENKUlvE0_clEvEUlfE_St5arrayIPcLm2EEEEviT0_T1_
	.p2align	8
	.type	_ZN2at6native29vectorized_elementwise_kernelILi4EZZZNS0_12_GLOBAL__N_115softplus_kernelERNS_18TensorIteratorBaseERKN3c106ScalarES8_ENKUlvE_clEvENKUlvE0_clEvEUlfE_St5arrayIPcLm2EEEEviT0_T1_,@function
_ZN2at6native29vectorized_elementwise_kernelILi4EZZZNS0_12_GLOBAL__N_115softplus_kernelERNS_18TensorIteratorBaseERKN3c106ScalarES8_ENKUlvE_clEvENKUlvE0_clEvEUlfE_St5arrayIPcLm2EEEEviT0_T1_: ; @_ZN2at6native29vectorized_elementwise_kernelILi4EZZZNS0_12_GLOBAL__N_115softplus_kernelERNS_18TensorIteratorBaseERKN3c106ScalarES8_ENKUlvE_clEvENKUlvE0_clEvEUlfE_St5arrayIPcLm2EEEEviT0_T1_
; %bb.0:
	s_clause 0x1
	s_load_b96 s[8:10], s[0:1], 0x0
	s_load_b128 s[4:7], s[0:1], 0x10
	s_wait_xcnt 0x0
	s_bfe_u32 s0, ttmp6, 0x4000c
	s_and_b32 s1, ttmp6, 15
	s_add_co_i32 s0, s0, 1
	s_getreg_b32 s2, hwreg(HW_REG_IB_STS2, 6, 4)
	s_mul_i32 s0, ttmp9, s0
	s_delay_alu instid0(SALU_CYCLE_1) | instskip(SKIP_2) | instid1(SALU_CYCLE_1)
	s_add_co_i32 s1, s1, s0
	s_cmp_eq_u32 s2, 0
	s_cselect_b32 s0, ttmp9, s1
	s_lshl_b32 s2, s0, 10
	s_mov_b32 s0, -1
	s_wait_kmcnt 0x0
	s_sub_co_i32 s8, s8, s2
	s_delay_alu instid0(SALU_CYCLE_1)
	s_cmp_gt_i32 s8, 0x3ff
	s_cbranch_scc0 .LBB10_10
; %bb.1:
	s_ashr_i32 s3, s2, 31
	s_delay_alu instid0(SALU_CYCLE_1)
	s_lshl_b64 s[0:1], s[2:3], 2
	s_mov_b32 s3, exec_lo
	s_add_nc_u64 s[12:13], s[6:7], s[0:1]
	global_load_b128 v[2:5], v0, s[12:13] scale_offset
	s_wait_loadcnt 0x0
	v_mul_f32_e32 v1, s9, v2
	s_delay_alu instid0(VALU_DEP_1)
	v_cmpx_nlt_f32_e32 s10, v1
	s_cbranch_execz .LBB10_3
; %bb.2:
	v_mul_f32_e32 v2, 0x3fb8aa3b, v1
	v_cmp_ngt_f32_e32 vcc_lo, 0xc2ce8ed0, v1
	s_mov_b32 s11, 0x3e9b6dac
	s_delay_alu instid0(VALU_DEP_2) | instskip(SKIP_1) | instid1(VALU_DEP_1)
	v_rndne_f32_e32 v6, v2
	v_fma_f32 v7, 0x3fb8aa3b, v1, -v2
	v_dual_sub_f32 v2, v2, v6 :: v_dual_fmamk_f32 v7, v1, 0x32a5705f, v7
	v_cvt_i32_f32_e32 v6, v6
	s_delay_alu instid0(VALU_DEP_2) | instskip(NEXT) | instid1(VALU_DEP_1)
	v_add_f32_e32 v2, v2, v7
	v_exp_f32_e32 v2, v2
	v_nop
	s_delay_alu instid0(TRANS32_DEP_1) | instskip(NEXT) | instid1(VALU_DEP_1)
	v_ldexp_f32 v2, v2, v6
	v_cndmask_b32_e32 v2, 0, v2, vcc_lo
	v_cmp_nlt_f32_e32 vcc_lo, 0x42b17218, v1
	s_delay_alu instid0(VALU_DEP_2) | instskip(NEXT) | instid1(VALU_DEP_1)
	v_cndmask_b32_e32 v22, 0x7f800000, v2, vcc_lo
	v_add_f32_e32 v1, 1.0, v22
	s_delay_alu instid0(VALU_DEP_1) | instskip(NEXT) | instid1(VALU_DEP_1)
	v_cvt_f64_f32_e32 v[6:7], v1
	v_frexp_exp_i32_f64_e32 v2, v[6:7]
	v_frexp_mant_f32_e32 v6, v1
	s_delay_alu instid0(VALU_DEP_1) | instskip(SKIP_1) | instid1(VALU_DEP_1)
	v_cmp_gt_f32_e32 vcc_lo, 0x3f2aaaab, v6
	v_add_f32_e32 v6, -1.0, v1
	v_sub_f32_e32 v8, v6, v1
	s_delay_alu instid0(VALU_DEP_1) | instskip(SKIP_1) | instid1(VALU_DEP_1)
	v_add_f32_e32 v8, 1.0, v8
	v_subrev_co_ci_u32_e64 v2, null, 0, v2, vcc_lo
	v_sub_nc_u32_e32 v7, 0, v2
	v_sub_f32_e32 v6, v22, v6
	v_cmp_neq_f32_e32 vcc_lo, 0x7f800000, v22
	s_delay_alu instid0(VALU_DEP_3) | instskip(NEXT) | instid1(VALU_DEP_1)
	v_ldexp_f32 v1, v1, v7
	v_dual_add_f32 v6, v6, v8 :: v_dual_add_f32 v9, 1.0, v1
	s_delay_alu instid0(VALU_DEP_1) | instskip(NEXT) | instid1(VALU_DEP_2)
	v_ldexp_f32 v6, v6, v7
	v_add_f32_e32 v8, -1.0, v9
	s_delay_alu instid0(VALU_DEP_1) | instskip(NEXT) | instid1(VALU_DEP_1)
	v_dual_add_f32 v11, -1.0, v1 :: v_dual_sub_f32 v7, v1, v8
	v_add_f32_e32 v10, v6, v7
	s_delay_alu instid0(VALU_DEP_1) | instskip(NEXT) | instid1(VALU_DEP_1)
	v_dual_add_f32 v8, 1.0, v11 :: v_dual_add_f32 v12, v9, v10
	v_rcp_f32_e32 v13, v12
	s_delay_alu instid0(VALU_DEP_1) | instskip(NEXT) | instid1(VALU_DEP_1)
	v_sub_f32_e32 v1, v1, v8
	v_dual_add_f32 v1, v6, v1 :: v_dual_sub_f32 v6, v9, v12
	s_delay_alu instid0(VALU_DEP_1)
	v_add_f32_e32 v7, v11, v1
	s_delay_alu instid0(TRANS32_DEP_1) | instid1(VALU_DEP_1)
	v_mul_f32_e32 v14, v7, v13
	s_delay_alu instid0(VALU_DEP_1) | instskip(NEXT) | instid1(VALU_DEP_4)
	v_mul_f32_e32 v8, v12, v14
	v_dual_add_f32 v15, v10, v6 :: v_dual_sub_f32 v16, v11, v7
	s_delay_alu instid0(VALU_DEP_2) | instskip(NEXT) | instid1(VALU_DEP_1)
	v_fma_f32 v10, v14, v12, -v8
	v_dual_add_f32 v1, v1, v16 :: v_dual_fmac_f32 v10, v14, v15
	s_delay_alu instid0(VALU_DEP_1) | instskip(NEXT) | instid1(VALU_DEP_1)
	v_add_f32_e32 v6, v8, v10
	v_dual_sub_f32 v9, v7, v6 :: v_dual_mov_b32 v11, v6
	s_delay_alu instid0(VALU_DEP_1) | instskip(NEXT) | instid1(VALU_DEP_1)
	v_pk_add_f32 v[6:7], v[6:7], v[8:9] neg_lo:[0,1] neg_hi:[0,1]
	v_pk_add_f32 v[6:7], v[6:7], v[10:11] neg_lo:[0,1] neg_hi:[0,1]
	s_delay_alu instid0(VALU_DEP_1) | instskip(NEXT) | instid1(VALU_DEP_1)
	v_add_f32_e32 v1, v1, v7
	v_add_f32_e32 v1, v6, v1
	s_delay_alu instid0(VALU_DEP_1) | instskip(NEXT) | instid1(VALU_DEP_1)
	v_add_f32_e32 v7, v9, v1
	v_mul_f32_e32 v16, v13, v7
	s_delay_alu instid0(VALU_DEP_1) | instskip(NEXT) | instid1(VALU_DEP_1)
	v_mul_f32_e32 v10, v12, v16
	v_dual_fma_f32 v8, v16, v12, -v10 :: v_dual_sub_f32 v12, v9, v7
	s_delay_alu instid0(VALU_DEP_1) | instskip(NEXT) | instid1(VALU_DEP_1)
	v_fmac_f32_e32 v8, v16, v15
	v_add_f32_e32 v6, v10, v8
	s_delay_alu instid0(VALU_DEP_1) | instskip(NEXT) | instid1(VALU_DEP_1)
	v_dual_sub_f32 v11, v7, v6 :: v_dual_mov_b32 v9, v6
	v_pk_add_f32 v[6:7], v[6:7], v[10:11] neg_lo:[0,1] neg_hi:[0,1]
	v_add_f32_e32 v10, v14, v16
	v_add_f32_e32 v1, v1, v12
	s_delay_alu instid0(VALU_DEP_3) | instskip(SKIP_1) | instid1(VALU_DEP_2)
	v_pk_add_f32 v[6:7], v[6:7], v[8:9] neg_lo:[0,1] neg_hi:[0,1]
	v_cvt_f32_i32_e32 v8, v2
	v_add_f32_e32 v1, v1, v7
	s_delay_alu instid0(VALU_DEP_1) | instskip(NEXT) | instid1(VALU_DEP_1)
	v_add_f32_e32 v1, v6, v1
	v_dual_sub_f32 v6, v10, v14 :: v_dual_add_f32 v1, v11, v1
	s_delay_alu instid0(VALU_DEP_1) | instskip(NEXT) | instid1(VALU_DEP_1)
	v_dual_sub_f32 v6, v16, v6 :: v_dual_mul_f32 v1, v13, v1
	v_dual_add_f32 v1, v6, v1 :: v_dual_mov_b32 v6, 0x3f317218
	s_delay_alu instid0(VALU_DEP_1) | instskip(NEXT) | instid1(VALU_DEP_1)
	v_add_f32_e32 v11, v10, v1
	v_mul_f32_e32 v7, v11, v11
	s_delay_alu instid0(VALU_DEP_1) | instskip(NEXT) | instid1(VALU_DEP_1)
	v_dual_fmaak_f32 v12, s11, v7, 0x3ecc95a3 :: v_dual_mul_f32 v9, v11, v7
	v_fmaak_f32 v7, v7, v12, 0x3f2aaada
	s_delay_alu instid0(VALU_DEP_1) | instskip(NEXT) | instid1(VALU_DEP_1)
	v_pk_mul_f32 v[6:7], v[8:9], v[6:7]
	v_fma_f32 v2, 0x3f317218, v8, -v6
	v_mov_b32_e32 v12, v6
	s_delay_alu instid0(VALU_DEP_2) | instskip(SKIP_2) | instid1(VALU_DEP_2)
	v_fmamk_f32 v8, v8, 0xb102e308, v2
	v_ldexp_f32 v9, v11, 1
	v_sub_f32_e32 v2, v11, v10
	v_pk_add_f32 v[10:11], v[6:7], v[8:9]
	s_delay_alu instid0(VALU_DEP_1) | instskip(NEXT) | instid1(VALU_DEP_1)
	v_dual_sub_f32 v1, v1, v2 :: v_dual_sub_f32 v2, v11, v9
	v_ldexp_f32 v1, v1, 1
	s_delay_alu instid0(VALU_DEP_3) | instskip(NEXT) | instid1(VALU_DEP_3)
	v_dual_mov_b32 v9, v10 :: v_dual_mov_b32 v20, v11
	v_sub_f32_e32 v2, v7, v2
	v_pk_add_f32 v[6:7], v[10:11], v[6:7] neg_lo:[0,1] neg_hi:[0,1]
	s_delay_alu instid0(VALU_DEP_2) | instskip(NEXT) | instid1(VALU_DEP_1)
	v_add_f32_e32 v13, v1, v2
	v_pk_add_f32 v[14:15], v[10:11], v[12:13]
	s_delay_alu instid0(VALU_DEP_1) | instskip(NEXT) | instid1(VALU_DEP_1)
	v_mov_b32_e32 v7, v15
	v_pk_add_f32 v[16:17], v[8:9], v[6:7]
	v_mov_b32_e32 v16, v15
	v_pk_add_f32 v[6:7], v[8:9], v[6:7] neg_lo:[0,1] neg_hi:[0,1]
	s_delay_alu instid0(VALU_DEP_3) | instskip(NEXT) | instid1(VALU_DEP_1)
	v_dual_mov_b32 v2, v17 :: v_dual_mov_b32 v7, v17
	v_pk_add_f32 v[18:19], v[2:3], v[10:11] neg_lo:[0,1] neg_hi:[0,1]
	v_dual_mov_b32 v11, v10 :: v_dual_mov_b32 v10, v13
	s_delay_alu instid0(VALU_DEP_2) | instskip(NEXT) | instid1(VALU_DEP_1)
	v_dual_mov_b32 v1, v18 :: v_dual_mov_b32 v21, v18
	v_pk_add_f32 v[12:13], v[14:15], v[0:1] neg_lo:[0,1] neg_hi:[0,1]
	s_delay_alu instid0(VALU_DEP_2) | instskip(SKIP_1) | instid1(VALU_DEP_2)
	v_pk_add_f32 v[8:9], v[16:17], v[20:21] neg_lo:[0,1] neg_hi:[0,1]
	v_mov_b32_e32 v12, v6
	v_pk_add_f32 v[8:9], v[10:11], v[8:9] neg_lo:[0,1] neg_hi:[0,1]
	s_delay_alu instid0(VALU_DEP_1) | instskip(NEXT) | instid1(VALU_DEP_1)
	v_pk_add_f32 v[10:11], v[12:13], v[8:9]
	v_mov_b32_e32 v12, v11
	s_delay_alu instid0(VALU_DEP_1) | instskip(NEXT) | instid1(VALU_DEP_1)
	v_pk_add_f32 v[12:13], v[10:11], v[12:13]
	v_pk_add_f32 v[14:15], v[2:3], v[12:13]
	s_delay_alu instid0(VALU_DEP_1) | instskip(NEXT) | instid1(VALU_DEP_1)
	v_mov_b32_e32 v11, v14
	v_pk_add_f32 v[16:17], v[10:11], v[6:7] neg_lo:[0,1] neg_hi:[0,1]
	s_delay_alu instid0(VALU_DEP_1) | instskip(NEXT) | instid1(VALU_DEP_1)
	v_dual_mov_b32 v9, v12 :: v_dual_sub_f32 v1, v10, v16
	v_pk_add_f32 v[8:9], v[8:9], v[16:17] neg_lo:[0,1] neg_hi:[0,1]
	s_delay_alu instid0(VALU_DEP_2) | instskip(NEXT) | instid1(VALU_DEP_1)
	v_sub_f32_e32 v1, v6, v1
	v_add_f32_e32 v1, v8, v1
	s_delay_alu instid0(VALU_DEP_1) | instskip(NEXT) | instid1(VALU_DEP_1)
	v_add_f32_e32 v1, v1, v9
	v_add_f32_e32 v1, v14, v1
	s_delay_alu instid0(VALU_DEP_1) | instskip(SKIP_1) | instid1(VALU_DEP_2)
	v_cndmask_b32_e32 v1, 0x7f800000, v1, vcc_lo
	v_cmp_gt_f32_e64 vcc_lo, 0x33800000, |v22|
	v_cndmask_b32_e32 v1, v1, v22, vcc_lo
	s_delay_alu instid0(VALU_DEP_1) | instskip(NEXT) | instid1(VALU_DEP_1)
	v_div_scale_f32 v2, null, s9, s9, v1
	v_rcp_f32_e32 v6, v2
	v_nop
	s_delay_alu instid0(TRANS32_DEP_1) | instskip(NEXT) | instid1(VALU_DEP_1)
	v_fma_f32 v7, -v2, v6, 1.0
	v_fmac_f32_e32 v6, v7, v6
	v_div_scale_f32 v7, vcc_lo, v1, s9, v1
	s_delay_alu instid0(VALU_DEP_1) | instskip(NEXT) | instid1(VALU_DEP_1)
	v_mul_f32_e32 v8, v7, v6
	v_fma_f32 v9, -v2, v8, v7
	s_delay_alu instid0(VALU_DEP_1) | instskip(NEXT) | instid1(VALU_DEP_1)
	v_fmac_f32_e32 v8, v9, v6
	v_fma_f32 v2, -v2, v8, v7
	s_delay_alu instid0(VALU_DEP_1) | instskip(NEXT) | instid1(VALU_DEP_1)
	v_div_fmas_f32 v2, v2, v6, v8
	v_div_fixup_f32 v2, v2, s9, v1
.LBB10_3:
	s_or_b32 exec_lo, exec_lo, s3
	v_mul_f32_e32 v1, s9, v3
	s_mov_b32 s3, exec_lo
	s_delay_alu instid0(VALU_DEP_1)
	v_cmpx_nlt_f32_e32 s10, v1
	s_cbranch_execz .LBB10_5
; %bb.4:
	v_mul_f32_e32 v3, 0x3fb8aa3b, v1
	v_cmp_ngt_f32_e32 vcc_lo, 0xc2ce8ed0, v1
	s_mov_b32 s11, 0x3e9b6dac
	s_delay_alu instid0(VALU_DEP_2) | instskip(SKIP_1) | instid1(VALU_DEP_2)
	v_rndne_f32_e32 v6, v3
	v_fma_f32 v7, 0x3fb8aa3b, v1, -v3
	v_sub_f32_e32 v3, v3, v6
	s_delay_alu instid0(VALU_DEP_2) | instskip(SKIP_1) | instid1(VALU_DEP_2)
	v_fmamk_f32 v7, v1, 0x32a5705f, v7
	v_cvt_i32_f32_e32 v6, v6
	v_add_f32_e32 v3, v3, v7
	s_delay_alu instid0(VALU_DEP_1) | instskip(SKIP_1) | instid1(TRANS32_DEP_1)
	v_exp_f32_e32 v3, v3
	v_nop
	v_ldexp_f32 v3, v3, v6
	s_delay_alu instid0(VALU_DEP_1) | instskip(SKIP_1) | instid1(VALU_DEP_2)
	v_cndmask_b32_e32 v3, 0, v3, vcc_lo
	v_cmp_nlt_f32_e32 vcc_lo, 0x42b17218, v1
	v_cndmask_b32_e32 v3, 0x7f800000, v3, vcc_lo
	s_delay_alu instid0(VALU_DEP_1) | instskip(NEXT) | instid1(VALU_DEP_1)
	v_add_f32_e32 v1, 1.0, v3
	v_cvt_f64_f32_e32 v[6:7], v1
	s_delay_alu instid0(VALU_DEP_1) | instskip(SKIP_1) | instid1(VALU_DEP_1)
	v_frexp_exp_i32_f64_e32 v6, v[6:7]
	v_frexp_mant_f32_e32 v7, v1
	v_cmp_gt_f32_e32 vcc_lo, 0x3f2aaaab, v7
	s_delay_alu instid0(VALU_DEP_3) | instskip(NEXT) | instid1(VALU_DEP_1)
	v_subrev_co_ci_u32_e64 v12, null, 0, v6, vcc_lo
	v_dual_add_f32 v6, -1.0, v1 :: v_dual_sub_nc_u32 v7, 0, v12
	s_delay_alu instid0(VALU_DEP_1) | instskip(NEXT) | instid1(VALU_DEP_2)
	v_dual_sub_f32 v8, v6, v1 :: v_dual_sub_f32 v6, v3, v6
	v_ldexp_f32 v1, v1, v7
	s_delay_alu instid0(VALU_DEP_1) | instskip(NEXT) | instid1(VALU_DEP_1)
	v_dual_add_f32 v8, 1.0, v8 :: v_dual_add_f32 v9, 1.0, v1
	v_add_f32_e32 v6, v6, v8
	v_cmp_neq_f32_e32 vcc_lo, 0x7f800000, v3
	s_delay_alu instid0(VALU_DEP_2) | instskip(NEXT) | instid1(VALU_DEP_4)
	v_ldexp_f32 v6, v6, v7
	v_add_f32_e32 v8, -1.0, v9
	s_delay_alu instid0(VALU_DEP_1) | instskip(NEXT) | instid1(VALU_DEP_1)
	v_dual_add_f32 v11, -1.0, v1 :: v_dual_sub_f32 v7, v1, v8
	v_add_f32_e32 v10, v6, v7
	s_delay_alu instid0(VALU_DEP_1) | instskip(NEXT) | instid1(VALU_DEP_1)
	v_dual_add_f32 v8, 1.0, v11 :: v_dual_add_f32 v13, v9, v10
	v_rcp_f32_e32 v14, v13
	s_delay_alu instid0(VALU_DEP_1) | instskip(NEXT) | instid1(VALU_DEP_1)
	v_sub_f32_e32 v1, v1, v8
	v_add_f32_e32 v1, v6, v1
	v_sub_f32_e32 v6, v9, v13
	s_delay_alu instid0(VALU_DEP_1)
	v_dual_add_f32 v7, v11, v1 :: v_dual_add_f32 v16, v10, v6
	s_delay_alu instid0(TRANS32_DEP_1) | instid1(VALU_DEP_1)
	v_mul_f32_e32 v15, v7, v14
	v_sub_f32_e32 v17, v11, v7
	s_delay_alu instid0(VALU_DEP_2) | instskip(NEXT) | instid1(VALU_DEP_2)
	v_mul_f32_e32 v8, v13, v15
	v_add_f32_e32 v1, v1, v17
	s_delay_alu instid0(VALU_DEP_2) | instskip(NEXT) | instid1(VALU_DEP_1)
	v_fma_f32 v10, v15, v13, -v8
	v_fmac_f32_e32 v10, v15, v16
	s_delay_alu instid0(VALU_DEP_1) | instskip(NEXT) | instid1(VALU_DEP_1)
	v_add_f32_e32 v6, v8, v10
	v_dual_sub_f32 v9, v7, v6 :: v_dual_mov_b32 v11, v6
	s_delay_alu instid0(VALU_DEP_1) | instskip(NEXT) | instid1(VALU_DEP_1)
	v_pk_add_f32 v[6:7], v[6:7], v[8:9] neg_lo:[0,1] neg_hi:[0,1]
	v_pk_add_f32 v[6:7], v[6:7], v[10:11] neg_lo:[0,1] neg_hi:[0,1]
	s_delay_alu instid0(VALU_DEP_1) | instskip(NEXT) | instid1(VALU_DEP_1)
	v_add_f32_e32 v1, v1, v7
	v_add_f32_e32 v1, v6, v1
	s_delay_alu instid0(VALU_DEP_1) | instskip(NEXT) | instid1(VALU_DEP_1)
	v_add_f32_e32 v7, v9, v1
	v_mul_f32_e32 v17, v14, v7
	s_delay_alu instid0(VALU_DEP_1) | instskip(NEXT) | instid1(VALU_DEP_1)
	v_mul_f32_e32 v10, v13, v17
	v_fma_f32 v8, v17, v13, -v10
	s_delay_alu instid0(VALU_DEP_1) | instskip(NEXT) | instid1(VALU_DEP_1)
	v_fmac_f32_e32 v8, v17, v16
	v_dual_add_f32 v6, v10, v8 :: v_dual_sub_f32 v13, v9, v7
	s_delay_alu instid0(VALU_DEP_1) | instskip(NEXT) | instid1(VALU_DEP_1)
	v_dual_sub_f32 v11, v7, v6 :: v_dual_mov_b32 v9, v6
	v_pk_add_f32 v[6:7], v[6:7], v[10:11] neg_lo:[0,1] neg_hi:[0,1]
	v_add_f32_e32 v10, v15, v17
	s_delay_alu instid0(VALU_DEP_4) | instskip(NEXT) | instid1(VALU_DEP_3)
	v_add_f32_e32 v1, v1, v13
	v_pk_add_f32 v[6:7], v[6:7], v[8:9] neg_lo:[0,1] neg_hi:[0,1]
	v_cvt_f32_i32_e32 v8, v12
	s_delay_alu instid0(VALU_DEP_2) | instskip(NEXT) | instid1(VALU_DEP_1)
	v_add_f32_e32 v1, v1, v7
	v_add_f32_e32 v1, v6, v1
	v_sub_f32_e32 v6, v10, v15
	s_delay_alu instid0(VALU_DEP_1) | instskip(NEXT) | instid1(VALU_DEP_1)
	v_dual_sub_f32 v6, v17, v6 :: v_dual_add_f32 v1, v11, v1
	v_mul_f32_e32 v1, v14, v1
	s_delay_alu instid0(VALU_DEP_1) | instskip(NEXT) | instid1(VALU_DEP_1)
	v_dual_add_f32 v1, v6, v1 :: v_dual_mov_b32 v6, 0x3f317218
	v_add_f32_e32 v11, v10, v1
	s_delay_alu instid0(VALU_DEP_1) | instskip(NEXT) | instid1(VALU_DEP_1)
	v_mul_f32_e32 v7, v11, v11
	v_fmaak_f32 v13, s11, v7, 0x3ecc95a3
	v_mul_f32_e32 v9, v11, v7
	s_delay_alu instid0(VALU_DEP_2) | instskip(NEXT) | instid1(VALU_DEP_1)
	v_fmaak_f32 v7, v7, v13, 0x3f2aaada
	v_pk_mul_f32 v[6:7], v[8:9], v[6:7]
	s_delay_alu instid0(VALU_DEP_1) | instskip(NEXT) | instid1(VALU_DEP_1)
	v_fma_f32 v12, 0x3f317218, v8, -v6
	v_fmamk_f32 v8, v8, 0xb102e308, v12
	v_sub_f32_e32 v12, v11, v10
	s_delay_alu instid0(VALU_DEP_1) | instskip(SKIP_2) | instid1(VALU_DEP_3)
	v_sub_f32_e32 v1, v1, v12
	v_ldexp_f32 v9, v11, 1
	v_mov_b32_e32 v12, v6
	v_ldexp_f32 v1, v1, 1
	s_delay_alu instid0(VALU_DEP_3) | instskip(NEXT) | instid1(VALU_DEP_1)
	v_pk_add_f32 v[10:11], v[6:7], v[8:9]
	v_dual_sub_f32 v9, v11, v9 :: v_dual_mov_b32 v20, v11
	s_delay_alu instid0(VALU_DEP_1) | instskip(NEXT) | instid1(VALU_DEP_3)
	v_sub_f32_e32 v9, v7, v9
	v_pk_add_f32 v[6:7], v[10:11], v[6:7] neg_lo:[0,1] neg_hi:[0,1]
	s_delay_alu instid0(VALU_DEP_2) | instskip(NEXT) | instid1(VALU_DEP_1)
	v_dual_add_f32 v13, v1, v9 :: v_dual_mov_b32 v9, v10
	v_pk_add_f32 v[14:15], v[10:11], v[12:13]
	s_delay_alu instid0(VALU_DEP_1) | instskip(NEXT) | instid1(VALU_DEP_1)
	v_mov_b32_e32 v7, v15
	v_pk_add_f32 v[16:17], v[8:9], v[6:7]
	v_mov_b32_e32 v16, v15
	v_pk_add_f32 v[6:7], v[8:9], v[6:7] neg_lo:[0,1] neg_hi:[0,1]
	s_delay_alu instid0(VALU_DEP_3) | instskip(NEXT) | instid1(VALU_DEP_1)
	v_dual_mov_b32 v12, v17 :: v_dual_mov_b32 v7, v17
	v_pk_add_f32 v[18:19], v[12:13], v[10:11] neg_lo:[0,1] neg_hi:[0,1]
	v_dual_mov_b32 v11, v10 :: v_dual_mov_b32 v10, v13
	s_delay_alu instid0(VALU_DEP_2) | instskip(NEXT) | instid1(VALU_DEP_1)
	v_dual_mov_b32 v1, v18 :: v_dual_mov_b32 v21, v18
	v_pk_add_f32 v[14:15], v[14:15], v[0:1] neg_lo:[0,1] neg_hi:[0,1]
	s_delay_alu instid0(VALU_DEP_2) | instskip(SKIP_1) | instid1(VALU_DEP_2)
	v_pk_add_f32 v[8:9], v[16:17], v[20:21] neg_lo:[0,1] neg_hi:[0,1]
	v_mov_b32_e32 v14, v6
	v_pk_add_f32 v[8:9], v[10:11], v[8:9] neg_lo:[0,1] neg_hi:[0,1]
	s_delay_alu instid0(VALU_DEP_1) | instskip(NEXT) | instid1(VALU_DEP_1)
	v_pk_add_f32 v[10:11], v[14:15], v[8:9]
	v_mov_b32_e32 v14, v11
	s_delay_alu instid0(VALU_DEP_1) | instskip(NEXT) | instid1(VALU_DEP_1)
	v_pk_add_f32 v[14:15], v[10:11], v[14:15]
	v_pk_add_f32 v[12:13], v[12:13], v[14:15]
	s_delay_alu instid0(VALU_DEP_1) | instskip(NEXT) | instid1(VALU_DEP_1)
	v_mov_b32_e32 v11, v12
	v_pk_add_f32 v[16:17], v[10:11], v[6:7] neg_lo:[0,1] neg_hi:[0,1]
	s_delay_alu instid0(VALU_DEP_1) | instskip(NEXT) | instid1(VALU_DEP_1)
	v_sub_f32_e32 v1, v10, v16
	v_sub_f32_e32 v1, v6, v1
	v_mov_b32_e32 v9, v14
	s_delay_alu instid0(VALU_DEP_1) | instskip(NEXT) | instid1(VALU_DEP_1)
	v_pk_add_f32 v[8:9], v[8:9], v[16:17] neg_lo:[0,1] neg_hi:[0,1]
	v_add_f32_e32 v1, v8, v1
	s_delay_alu instid0(VALU_DEP_1) | instskip(NEXT) | instid1(VALU_DEP_1)
	v_add_f32_e32 v1, v1, v9
	v_add_f32_e32 v1, v12, v1
	s_delay_alu instid0(VALU_DEP_1) | instskip(SKIP_1) | instid1(VALU_DEP_2)
	v_cndmask_b32_e32 v1, 0x7f800000, v1, vcc_lo
	v_cmp_gt_f32_e64 vcc_lo, 0x33800000, |v3|
	v_cndmask_b32_e32 v1, v1, v3, vcc_lo
	s_delay_alu instid0(VALU_DEP_1) | instskip(NEXT) | instid1(VALU_DEP_1)
	v_div_scale_f32 v3, null, s9, s9, v1
	v_rcp_f32_e32 v6, v3
	v_nop
	s_delay_alu instid0(TRANS32_DEP_1) | instskip(NEXT) | instid1(VALU_DEP_1)
	v_fma_f32 v7, -v3, v6, 1.0
	v_fmac_f32_e32 v6, v7, v6
	v_div_scale_f32 v7, vcc_lo, v1, s9, v1
	s_delay_alu instid0(VALU_DEP_1) | instskip(NEXT) | instid1(VALU_DEP_1)
	v_mul_f32_e32 v8, v7, v6
	v_fma_f32 v9, -v3, v8, v7
	s_delay_alu instid0(VALU_DEP_1) | instskip(NEXT) | instid1(VALU_DEP_1)
	v_fmac_f32_e32 v8, v9, v6
	v_fma_f32 v3, -v3, v8, v7
	s_delay_alu instid0(VALU_DEP_1) | instskip(NEXT) | instid1(VALU_DEP_1)
	v_div_fmas_f32 v3, v3, v6, v8
	v_div_fixup_f32 v3, v3, s9, v1
.LBB10_5:
	s_or_b32 exec_lo, exec_lo, s3
	v_mul_f32_e32 v1, s9, v4
	s_mov_b32 s3, exec_lo
	s_delay_alu instid0(VALU_DEP_1)
	v_cmpx_nlt_f32_e32 s10, v1
	s_cbranch_execz .LBB10_7
; %bb.6:
	v_mul_f32_e32 v4, 0x3fb8aa3b, v1
	v_cmp_ngt_f32_e32 vcc_lo, 0xc2ce8ed0, v1
	s_mov_b32 s11, 0x3e9b6dac
	s_delay_alu instid0(VALU_DEP_2) | instskip(SKIP_1) | instid1(VALU_DEP_1)
	v_rndne_f32_e32 v6, v4
	v_fma_f32 v7, 0x3fb8aa3b, v1, -v4
	v_dual_sub_f32 v4, v4, v6 :: v_dual_fmamk_f32 v7, v1, 0x32a5705f, v7
	v_cvt_i32_f32_e32 v6, v6
	s_delay_alu instid0(VALU_DEP_2) | instskip(NEXT) | instid1(VALU_DEP_1)
	v_add_f32_e32 v4, v4, v7
	v_exp_f32_e32 v4, v4
	v_nop
	s_delay_alu instid0(TRANS32_DEP_1) | instskip(NEXT) | instid1(VALU_DEP_1)
	v_ldexp_f32 v4, v4, v6
	v_cndmask_b32_e32 v4, 0, v4, vcc_lo
	v_cmp_nlt_f32_e32 vcc_lo, 0x42b17218, v1
	s_delay_alu instid0(VALU_DEP_2) | instskip(NEXT) | instid1(VALU_DEP_1)
	v_cndmask_b32_e32 v22, 0x7f800000, v4, vcc_lo
	v_add_f32_e32 v1, 1.0, v22
	s_delay_alu instid0(VALU_DEP_1) | instskip(NEXT) | instid1(VALU_DEP_1)
	v_cvt_f64_f32_e32 v[6:7], v1
	v_frexp_exp_i32_f64_e32 v4, v[6:7]
	v_frexp_mant_f32_e32 v6, v1
	s_delay_alu instid0(VALU_DEP_1) | instskip(SKIP_1) | instid1(VALU_DEP_1)
	v_cmp_gt_f32_e32 vcc_lo, 0x3f2aaaab, v6
	v_add_f32_e32 v6, -1.0, v1
	v_sub_f32_e32 v8, v6, v1
	s_delay_alu instid0(VALU_DEP_1) | instskip(SKIP_1) | instid1(VALU_DEP_1)
	v_add_f32_e32 v8, 1.0, v8
	v_subrev_co_ci_u32_e64 v4, null, 0, v4, vcc_lo
	v_dual_sub_f32 v6, v22, v6 :: v_dual_sub_nc_u32 v7, 0, v4
	v_cmp_neq_f32_e32 vcc_lo, 0x7f800000, v22
	s_delay_alu instid0(VALU_DEP_2) | instskip(NEXT) | instid1(VALU_DEP_1)
	v_ldexp_f32 v1, v1, v7
	v_dual_add_f32 v6, v6, v8 :: v_dual_add_f32 v9, 1.0, v1
	s_delay_alu instid0(VALU_DEP_1) | instskip(NEXT) | instid1(VALU_DEP_2)
	v_ldexp_f32 v6, v6, v7
	v_add_f32_e32 v8, -1.0, v9
	s_delay_alu instid0(VALU_DEP_1) | instskip(NEXT) | instid1(VALU_DEP_1)
	v_dual_add_f32 v11, -1.0, v1 :: v_dual_sub_f32 v7, v1, v8
	v_add_f32_e32 v10, v6, v7
	s_delay_alu instid0(VALU_DEP_1) | instskip(NEXT) | instid1(VALU_DEP_1)
	v_dual_add_f32 v8, 1.0, v11 :: v_dual_add_f32 v12, v9, v10
	v_rcp_f32_e32 v13, v12
	s_delay_alu instid0(VALU_DEP_1) | instskip(NEXT) | instid1(VALU_DEP_1)
	v_sub_f32_e32 v1, v1, v8
	v_dual_add_f32 v1, v6, v1 :: v_dual_sub_f32 v6, v9, v12
	s_delay_alu instid0(VALU_DEP_1)
	v_add_f32_e32 v7, v11, v1
	s_delay_alu instid0(TRANS32_DEP_1) | instid1(VALU_DEP_1)
	v_mul_f32_e32 v14, v7, v13
	s_delay_alu instid0(VALU_DEP_1) | instskip(NEXT) | instid1(VALU_DEP_4)
	v_mul_f32_e32 v8, v12, v14
	v_dual_add_f32 v15, v10, v6 :: v_dual_sub_f32 v16, v11, v7
	s_delay_alu instid0(VALU_DEP_2) | instskip(NEXT) | instid1(VALU_DEP_1)
	v_fma_f32 v10, v14, v12, -v8
	v_dual_add_f32 v1, v1, v16 :: v_dual_fmac_f32 v10, v14, v15
	s_delay_alu instid0(VALU_DEP_1) | instskip(NEXT) | instid1(VALU_DEP_1)
	v_add_f32_e32 v6, v8, v10
	v_dual_sub_f32 v9, v7, v6 :: v_dual_mov_b32 v11, v6
	s_delay_alu instid0(VALU_DEP_1) | instskip(NEXT) | instid1(VALU_DEP_1)
	v_pk_add_f32 v[6:7], v[6:7], v[8:9] neg_lo:[0,1] neg_hi:[0,1]
	v_pk_add_f32 v[6:7], v[6:7], v[10:11] neg_lo:[0,1] neg_hi:[0,1]
	s_delay_alu instid0(VALU_DEP_1) | instskip(NEXT) | instid1(VALU_DEP_1)
	v_add_f32_e32 v1, v1, v7
	v_add_f32_e32 v1, v6, v1
	s_delay_alu instid0(VALU_DEP_1) | instskip(NEXT) | instid1(VALU_DEP_1)
	v_add_f32_e32 v7, v9, v1
	v_mul_f32_e32 v16, v13, v7
	s_delay_alu instid0(VALU_DEP_1) | instskip(NEXT) | instid1(VALU_DEP_1)
	v_mul_f32_e32 v10, v12, v16
	v_dual_fma_f32 v8, v16, v12, -v10 :: v_dual_sub_f32 v12, v9, v7
	s_delay_alu instid0(VALU_DEP_1) | instskip(NEXT) | instid1(VALU_DEP_1)
	v_fmac_f32_e32 v8, v16, v15
	v_add_f32_e32 v6, v10, v8
	s_delay_alu instid0(VALU_DEP_1) | instskip(NEXT) | instid1(VALU_DEP_1)
	v_dual_sub_f32 v11, v7, v6 :: v_dual_mov_b32 v9, v6
	v_pk_add_f32 v[6:7], v[6:7], v[10:11] neg_lo:[0,1] neg_hi:[0,1]
	v_add_f32_e32 v10, v14, v16
	v_add_f32_e32 v1, v1, v12
	s_delay_alu instid0(VALU_DEP_3) | instskip(SKIP_1) | instid1(VALU_DEP_2)
	v_pk_add_f32 v[6:7], v[6:7], v[8:9] neg_lo:[0,1] neg_hi:[0,1]
	v_cvt_f32_i32_e32 v8, v4
	v_add_f32_e32 v1, v1, v7
	s_delay_alu instid0(VALU_DEP_1) | instskip(NEXT) | instid1(VALU_DEP_1)
	v_add_f32_e32 v1, v6, v1
	v_dual_sub_f32 v6, v10, v14 :: v_dual_add_f32 v1, v11, v1
	s_delay_alu instid0(VALU_DEP_1) | instskip(NEXT) | instid1(VALU_DEP_1)
	v_dual_sub_f32 v6, v16, v6 :: v_dual_mul_f32 v1, v13, v1
	v_dual_add_f32 v1, v6, v1 :: v_dual_mov_b32 v6, 0x3f317218
	s_delay_alu instid0(VALU_DEP_1) | instskip(NEXT) | instid1(VALU_DEP_1)
	v_add_f32_e32 v11, v10, v1
	v_mul_f32_e32 v7, v11, v11
	s_delay_alu instid0(VALU_DEP_1) | instskip(NEXT) | instid1(VALU_DEP_1)
	v_dual_fmaak_f32 v12, s11, v7, 0x3ecc95a3 :: v_dual_mul_f32 v9, v11, v7
	v_fmaak_f32 v7, v7, v12, 0x3f2aaada
	s_delay_alu instid0(VALU_DEP_1) | instskip(NEXT) | instid1(VALU_DEP_1)
	v_pk_mul_f32 v[6:7], v[8:9], v[6:7]
	v_fma_f32 v4, 0x3f317218, v8, -v6
	v_mov_b32_e32 v12, v6
	s_delay_alu instid0(VALU_DEP_2) | instskip(SKIP_2) | instid1(VALU_DEP_2)
	v_fmamk_f32 v8, v8, 0xb102e308, v4
	v_ldexp_f32 v9, v11, 1
	v_sub_f32_e32 v4, v11, v10
	v_pk_add_f32 v[10:11], v[6:7], v[8:9]
	s_delay_alu instid0(VALU_DEP_1) | instskip(NEXT) | instid1(VALU_DEP_1)
	v_dual_sub_f32 v1, v1, v4 :: v_dual_sub_f32 v4, v11, v9
	v_ldexp_f32 v1, v1, 1
	s_delay_alu instid0(VALU_DEP_3) | instskip(NEXT) | instid1(VALU_DEP_3)
	v_dual_mov_b32 v9, v10 :: v_dual_mov_b32 v20, v11
	v_sub_f32_e32 v4, v7, v4
	v_pk_add_f32 v[6:7], v[10:11], v[6:7] neg_lo:[0,1] neg_hi:[0,1]
	s_delay_alu instid0(VALU_DEP_2) | instskip(NEXT) | instid1(VALU_DEP_1)
	v_add_f32_e32 v13, v1, v4
	v_pk_add_f32 v[14:15], v[10:11], v[12:13]
	s_delay_alu instid0(VALU_DEP_1) | instskip(NEXT) | instid1(VALU_DEP_1)
	v_mov_b32_e32 v7, v15
	v_pk_add_f32 v[16:17], v[8:9], v[6:7]
	v_mov_b32_e32 v16, v15
	v_pk_add_f32 v[6:7], v[8:9], v[6:7] neg_lo:[0,1] neg_hi:[0,1]
	s_delay_alu instid0(VALU_DEP_3) | instskip(NEXT) | instid1(VALU_DEP_1)
	v_dual_mov_b32 v4, v17 :: v_dual_mov_b32 v7, v17
	v_pk_add_f32 v[18:19], v[4:5], v[10:11] neg_lo:[0,1] neg_hi:[0,1]
	v_dual_mov_b32 v11, v10 :: v_dual_mov_b32 v10, v13
	s_delay_alu instid0(VALU_DEP_2) | instskip(NEXT) | instid1(VALU_DEP_1)
	v_dual_mov_b32 v1, v18 :: v_dual_mov_b32 v21, v18
	v_pk_add_f32 v[12:13], v[14:15], v[0:1] neg_lo:[0,1] neg_hi:[0,1]
	s_delay_alu instid0(VALU_DEP_2) | instskip(SKIP_1) | instid1(VALU_DEP_2)
	v_pk_add_f32 v[8:9], v[16:17], v[20:21] neg_lo:[0,1] neg_hi:[0,1]
	v_mov_b32_e32 v12, v6
	v_pk_add_f32 v[8:9], v[10:11], v[8:9] neg_lo:[0,1] neg_hi:[0,1]
	s_delay_alu instid0(VALU_DEP_1) | instskip(NEXT) | instid1(VALU_DEP_1)
	v_pk_add_f32 v[10:11], v[12:13], v[8:9]
	v_mov_b32_e32 v12, v11
	s_delay_alu instid0(VALU_DEP_1) | instskip(NEXT) | instid1(VALU_DEP_1)
	v_pk_add_f32 v[12:13], v[10:11], v[12:13]
	v_pk_add_f32 v[14:15], v[4:5], v[12:13]
	s_delay_alu instid0(VALU_DEP_1) | instskip(NEXT) | instid1(VALU_DEP_1)
	v_mov_b32_e32 v11, v14
	v_pk_add_f32 v[16:17], v[10:11], v[6:7] neg_lo:[0,1] neg_hi:[0,1]
	s_delay_alu instid0(VALU_DEP_1) | instskip(NEXT) | instid1(VALU_DEP_1)
	v_dual_mov_b32 v9, v12 :: v_dual_sub_f32 v1, v10, v16
	v_pk_add_f32 v[8:9], v[8:9], v[16:17] neg_lo:[0,1] neg_hi:[0,1]
	s_delay_alu instid0(VALU_DEP_2) | instskip(NEXT) | instid1(VALU_DEP_1)
	v_sub_f32_e32 v1, v6, v1
	v_add_f32_e32 v1, v8, v1
	s_delay_alu instid0(VALU_DEP_1) | instskip(NEXT) | instid1(VALU_DEP_1)
	v_add_f32_e32 v1, v1, v9
	v_add_f32_e32 v1, v14, v1
	s_delay_alu instid0(VALU_DEP_1) | instskip(SKIP_1) | instid1(VALU_DEP_2)
	v_cndmask_b32_e32 v1, 0x7f800000, v1, vcc_lo
	v_cmp_gt_f32_e64 vcc_lo, 0x33800000, |v22|
	v_cndmask_b32_e32 v1, v1, v22, vcc_lo
	s_delay_alu instid0(VALU_DEP_1) | instskip(NEXT) | instid1(VALU_DEP_1)
	v_div_scale_f32 v4, null, s9, s9, v1
	v_rcp_f32_e32 v6, v4
	v_nop
	s_delay_alu instid0(TRANS32_DEP_1) | instskip(NEXT) | instid1(VALU_DEP_1)
	v_fma_f32 v7, -v4, v6, 1.0
	v_fmac_f32_e32 v6, v7, v6
	v_div_scale_f32 v7, vcc_lo, v1, s9, v1
	s_delay_alu instid0(VALU_DEP_1) | instskip(NEXT) | instid1(VALU_DEP_1)
	v_mul_f32_e32 v8, v7, v6
	v_fma_f32 v9, -v4, v8, v7
	s_delay_alu instid0(VALU_DEP_1) | instskip(NEXT) | instid1(VALU_DEP_1)
	v_fmac_f32_e32 v8, v9, v6
	v_fma_f32 v4, -v4, v8, v7
	s_delay_alu instid0(VALU_DEP_1) | instskip(NEXT) | instid1(VALU_DEP_1)
	v_div_fmas_f32 v4, v4, v6, v8
	v_div_fixup_f32 v4, v4, s9, v1
.LBB10_7:
	s_or_b32 exec_lo, exec_lo, s3
	v_mul_f32_e32 v1, s9, v5
	s_mov_b32 s3, exec_lo
	s_delay_alu instid0(VALU_DEP_1)
	v_cmpx_nlt_f32_e32 s10, v1
	s_cbranch_execz .LBB10_9
; %bb.8:
	v_mul_f32_e32 v5, 0x3fb8aa3b, v1
	v_cmp_ngt_f32_e32 vcc_lo, 0xc2ce8ed0, v1
	s_mov_b32 s11, 0x3e9b6dac
	s_delay_alu instid0(VALU_DEP_2) | instskip(SKIP_1) | instid1(VALU_DEP_2)
	v_rndne_f32_e32 v6, v5
	v_fma_f32 v7, 0x3fb8aa3b, v1, -v5
	v_sub_f32_e32 v5, v5, v6
	s_delay_alu instid0(VALU_DEP_2) | instskip(SKIP_1) | instid1(VALU_DEP_2)
	v_fmamk_f32 v7, v1, 0x32a5705f, v7
	v_cvt_i32_f32_e32 v6, v6
	v_add_f32_e32 v5, v5, v7
	s_delay_alu instid0(VALU_DEP_1) | instskip(SKIP_1) | instid1(TRANS32_DEP_1)
	v_exp_f32_e32 v5, v5
	v_nop
	v_ldexp_f32 v5, v5, v6
	s_delay_alu instid0(VALU_DEP_1) | instskip(SKIP_1) | instid1(VALU_DEP_2)
	v_cndmask_b32_e32 v5, 0, v5, vcc_lo
	v_cmp_nlt_f32_e32 vcc_lo, 0x42b17218, v1
	v_cndmask_b32_e32 v5, 0x7f800000, v5, vcc_lo
	s_delay_alu instid0(VALU_DEP_1) | instskip(NEXT) | instid1(VALU_DEP_1)
	v_add_f32_e32 v1, 1.0, v5
	v_cvt_f64_f32_e32 v[6:7], v1
	s_delay_alu instid0(VALU_DEP_1) | instskip(SKIP_1) | instid1(VALU_DEP_1)
	v_frexp_exp_i32_f64_e32 v6, v[6:7]
	v_frexp_mant_f32_e32 v7, v1
	v_cmp_gt_f32_e32 vcc_lo, 0x3f2aaaab, v7
	s_delay_alu instid0(VALU_DEP_3) | instskip(NEXT) | instid1(VALU_DEP_1)
	v_subrev_co_ci_u32_e64 v12, null, 0, v6, vcc_lo
	v_dual_add_f32 v6, -1.0, v1 :: v_dual_sub_nc_u32 v7, 0, v12
	s_delay_alu instid0(VALU_DEP_1) | instskip(NEXT) | instid1(VALU_DEP_2)
	v_dual_sub_f32 v8, v6, v1 :: v_dual_sub_f32 v6, v5, v6
	v_ldexp_f32 v1, v1, v7
	s_delay_alu instid0(VALU_DEP_1) | instskip(NEXT) | instid1(VALU_DEP_1)
	v_dual_add_f32 v8, 1.0, v8 :: v_dual_add_f32 v9, 1.0, v1
	v_dual_add_f32 v11, -1.0, v1 :: v_dual_add_f32 v6, v6, v8
	s_delay_alu instid0(VALU_DEP_1) | instskip(NEXT) | instid1(VALU_DEP_3)
	v_ldexp_f32 v6, v6, v7
	v_add_f32_e32 v8, -1.0, v9
	s_delay_alu instid0(VALU_DEP_1) | instskip(SKIP_1) | instid1(VALU_DEP_2)
	v_dual_sub_f32 v7, v1, v8 :: v_dual_add_f32 v8, 1.0, v11
	v_cmp_neq_f32_e32 vcc_lo, 0x7f800000, v5
	v_dual_sub_f32 v1, v1, v8 :: v_dual_add_f32 v10, v6, v7
	s_delay_alu instid0(VALU_DEP_1) | instskip(NEXT) | instid1(VALU_DEP_1)
	v_dual_add_f32 v1, v6, v1 :: v_dual_add_f32 v13, v9, v10
	v_add_f32_e32 v7, v11, v1
	s_delay_alu instid0(VALU_DEP_2) | instskip(SKIP_1) | instid1(TRANS32_DEP_1)
	v_rcp_f32_e32 v14, v13
	v_nop
	v_dual_sub_f32 v6, v9, v13 :: v_dual_mul_f32 v15, v7, v14
	s_delay_alu instid0(VALU_DEP_1) | instskip(SKIP_1) | instid1(VALU_DEP_2)
	v_dual_mul_f32 v8, v13, v15 :: v_dual_add_f32 v16, v10, v6
	v_sub_f32_e32 v17, v11, v7
	v_fma_f32 v10, v15, v13, -v8
	s_delay_alu instid0(VALU_DEP_1) | instskip(NEXT) | instid1(VALU_DEP_1)
	v_dual_add_f32 v1, v1, v17 :: v_dual_fmac_f32 v10, v15, v16
	v_add_f32_e32 v6, v8, v10
	s_delay_alu instid0(VALU_DEP_1) | instskip(NEXT) | instid1(VALU_DEP_1)
	v_dual_sub_f32 v9, v7, v6 :: v_dual_mov_b32 v11, v6
	v_pk_add_f32 v[6:7], v[6:7], v[8:9] neg_lo:[0,1] neg_hi:[0,1]
	s_delay_alu instid0(VALU_DEP_1) | instskip(NEXT) | instid1(VALU_DEP_1)
	v_pk_add_f32 v[6:7], v[6:7], v[10:11] neg_lo:[0,1] neg_hi:[0,1]
	v_add_f32_e32 v1, v1, v7
	s_delay_alu instid0(VALU_DEP_1) | instskip(NEXT) | instid1(VALU_DEP_1)
	v_add_f32_e32 v1, v6, v1
	v_add_f32_e32 v7, v9, v1
	s_delay_alu instid0(VALU_DEP_1) | instskip(NEXT) | instid1(VALU_DEP_1)
	v_mul_f32_e32 v17, v14, v7
	v_mul_f32_e32 v10, v13, v17
	s_delay_alu instid0(VALU_DEP_1) | instskip(NEXT) | instid1(VALU_DEP_1)
	v_fma_f32 v8, v17, v13, -v10
	v_fmac_f32_e32 v8, v17, v16
	s_delay_alu instid0(VALU_DEP_1) | instskip(NEXT) | instid1(VALU_DEP_1)
	v_dual_add_f32 v6, v10, v8 :: v_dual_sub_f32 v13, v9, v7
	v_dual_sub_f32 v11, v7, v6 :: v_dual_mov_b32 v9, v6
	s_delay_alu instid0(VALU_DEP_1) | instskip(SKIP_1) | instid1(VALU_DEP_4)
	v_pk_add_f32 v[6:7], v[6:7], v[10:11] neg_lo:[0,1] neg_hi:[0,1]
	v_add_f32_e32 v10, v15, v17
	v_add_f32_e32 v1, v1, v13
	s_delay_alu instid0(VALU_DEP_3) | instskip(SKIP_1) | instid1(VALU_DEP_2)
	v_pk_add_f32 v[6:7], v[6:7], v[8:9] neg_lo:[0,1] neg_hi:[0,1]
	v_cvt_f32_i32_e32 v8, v12
	v_add_f32_e32 v1, v1, v7
	s_delay_alu instid0(VALU_DEP_1) | instskip(SKIP_1) | instid1(VALU_DEP_1)
	v_add_f32_e32 v1, v6, v1
	v_sub_f32_e32 v6, v10, v15
	v_dual_sub_f32 v6, v17, v6 :: v_dual_add_f32 v1, v11, v1
	s_delay_alu instid0(VALU_DEP_1) | instskip(NEXT) | instid1(VALU_DEP_1)
	v_mul_f32_e32 v1, v14, v1
	v_dual_add_f32 v1, v6, v1 :: v_dual_mov_b32 v6, 0x3f317218
	s_delay_alu instid0(VALU_DEP_1) | instskip(NEXT) | instid1(VALU_DEP_1)
	v_add_f32_e32 v11, v10, v1
	v_mul_f32_e32 v7, v11, v11
	s_delay_alu instid0(VALU_DEP_1) | instskip(SKIP_1) | instid1(VALU_DEP_2)
	v_fmaak_f32 v13, s11, v7, 0x3ecc95a3
	v_mul_f32_e32 v9, v11, v7
	v_fmaak_f32 v7, v7, v13, 0x3f2aaada
	s_delay_alu instid0(VALU_DEP_1) | instskip(NEXT) | instid1(VALU_DEP_1)
	v_pk_mul_f32 v[6:7], v[8:9], v[6:7]
	v_fma_f32 v12, 0x3f317218, v8, -v6
	s_delay_alu instid0(VALU_DEP_1) | instskip(SKIP_1) | instid1(VALU_DEP_1)
	v_fmamk_f32 v8, v8, 0xb102e308, v12
	v_sub_f32_e32 v12, v11, v10
	v_sub_f32_e32 v1, v1, v12
	v_ldexp_f32 v9, v11, 1
	v_mov_b32_e32 v12, v6
	s_delay_alu instid0(VALU_DEP_3) | instskip(NEXT) | instid1(VALU_DEP_3)
	v_ldexp_f32 v1, v1, 1
	v_pk_add_f32 v[10:11], v[6:7], v[8:9]
	s_delay_alu instid0(VALU_DEP_1) | instskip(NEXT) | instid1(VALU_DEP_1)
	v_dual_sub_f32 v9, v11, v9 :: v_dual_mov_b32 v20, v11
	v_sub_f32_e32 v9, v7, v9
	s_delay_alu instid0(VALU_DEP_3) | instskip(NEXT) | instid1(VALU_DEP_2)
	v_pk_add_f32 v[6:7], v[10:11], v[6:7] neg_lo:[0,1] neg_hi:[0,1]
	v_dual_add_f32 v13, v1, v9 :: v_dual_mov_b32 v9, v10
	s_delay_alu instid0(VALU_DEP_1) | instskip(NEXT) | instid1(VALU_DEP_1)
	v_pk_add_f32 v[14:15], v[10:11], v[12:13]
	v_mov_b32_e32 v7, v15
	s_delay_alu instid0(VALU_DEP_1) | instskip(SKIP_2) | instid1(VALU_DEP_3)
	v_pk_add_f32 v[16:17], v[8:9], v[6:7]
	v_mov_b32_e32 v16, v15
	v_pk_add_f32 v[6:7], v[8:9], v[6:7] neg_lo:[0,1] neg_hi:[0,1]
	v_dual_mov_b32 v12, v17 :: v_dual_mov_b32 v7, v17
	s_delay_alu instid0(VALU_DEP_1) | instskip(SKIP_1) | instid1(VALU_DEP_2)
	v_pk_add_f32 v[18:19], v[12:13], v[10:11] neg_lo:[0,1] neg_hi:[0,1]
	v_dual_mov_b32 v11, v10 :: v_dual_mov_b32 v10, v13
	v_dual_mov_b32 v1, v18 :: v_dual_mov_b32 v21, v18
	s_delay_alu instid0(VALU_DEP_1) | instskip(NEXT) | instid1(VALU_DEP_2)
	v_pk_add_f32 v[14:15], v[14:15], v[0:1] neg_lo:[0,1] neg_hi:[0,1]
	v_pk_add_f32 v[8:9], v[16:17], v[20:21] neg_lo:[0,1] neg_hi:[0,1]
	v_mov_b32_e32 v14, v6
	s_delay_alu instid0(VALU_DEP_2) | instskip(NEXT) | instid1(VALU_DEP_1)
	v_pk_add_f32 v[8:9], v[10:11], v[8:9] neg_lo:[0,1] neg_hi:[0,1]
	v_pk_add_f32 v[10:11], v[14:15], v[8:9]
	s_delay_alu instid0(VALU_DEP_1) | instskip(NEXT) | instid1(VALU_DEP_1)
	v_mov_b32_e32 v14, v11
	v_pk_add_f32 v[14:15], v[10:11], v[14:15]
	s_delay_alu instid0(VALU_DEP_1) | instskip(NEXT) | instid1(VALU_DEP_1)
	v_pk_add_f32 v[12:13], v[12:13], v[14:15]
	v_mov_b32_e32 v11, v12
	s_delay_alu instid0(VALU_DEP_1) | instskip(NEXT) | instid1(VALU_DEP_1)
	v_pk_add_f32 v[16:17], v[10:11], v[6:7] neg_lo:[0,1] neg_hi:[0,1]
	v_sub_f32_e32 v1, v10, v16
	s_delay_alu instid0(VALU_DEP_1) | instskip(SKIP_1) | instid1(VALU_DEP_1)
	v_sub_f32_e32 v1, v6, v1
	v_mov_b32_e32 v9, v14
	v_pk_add_f32 v[8:9], v[8:9], v[16:17] neg_lo:[0,1] neg_hi:[0,1]
	s_delay_alu instid0(VALU_DEP_1) | instskip(NEXT) | instid1(VALU_DEP_1)
	v_add_f32_e32 v1, v8, v1
	v_add_f32_e32 v1, v1, v9
	s_delay_alu instid0(VALU_DEP_1) | instskip(NEXT) | instid1(VALU_DEP_1)
	v_add_f32_e32 v1, v12, v1
	v_cndmask_b32_e32 v1, 0x7f800000, v1, vcc_lo
	v_cmp_gt_f32_e64 vcc_lo, 0x33800000, |v5|
	s_delay_alu instid0(VALU_DEP_2) | instskip(NEXT) | instid1(VALU_DEP_1)
	v_cndmask_b32_e32 v1, v1, v5, vcc_lo
	v_div_scale_f32 v5, null, s9, s9, v1
	s_delay_alu instid0(VALU_DEP_1) | instskip(SKIP_1) | instid1(TRANS32_DEP_1)
	v_rcp_f32_e32 v6, v5
	v_nop
	v_fma_f32 v7, -v5, v6, 1.0
	s_delay_alu instid0(VALU_DEP_1) | instskip(SKIP_1) | instid1(VALU_DEP_1)
	v_fmac_f32_e32 v6, v7, v6
	v_div_scale_f32 v7, vcc_lo, v1, s9, v1
	v_mul_f32_e32 v8, v7, v6
	s_delay_alu instid0(VALU_DEP_1) | instskip(NEXT) | instid1(VALU_DEP_1)
	v_fma_f32 v9, -v5, v8, v7
	v_fmac_f32_e32 v8, v9, v6
	s_delay_alu instid0(VALU_DEP_1) | instskip(NEXT) | instid1(VALU_DEP_1)
	v_fma_f32 v5, -v5, v8, v7
	v_div_fmas_f32 v5, v5, v6, v8
	s_delay_alu instid0(VALU_DEP_1)
	v_div_fixup_f32 v5, v5, s9, v1
.LBB10_9:
	s_or_b32 exec_lo, exec_lo, s3
	s_add_nc_u64 s[12:13], s[4:5], s[0:1]
	s_mov_b32 s0, 0
	global_store_b128 v0, v[2:5], s[12:13] scale_offset
.LBB10_10:
	s_and_b32 vcc_lo, exec_lo, s0
	s_cbranch_vccz .LBB10_37
; %bb.11:
	v_cmp_gt_i32_e64 s0, s8, v0
	v_dual_mov_b32 v13, 0 :: v_dual_bitop2_b32 v1, s2, v0 bitop3:0x54
	v_or_b32_e32 v10, 0x100, v0
	s_wait_xcnt 0x0
	v_dual_mov_b32 v6, 0 :: v_dual_mov_b32 v2, v0
	s_and_saveexec_b32 s1, s0
	s_cbranch_execz .LBB10_13
; %bb.12:
	global_load_b32 v6, v1, s[6:7] scale_offset
	v_or_b32_e32 v2, 0x100, v0
.LBB10_13:
	s_wait_xcnt 0x0
	s_or_b32 exec_lo, exec_lo, s1
	s_delay_alu instid0(SALU_CYCLE_1) | instskip(NEXT) | instid1(VALU_DEP_1)
	s_mov_b32 s1, exec_lo
	v_cmpx_gt_i32_e64 s8, v2
	s_cbranch_execz .LBB10_15
; %bb.14:
	v_add_nc_u32_e32 v3, s2, v2
	v_add_nc_u32_e32 v2, 0x100, v2
	global_load_b32 v13, v3, s[6:7] scale_offset
.LBB10_15:
	s_wait_xcnt 0x0
	s_or_b32 exec_lo, exec_lo, s1
	v_dual_mov_b32 v11, 0 :: v_dual_mov_b32 v12, 0
	s_mov_b32 s1, exec_lo
	v_cmpx_gt_i32_e64 s8, v2
	s_cbranch_execz .LBB10_17
; %bb.16:
	v_add_nc_u32_e32 v3, s2, v2
	v_add_nc_u32_e32 v2, 0x100, v2
	global_load_b32 v12, v3, s[6:7] scale_offset
.LBB10_17:
	s_wait_xcnt 0x0
	s_or_b32 exec_lo, exec_lo, s1
	s_delay_alu instid0(SALU_CYCLE_1)
	s_mov_b32 s1, exec_lo
	v_cmpx_gt_i32_e64 s8, v2
	s_cbranch_execz .LBB10_19
; %bb.18:
	v_add_nc_u32_e32 v2, s2, v2
	global_load_b32 v11, v2, s[6:7] scale_offset
.LBB10_19:
	s_wait_xcnt 0x0
	s_or_b32 exec_lo, exec_lo, s1
	v_mov_b32_e32 v2, 0
	s_delay_alu instid0(VALU_DEP_1)
	v_dual_mov_b32 v3, v2 :: v_dual_mov_b32 v4, v2
	v_mov_b32_e32 v5, v2
	s_and_saveexec_b32 s1, s0
	s_cbranch_execz .LBB10_23
; %bb.20:
	s_wait_loadcnt 0x0
	v_mul_f32_e32 v2, s9, v6
	s_mov_b32 s3, exec_lo
	s_delay_alu instid0(VALU_DEP_1)
	v_cmpx_nlt_f32_e32 s10, v2
	s_cbranch_execz .LBB10_22
; %bb.21:
	v_mul_f32_e32 v3, 0x3fb8aa3b, v2
	v_cmp_ngt_f32_e32 vcc_lo, 0xc2ce8ed0, v2
	s_mov_b32 s6, 0x3e9b6dac
	s_delay_alu instid0(VALU_DEP_2) | instskip(SKIP_1) | instid1(VALU_DEP_2)
	v_rndne_f32_e32 v4, v3
	v_fma_f32 v5, 0x3fb8aa3b, v2, -v3
	v_sub_f32_e32 v3, v3, v4
	s_delay_alu instid0(VALU_DEP_2) | instskip(SKIP_1) | instid1(VALU_DEP_2)
	v_fmamk_f32 v5, v2, 0x32a5705f, v5
	v_cvt_i32_f32_e32 v4, v4
	v_add_f32_e32 v3, v3, v5
	s_delay_alu instid0(VALU_DEP_1) | instskip(SKIP_1) | instid1(TRANS32_DEP_1)
	v_exp_f32_e32 v3, v3
	v_nop
	v_ldexp_f32 v3, v3, v4
	s_delay_alu instid0(VALU_DEP_1) | instskip(SKIP_1) | instid1(VALU_DEP_2)
	v_cndmask_b32_e32 v3, 0, v3, vcc_lo
	v_cmp_nlt_f32_e32 vcc_lo, 0x42b17218, v2
	v_cndmask_b32_e32 v22, 0x7f800000, v3, vcc_lo
	s_delay_alu instid0(VALU_DEP_1) | instskip(NEXT) | instid1(VALU_DEP_1)
	v_add_f32_e32 v4, 1.0, v22
	v_cvt_f64_f32_e32 v[2:3], v4
	s_delay_alu instid0(VALU_DEP_1) | instskip(SKIP_1) | instid1(VALU_DEP_1)
	v_frexp_exp_i32_f64_e32 v2, v[2:3]
	v_frexp_mant_f32_e32 v3, v4
	v_cmp_gt_f32_e32 vcc_lo, 0x3f2aaaab, v3
	s_delay_alu instid0(VALU_DEP_3) | instskip(SKIP_1) | instid1(VALU_DEP_2)
	v_subrev_co_ci_u32_e64 v8, null, 0, v2, vcc_lo
	v_add_f32_e32 v2, -1.0, v4
	v_sub_nc_u32_e32 v3, 0, v8
	v_cmp_neq_f32_e32 vcc_lo, 0x7f800000, v22
	s_delay_alu instid0(VALU_DEP_3) | instskip(SKIP_1) | instid1(VALU_DEP_4)
	v_sub_f32_e32 v5, v2, v4
	v_sub_f32_e32 v2, v22, v2
	v_ldexp_f32 v4, v4, v3
	s_delay_alu instid0(VALU_DEP_1) | instskip(NEXT) | instid1(VALU_DEP_1)
	v_dual_add_f32 v5, 1.0, v5 :: v_dual_add_f32 v7, -1.0, v4
	v_dual_add_f32 v6, 1.0, v4 :: v_dual_add_f32 v2, v2, v5
	s_delay_alu instid0(VALU_DEP_1) | instskip(NEXT) | instid1(VALU_DEP_2)
	v_add_f32_e32 v5, -1.0, v6
	v_ldexp_f32 v2, v2, v3
	s_delay_alu instid0(VALU_DEP_2) | instskip(NEXT) | instid1(VALU_DEP_1)
	v_dual_sub_f32 v3, v4, v5 :: v_dual_add_f32 v5, 1.0, v7
	v_dual_add_f32 v9, v2, v3 :: v_dual_sub_f32 v3, v4, v5
	s_delay_alu instid0(VALU_DEP_1) | instskip(NEXT) | instid1(VALU_DEP_1)
	v_add_f32_e32 v15, v2, v3
	v_dual_add_f32 v14, v6, v9 :: v_dual_add_f32 v3, v7, v15
	s_delay_alu instid0(VALU_DEP_1) | instskip(NEXT) | instid1(VALU_DEP_1)
	v_rcp_f32_e32 v16, v14
	v_sub_f32_e32 v18, v7, v3
	s_delay_alu instid0(TRANS32_DEP_1) | instskip(NEXT) | instid1(VALU_DEP_1)
	v_mul_f32_e32 v17, v3, v16
	v_mul_f32_e32 v4, v14, v17
	s_delay_alu instid0(VALU_DEP_1) | instskip(NEXT) | instid1(VALU_DEP_1)
	v_dual_sub_f32 v2, v6, v14 :: v_dual_fma_f32 v6, v17, v14, -v4
	v_add_f32_e32 v9, v9, v2
	s_delay_alu instid0(VALU_DEP_1) | instskip(NEXT) | instid1(VALU_DEP_1)
	v_fmac_f32_e32 v6, v17, v9
	v_add_f32_e32 v2, v4, v6
	s_delay_alu instid0(VALU_DEP_1) | instskip(NEXT) | instid1(VALU_DEP_1)
	v_dual_sub_f32 v5, v3, v2 :: v_dual_mov_b32 v7, v2
	v_pk_add_f32 v[2:3], v[2:3], v[4:5] neg_lo:[0,1] neg_hi:[0,1]
	v_add_f32_e32 v4, v15, v18
	s_delay_alu instid0(VALU_DEP_2) | instskip(NEXT) | instid1(VALU_DEP_1)
	v_pk_add_f32 v[2:3], v[2:3], v[6:7] neg_lo:[0,1] neg_hi:[0,1]
	v_add_f32_e32 v3, v4, v3
	s_delay_alu instid0(VALU_DEP_1) | instskip(NEXT) | instid1(VALU_DEP_1)
	v_add_f32_e32 v15, v2, v3
	v_add_f32_e32 v3, v5, v15
	s_delay_alu instid0(VALU_DEP_1) | instskip(NEXT) | instid1(VALU_DEP_1)
	v_mul_f32_e32 v18, v16, v3
	v_mul_f32_e32 v6, v14, v18
	s_delay_alu instid0(VALU_DEP_1) | instskip(NEXT) | instid1(VALU_DEP_1)
	v_fma_f32 v4, v18, v14, -v6
	v_dual_fmac_f32 v4, v18, v9 :: v_dual_sub_f32 v9, v5, v3
	s_delay_alu instid0(VALU_DEP_1) | instskip(NEXT) | instid1(VALU_DEP_1)
	v_add_f32_e32 v2, v6, v4
	v_dual_sub_f32 v7, v3, v2 :: v_dual_mov_b32 v5, v2
	s_delay_alu instid0(VALU_DEP_1) | instskip(NEXT) | instid1(VALU_DEP_4)
	v_pk_add_f32 v[2:3], v[2:3], v[6:7] neg_lo:[0,1] neg_hi:[0,1]
	v_add_f32_e32 v6, v15, v9
	s_delay_alu instid0(VALU_DEP_2) | instskip(SKIP_1) | instid1(VALU_DEP_2)
	v_pk_add_f32 v[2:3], v[2:3], v[4:5] neg_lo:[0,1] neg_hi:[0,1]
	v_cvt_f32_i32_e32 v4, v8
	v_dual_add_f32 v3, v6, v3 :: v_dual_add_f32 v6, v17, v18
	s_delay_alu instid0(VALU_DEP_1) | instskip(NEXT) | instid1(VALU_DEP_1)
	v_add_f32_e32 v2, v2, v3
	v_dual_sub_f32 v3, v6, v17 :: v_dual_add_f32 v2, v7, v2
	s_delay_alu instid0(VALU_DEP_1) | instskip(NEXT) | instid1(VALU_DEP_1)
	v_dual_sub_f32 v3, v18, v3 :: v_dual_mul_f32 v2, v16, v2
	v_dual_add_f32 v9, v3, v2 :: v_dual_mov_b32 v2, 0x3f317218
	s_delay_alu instid0(VALU_DEP_1) | instskip(NEXT) | instid1(VALU_DEP_1)
	v_add_f32_e32 v7, v6, v9
	v_mul_f32_e32 v3, v7, v7
	s_delay_alu instid0(VALU_DEP_1) | instskip(NEXT) | instid1(VALU_DEP_1)
	v_dual_fmaak_f32 v14, s6, v3, 0x3ecc95a3 :: v_dual_mul_f32 v5, v7, v3
	v_fmaak_f32 v3, v3, v14, 0x3f2aaada
	s_delay_alu instid0(VALU_DEP_1) | instskip(SKIP_1) | instid1(VALU_DEP_2)
	v_pk_mul_f32 v[2:3], v[4:5], v[2:3]
	v_ldexp_f32 v5, v7, 1
	v_fma_f32 v8, 0x3f317218, v4, -v2
	s_delay_alu instid0(VALU_DEP_1) | instskip(SKIP_1) | instid1(VALU_DEP_2)
	v_fmamk_f32 v4, v4, 0xb102e308, v8
	v_sub_f32_e32 v8, v7, v6
	v_pk_add_f32 v[6:7], v[2:3], v[4:5]
	s_delay_alu instid0(VALU_DEP_1) | instskip(NEXT) | instid1(VALU_DEP_1)
	v_dual_sub_f32 v5, v7, v5 :: v_dual_sub_f32 v8, v9, v8
	v_sub_f32_e32 v5, v3, v5
	s_delay_alu instid0(VALU_DEP_2) | instskip(SKIP_2) | instid1(VALU_DEP_3)
	v_ldexp_f32 v9, v8, 1
	v_mov_b32_e32 v8, v2
	v_pk_add_f32 v[2:3], v[6:7], v[2:3] neg_lo:[0,1] neg_hi:[0,1]
	v_dual_add_f32 v9, v9, v5 :: v_dual_mov_b32 v5, v6
	s_delay_alu instid0(VALU_DEP_1) | instskip(NEXT) | instid1(VALU_DEP_1)
	v_pk_add_f32 v[14:15], v[6:7], v[8:9]
	v_dual_mov_b32 v20, v7 :: v_dual_mov_b32 v3, v15
	s_delay_alu instid0(VALU_DEP_1) | instskip(NEXT) | instid1(VALU_DEP_1)
	v_pk_add_f32 v[16:17], v[4:5], v[2:3]
	v_dual_mov_b32 v16, v15 :: v_dual_mov_b32 v8, v17
	v_pk_add_f32 v[2:3], v[4:5], v[2:3] neg_lo:[0,1] neg_hi:[0,1]
	v_mov_b32_e32 v3, v17
	s_delay_alu instid0(VALU_DEP_3) | instskip(SKIP_1) | instid1(VALU_DEP_2)
	v_pk_add_f32 v[18:19], v[8:9], v[6:7] neg_lo:[0,1] neg_hi:[0,1]
	v_dual_mov_b32 v7, v6 :: v_dual_mov_b32 v6, v9
	v_dual_mov_b32 v9, v18 :: v_dual_mov_b32 v21, v18
	s_delay_alu instid0(VALU_DEP_1) | instskip(NEXT) | instid1(VALU_DEP_2)
	v_pk_add_f32 v[14:15], v[14:15], v[8:9] neg_lo:[0,1] neg_hi:[0,1]
	v_pk_add_f32 v[4:5], v[16:17], v[20:21] neg_lo:[0,1] neg_hi:[0,1]
	v_mov_b32_e32 v14, v2
	s_delay_alu instid0(VALU_DEP_2) | instskip(NEXT) | instid1(VALU_DEP_1)
	v_pk_add_f32 v[4:5], v[6:7], v[4:5] neg_lo:[0,1] neg_hi:[0,1]
	v_pk_add_f32 v[6:7], v[14:15], v[4:5]
	s_delay_alu instid0(VALU_DEP_1) | instskip(NEXT) | instid1(VALU_DEP_1)
	v_mov_b32_e32 v14, v7
	v_pk_add_f32 v[14:15], v[6:7], v[14:15]
	s_delay_alu instid0(VALU_DEP_1) | instskip(NEXT) | instid1(VALU_DEP_1)
	v_pk_add_f32 v[8:9], v[8:9], v[14:15]
	v_mov_b32_e32 v7, v8
	s_delay_alu instid0(VALU_DEP_1) | instskip(NEXT) | instid1(VALU_DEP_1)
	v_pk_add_f32 v[16:17], v[6:7], v[2:3] neg_lo:[0,1] neg_hi:[0,1]
	v_sub_f32_e32 v3, v6, v16
	s_delay_alu instid0(VALU_DEP_1) | instskip(SKIP_1) | instid1(VALU_DEP_1)
	v_sub_f32_e32 v2, v2, v3
	v_mov_b32_e32 v5, v14
	v_pk_add_f32 v[4:5], v[4:5], v[16:17] neg_lo:[0,1] neg_hi:[0,1]
	s_delay_alu instid0(VALU_DEP_1) | instskip(NEXT) | instid1(VALU_DEP_1)
	v_add_f32_e32 v2, v4, v2
	v_add_f32_e32 v2, v2, v5
	s_delay_alu instid0(VALU_DEP_1) | instskip(NEXT) | instid1(VALU_DEP_1)
	v_add_f32_e32 v2, v8, v2
	v_cndmask_b32_e32 v2, 0x7f800000, v2, vcc_lo
	v_cmp_gt_f32_e64 vcc_lo, 0x33800000, |v22|
	s_delay_alu instid0(VALU_DEP_2) | instskip(NEXT) | instid1(VALU_DEP_1)
	v_cndmask_b32_e32 v2, v2, v22, vcc_lo
	v_div_scale_f32 v3, null, s9, s9, v2
	s_delay_alu instid0(VALU_DEP_1) | instskip(SKIP_1) | instid1(TRANS32_DEP_1)
	v_rcp_f32_e32 v4, v3
	v_nop
	v_fma_f32 v5, -v3, v4, 1.0
	s_delay_alu instid0(VALU_DEP_1) | instskip(SKIP_1) | instid1(VALU_DEP_1)
	v_fmac_f32_e32 v4, v5, v4
	v_div_scale_f32 v5, vcc_lo, v2, s9, v2
	v_mul_f32_e32 v6, v5, v4
	s_delay_alu instid0(VALU_DEP_1) | instskip(NEXT) | instid1(VALU_DEP_1)
	v_fma_f32 v7, -v3, v6, v5
	v_fmac_f32_e32 v6, v7, v4
	s_delay_alu instid0(VALU_DEP_1) | instskip(NEXT) | instid1(VALU_DEP_1)
	v_fma_f32 v3, -v3, v6, v5
	v_div_fmas_f32 v3, v3, v4, v6
	s_delay_alu instid0(VALU_DEP_1)
	v_div_fixup_f32 v6, v3, s9, v2
.LBB10_22:
	s_or_b32 exec_lo, exec_lo, s3
	v_mov_b32_e32 v7, 0
	s_delay_alu instid0(VALU_DEP_1) | instskip(NEXT) | instid1(VALU_DEP_3)
	v_dual_mov_b32 v8, v7 :: v_dual_mov_b32 v9, v7
	v_mov_b64_e32 v[2:3], v[6:7]
	s_delay_alu instid0(VALU_DEP_2)
	v_mov_b64_e32 v[4:5], v[8:9]
.LBB10_23:
	s_or_b32 exec_lo, exec_lo, s1
	s_delay_alu instid0(SALU_CYCLE_1)
	s_mov_b32 s1, exec_lo
	v_cmpx_gt_i32_e64 s8, v10
	s_cbranch_execz .LBB10_27
; %bb.24:
	s_wait_loadcnt 0x0
	v_mul_f32_e32 v3, s9, v13
	s_mov_b32 s3, exec_lo
	s_delay_alu instid0(VALU_DEP_1)
	v_cmpx_nlt_f32_e32 s10, v3
	s_cbranch_execz .LBB10_26
; %bb.25:
	v_mul_f32_e32 v6, 0x3fb8aa3b, v3
	v_cmp_ngt_f32_e32 vcc_lo, 0xc2ce8ed0, v3
	s_mov_b32 s6, 0x3e9b6dac
	s_delay_alu instid0(VALU_DEP_2) | instskip(SKIP_1) | instid1(VALU_DEP_2)
	v_rndne_f32_e32 v7, v6
	v_fma_f32 v8, 0x3fb8aa3b, v3, -v6
	v_sub_f32_e32 v6, v6, v7
	s_delay_alu instid0(VALU_DEP_2) | instskip(SKIP_1) | instid1(VALU_DEP_2)
	v_fmamk_f32 v8, v3, 0x32a5705f, v8
	v_cvt_i32_f32_e32 v7, v7
	v_add_f32_e32 v6, v6, v8
	s_delay_alu instid0(VALU_DEP_1) | instskip(SKIP_1) | instid1(TRANS32_DEP_1)
	v_exp_f32_e32 v6, v6
	v_nop
	v_ldexp_f32 v6, v6, v7
	s_delay_alu instid0(VALU_DEP_1) | instskip(SKIP_1) | instid1(VALU_DEP_2)
	v_cndmask_b32_e32 v6, 0, v6, vcc_lo
	v_cmp_nlt_f32_e32 vcc_lo, 0x42b17218, v3
	v_cndmask_b32_e32 v13, 0x7f800000, v6, vcc_lo
	s_delay_alu instid0(VALU_DEP_1) | instskip(NEXT) | instid1(VALU_DEP_1)
	v_add_f32_e32 v3, 1.0, v13
	v_cvt_f64_f32_e32 v[6:7], v3
	s_delay_alu instid0(VALU_DEP_1) | instskip(SKIP_1) | instid1(VALU_DEP_1)
	v_frexp_exp_i32_f64_e32 v6, v[6:7]
	v_frexp_mant_f32_e32 v7, v3
	v_cmp_gt_f32_e32 vcc_lo, 0x3f2aaaab, v7
	s_delay_alu instid0(VALU_DEP_3) | instskip(SKIP_2) | instid1(VALU_DEP_2)
	v_subrev_co_ci_u32_e64 v16, null, 0, v6, vcc_lo
	v_add_f32_e32 v6, -1.0, v3
	v_cmp_neq_f32_e32 vcc_lo, 0x7f800000, v13
	v_dual_sub_f32 v8, v6, v3 :: v_dual_sub_nc_u32 v7, 0, v16
	v_sub_f32_e32 v6, v13, v6
	s_delay_alu instid0(VALU_DEP_2) | instskip(NEXT) | instid1(VALU_DEP_1)
	v_ldexp_f32 v3, v3, v7
	v_dual_add_f32 v8, 1.0, v8 :: v_dual_add_f32 v9, 1.0, v3
	s_delay_alu instid0(VALU_DEP_1) | instskip(NEXT) | instid1(VALU_DEP_2)
	v_dual_add_f32 v15, -1.0, v3 :: v_dual_add_f32 v6, v6, v8
	v_add_f32_e32 v8, -1.0, v9
	s_delay_alu instid0(VALU_DEP_2) | instskip(NEXT) | instid1(VALU_DEP_2)
	v_ldexp_f32 v6, v6, v7
	v_dual_sub_f32 v7, v3, v8 :: v_dual_add_f32 v8, 1.0, v15
	s_delay_alu instid0(VALU_DEP_1) | instskip(NEXT) | instid1(VALU_DEP_1)
	v_dual_add_f32 v14, v6, v7 :: v_dual_sub_f32 v3, v3, v8
	v_dual_add_f32 v17, v9, v14 :: v_dual_add_f32 v3, v6, v3
	s_delay_alu instid0(VALU_DEP_1) | instskip(NEXT) | instid1(VALU_DEP_1)
	v_rcp_f32_e32 v18, v17
	v_dual_add_f32 v7, v15, v3 :: v_dual_sub_f32 v6, v9, v17
	s_delay_alu instid0(VALU_DEP_1) | instskip(NEXT) | instid1(TRANS32_DEP_1)
	v_sub_f32_e32 v21, v15, v7
	v_mul_f32_e32 v19, v7, v18
	s_delay_alu instid0(VALU_DEP_2) | instskip(NEXT) | instid1(VALU_DEP_2)
	v_dual_add_f32 v20, v14, v6 :: v_dual_add_f32 v3, v3, v21
	v_mul_f32_e32 v8, v17, v19
	s_delay_alu instid0(VALU_DEP_1) | instskip(NEXT) | instid1(VALU_DEP_1)
	v_fma_f32 v14, v19, v17, -v8
	v_fmac_f32_e32 v14, v19, v20
	s_delay_alu instid0(VALU_DEP_1) | instskip(NEXT) | instid1(VALU_DEP_1)
	v_add_f32_e32 v6, v8, v14
	v_dual_sub_f32 v9, v7, v6 :: v_dual_mov_b32 v15, v6
	s_delay_alu instid0(VALU_DEP_1) | instskip(NEXT) | instid1(VALU_DEP_1)
	v_pk_add_f32 v[6:7], v[6:7], v[8:9] neg_lo:[0,1] neg_hi:[0,1]
	v_pk_add_f32 v[6:7], v[6:7], v[14:15] neg_lo:[0,1] neg_hi:[0,1]
	s_delay_alu instid0(VALU_DEP_1) | instskip(NEXT) | instid1(VALU_DEP_1)
	v_add_f32_e32 v3, v3, v7
	v_add_f32_e32 v3, v6, v3
	s_delay_alu instid0(VALU_DEP_1) | instskip(NEXT) | instid1(VALU_DEP_1)
	v_add_f32_e32 v7, v9, v3
	v_mul_f32_e32 v21, v18, v7
	s_delay_alu instid0(VALU_DEP_1) | instskip(NEXT) | instid1(VALU_DEP_1)
	v_mul_f32_e32 v14, v17, v21
	v_fma_f32 v8, v21, v17, -v14
	v_sub_f32_e32 v17, v9, v7
	s_delay_alu instid0(VALU_DEP_1) | instskip(NEXT) | instid1(VALU_DEP_1)
	v_dual_fmac_f32 v8, v21, v20 :: v_dual_add_f32 v3, v3, v17
	v_add_f32_e32 v6, v14, v8
	s_delay_alu instid0(VALU_DEP_1) | instskip(NEXT) | instid1(VALU_DEP_1)
	v_dual_sub_f32 v15, v7, v6 :: v_dual_mov_b32 v9, v6
	v_pk_add_f32 v[6:7], v[6:7], v[14:15] neg_lo:[0,1] neg_hi:[0,1]
	s_delay_alu instid0(VALU_DEP_1) | instskip(SKIP_1) | instid1(VALU_DEP_2)
	v_pk_add_f32 v[6:7], v[6:7], v[8:9] neg_lo:[0,1] neg_hi:[0,1]
	v_cvt_f32_i32_e32 v8, v16
	v_add_f32_e32 v3, v3, v7
	s_delay_alu instid0(VALU_DEP_1) | instskip(NEXT) | instid1(VALU_DEP_1)
	v_dual_add_f32 v14, v19, v21 :: v_dual_add_f32 v3, v6, v3
	v_sub_f32_e32 v6, v14, v19
	s_delay_alu instid0(VALU_DEP_1) | instskip(NEXT) | instid1(VALU_DEP_1)
	v_dual_add_f32 v3, v15, v3 :: v_dual_sub_f32 v6, v21, v6
	v_mul_f32_e32 v3, v18, v3
	s_delay_alu instid0(VALU_DEP_1) | instskip(NEXT) | instid1(VALU_DEP_1)
	v_dual_add_f32 v3, v6, v3 :: v_dual_mov_b32 v6, 0x3f317218
	v_add_f32_e32 v15, v14, v3
	s_delay_alu instid0(VALU_DEP_1) | instskip(NEXT) | instid1(VALU_DEP_1)
	v_mul_f32_e32 v7, v15, v15
	v_fmaak_f32 v17, s6, v7, 0x3ecc95a3
	v_mul_f32_e32 v9, v15, v7
	s_delay_alu instid0(VALU_DEP_2) | instskip(NEXT) | instid1(VALU_DEP_1)
	v_fmaak_f32 v7, v7, v17, 0x3f2aaada
	v_pk_mul_f32 v[6:7], v[8:9], v[6:7]
	s_delay_alu instid0(VALU_DEP_1) | instskip(NEXT) | instid1(VALU_DEP_1)
	v_fma_f32 v16, 0x3f317218, v8, -v6
	v_fmamk_f32 v8, v8, 0xb102e308, v16
	v_sub_f32_e32 v16, v15, v14
	s_delay_alu instid0(VALU_DEP_1) | instskip(SKIP_2) | instid1(VALU_DEP_3)
	v_sub_f32_e32 v3, v3, v16
	v_ldexp_f32 v9, v15, 1
	v_mov_b32_e32 v16, v6
	v_ldexp_f32 v3, v3, 1
	s_delay_alu instid0(VALU_DEP_3) | instskip(NEXT) | instid1(VALU_DEP_1)
	v_pk_add_f32 v[14:15], v[6:7], v[8:9]
	v_dual_sub_f32 v9, v15, v9 :: v_dual_mov_b32 v24, v15
	s_delay_alu instid0(VALU_DEP_1) | instskip(NEXT) | instid1(VALU_DEP_3)
	v_sub_f32_e32 v9, v7, v9
	v_pk_add_f32 v[6:7], v[14:15], v[6:7] neg_lo:[0,1] neg_hi:[0,1]
	s_delay_alu instid0(VALU_DEP_2) | instskip(NEXT) | instid1(VALU_DEP_1)
	v_dual_add_f32 v17, v3, v9 :: v_dual_mov_b32 v9, v14
	v_pk_add_f32 v[18:19], v[14:15], v[16:17]
	s_delay_alu instid0(VALU_DEP_1) | instskip(NEXT) | instid1(VALU_DEP_1)
	v_mov_b32_e32 v7, v19
	v_pk_add_f32 v[20:21], v[8:9], v[6:7]
	v_mov_b32_e32 v20, v19
	v_pk_add_f32 v[6:7], v[8:9], v[6:7] neg_lo:[0,1] neg_hi:[0,1]
	s_delay_alu instid0(VALU_DEP_3) | instskip(NEXT) | instid1(VALU_DEP_1)
	v_dual_mov_b32 v16, v21 :: v_dual_mov_b32 v7, v21
	v_pk_add_f32 v[22:23], v[16:17], v[14:15] neg_lo:[0,1] neg_hi:[0,1]
	v_dual_mov_b32 v15, v14 :: v_dual_mov_b32 v14, v17
	s_delay_alu instid0(VALU_DEP_2) | instskip(NEXT) | instid1(VALU_DEP_1)
	v_dual_mov_b32 v3, v22 :: v_dual_mov_b32 v25, v22
	v_pk_add_f32 v[18:19], v[18:19], v[2:3] neg_lo:[0,1] neg_hi:[0,1]
	s_delay_alu instid0(VALU_DEP_2) | instskip(SKIP_1) | instid1(VALU_DEP_2)
	v_pk_add_f32 v[8:9], v[20:21], v[24:25] neg_lo:[0,1] neg_hi:[0,1]
	v_mov_b32_e32 v18, v6
	v_pk_add_f32 v[8:9], v[14:15], v[8:9] neg_lo:[0,1] neg_hi:[0,1]
	s_delay_alu instid0(VALU_DEP_1) | instskip(NEXT) | instid1(VALU_DEP_1)
	v_pk_add_f32 v[14:15], v[18:19], v[8:9]
	v_mov_b32_e32 v18, v15
	s_delay_alu instid0(VALU_DEP_1) | instskip(NEXT) | instid1(VALU_DEP_1)
	v_pk_add_f32 v[18:19], v[14:15], v[18:19]
	v_pk_add_f32 v[16:17], v[16:17], v[18:19]
	s_delay_alu instid0(VALU_DEP_1) | instskip(NEXT) | instid1(VALU_DEP_1)
	v_mov_b32_e32 v15, v16
	v_pk_add_f32 v[20:21], v[14:15], v[6:7] neg_lo:[0,1] neg_hi:[0,1]
	s_delay_alu instid0(VALU_DEP_1) | instskip(NEXT) | instid1(VALU_DEP_1)
	v_sub_f32_e32 v3, v14, v20
	v_sub_f32_e32 v3, v6, v3
	v_mov_b32_e32 v9, v18
	s_delay_alu instid0(VALU_DEP_1) | instskip(NEXT) | instid1(VALU_DEP_1)
	v_pk_add_f32 v[8:9], v[8:9], v[20:21] neg_lo:[0,1] neg_hi:[0,1]
	v_add_f32_e32 v3, v8, v3
	s_delay_alu instid0(VALU_DEP_1) | instskip(NEXT) | instid1(VALU_DEP_1)
	v_add_f32_e32 v3, v3, v9
	v_add_f32_e32 v3, v16, v3
	s_delay_alu instid0(VALU_DEP_1) | instskip(SKIP_1) | instid1(VALU_DEP_2)
	v_cndmask_b32_e32 v3, 0x7f800000, v3, vcc_lo
	v_cmp_gt_f32_e64 vcc_lo, 0x33800000, |v13|
	v_cndmask_b32_e32 v3, v3, v13, vcc_lo
	s_delay_alu instid0(VALU_DEP_1) | instskip(NEXT) | instid1(VALU_DEP_1)
	v_div_scale_f32 v6, null, s9, s9, v3
	v_rcp_f32_e32 v7, v6
	v_nop
	s_delay_alu instid0(TRANS32_DEP_1) | instskip(NEXT) | instid1(VALU_DEP_1)
	v_fma_f32 v8, -v6, v7, 1.0
	v_fmac_f32_e32 v7, v8, v7
	v_div_scale_f32 v8, vcc_lo, v3, s9, v3
	s_delay_alu instid0(VALU_DEP_1) | instskip(NEXT) | instid1(VALU_DEP_1)
	v_mul_f32_e32 v9, v8, v7
	v_fma_f32 v13, -v6, v9, v8
	s_delay_alu instid0(VALU_DEP_1) | instskip(NEXT) | instid1(VALU_DEP_1)
	v_fmac_f32_e32 v9, v13, v7
	v_fma_f32 v6, -v6, v9, v8
	s_delay_alu instid0(VALU_DEP_1) | instskip(NEXT) | instid1(VALU_DEP_1)
	v_div_fmas_f32 v6, v6, v7, v9
	v_div_fixup_f32 v13, v6, s9, v3
.LBB10_26:
	s_or_b32 exec_lo, exec_lo, s3
	s_delay_alu instid0(VALU_DEP_1)
	v_mov_b32_e32 v3, v13
.LBB10_27:
	s_or_b32 exec_lo, exec_lo, s1
	s_wait_loadcnt 0x0
	v_or_b32_e32 v6, 0x200, v0
	s_mov_b32 s1, exec_lo
	s_delay_alu instid0(VALU_DEP_1)
	v_cmpx_gt_i32_e64 s8, v6
	s_cbranch_execz .LBB10_31
; %bb.28:
	v_mul_f32_e32 v4, s9, v12
	s_mov_b32 s3, exec_lo
	s_delay_alu instid0(VALU_DEP_1)
	v_cmpx_nlt_f32_e32 s10, v4
	s_cbranch_execz .LBB10_30
; %bb.29:
	v_mul_f32_e32 v6, 0x3fb8aa3b, v4
	v_cmp_ngt_f32_e32 vcc_lo, 0xc2ce8ed0, v4
	s_mov_b32 s6, 0x3e9b6dac
	s_delay_alu instid0(VALU_DEP_2) | instskip(SKIP_1) | instid1(VALU_DEP_2)
	v_rndne_f32_e32 v7, v6
	v_fma_f32 v8, 0x3fb8aa3b, v4, -v6
	v_sub_f32_e32 v6, v6, v7
	s_delay_alu instid0(VALU_DEP_2) | instskip(SKIP_1) | instid1(VALU_DEP_2)
	v_fmamk_f32 v8, v4, 0x32a5705f, v8
	v_cvt_i32_f32_e32 v7, v7
	v_add_f32_e32 v6, v6, v8
	s_delay_alu instid0(VALU_DEP_1) | instskip(SKIP_1) | instid1(TRANS32_DEP_1)
	v_exp_f32_e32 v6, v6
	v_nop
	v_ldexp_f32 v6, v6, v7
	s_delay_alu instid0(VALU_DEP_1) | instskip(SKIP_1) | instid1(VALU_DEP_2)
	v_cndmask_b32_e32 v6, 0, v6, vcc_lo
	v_cmp_nlt_f32_e32 vcc_lo, 0x42b17218, v4
	v_cndmask_b32_e32 v24, 0x7f800000, v6, vcc_lo
	s_delay_alu instid0(VALU_DEP_1) | instskip(NEXT) | instid1(VALU_DEP_1)
	v_add_f32_e32 v4, 1.0, v24
	v_cvt_f64_f32_e32 v[6:7], v4
	s_delay_alu instid0(VALU_DEP_1) | instskip(SKIP_1) | instid1(VALU_DEP_1)
	v_frexp_exp_i32_f64_e32 v6, v[6:7]
	v_frexp_mant_f32_e32 v7, v4
	v_cmp_gt_f32_e32 vcc_lo, 0x3f2aaaab, v7
	s_delay_alu instid0(VALU_DEP_3) | instskip(NEXT) | instid1(VALU_DEP_1)
	v_subrev_co_ci_u32_e64 v14, null, 0, v6, vcc_lo
	v_dual_add_f32 v6, -1.0, v4 :: v_dual_sub_nc_u32 v7, 0, v14
	s_delay_alu instid0(VALU_DEP_1) | instskip(NEXT) | instid1(VALU_DEP_2)
	v_sub_f32_e32 v8, v6, v4
	v_ldexp_f32 v4, v4, v7
	s_delay_alu instid0(VALU_DEP_1) | instskip(NEXT) | instid1(VALU_DEP_3)
	v_dual_add_f32 v9, 1.0, v4 :: v_dual_add_f32 v13, -1.0, v4
	v_dual_sub_f32 v6, v24, v6 :: v_dual_add_f32 v8, 1.0, v8
	v_cmp_neq_f32_e32 vcc_lo, 0x7f800000, v24
	s_delay_alu instid0(VALU_DEP_2) | instskip(NEXT) | instid1(VALU_DEP_1)
	v_dual_add_f32 v6, v6, v8 :: v_dual_add_f32 v8, -1.0, v9
	v_ldexp_f32 v6, v6, v7
	s_delay_alu instid0(VALU_DEP_2) | instskip(NEXT) | instid1(VALU_DEP_1)
	v_dual_sub_f32 v7, v4, v8 :: v_dual_add_f32 v8, 1.0, v13
	v_dual_add_f32 v12, v6, v7 :: v_dual_sub_f32 v4, v4, v8
	s_delay_alu instid0(VALU_DEP_1) | instskip(NEXT) | instid1(VALU_DEP_1)
	v_add_f32_e32 v15, v9, v12
	v_dual_add_f32 v4, v6, v4 :: v_dual_sub_f32 v6, v9, v15
	s_delay_alu instid0(VALU_DEP_1) | instskip(SKIP_1) | instid1(VALU_DEP_2)
	v_add_f32_e32 v18, v12, v6
	v_rcp_f32_e32 v16, v15
	v_add_f32_e32 v7, v13, v4
	s_delay_alu instid0(TRANS32_DEP_1) | instid1(VALU_DEP_1)
	v_mul_f32_e32 v17, v7, v16
	s_delay_alu instid0(VALU_DEP_1) | instskip(NEXT) | instid1(VALU_DEP_1)
	v_dual_mul_f32 v8, v15, v17 :: v_dual_sub_f32 v19, v13, v7
	v_fma_f32 v12, v17, v15, -v8
	s_delay_alu instid0(VALU_DEP_1) | instskip(NEXT) | instid1(VALU_DEP_1)
	v_dual_add_f32 v4, v4, v19 :: v_dual_fmac_f32 v12, v17, v18
	v_add_f32_e32 v6, v8, v12
	s_delay_alu instid0(VALU_DEP_1) | instskip(NEXT) | instid1(VALU_DEP_1)
	v_dual_sub_f32 v9, v7, v6 :: v_dual_mov_b32 v13, v6
	v_pk_add_f32 v[6:7], v[6:7], v[8:9] neg_lo:[0,1] neg_hi:[0,1]
	s_delay_alu instid0(VALU_DEP_1) | instskip(NEXT) | instid1(VALU_DEP_1)
	v_pk_add_f32 v[6:7], v[6:7], v[12:13] neg_lo:[0,1] neg_hi:[0,1]
	v_add_f32_e32 v4, v4, v7
	s_delay_alu instid0(VALU_DEP_1) | instskip(NEXT) | instid1(VALU_DEP_1)
	v_add_f32_e32 v4, v6, v4
	v_add_f32_e32 v7, v9, v4
	s_delay_alu instid0(VALU_DEP_1) | instskip(NEXT) | instid1(VALU_DEP_1)
	v_mul_f32_e32 v19, v16, v7
	v_mul_f32_e32 v12, v15, v19
	s_delay_alu instid0(VALU_DEP_1) | instskip(NEXT) | instid1(VALU_DEP_1)
	v_fma_f32 v8, v19, v15, -v12
	v_dual_sub_f32 v15, v9, v7 :: v_dual_fmac_f32 v8, v19, v18
	s_delay_alu instid0(VALU_DEP_1) | instskip(NEXT) | instid1(VALU_DEP_2)
	v_add_f32_e32 v4, v4, v15
	v_add_f32_e32 v6, v12, v8
	s_delay_alu instid0(VALU_DEP_1) | instskip(NEXT) | instid1(VALU_DEP_1)
	v_dual_sub_f32 v13, v7, v6 :: v_dual_mov_b32 v9, v6
	v_pk_add_f32 v[6:7], v[6:7], v[12:13] neg_lo:[0,1] neg_hi:[0,1]
	v_add_f32_e32 v12, v17, v19
	s_delay_alu instid0(VALU_DEP_2) | instskip(SKIP_1) | instid1(VALU_DEP_2)
	v_pk_add_f32 v[6:7], v[6:7], v[8:9] neg_lo:[0,1] neg_hi:[0,1]
	v_cvt_f32_i32_e32 v8, v14
	v_add_f32_e32 v4, v4, v7
	s_delay_alu instid0(VALU_DEP_1) | instskip(NEXT) | instid1(VALU_DEP_1)
	v_dual_add_f32 v4, v6, v4 :: v_dual_sub_f32 v6, v12, v17
	v_dual_add_f32 v4, v13, v4 :: v_dual_sub_f32 v6, v19, v6
	s_delay_alu instid0(VALU_DEP_1) | instskip(NEXT) | instid1(VALU_DEP_1)
	v_mul_f32_e32 v4, v16, v4
	v_add_f32_e32 v4, v6, v4
	s_delay_alu instid0(VALU_DEP_1) | instskip(NEXT) | instid1(VALU_DEP_1)
	v_dual_mov_b32 v6, 0x3f317218 :: v_dual_add_f32 v13, v12, v4
	v_mul_f32_e32 v7, v13, v13
	s_delay_alu instid0(VALU_DEP_1) | instskip(SKIP_1) | instid1(VALU_DEP_2)
	v_fmaak_f32 v15, s6, v7, 0x3ecc95a3
	v_mul_f32_e32 v9, v13, v7
	v_fmaak_f32 v7, v7, v15, 0x3f2aaada
	s_delay_alu instid0(VALU_DEP_1) | instskip(SKIP_1) | instid1(VALU_DEP_2)
	v_pk_mul_f32 v[6:7], v[8:9], v[6:7]
	v_ldexp_f32 v9, v13, 1
	v_fma_f32 v14, 0x3f317218, v8, -v6
	s_delay_alu instid0(VALU_DEP_1) | instskip(SKIP_1) | instid1(VALU_DEP_2)
	v_fmamk_f32 v8, v8, 0xb102e308, v14
	v_sub_f32_e32 v14, v13, v12
	v_pk_add_f32 v[12:13], v[6:7], v[8:9]
	s_delay_alu instid0(VALU_DEP_1) | instskip(NEXT) | instid1(VALU_DEP_1)
	v_sub_f32_e32 v9, v13, v9
	v_dual_sub_f32 v9, v7, v9 :: v_dual_sub_f32 v4, v4, v14
	v_mov_b32_e32 v14, v6
	s_delay_alu instid0(VALU_DEP_4) | instskip(NEXT) | instid1(VALU_DEP_3)
	v_pk_add_f32 v[6:7], v[12:13], v[6:7] neg_lo:[0,1] neg_hi:[0,1]
	v_ldexp_f32 v4, v4, 1
	s_delay_alu instid0(VALU_DEP_1) | instskip(SKIP_1) | instid1(VALU_DEP_2)
	v_add_f32_e32 v15, v4, v9
	v_mov_b32_e32 v9, v12
	v_pk_add_f32 v[16:17], v[12:13], v[14:15]
	s_delay_alu instid0(VALU_DEP_1) | instskip(NEXT) | instid1(VALU_DEP_1)
	v_dual_mov_b32 v22, v13 :: v_dual_mov_b32 v7, v17
	v_pk_add_f32 v[18:19], v[8:9], v[6:7]
	s_delay_alu instid0(VALU_DEP_1) | instskip(SKIP_2) | instid1(VALU_DEP_3)
	v_dual_mov_b32 v18, v17 :: v_dual_mov_b32 v4, v19
	v_pk_add_f32 v[6:7], v[8:9], v[6:7] neg_lo:[0,1] neg_hi:[0,1]
	v_mov_b32_e32 v7, v19
	v_pk_add_f32 v[20:21], v[4:5], v[12:13] neg_lo:[0,1] neg_hi:[0,1]
	v_dual_mov_b32 v13, v12 :: v_dual_mov_b32 v12, v15
	s_delay_alu instid0(VALU_DEP_2) | instskip(NEXT) | instid1(VALU_DEP_1)
	v_dual_mov_b32 v15, v20 :: v_dual_mov_b32 v23, v20
	v_pk_add_f32 v[14:15], v[16:17], v[14:15] neg_lo:[0,1] neg_hi:[0,1]
	s_delay_alu instid0(VALU_DEP_2) | instskip(SKIP_1) | instid1(VALU_DEP_2)
	v_pk_add_f32 v[8:9], v[18:19], v[22:23] neg_lo:[0,1] neg_hi:[0,1]
	v_mov_b32_e32 v14, v6
	v_pk_add_f32 v[8:9], v[12:13], v[8:9] neg_lo:[0,1] neg_hi:[0,1]
	s_delay_alu instid0(VALU_DEP_1) | instskip(NEXT) | instid1(VALU_DEP_1)
	v_pk_add_f32 v[12:13], v[14:15], v[8:9]
	v_mov_b32_e32 v14, v13
	s_delay_alu instid0(VALU_DEP_1) | instskip(NEXT) | instid1(VALU_DEP_1)
	v_pk_add_f32 v[14:15], v[12:13], v[14:15]
	v_pk_add_f32 v[16:17], v[4:5], v[14:15]
	s_delay_alu instid0(VALU_DEP_1) | instskip(NEXT) | instid1(VALU_DEP_1)
	v_mov_b32_e32 v13, v16
	v_pk_add_f32 v[18:19], v[12:13], v[6:7] neg_lo:[0,1] neg_hi:[0,1]
	s_delay_alu instid0(VALU_DEP_1) | instskip(NEXT) | instid1(VALU_DEP_1)
	v_dual_mov_b32 v9, v14 :: v_dual_sub_f32 v4, v12, v18
	v_pk_add_f32 v[8:9], v[8:9], v[18:19] neg_lo:[0,1] neg_hi:[0,1]
	s_delay_alu instid0(VALU_DEP_2) | instskip(NEXT) | instid1(VALU_DEP_1)
	v_sub_f32_e32 v4, v6, v4
	v_add_f32_e32 v4, v8, v4
	s_delay_alu instid0(VALU_DEP_1) | instskip(NEXT) | instid1(VALU_DEP_1)
	v_add_f32_e32 v4, v4, v9
	v_add_f32_e32 v4, v16, v4
	s_delay_alu instid0(VALU_DEP_1) | instskip(SKIP_1) | instid1(VALU_DEP_2)
	v_cndmask_b32_e32 v4, 0x7f800000, v4, vcc_lo
	v_cmp_gt_f32_e64 vcc_lo, 0x33800000, |v24|
	v_cndmask_b32_e32 v4, v4, v24, vcc_lo
	s_delay_alu instid0(VALU_DEP_1) | instskip(NEXT) | instid1(VALU_DEP_1)
	v_div_scale_f32 v6, null, s9, s9, v4
	v_rcp_f32_e32 v7, v6
	v_nop
	s_delay_alu instid0(TRANS32_DEP_1) | instskip(NEXT) | instid1(VALU_DEP_1)
	v_fma_f32 v8, -v6, v7, 1.0
	v_fmac_f32_e32 v7, v8, v7
	v_div_scale_f32 v8, vcc_lo, v4, s9, v4
	s_delay_alu instid0(VALU_DEP_1) | instskip(NEXT) | instid1(VALU_DEP_1)
	v_mul_f32_e32 v9, v8, v7
	v_fma_f32 v12, -v6, v9, v8
	s_delay_alu instid0(VALU_DEP_1) | instskip(NEXT) | instid1(VALU_DEP_1)
	v_fmac_f32_e32 v9, v12, v7
	v_fma_f32 v6, -v6, v9, v8
	s_delay_alu instid0(VALU_DEP_1) | instskip(NEXT) | instid1(VALU_DEP_1)
	v_div_fmas_f32 v6, v6, v7, v9
	v_div_fixup_f32 v12, v6, s9, v4
.LBB10_30:
	s_or_b32 exec_lo, exec_lo, s3
	s_delay_alu instid0(VALU_DEP_1)
	v_mov_b32_e32 v4, v12
.LBB10_31:
	s_or_b32 exec_lo, exec_lo, s1
	v_or_b32_e32 v6, 0x300, v0
	s_mov_b32 s1, exec_lo
	s_delay_alu instid0(VALU_DEP_1)
	v_cmpx_gt_i32_e64 s8, v6
	s_cbranch_execnz .LBB10_38
; %bb.32:
	s_or_b32 exec_lo, exec_lo, s1
	s_and_saveexec_b32 s1, s0
	s_delay_alu instid0(SALU_CYCLE_1)
	s_xor_b32 s0, exec_lo, s1
	s_cbranch_execnz .LBB10_41
.LBB10_33:
	s_or_b32 exec_lo, exec_lo, s0
	s_delay_alu instid0(SALU_CYCLE_1)
	s_mov_b32 s0, exec_lo
	v_cmpx_gt_i32_e64 s8, v0
	s_cbranch_execnz .LBB10_42
.LBB10_34:
	s_or_b32 exec_lo, exec_lo, s0
	s_delay_alu instid0(SALU_CYCLE_1)
	s_mov_b32 s0, exec_lo
	v_cmpx_gt_i32_e64 s8, v0
	s_cbranch_execnz .LBB10_43
.LBB10_35:
	s_or_b32 exec_lo, exec_lo, s0
	s_delay_alu instid0(SALU_CYCLE_1)
	s_mov_b32 s0, exec_lo
	v_cmpx_gt_i32_e64 s8, v0
	s_cbranch_execz .LBB10_37
.LBB10_36:
	v_add_nc_u32_e32 v0, s2, v0
	global_store_b32 v0, v5, s[4:5] scale_offset
.LBB10_37:
	s_endpgm
.LBB10_38:
	v_mul_f32_e32 v5, s9, v11
	s_mov_b32 s3, exec_lo
	s_delay_alu instid0(VALU_DEP_1)
	v_cmpx_nlt_f32_e32 s10, v5
	s_cbranch_execz .LBB10_40
; %bb.39:
	v_mul_f32_e32 v6, 0x3fb8aa3b, v5
	v_cmp_ngt_f32_e32 vcc_lo, 0xc2ce8ed0, v5
	s_mov_b32 s6, 0x3e9b6dac
	s_delay_alu instid0(VALU_DEP_2) | instskip(SKIP_1) | instid1(VALU_DEP_2)
	v_rndne_f32_e32 v7, v6
	v_fma_f32 v8, 0x3fb8aa3b, v5, -v6
	v_sub_f32_e32 v6, v6, v7
	s_delay_alu instid0(VALU_DEP_2) | instskip(SKIP_1) | instid1(VALU_DEP_2)
	v_fmamk_f32 v8, v5, 0x32a5705f, v8
	v_cvt_i32_f32_e32 v7, v7
	v_add_f32_e32 v6, v6, v8
	s_delay_alu instid0(VALU_DEP_1) | instskip(SKIP_1) | instid1(TRANS32_DEP_1)
	v_exp_f32_e32 v6, v6
	v_nop
	v_ldexp_f32 v6, v6, v7
	s_delay_alu instid0(VALU_DEP_1) | instskip(SKIP_1) | instid1(VALU_DEP_2)
	v_cndmask_b32_e32 v6, 0, v6, vcc_lo
	v_cmp_nlt_f32_e32 vcc_lo, 0x42b17218, v5
	v_cndmask_b32_e32 v11, 0x7f800000, v6, vcc_lo
	s_delay_alu instid0(VALU_DEP_1) | instskip(NEXT) | instid1(VALU_DEP_1)
	v_add_f32_e32 v5, 1.0, v11
	v_cvt_f64_f32_e32 v[6:7], v5
	s_delay_alu instid0(VALU_DEP_1) | instskip(SKIP_1) | instid1(VALU_DEP_1)
	v_frexp_exp_i32_f64_e32 v6, v[6:7]
	v_frexp_mant_f32_e32 v7, v5
	v_cmp_gt_f32_e32 vcc_lo, 0x3f2aaaab, v7
	s_delay_alu instid0(VALU_DEP_3) | instskip(SKIP_2) | instid1(VALU_DEP_2)
	v_subrev_co_ci_u32_e64 v14, null, 0, v6, vcc_lo
	v_add_f32_e32 v6, -1.0, v5
	v_cmp_neq_f32_e32 vcc_lo, 0x7f800000, v11
	v_dual_sub_f32 v8, v6, v5 :: v_dual_sub_nc_u32 v7, 0, v14
	v_sub_f32_e32 v6, v11, v6
	s_delay_alu instid0(VALU_DEP_2) | instskip(NEXT) | instid1(VALU_DEP_1)
	v_ldexp_f32 v5, v5, v7
	v_dual_add_f32 v8, 1.0, v8 :: v_dual_add_f32 v9, 1.0, v5
	s_delay_alu instid0(VALU_DEP_1) | instskip(NEXT) | instid1(VALU_DEP_2)
	v_dual_add_f32 v13, -1.0, v5 :: v_dual_add_f32 v6, v6, v8
	v_add_f32_e32 v8, -1.0, v9
	s_delay_alu instid0(VALU_DEP_2) | instskip(NEXT) | instid1(VALU_DEP_2)
	v_ldexp_f32 v6, v6, v7
	v_dual_sub_f32 v7, v5, v8 :: v_dual_add_f32 v8, 1.0, v13
	s_delay_alu instid0(VALU_DEP_1) | instskip(NEXT) | instid1(VALU_DEP_1)
	v_dual_add_f32 v12, v6, v7 :: v_dual_sub_f32 v5, v5, v8
	v_dual_add_f32 v15, v9, v12 :: v_dual_add_f32 v5, v6, v5
	s_delay_alu instid0(VALU_DEP_1) | instskip(SKIP_1) | instid1(VALU_DEP_1)
	v_rcp_f32_e32 v16, v15
	v_sub_f32_e32 v6, v9, v15
	v_dual_add_f32 v7, v13, v5 :: v_dual_add_f32 v18, v12, v6
	s_delay_alu instid0(TRANS32_DEP_1) | instid1(VALU_DEP_1)
	v_dual_mul_f32 v17, v7, v16 :: v_dual_sub_f32 v19, v13, v7
	s_delay_alu instid0(VALU_DEP_1) | instskip(NEXT) | instid1(VALU_DEP_1)
	v_dual_mul_f32 v8, v15, v17 :: v_dual_add_f32 v5, v5, v19
	v_fma_f32 v12, v17, v15, -v8
	s_delay_alu instid0(VALU_DEP_1) | instskip(NEXT) | instid1(VALU_DEP_1)
	v_fmac_f32_e32 v12, v17, v18
	v_add_f32_e32 v6, v8, v12
	s_delay_alu instid0(VALU_DEP_1) | instskip(NEXT) | instid1(VALU_DEP_1)
	v_dual_sub_f32 v9, v7, v6 :: v_dual_mov_b32 v13, v6
	v_pk_add_f32 v[6:7], v[6:7], v[8:9] neg_lo:[0,1] neg_hi:[0,1]
	s_delay_alu instid0(VALU_DEP_1) | instskip(NEXT) | instid1(VALU_DEP_1)
	v_pk_add_f32 v[6:7], v[6:7], v[12:13] neg_lo:[0,1] neg_hi:[0,1]
	v_add_f32_e32 v5, v5, v7
	s_delay_alu instid0(VALU_DEP_1) | instskip(NEXT) | instid1(VALU_DEP_1)
	v_add_f32_e32 v5, v6, v5
	v_add_f32_e32 v7, v9, v5
	s_delay_alu instid0(VALU_DEP_1) | instskip(NEXT) | instid1(VALU_DEP_1)
	v_mul_f32_e32 v19, v16, v7
	v_mul_f32_e32 v12, v15, v19
	s_delay_alu instid0(VALU_DEP_1) | instskip(NEXT) | instid1(VALU_DEP_1)
	v_fma_f32 v8, v19, v15, -v12
	v_dual_sub_f32 v15, v9, v7 :: v_dual_fmac_f32 v8, v19, v18
	s_delay_alu instid0(VALU_DEP_1) | instskip(NEXT) | instid1(VALU_DEP_1)
	v_dual_add_f32 v5, v5, v15 :: v_dual_add_f32 v6, v12, v8
	v_dual_sub_f32 v13, v7, v6 :: v_dual_mov_b32 v9, v6
	s_delay_alu instid0(VALU_DEP_1) | instskip(NEXT) | instid1(VALU_DEP_1)
	v_pk_add_f32 v[6:7], v[6:7], v[12:13] neg_lo:[0,1] neg_hi:[0,1]
	v_pk_add_f32 v[6:7], v[6:7], v[8:9] neg_lo:[0,1] neg_hi:[0,1]
	v_add_f32_e32 v12, v17, v19
	v_cvt_f32_i32_e32 v8, v14
	s_delay_alu instid0(VALU_DEP_3) | instskip(NEXT) | instid1(VALU_DEP_1)
	v_add_f32_e32 v5, v5, v7
	v_add_f32_e32 v5, v6, v5
	s_delay_alu instid0(VALU_DEP_4) | instskip(NEXT) | instid1(VALU_DEP_1)
	v_sub_f32_e32 v6, v12, v17
	v_dual_add_f32 v5, v13, v5 :: v_dual_sub_f32 v6, v19, v6
	s_delay_alu instid0(VALU_DEP_1) | instskip(NEXT) | instid1(VALU_DEP_1)
	v_mul_f32_e32 v5, v16, v5
	v_dual_add_f32 v5, v6, v5 :: v_dual_mov_b32 v6, 0x3f317218
	s_delay_alu instid0(VALU_DEP_1) | instskip(NEXT) | instid1(VALU_DEP_1)
	v_add_f32_e32 v13, v12, v5
	v_mul_f32_e32 v7, v13, v13
	s_delay_alu instid0(VALU_DEP_1) | instskip(SKIP_1) | instid1(VALU_DEP_2)
	v_fmaak_f32 v15, s6, v7, 0x3ecc95a3
	v_mul_f32_e32 v9, v13, v7
	v_fmaak_f32 v7, v7, v15, 0x3f2aaada
	s_delay_alu instid0(VALU_DEP_1) | instskip(NEXT) | instid1(VALU_DEP_1)
	v_pk_mul_f32 v[6:7], v[8:9], v[6:7]
	v_fma_f32 v14, 0x3f317218, v8, -v6
	s_delay_alu instid0(VALU_DEP_1) | instskip(SKIP_1) | instid1(VALU_DEP_1)
	v_fmamk_f32 v8, v8, 0xb102e308, v14
	v_sub_f32_e32 v14, v13, v12
	v_sub_f32_e32 v5, v5, v14
	v_ldexp_f32 v9, v13, 1
	v_mov_b32_e32 v14, v6
	s_delay_alu instid0(VALU_DEP_3) | instskip(NEXT) | instid1(VALU_DEP_3)
	v_ldexp_f32 v5, v5, 1
	v_pk_add_f32 v[12:13], v[6:7], v[8:9]
	s_delay_alu instid0(VALU_DEP_1) | instskip(NEXT) | instid1(VALU_DEP_1)
	v_sub_f32_e32 v9, v13, v9
	v_sub_f32_e32 v9, v7, v9
	s_delay_alu instid0(VALU_DEP_3) | instskip(NEXT) | instid1(VALU_DEP_2)
	v_pk_add_f32 v[6:7], v[12:13], v[6:7] neg_lo:[0,1] neg_hi:[0,1]
	v_dual_add_f32 v15, v5, v9 :: v_dual_mov_b32 v9, v12
	s_delay_alu instid0(VALU_DEP_1) | instskip(NEXT) | instid1(VALU_DEP_1)
	v_pk_add_f32 v[16:17], v[12:13], v[14:15]
	v_dual_mov_b32 v22, v13 :: v_dual_mov_b32 v7, v17
	s_delay_alu instid0(VALU_DEP_1) | instskip(SKIP_2) | instid1(VALU_DEP_3)
	v_pk_add_f32 v[18:19], v[8:9], v[6:7]
	v_mov_b32_e32 v18, v17
	v_pk_add_f32 v[6:7], v[8:9], v[6:7] neg_lo:[0,1] neg_hi:[0,1]
	v_dual_mov_b32 v14, v19 :: v_dual_mov_b32 v7, v19
	s_delay_alu instid0(VALU_DEP_1) | instskip(SKIP_1) | instid1(VALU_DEP_2)
	v_pk_add_f32 v[20:21], v[14:15], v[12:13] neg_lo:[0,1] neg_hi:[0,1]
	v_dual_mov_b32 v13, v12 :: v_dual_mov_b32 v12, v15
	v_dual_mov_b32 v5, v20 :: v_dual_mov_b32 v23, v20
	s_delay_alu instid0(VALU_DEP_1) | instskip(NEXT) | instid1(VALU_DEP_2)
	v_pk_add_f32 v[16:17], v[16:17], v[4:5] neg_lo:[0,1] neg_hi:[0,1]
	v_pk_add_f32 v[8:9], v[18:19], v[22:23] neg_lo:[0,1] neg_hi:[0,1]
	v_mov_b32_e32 v16, v6
	s_delay_alu instid0(VALU_DEP_2) | instskip(NEXT) | instid1(VALU_DEP_1)
	v_pk_add_f32 v[8:9], v[12:13], v[8:9] neg_lo:[0,1] neg_hi:[0,1]
	v_pk_add_f32 v[12:13], v[16:17], v[8:9]
	s_delay_alu instid0(VALU_DEP_1) | instskip(NEXT) | instid1(VALU_DEP_1)
	v_mov_b32_e32 v16, v13
	v_pk_add_f32 v[16:17], v[12:13], v[16:17]
	s_delay_alu instid0(VALU_DEP_1) | instskip(NEXT) | instid1(VALU_DEP_1)
	v_pk_add_f32 v[14:15], v[14:15], v[16:17]
	v_mov_b32_e32 v13, v14
	s_delay_alu instid0(VALU_DEP_1) | instskip(NEXT) | instid1(VALU_DEP_1)
	v_pk_add_f32 v[18:19], v[12:13], v[6:7] neg_lo:[0,1] neg_hi:[0,1]
	v_sub_f32_e32 v5, v12, v18
	s_delay_alu instid0(VALU_DEP_1) | instskip(NEXT) | instid1(VALU_DEP_1)
	v_dual_mov_b32 v9, v16 :: v_dual_sub_f32 v5, v6, v5
	v_pk_add_f32 v[8:9], v[8:9], v[18:19] neg_lo:[0,1] neg_hi:[0,1]
	s_delay_alu instid0(VALU_DEP_1) | instskip(NEXT) | instid1(VALU_DEP_1)
	v_add_f32_e32 v5, v8, v5
	v_add_f32_e32 v5, v5, v9
	s_delay_alu instid0(VALU_DEP_1) | instskip(NEXT) | instid1(VALU_DEP_1)
	v_add_f32_e32 v5, v14, v5
	v_cndmask_b32_e32 v5, 0x7f800000, v5, vcc_lo
	v_cmp_gt_f32_e64 vcc_lo, 0x33800000, |v11|
	s_delay_alu instid0(VALU_DEP_2) | instskip(NEXT) | instid1(VALU_DEP_1)
	v_cndmask_b32_e32 v5, v5, v11, vcc_lo
	v_div_scale_f32 v6, null, s9, s9, v5
	s_delay_alu instid0(VALU_DEP_1) | instskip(SKIP_1) | instid1(TRANS32_DEP_1)
	v_rcp_f32_e32 v7, v6
	v_nop
	v_fma_f32 v8, -v6, v7, 1.0
	s_delay_alu instid0(VALU_DEP_1) | instskip(SKIP_1) | instid1(VALU_DEP_1)
	v_fmac_f32_e32 v7, v8, v7
	v_div_scale_f32 v8, vcc_lo, v5, s9, v5
	v_mul_f32_e32 v9, v8, v7
	s_delay_alu instid0(VALU_DEP_1) | instskip(NEXT) | instid1(VALU_DEP_1)
	v_fma_f32 v11, -v6, v9, v8
	v_fmac_f32_e32 v9, v11, v7
	s_delay_alu instid0(VALU_DEP_1) | instskip(NEXT) | instid1(VALU_DEP_1)
	v_fma_f32 v6, -v6, v9, v8
	v_div_fmas_f32 v6, v6, v7, v9
	s_delay_alu instid0(VALU_DEP_1)
	v_div_fixup_f32 v11, v6, s9, v5
.LBB10_40:
	s_or_b32 exec_lo, exec_lo, s3
	s_delay_alu instid0(VALU_DEP_1) | instskip(SKIP_2) | instid1(SALU_CYCLE_1)
	v_mov_b32_e32 v5, v11
	s_or_b32 exec_lo, exec_lo, s1
	s_and_saveexec_b32 s1, s0
	s_xor_b32 s0, exec_lo, s1
	s_cbranch_execz .LBB10_33
.LBB10_41:
	v_mov_b32_e32 v0, v10
	global_store_b32 v1, v2, s[4:5] scale_offset
	s_wait_xcnt 0x0
	s_or_b32 exec_lo, exec_lo, s0
	s_delay_alu instid0(SALU_CYCLE_1)
	s_mov_b32 s0, exec_lo
	v_cmpx_gt_i32_e64 s8, v0
	s_cbranch_execz .LBB10_34
.LBB10_42:
	v_add_nc_u32_e32 v1, s2, v0
	v_add_nc_u32_e32 v0, 0x100, v0
	global_store_b32 v1, v3, s[4:5] scale_offset
	s_wait_xcnt 0x0
	s_or_b32 exec_lo, exec_lo, s0
	s_delay_alu instid0(SALU_CYCLE_1)
	s_mov_b32 s0, exec_lo
	v_cmpx_gt_i32_e64 s8, v0
	s_cbranch_execz .LBB10_35
.LBB10_43:
	v_add_nc_u32_e32 v1, s2, v0
	v_add_nc_u32_e32 v0, 0x100, v0
	global_store_b32 v1, v4, s[4:5] scale_offset
	s_wait_xcnt 0x0
	s_or_b32 exec_lo, exec_lo, s0
	s_delay_alu instid0(SALU_CYCLE_1)
	s_mov_b32 s0, exec_lo
	v_cmpx_gt_i32_e64 s8, v0
	s_cbranch_execnz .LBB10_36
	s_branch .LBB10_37
	.section	.rodata,"a",@progbits
	.p2align	6, 0x0
	.amdhsa_kernel _ZN2at6native29vectorized_elementwise_kernelILi4EZZZNS0_12_GLOBAL__N_115softplus_kernelERNS_18TensorIteratorBaseERKN3c106ScalarES8_ENKUlvE_clEvENKUlvE0_clEvEUlfE_St5arrayIPcLm2EEEEviT0_T1_
		.amdhsa_group_segment_fixed_size 0
		.amdhsa_private_segment_fixed_size 0
		.amdhsa_kernarg_size 32
		.amdhsa_user_sgpr_count 2
		.amdhsa_user_sgpr_dispatch_ptr 0
		.amdhsa_user_sgpr_queue_ptr 0
		.amdhsa_user_sgpr_kernarg_segment_ptr 1
		.amdhsa_user_sgpr_dispatch_id 0
		.amdhsa_user_sgpr_kernarg_preload_length 0
		.amdhsa_user_sgpr_kernarg_preload_offset 0
		.amdhsa_user_sgpr_private_segment_size 0
		.amdhsa_wavefront_size32 1
		.amdhsa_uses_dynamic_stack 0
		.amdhsa_enable_private_segment 0
		.amdhsa_system_sgpr_workgroup_id_x 1
		.amdhsa_system_sgpr_workgroup_id_y 0
		.amdhsa_system_sgpr_workgroup_id_z 0
		.amdhsa_system_sgpr_workgroup_info 0
		.amdhsa_system_vgpr_workitem_id 0
		.amdhsa_next_free_vgpr 26
		.amdhsa_next_free_sgpr 14
		.amdhsa_named_barrier_count 0
		.amdhsa_reserve_vcc 1
		.amdhsa_float_round_mode_32 0
		.amdhsa_float_round_mode_16_64 0
		.amdhsa_float_denorm_mode_32 3
		.amdhsa_float_denorm_mode_16_64 3
		.amdhsa_fp16_overflow 0
		.amdhsa_memory_ordered 1
		.amdhsa_forward_progress 1
		.amdhsa_inst_pref_size 72
		.amdhsa_round_robin_scheduling 0
		.amdhsa_exception_fp_ieee_invalid_op 0
		.amdhsa_exception_fp_denorm_src 0
		.amdhsa_exception_fp_ieee_div_zero 0
		.amdhsa_exception_fp_ieee_overflow 0
		.amdhsa_exception_fp_ieee_underflow 0
		.amdhsa_exception_fp_ieee_inexact 0
		.amdhsa_exception_int_div_zero 0
	.end_amdhsa_kernel
	.section	.text._ZN2at6native29vectorized_elementwise_kernelILi4EZZZNS0_12_GLOBAL__N_115softplus_kernelERNS_18TensorIteratorBaseERKN3c106ScalarES8_ENKUlvE_clEvENKUlvE0_clEvEUlfE_St5arrayIPcLm2EEEEviT0_T1_,"axG",@progbits,_ZN2at6native29vectorized_elementwise_kernelILi4EZZZNS0_12_GLOBAL__N_115softplus_kernelERNS_18TensorIteratorBaseERKN3c106ScalarES8_ENKUlvE_clEvENKUlvE0_clEvEUlfE_St5arrayIPcLm2EEEEviT0_T1_,comdat
.Lfunc_end10:
	.size	_ZN2at6native29vectorized_elementwise_kernelILi4EZZZNS0_12_GLOBAL__N_115softplus_kernelERNS_18TensorIteratorBaseERKN3c106ScalarES8_ENKUlvE_clEvENKUlvE0_clEvEUlfE_St5arrayIPcLm2EEEEviT0_T1_, .Lfunc_end10-_ZN2at6native29vectorized_elementwise_kernelILi4EZZZNS0_12_GLOBAL__N_115softplus_kernelERNS_18TensorIteratorBaseERKN3c106ScalarES8_ENKUlvE_clEvENKUlvE0_clEvEUlfE_St5arrayIPcLm2EEEEviT0_T1_
                                        ; -- End function
	.set _ZN2at6native29vectorized_elementwise_kernelILi4EZZZNS0_12_GLOBAL__N_115softplus_kernelERNS_18TensorIteratorBaseERKN3c106ScalarES8_ENKUlvE_clEvENKUlvE0_clEvEUlfE_St5arrayIPcLm2EEEEviT0_T1_.num_vgpr, 26
	.set _ZN2at6native29vectorized_elementwise_kernelILi4EZZZNS0_12_GLOBAL__N_115softplus_kernelERNS_18TensorIteratorBaseERKN3c106ScalarES8_ENKUlvE_clEvENKUlvE0_clEvEUlfE_St5arrayIPcLm2EEEEviT0_T1_.num_agpr, 0
	.set _ZN2at6native29vectorized_elementwise_kernelILi4EZZZNS0_12_GLOBAL__N_115softplus_kernelERNS_18TensorIteratorBaseERKN3c106ScalarES8_ENKUlvE_clEvENKUlvE0_clEvEUlfE_St5arrayIPcLm2EEEEviT0_T1_.numbered_sgpr, 14
	.set _ZN2at6native29vectorized_elementwise_kernelILi4EZZZNS0_12_GLOBAL__N_115softplus_kernelERNS_18TensorIteratorBaseERKN3c106ScalarES8_ENKUlvE_clEvENKUlvE0_clEvEUlfE_St5arrayIPcLm2EEEEviT0_T1_.num_named_barrier, 0
	.set _ZN2at6native29vectorized_elementwise_kernelILi4EZZZNS0_12_GLOBAL__N_115softplus_kernelERNS_18TensorIteratorBaseERKN3c106ScalarES8_ENKUlvE_clEvENKUlvE0_clEvEUlfE_St5arrayIPcLm2EEEEviT0_T1_.private_seg_size, 0
	.set _ZN2at6native29vectorized_elementwise_kernelILi4EZZZNS0_12_GLOBAL__N_115softplus_kernelERNS_18TensorIteratorBaseERKN3c106ScalarES8_ENKUlvE_clEvENKUlvE0_clEvEUlfE_St5arrayIPcLm2EEEEviT0_T1_.uses_vcc, 1
	.set _ZN2at6native29vectorized_elementwise_kernelILi4EZZZNS0_12_GLOBAL__N_115softplus_kernelERNS_18TensorIteratorBaseERKN3c106ScalarES8_ENKUlvE_clEvENKUlvE0_clEvEUlfE_St5arrayIPcLm2EEEEviT0_T1_.uses_flat_scratch, 0
	.set _ZN2at6native29vectorized_elementwise_kernelILi4EZZZNS0_12_GLOBAL__N_115softplus_kernelERNS_18TensorIteratorBaseERKN3c106ScalarES8_ENKUlvE_clEvENKUlvE0_clEvEUlfE_St5arrayIPcLm2EEEEviT0_T1_.has_dyn_sized_stack, 0
	.set _ZN2at6native29vectorized_elementwise_kernelILi4EZZZNS0_12_GLOBAL__N_115softplus_kernelERNS_18TensorIteratorBaseERKN3c106ScalarES8_ENKUlvE_clEvENKUlvE0_clEvEUlfE_St5arrayIPcLm2EEEEviT0_T1_.has_recursion, 0
	.set _ZN2at6native29vectorized_elementwise_kernelILi4EZZZNS0_12_GLOBAL__N_115softplus_kernelERNS_18TensorIteratorBaseERKN3c106ScalarES8_ENKUlvE_clEvENKUlvE0_clEvEUlfE_St5arrayIPcLm2EEEEviT0_T1_.has_indirect_call, 0
	.section	.AMDGPU.csdata,"",@progbits
; Kernel info:
; codeLenInByte = 9092
; TotalNumSgprs: 16
; NumVgprs: 26
; ScratchSize: 0
; MemoryBound: 0
; FloatMode: 240
; IeeeMode: 1
; LDSByteSize: 0 bytes/workgroup (compile time only)
; SGPRBlocks: 0
; VGPRBlocks: 1
; NumSGPRsForWavesPerEU: 16
; NumVGPRsForWavesPerEU: 26
; NamedBarCnt: 0
; Occupancy: 16
; WaveLimiterHint : 0
; COMPUTE_PGM_RSRC2:SCRATCH_EN: 0
; COMPUTE_PGM_RSRC2:USER_SGPR: 2
; COMPUTE_PGM_RSRC2:TRAP_HANDLER: 0
; COMPUTE_PGM_RSRC2:TGID_X_EN: 1
; COMPUTE_PGM_RSRC2:TGID_Y_EN: 0
; COMPUTE_PGM_RSRC2:TGID_Z_EN: 0
; COMPUTE_PGM_RSRC2:TIDIG_COMP_CNT: 0
	.section	.text._ZN2at6native29vectorized_elementwise_kernelILi2EZZZNS0_12_GLOBAL__N_115softplus_kernelERNS_18TensorIteratorBaseERKN3c106ScalarES8_ENKUlvE_clEvENKUlvE0_clEvEUlfE_St5arrayIPcLm2EEEEviT0_T1_,"axG",@progbits,_ZN2at6native29vectorized_elementwise_kernelILi2EZZZNS0_12_GLOBAL__N_115softplus_kernelERNS_18TensorIteratorBaseERKN3c106ScalarES8_ENKUlvE_clEvENKUlvE0_clEvEUlfE_St5arrayIPcLm2EEEEviT0_T1_,comdat
	.globl	_ZN2at6native29vectorized_elementwise_kernelILi2EZZZNS0_12_GLOBAL__N_115softplus_kernelERNS_18TensorIteratorBaseERKN3c106ScalarES8_ENKUlvE_clEvENKUlvE0_clEvEUlfE_St5arrayIPcLm2EEEEviT0_T1_ ; -- Begin function _ZN2at6native29vectorized_elementwise_kernelILi2EZZZNS0_12_GLOBAL__N_115softplus_kernelERNS_18TensorIteratorBaseERKN3c106ScalarES8_ENKUlvE_clEvENKUlvE0_clEvEUlfE_St5arrayIPcLm2EEEEviT0_T1_
	.p2align	8
	.type	_ZN2at6native29vectorized_elementwise_kernelILi2EZZZNS0_12_GLOBAL__N_115softplus_kernelERNS_18TensorIteratorBaseERKN3c106ScalarES8_ENKUlvE_clEvENKUlvE0_clEvEUlfE_St5arrayIPcLm2EEEEviT0_T1_,@function
_ZN2at6native29vectorized_elementwise_kernelILi2EZZZNS0_12_GLOBAL__N_115softplus_kernelERNS_18TensorIteratorBaseERKN3c106ScalarES8_ENKUlvE_clEvENKUlvE0_clEvEUlfE_St5arrayIPcLm2EEEEviT0_T1_: ; @_ZN2at6native29vectorized_elementwise_kernelILi2EZZZNS0_12_GLOBAL__N_115softplus_kernelERNS_18TensorIteratorBaseERKN3c106ScalarES8_ENKUlvE_clEvENKUlvE0_clEvEUlfE_St5arrayIPcLm2EEEEviT0_T1_
; %bb.0:
	s_clause 0x1
	s_load_b96 s[8:10], s[0:1], 0x0
	s_load_b128 s[4:7], s[0:1], 0x10
	s_wait_xcnt 0x0
	s_bfe_u32 s0, ttmp6, 0x4000c
	s_and_b32 s1, ttmp6, 15
	s_add_co_i32 s0, s0, 1
	s_getreg_b32 s2, hwreg(HW_REG_IB_STS2, 6, 4)
	s_mul_i32 s0, ttmp9, s0
	s_delay_alu instid0(SALU_CYCLE_1) | instskip(SKIP_2) | instid1(SALU_CYCLE_1)
	s_add_co_i32 s1, s1, s0
	s_cmp_eq_u32 s2, 0
	s_cselect_b32 s0, ttmp9, s1
	s_lshl_b32 s2, s0, 10
	s_mov_b32 s0, -1
	s_wait_kmcnt 0x0
	s_sub_co_i32 s8, s8, s2
	s_delay_alu instid0(SALU_CYCLE_1)
	s_cmp_gt_i32 s8, 0x3ff
	s_cbranch_scc0 .LBB11_10
; %bb.1:
	s_ashr_i32 s3, s2, 31
	s_delay_alu instid0(SALU_CYCLE_1)
	s_lshl_b64 s[0:1], s[2:3], 2
	s_mov_b32 s3, exec_lo
	s_add_nc_u64 s[12:13], s[6:7], s[0:1]
	s_clause 0x1
	global_load_b64 v[2:3], v0, s[12:13] scale_offset
	global_load_b64 v[4:5], v0, s[12:13] offset:2048 scale_offset
	s_wait_loadcnt 0x1
	v_mul_f32_e32 v1, s9, v2
	s_wait_xcnt 0x0
	s_delay_alu instid0(VALU_DEP_1)
	v_cmpx_nlt_f32_e32 s10, v1
	s_cbranch_execz .LBB11_3
; %bb.2:
	v_mul_f32_e32 v2, 0x3fb8aa3b, v1
	v_cmp_ngt_f32_e32 vcc_lo, 0xc2ce8ed0, v1
	s_mov_b32 s11, 0x3e9b6dac
	s_delay_alu instid0(VALU_DEP_2) | instskip(SKIP_1) | instid1(VALU_DEP_1)
	v_rndne_f32_e32 v6, v2
	v_fma_f32 v7, 0x3fb8aa3b, v1, -v2
	v_dual_sub_f32 v2, v2, v6 :: v_dual_fmamk_f32 v7, v1, 0x32a5705f, v7
	v_cvt_i32_f32_e32 v6, v6
	s_delay_alu instid0(VALU_DEP_2) | instskip(NEXT) | instid1(VALU_DEP_1)
	v_add_f32_e32 v2, v2, v7
	v_exp_f32_e32 v2, v2
	v_nop
	s_delay_alu instid0(TRANS32_DEP_1) | instskip(NEXT) | instid1(VALU_DEP_1)
	v_ldexp_f32 v2, v2, v6
	v_cndmask_b32_e32 v2, 0, v2, vcc_lo
	v_cmp_nlt_f32_e32 vcc_lo, 0x42b17218, v1
	s_delay_alu instid0(VALU_DEP_2) | instskip(NEXT) | instid1(VALU_DEP_1)
	v_cndmask_b32_e32 v22, 0x7f800000, v2, vcc_lo
	v_add_f32_e32 v1, 1.0, v22
	s_delay_alu instid0(VALU_DEP_1) | instskip(NEXT) | instid1(VALU_DEP_1)
	v_cvt_f64_f32_e32 v[6:7], v1
	v_frexp_exp_i32_f64_e32 v2, v[6:7]
	v_frexp_mant_f32_e32 v6, v1
	s_delay_alu instid0(VALU_DEP_1) | instskip(SKIP_1) | instid1(VALU_DEP_1)
	v_cmp_gt_f32_e32 vcc_lo, 0x3f2aaaab, v6
	v_add_f32_e32 v6, -1.0, v1
	v_sub_f32_e32 v8, v6, v1
	s_delay_alu instid0(VALU_DEP_1) | instskip(SKIP_1) | instid1(VALU_DEP_1)
	v_add_f32_e32 v8, 1.0, v8
	v_subrev_co_ci_u32_e64 v2, null, 0, v2, vcc_lo
	v_sub_nc_u32_e32 v7, 0, v2
	v_sub_f32_e32 v6, v22, v6
	v_cmp_neq_f32_e32 vcc_lo, 0x7f800000, v22
	s_delay_alu instid0(VALU_DEP_3) | instskip(NEXT) | instid1(VALU_DEP_1)
	v_ldexp_f32 v1, v1, v7
	v_dual_add_f32 v6, v6, v8 :: v_dual_add_f32 v9, 1.0, v1
	s_delay_alu instid0(VALU_DEP_1) | instskip(NEXT) | instid1(VALU_DEP_2)
	v_ldexp_f32 v6, v6, v7
	v_add_f32_e32 v8, -1.0, v9
	s_delay_alu instid0(VALU_DEP_1) | instskip(NEXT) | instid1(VALU_DEP_1)
	v_dual_add_f32 v11, -1.0, v1 :: v_dual_sub_f32 v7, v1, v8
	v_add_f32_e32 v10, v6, v7
	s_delay_alu instid0(VALU_DEP_1) | instskip(NEXT) | instid1(VALU_DEP_1)
	v_dual_add_f32 v8, 1.0, v11 :: v_dual_add_f32 v12, v9, v10
	v_rcp_f32_e32 v13, v12
	s_delay_alu instid0(VALU_DEP_1) | instskip(NEXT) | instid1(VALU_DEP_1)
	v_sub_f32_e32 v1, v1, v8
	v_dual_add_f32 v1, v6, v1 :: v_dual_sub_f32 v6, v9, v12
	s_delay_alu instid0(VALU_DEP_1)
	v_add_f32_e32 v7, v11, v1
	s_delay_alu instid0(TRANS32_DEP_1) | instid1(VALU_DEP_1)
	v_mul_f32_e32 v14, v7, v13
	s_delay_alu instid0(VALU_DEP_1) | instskip(NEXT) | instid1(VALU_DEP_4)
	v_mul_f32_e32 v8, v12, v14
	v_dual_add_f32 v15, v10, v6 :: v_dual_sub_f32 v16, v11, v7
	s_delay_alu instid0(VALU_DEP_2) | instskip(NEXT) | instid1(VALU_DEP_1)
	v_fma_f32 v10, v14, v12, -v8
	v_dual_add_f32 v1, v1, v16 :: v_dual_fmac_f32 v10, v14, v15
	s_delay_alu instid0(VALU_DEP_1) | instskip(NEXT) | instid1(VALU_DEP_1)
	v_add_f32_e32 v6, v8, v10
	v_dual_sub_f32 v9, v7, v6 :: v_dual_mov_b32 v11, v6
	s_delay_alu instid0(VALU_DEP_1) | instskip(NEXT) | instid1(VALU_DEP_1)
	v_pk_add_f32 v[6:7], v[6:7], v[8:9] neg_lo:[0,1] neg_hi:[0,1]
	v_pk_add_f32 v[6:7], v[6:7], v[10:11] neg_lo:[0,1] neg_hi:[0,1]
	s_delay_alu instid0(VALU_DEP_1) | instskip(NEXT) | instid1(VALU_DEP_1)
	v_add_f32_e32 v1, v1, v7
	v_add_f32_e32 v1, v6, v1
	s_delay_alu instid0(VALU_DEP_1) | instskip(NEXT) | instid1(VALU_DEP_1)
	v_add_f32_e32 v7, v9, v1
	v_mul_f32_e32 v16, v13, v7
	s_delay_alu instid0(VALU_DEP_1) | instskip(NEXT) | instid1(VALU_DEP_1)
	v_mul_f32_e32 v10, v12, v16
	v_dual_fma_f32 v8, v16, v12, -v10 :: v_dual_sub_f32 v12, v9, v7
	s_delay_alu instid0(VALU_DEP_1) | instskip(NEXT) | instid1(VALU_DEP_1)
	v_fmac_f32_e32 v8, v16, v15
	v_add_f32_e32 v6, v10, v8
	s_delay_alu instid0(VALU_DEP_1) | instskip(NEXT) | instid1(VALU_DEP_1)
	v_dual_sub_f32 v11, v7, v6 :: v_dual_mov_b32 v9, v6
	v_pk_add_f32 v[6:7], v[6:7], v[10:11] neg_lo:[0,1] neg_hi:[0,1]
	v_add_f32_e32 v10, v14, v16
	v_add_f32_e32 v1, v1, v12
	s_delay_alu instid0(VALU_DEP_3) | instskip(SKIP_1) | instid1(VALU_DEP_2)
	v_pk_add_f32 v[6:7], v[6:7], v[8:9] neg_lo:[0,1] neg_hi:[0,1]
	v_cvt_f32_i32_e32 v8, v2
	v_add_f32_e32 v1, v1, v7
	s_delay_alu instid0(VALU_DEP_1) | instskip(NEXT) | instid1(VALU_DEP_1)
	v_add_f32_e32 v1, v6, v1
	v_dual_sub_f32 v6, v10, v14 :: v_dual_add_f32 v1, v11, v1
	s_delay_alu instid0(VALU_DEP_1) | instskip(NEXT) | instid1(VALU_DEP_1)
	v_dual_sub_f32 v6, v16, v6 :: v_dual_mul_f32 v1, v13, v1
	v_dual_add_f32 v1, v6, v1 :: v_dual_mov_b32 v6, 0x3f317218
	s_delay_alu instid0(VALU_DEP_1) | instskip(NEXT) | instid1(VALU_DEP_1)
	v_add_f32_e32 v11, v10, v1
	v_mul_f32_e32 v7, v11, v11
	s_delay_alu instid0(VALU_DEP_1) | instskip(NEXT) | instid1(VALU_DEP_1)
	v_dual_fmaak_f32 v12, s11, v7, 0x3ecc95a3 :: v_dual_mul_f32 v9, v11, v7
	v_fmaak_f32 v7, v7, v12, 0x3f2aaada
	s_delay_alu instid0(VALU_DEP_1) | instskip(NEXT) | instid1(VALU_DEP_1)
	v_pk_mul_f32 v[6:7], v[8:9], v[6:7]
	v_fma_f32 v2, 0x3f317218, v8, -v6
	v_mov_b32_e32 v12, v6
	s_delay_alu instid0(VALU_DEP_2) | instskip(SKIP_2) | instid1(VALU_DEP_2)
	v_fmamk_f32 v8, v8, 0xb102e308, v2
	v_ldexp_f32 v9, v11, 1
	v_sub_f32_e32 v2, v11, v10
	v_pk_add_f32 v[10:11], v[6:7], v[8:9]
	s_delay_alu instid0(VALU_DEP_1) | instskip(NEXT) | instid1(VALU_DEP_1)
	v_dual_sub_f32 v1, v1, v2 :: v_dual_sub_f32 v2, v11, v9
	v_ldexp_f32 v1, v1, 1
	s_delay_alu instid0(VALU_DEP_3) | instskip(NEXT) | instid1(VALU_DEP_3)
	v_dual_mov_b32 v9, v10 :: v_dual_mov_b32 v20, v11
	v_sub_f32_e32 v2, v7, v2
	v_pk_add_f32 v[6:7], v[10:11], v[6:7] neg_lo:[0,1] neg_hi:[0,1]
	s_delay_alu instid0(VALU_DEP_2) | instskip(NEXT) | instid1(VALU_DEP_1)
	v_add_f32_e32 v13, v1, v2
	v_pk_add_f32 v[14:15], v[10:11], v[12:13]
	s_delay_alu instid0(VALU_DEP_1) | instskip(NEXT) | instid1(VALU_DEP_1)
	v_mov_b32_e32 v7, v15
	v_pk_add_f32 v[16:17], v[8:9], v[6:7]
	v_mov_b32_e32 v16, v15
	v_pk_add_f32 v[6:7], v[8:9], v[6:7] neg_lo:[0,1] neg_hi:[0,1]
	s_delay_alu instid0(VALU_DEP_3) | instskip(NEXT) | instid1(VALU_DEP_1)
	v_dual_mov_b32 v2, v17 :: v_dual_mov_b32 v7, v17
	v_pk_add_f32 v[18:19], v[2:3], v[10:11] neg_lo:[0,1] neg_hi:[0,1]
	v_dual_mov_b32 v11, v10 :: v_dual_mov_b32 v10, v13
	s_delay_alu instid0(VALU_DEP_2) | instskip(NEXT) | instid1(VALU_DEP_1)
	v_dual_mov_b32 v1, v18 :: v_dual_mov_b32 v21, v18
	v_pk_add_f32 v[12:13], v[14:15], v[0:1] neg_lo:[0,1] neg_hi:[0,1]
	s_delay_alu instid0(VALU_DEP_2) | instskip(SKIP_1) | instid1(VALU_DEP_2)
	v_pk_add_f32 v[8:9], v[16:17], v[20:21] neg_lo:[0,1] neg_hi:[0,1]
	v_mov_b32_e32 v12, v6
	v_pk_add_f32 v[8:9], v[10:11], v[8:9] neg_lo:[0,1] neg_hi:[0,1]
	s_delay_alu instid0(VALU_DEP_1) | instskip(NEXT) | instid1(VALU_DEP_1)
	v_pk_add_f32 v[10:11], v[12:13], v[8:9]
	v_mov_b32_e32 v12, v11
	s_delay_alu instid0(VALU_DEP_1) | instskip(NEXT) | instid1(VALU_DEP_1)
	v_pk_add_f32 v[12:13], v[10:11], v[12:13]
	v_pk_add_f32 v[14:15], v[2:3], v[12:13]
	s_delay_alu instid0(VALU_DEP_1) | instskip(NEXT) | instid1(VALU_DEP_1)
	v_mov_b32_e32 v11, v14
	v_pk_add_f32 v[16:17], v[10:11], v[6:7] neg_lo:[0,1] neg_hi:[0,1]
	s_delay_alu instid0(VALU_DEP_1) | instskip(NEXT) | instid1(VALU_DEP_1)
	v_dual_mov_b32 v9, v12 :: v_dual_sub_f32 v1, v10, v16
	v_pk_add_f32 v[8:9], v[8:9], v[16:17] neg_lo:[0,1] neg_hi:[0,1]
	s_delay_alu instid0(VALU_DEP_2) | instskip(NEXT) | instid1(VALU_DEP_1)
	v_sub_f32_e32 v1, v6, v1
	v_add_f32_e32 v1, v8, v1
	s_delay_alu instid0(VALU_DEP_1) | instskip(NEXT) | instid1(VALU_DEP_1)
	v_add_f32_e32 v1, v1, v9
	v_add_f32_e32 v1, v14, v1
	s_delay_alu instid0(VALU_DEP_1) | instskip(SKIP_1) | instid1(VALU_DEP_2)
	v_cndmask_b32_e32 v1, 0x7f800000, v1, vcc_lo
	v_cmp_gt_f32_e64 vcc_lo, 0x33800000, |v22|
	v_cndmask_b32_e32 v1, v1, v22, vcc_lo
	s_delay_alu instid0(VALU_DEP_1) | instskip(NEXT) | instid1(VALU_DEP_1)
	v_div_scale_f32 v2, null, s9, s9, v1
	v_rcp_f32_e32 v6, v2
	v_nop
	s_delay_alu instid0(TRANS32_DEP_1) | instskip(NEXT) | instid1(VALU_DEP_1)
	v_fma_f32 v7, -v2, v6, 1.0
	v_fmac_f32_e32 v6, v7, v6
	v_div_scale_f32 v7, vcc_lo, v1, s9, v1
	s_delay_alu instid0(VALU_DEP_1) | instskip(NEXT) | instid1(VALU_DEP_1)
	v_mul_f32_e32 v8, v7, v6
	v_fma_f32 v9, -v2, v8, v7
	s_delay_alu instid0(VALU_DEP_1) | instskip(NEXT) | instid1(VALU_DEP_1)
	v_fmac_f32_e32 v8, v9, v6
	v_fma_f32 v2, -v2, v8, v7
	s_delay_alu instid0(VALU_DEP_1) | instskip(NEXT) | instid1(VALU_DEP_1)
	v_div_fmas_f32 v2, v2, v6, v8
	v_div_fixup_f32 v2, v2, s9, v1
.LBB11_3:
	s_or_b32 exec_lo, exec_lo, s3
	v_mul_f32_e32 v1, s9, v3
	s_mov_b32 s3, exec_lo
	s_delay_alu instid0(VALU_DEP_1)
	v_cmpx_nlt_f32_e32 s10, v1
	s_cbranch_execz .LBB11_5
; %bb.4:
	v_mul_f32_e32 v3, 0x3fb8aa3b, v1
	v_cmp_ngt_f32_e32 vcc_lo, 0xc2ce8ed0, v1
	s_mov_b32 s11, 0x3e9b6dac
	s_delay_alu instid0(VALU_DEP_2) | instskip(SKIP_1) | instid1(VALU_DEP_2)
	v_rndne_f32_e32 v6, v3
	v_fma_f32 v7, 0x3fb8aa3b, v1, -v3
	v_sub_f32_e32 v3, v3, v6
	s_delay_alu instid0(VALU_DEP_2) | instskip(SKIP_1) | instid1(VALU_DEP_2)
	v_fmamk_f32 v7, v1, 0x32a5705f, v7
	v_cvt_i32_f32_e32 v6, v6
	v_add_f32_e32 v3, v3, v7
	s_delay_alu instid0(VALU_DEP_1) | instskip(SKIP_1) | instid1(TRANS32_DEP_1)
	v_exp_f32_e32 v3, v3
	v_nop
	v_ldexp_f32 v3, v3, v6
	s_delay_alu instid0(VALU_DEP_1) | instskip(SKIP_1) | instid1(VALU_DEP_2)
	v_cndmask_b32_e32 v3, 0, v3, vcc_lo
	v_cmp_nlt_f32_e32 vcc_lo, 0x42b17218, v1
	v_cndmask_b32_e32 v3, 0x7f800000, v3, vcc_lo
	s_delay_alu instid0(VALU_DEP_1) | instskip(NEXT) | instid1(VALU_DEP_1)
	v_add_f32_e32 v1, 1.0, v3
	v_cvt_f64_f32_e32 v[6:7], v1
	s_delay_alu instid0(VALU_DEP_1) | instskip(SKIP_1) | instid1(VALU_DEP_1)
	v_frexp_exp_i32_f64_e32 v6, v[6:7]
	v_frexp_mant_f32_e32 v7, v1
	v_cmp_gt_f32_e32 vcc_lo, 0x3f2aaaab, v7
	s_delay_alu instid0(VALU_DEP_3) | instskip(NEXT) | instid1(VALU_DEP_1)
	v_subrev_co_ci_u32_e64 v12, null, 0, v6, vcc_lo
	v_dual_add_f32 v6, -1.0, v1 :: v_dual_sub_nc_u32 v7, 0, v12
	s_delay_alu instid0(VALU_DEP_1) | instskip(NEXT) | instid1(VALU_DEP_2)
	v_dual_sub_f32 v8, v6, v1 :: v_dual_sub_f32 v6, v3, v6
	v_ldexp_f32 v1, v1, v7
	s_delay_alu instid0(VALU_DEP_1) | instskip(NEXT) | instid1(VALU_DEP_1)
	v_dual_add_f32 v8, 1.0, v8 :: v_dual_add_f32 v9, 1.0, v1
	v_add_f32_e32 v6, v6, v8
	v_cmp_neq_f32_e32 vcc_lo, 0x7f800000, v3
	s_delay_alu instid0(VALU_DEP_2) | instskip(NEXT) | instid1(VALU_DEP_4)
	v_ldexp_f32 v6, v6, v7
	v_add_f32_e32 v8, -1.0, v9
	s_delay_alu instid0(VALU_DEP_1) | instskip(NEXT) | instid1(VALU_DEP_1)
	v_dual_add_f32 v11, -1.0, v1 :: v_dual_sub_f32 v7, v1, v8
	v_add_f32_e32 v10, v6, v7
	s_delay_alu instid0(VALU_DEP_1) | instskip(NEXT) | instid1(VALU_DEP_1)
	v_dual_add_f32 v8, 1.0, v11 :: v_dual_add_f32 v13, v9, v10
	v_rcp_f32_e32 v14, v13
	s_delay_alu instid0(VALU_DEP_1) | instskip(NEXT) | instid1(VALU_DEP_1)
	v_sub_f32_e32 v1, v1, v8
	v_add_f32_e32 v1, v6, v1
	v_sub_f32_e32 v6, v9, v13
	s_delay_alu instid0(VALU_DEP_1)
	v_dual_add_f32 v7, v11, v1 :: v_dual_add_f32 v16, v10, v6
	s_delay_alu instid0(TRANS32_DEP_1) | instid1(VALU_DEP_1)
	v_mul_f32_e32 v15, v7, v14
	v_sub_f32_e32 v17, v11, v7
	s_delay_alu instid0(VALU_DEP_2) | instskip(NEXT) | instid1(VALU_DEP_2)
	v_mul_f32_e32 v8, v13, v15
	v_add_f32_e32 v1, v1, v17
	s_delay_alu instid0(VALU_DEP_2) | instskip(NEXT) | instid1(VALU_DEP_1)
	v_fma_f32 v10, v15, v13, -v8
	v_fmac_f32_e32 v10, v15, v16
	s_delay_alu instid0(VALU_DEP_1) | instskip(NEXT) | instid1(VALU_DEP_1)
	v_add_f32_e32 v6, v8, v10
	v_dual_sub_f32 v9, v7, v6 :: v_dual_mov_b32 v11, v6
	s_delay_alu instid0(VALU_DEP_1) | instskip(NEXT) | instid1(VALU_DEP_1)
	v_pk_add_f32 v[6:7], v[6:7], v[8:9] neg_lo:[0,1] neg_hi:[0,1]
	v_pk_add_f32 v[6:7], v[6:7], v[10:11] neg_lo:[0,1] neg_hi:[0,1]
	s_delay_alu instid0(VALU_DEP_1) | instskip(NEXT) | instid1(VALU_DEP_1)
	v_add_f32_e32 v1, v1, v7
	v_add_f32_e32 v1, v6, v1
	s_delay_alu instid0(VALU_DEP_1) | instskip(NEXT) | instid1(VALU_DEP_1)
	v_add_f32_e32 v7, v9, v1
	v_mul_f32_e32 v17, v14, v7
	s_delay_alu instid0(VALU_DEP_1) | instskip(NEXT) | instid1(VALU_DEP_1)
	v_mul_f32_e32 v10, v13, v17
	v_fma_f32 v8, v17, v13, -v10
	s_delay_alu instid0(VALU_DEP_1) | instskip(NEXT) | instid1(VALU_DEP_1)
	v_fmac_f32_e32 v8, v17, v16
	v_dual_add_f32 v6, v10, v8 :: v_dual_sub_f32 v13, v9, v7
	s_delay_alu instid0(VALU_DEP_1) | instskip(NEXT) | instid1(VALU_DEP_1)
	v_dual_sub_f32 v11, v7, v6 :: v_dual_mov_b32 v9, v6
	v_pk_add_f32 v[6:7], v[6:7], v[10:11] neg_lo:[0,1] neg_hi:[0,1]
	v_add_f32_e32 v10, v15, v17
	s_delay_alu instid0(VALU_DEP_4) | instskip(NEXT) | instid1(VALU_DEP_3)
	v_add_f32_e32 v1, v1, v13
	v_pk_add_f32 v[6:7], v[6:7], v[8:9] neg_lo:[0,1] neg_hi:[0,1]
	v_cvt_f32_i32_e32 v8, v12
	s_delay_alu instid0(VALU_DEP_2) | instskip(NEXT) | instid1(VALU_DEP_1)
	v_add_f32_e32 v1, v1, v7
	v_add_f32_e32 v1, v6, v1
	v_sub_f32_e32 v6, v10, v15
	s_delay_alu instid0(VALU_DEP_1) | instskip(NEXT) | instid1(VALU_DEP_1)
	v_dual_sub_f32 v6, v17, v6 :: v_dual_add_f32 v1, v11, v1
	v_mul_f32_e32 v1, v14, v1
	s_delay_alu instid0(VALU_DEP_1) | instskip(NEXT) | instid1(VALU_DEP_1)
	v_dual_add_f32 v1, v6, v1 :: v_dual_mov_b32 v6, 0x3f317218
	v_add_f32_e32 v11, v10, v1
	s_delay_alu instid0(VALU_DEP_1) | instskip(NEXT) | instid1(VALU_DEP_1)
	v_mul_f32_e32 v7, v11, v11
	v_fmaak_f32 v13, s11, v7, 0x3ecc95a3
	v_mul_f32_e32 v9, v11, v7
	s_delay_alu instid0(VALU_DEP_2) | instskip(NEXT) | instid1(VALU_DEP_1)
	v_fmaak_f32 v7, v7, v13, 0x3f2aaada
	v_pk_mul_f32 v[6:7], v[8:9], v[6:7]
	s_delay_alu instid0(VALU_DEP_1) | instskip(NEXT) | instid1(VALU_DEP_1)
	v_fma_f32 v12, 0x3f317218, v8, -v6
	v_fmamk_f32 v8, v8, 0xb102e308, v12
	v_sub_f32_e32 v12, v11, v10
	s_delay_alu instid0(VALU_DEP_1) | instskip(SKIP_2) | instid1(VALU_DEP_3)
	v_sub_f32_e32 v1, v1, v12
	v_ldexp_f32 v9, v11, 1
	v_mov_b32_e32 v12, v6
	v_ldexp_f32 v1, v1, 1
	s_delay_alu instid0(VALU_DEP_3) | instskip(NEXT) | instid1(VALU_DEP_1)
	v_pk_add_f32 v[10:11], v[6:7], v[8:9]
	v_dual_sub_f32 v9, v11, v9 :: v_dual_mov_b32 v20, v11
	s_delay_alu instid0(VALU_DEP_1) | instskip(NEXT) | instid1(VALU_DEP_3)
	v_sub_f32_e32 v9, v7, v9
	v_pk_add_f32 v[6:7], v[10:11], v[6:7] neg_lo:[0,1] neg_hi:[0,1]
	s_delay_alu instid0(VALU_DEP_2) | instskip(NEXT) | instid1(VALU_DEP_1)
	v_dual_add_f32 v13, v1, v9 :: v_dual_mov_b32 v9, v10
	v_pk_add_f32 v[14:15], v[10:11], v[12:13]
	s_delay_alu instid0(VALU_DEP_1) | instskip(NEXT) | instid1(VALU_DEP_1)
	v_mov_b32_e32 v7, v15
	v_pk_add_f32 v[16:17], v[8:9], v[6:7]
	v_mov_b32_e32 v16, v15
	v_pk_add_f32 v[6:7], v[8:9], v[6:7] neg_lo:[0,1] neg_hi:[0,1]
	s_delay_alu instid0(VALU_DEP_3) | instskip(NEXT) | instid1(VALU_DEP_1)
	v_dual_mov_b32 v12, v17 :: v_dual_mov_b32 v7, v17
	v_pk_add_f32 v[18:19], v[12:13], v[10:11] neg_lo:[0,1] neg_hi:[0,1]
	v_dual_mov_b32 v11, v10 :: v_dual_mov_b32 v10, v13
	s_delay_alu instid0(VALU_DEP_2) | instskip(NEXT) | instid1(VALU_DEP_1)
	v_dual_mov_b32 v1, v18 :: v_dual_mov_b32 v21, v18
	v_pk_add_f32 v[14:15], v[14:15], v[0:1] neg_lo:[0,1] neg_hi:[0,1]
	s_delay_alu instid0(VALU_DEP_2) | instskip(SKIP_1) | instid1(VALU_DEP_2)
	v_pk_add_f32 v[8:9], v[16:17], v[20:21] neg_lo:[0,1] neg_hi:[0,1]
	v_mov_b32_e32 v14, v6
	v_pk_add_f32 v[8:9], v[10:11], v[8:9] neg_lo:[0,1] neg_hi:[0,1]
	s_delay_alu instid0(VALU_DEP_1) | instskip(NEXT) | instid1(VALU_DEP_1)
	v_pk_add_f32 v[10:11], v[14:15], v[8:9]
	v_mov_b32_e32 v14, v11
	s_delay_alu instid0(VALU_DEP_1) | instskip(NEXT) | instid1(VALU_DEP_1)
	v_pk_add_f32 v[14:15], v[10:11], v[14:15]
	v_pk_add_f32 v[12:13], v[12:13], v[14:15]
	s_delay_alu instid0(VALU_DEP_1) | instskip(NEXT) | instid1(VALU_DEP_1)
	v_mov_b32_e32 v11, v12
	v_pk_add_f32 v[16:17], v[10:11], v[6:7] neg_lo:[0,1] neg_hi:[0,1]
	s_delay_alu instid0(VALU_DEP_1) | instskip(NEXT) | instid1(VALU_DEP_1)
	v_sub_f32_e32 v1, v10, v16
	v_sub_f32_e32 v1, v6, v1
	v_mov_b32_e32 v9, v14
	s_delay_alu instid0(VALU_DEP_1) | instskip(NEXT) | instid1(VALU_DEP_1)
	v_pk_add_f32 v[8:9], v[8:9], v[16:17] neg_lo:[0,1] neg_hi:[0,1]
	v_add_f32_e32 v1, v8, v1
	s_delay_alu instid0(VALU_DEP_1) | instskip(NEXT) | instid1(VALU_DEP_1)
	v_add_f32_e32 v1, v1, v9
	v_add_f32_e32 v1, v12, v1
	s_delay_alu instid0(VALU_DEP_1) | instskip(SKIP_1) | instid1(VALU_DEP_2)
	v_cndmask_b32_e32 v1, 0x7f800000, v1, vcc_lo
	v_cmp_gt_f32_e64 vcc_lo, 0x33800000, |v3|
	v_cndmask_b32_e32 v1, v1, v3, vcc_lo
	s_delay_alu instid0(VALU_DEP_1) | instskip(NEXT) | instid1(VALU_DEP_1)
	v_div_scale_f32 v3, null, s9, s9, v1
	v_rcp_f32_e32 v6, v3
	v_nop
	s_delay_alu instid0(TRANS32_DEP_1) | instskip(NEXT) | instid1(VALU_DEP_1)
	v_fma_f32 v7, -v3, v6, 1.0
	v_fmac_f32_e32 v6, v7, v6
	v_div_scale_f32 v7, vcc_lo, v1, s9, v1
	s_delay_alu instid0(VALU_DEP_1) | instskip(NEXT) | instid1(VALU_DEP_1)
	v_mul_f32_e32 v8, v7, v6
	v_fma_f32 v9, -v3, v8, v7
	s_delay_alu instid0(VALU_DEP_1) | instskip(NEXT) | instid1(VALU_DEP_1)
	v_fmac_f32_e32 v8, v9, v6
	v_fma_f32 v3, -v3, v8, v7
	s_delay_alu instid0(VALU_DEP_1) | instskip(NEXT) | instid1(VALU_DEP_1)
	v_div_fmas_f32 v3, v3, v6, v8
	v_div_fixup_f32 v3, v3, s9, v1
.LBB11_5:
	s_or_b32 exec_lo, exec_lo, s3
	s_wait_loadcnt 0x0
	v_mul_f32_e32 v1, s9, v4
	s_mov_b32 s3, exec_lo
	s_delay_alu instid0(VALU_DEP_1)
	v_cmpx_nlt_f32_e32 s10, v1
	s_cbranch_execz .LBB11_7
; %bb.6:
	v_mul_f32_e32 v4, 0x3fb8aa3b, v1
	v_cmp_ngt_f32_e32 vcc_lo, 0xc2ce8ed0, v1
	s_mov_b32 s11, 0x3e9b6dac
	s_delay_alu instid0(VALU_DEP_2) | instskip(SKIP_1) | instid1(VALU_DEP_1)
	v_rndne_f32_e32 v6, v4
	v_fma_f32 v7, 0x3fb8aa3b, v1, -v4
	v_dual_sub_f32 v4, v4, v6 :: v_dual_fmamk_f32 v7, v1, 0x32a5705f, v7
	v_cvt_i32_f32_e32 v6, v6
	s_delay_alu instid0(VALU_DEP_2) | instskip(NEXT) | instid1(VALU_DEP_1)
	v_add_f32_e32 v4, v4, v7
	v_exp_f32_e32 v4, v4
	v_nop
	s_delay_alu instid0(TRANS32_DEP_1) | instskip(NEXT) | instid1(VALU_DEP_1)
	v_ldexp_f32 v4, v4, v6
	v_cndmask_b32_e32 v4, 0, v4, vcc_lo
	v_cmp_nlt_f32_e32 vcc_lo, 0x42b17218, v1
	s_delay_alu instid0(VALU_DEP_2) | instskip(NEXT) | instid1(VALU_DEP_1)
	v_cndmask_b32_e32 v22, 0x7f800000, v4, vcc_lo
	v_add_f32_e32 v1, 1.0, v22
	s_delay_alu instid0(VALU_DEP_1) | instskip(NEXT) | instid1(VALU_DEP_1)
	v_cvt_f64_f32_e32 v[6:7], v1
	v_frexp_exp_i32_f64_e32 v4, v[6:7]
	v_frexp_mant_f32_e32 v6, v1
	s_delay_alu instid0(VALU_DEP_1) | instskip(SKIP_1) | instid1(VALU_DEP_1)
	v_cmp_gt_f32_e32 vcc_lo, 0x3f2aaaab, v6
	v_add_f32_e32 v6, -1.0, v1
	v_sub_f32_e32 v8, v6, v1
	s_delay_alu instid0(VALU_DEP_1) | instskip(SKIP_1) | instid1(VALU_DEP_1)
	v_add_f32_e32 v8, 1.0, v8
	v_subrev_co_ci_u32_e64 v4, null, 0, v4, vcc_lo
	v_dual_sub_f32 v6, v22, v6 :: v_dual_sub_nc_u32 v7, 0, v4
	v_cmp_neq_f32_e32 vcc_lo, 0x7f800000, v22
	s_delay_alu instid0(VALU_DEP_2) | instskip(NEXT) | instid1(VALU_DEP_1)
	v_ldexp_f32 v1, v1, v7
	v_dual_add_f32 v6, v6, v8 :: v_dual_add_f32 v9, 1.0, v1
	s_delay_alu instid0(VALU_DEP_1) | instskip(NEXT) | instid1(VALU_DEP_2)
	v_ldexp_f32 v6, v6, v7
	v_add_f32_e32 v8, -1.0, v9
	s_delay_alu instid0(VALU_DEP_1) | instskip(NEXT) | instid1(VALU_DEP_1)
	v_dual_add_f32 v11, -1.0, v1 :: v_dual_sub_f32 v7, v1, v8
	v_add_f32_e32 v10, v6, v7
	s_delay_alu instid0(VALU_DEP_1) | instskip(NEXT) | instid1(VALU_DEP_1)
	v_dual_add_f32 v8, 1.0, v11 :: v_dual_add_f32 v12, v9, v10
	v_rcp_f32_e32 v13, v12
	s_delay_alu instid0(VALU_DEP_1) | instskip(NEXT) | instid1(VALU_DEP_1)
	v_sub_f32_e32 v1, v1, v8
	v_dual_add_f32 v1, v6, v1 :: v_dual_sub_f32 v6, v9, v12
	s_delay_alu instid0(VALU_DEP_1)
	v_add_f32_e32 v7, v11, v1
	s_delay_alu instid0(TRANS32_DEP_1) | instid1(VALU_DEP_1)
	v_mul_f32_e32 v14, v7, v13
	s_delay_alu instid0(VALU_DEP_1) | instskip(NEXT) | instid1(VALU_DEP_4)
	v_mul_f32_e32 v8, v12, v14
	v_dual_add_f32 v15, v10, v6 :: v_dual_sub_f32 v16, v11, v7
	s_delay_alu instid0(VALU_DEP_2) | instskip(NEXT) | instid1(VALU_DEP_1)
	v_fma_f32 v10, v14, v12, -v8
	v_dual_add_f32 v1, v1, v16 :: v_dual_fmac_f32 v10, v14, v15
	s_delay_alu instid0(VALU_DEP_1) | instskip(NEXT) | instid1(VALU_DEP_1)
	v_add_f32_e32 v6, v8, v10
	v_dual_sub_f32 v9, v7, v6 :: v_dual_mov_b32 v11, v6
	s_delay_alu instid0(VALU_DEP_1) | instskip(NEXT) | instid1(VALU_DEP_1)
	v_pk_add_f32 v[6:7], v[6:7], v[8:9] neg_lo:[0,1] neg_hi:[0,1]
	v_pk_add_f32 v[6:7], v[6:7], v[10:11] neg_lo:[0,1] neg_hi:[0,1]
	s_delay_alu instid0(VALU_DEP_1) | instskip(NEXT) | instid1(VALU_DEP_1)
	v_add_f32_e32 v1, v1, v7
	v_add_f32_e32 v1, v6, v1
	s_delay_alu instid0(VALU_DEP_1) | instskip(NEXT) | instid1(VALU_DEP_1)
	v_add_f32_e32 v7, v9, v1
	v_mul_f32_e32 v16, v13, v7
	s_delay_alu instid0(VALU_DEP_1) | instskip(NEXT) | instid1(VALU_DEP_1)
	v_mul_f32_e32 v10, v12, v16
	v_dual_fma_f32 v8, v16, v12, -v10 :: v_dual_sub_f32 v12, v9, v7
	s_delay_alu instid0(VALU_DEP_1) | instskip(NEXT) | instid1(VALU_DEP_1)
	v_fmac_f32_e32 v8, v16, v15
	v_add_f32_e32 v6, v10, v8
	s_delay_alu instid0(VALU_DEP_1) | instskip(NEXT) | instid1(VALU_DEP_1)
	v_dual_sub_f32 v11, v7, v6 :: v_dual_mov_b32 v9, v6
	v_pk_add_f32 v[6:7], v[6:7], v[10:11] neg_lo:[0,1] neg_hi:[0,1]
	v_add_f32_e32 v10, v14, v16
	v_add_f32_e32 v1, v1, v12
	s_delay_alu instid0(VALU_DEP_3) | instskip(SKIP_1) | instid1(VALU_DEP_2)
	v_pk_add_f32 v[6:7], v[6:7], v[8:9] neg_lo:[0,1] neg_hi:[0,1]
	v_cvt_f32_i32_e32 v8, v4
	v_add_f32_e32 v1, v1, v7
	s_delay_alu instid0(VALU_DEP_1) | instskip(NEXT) | instid1(VALU_DEP_1)
	v_add_f32_e32 v1, v6, v1
	v_dual_sub_f32 v6, v10, v14 :: v_dual_add_f32 v1, v11, v1
	s_delay_alu instid0(VALU_DEP_1) | instskip(NEXT) | instid1(VALU_DEP_1)
	v_dual_sub_f32 v6, v16, v6 :: v_dual_mul_f32 v1, v13, v1
	v_dual_add_f32 v1, v6, v1 :: v_dual_mov_b32 v6, 0x3f317218
	s_delay_alu instid0(VALU_DEP_1) | instskip(NEXT) | instid1(VALU_DEP_1)
	v_add_f32_e32 v11, v10, v1
	v_mul_f32_e32 v7, v11, v11
	s_delay_alu instid0(VALU_DEP_1) | instskip(NEXT) | instid1(VALU_DEP_1)
	v_dual_fmaak_f32 v12, s11, v7, 0x3ecc95a3 :: v_dual_mul_f32 v9, v11, v7
	v_fmaak_f32 v7, v7, v12, 0x3f2aaada
	s_delay_alu instid0(VALU_DEP_1) | instskip(NEXT) | instid1(VALU_DEP_1)
	v_pk_mul_f32 v[6:7], v[8:9], v[6:7]
	v_fma_f32 v4, 0x3f317218, v8, -v6
	v_mov_b32_e32 v12, v6
	s_delay_alu instid0(VALU_DEP_2) | instskip(SKIP_2) | instid1(VALU_DEP_2)
	v_fmamk_f32 v8, v8, 0xb102e308, v4
	v_ldexp_f32 v9, v11, 1
	v_sub_f32_e32 v4, v11, v10
	v_pk_add_f32 v[10:11], v[6:7], v[8:9]
	s_delay_alu instid0(VALU_DEP_1) | instskip(NEXT) | instid1(VALU_DEP_1)
	v_dual_sub_f32 v1, v1, v4 :: v_dual_sub_f32 v4, v11, v9
	v_ldexp_f32 v1, v1, 1
	s_delay_alu instid0(VALU_DEP_3) | instskip(NEXT) | instid1(VALU_DEP_3)
	v_dual_mov_b32 v9, v10 :: v_dual_mov_b32 v20, v11
	v_sub_f32_e32 v4, v7, v4
	v_pk_add_f32 v[6:7], v[10:11], v[6:7] neg_lo:[0,1] neg_hi:[0,1]
	s_delay_alu instid0(VALU_DEP_2) | instskip(NEXT) | instid1(VALU_DEP_1)
	v_add_f32_e32 v13, v1, v4
	v_pk_add_f32 v[14:15], v[10:11], v[12:13]
	s_delay_alu instid0(VALU_DEP_1) | instskip(NEXT) | instid1(VALU_DEP_1)
	v_mov_b32_e32 v7, v15
	v_pk_add_f32 v[16:17], v[8:9], v[6:7]
	v_mov_b32_e32 v16, v15
	v_pk_add_f32 v[6:7], v[8:9], v[6:7] neg_lo:[0,1] neg_hi:[0,1]
	s_delay_alu instid0(VALU_DEP_3) | instskip(NEXT) | instid1(VALU_DEP_1)
	v_dual_mov_b32 v4, v17 :: v_dual_mov_b32 v7, v17
	v_pk_add_f32 v[18:19], v[4:5], v[10:11] neg_lo:[0,1] neg_hi:[0,1]
	v_dual_mov_b32 v11, v10 :: v_dual_mov_b32 v10, v13
	s_delay_alu instid0(VALU_DEP_2) | instskip(NEXT) | instid1(VALU_DEP_1)
	v_dual_mov_b32 v1, v18 :: v_dual_mov_b32 v21, v18
	v_pk_add_f32 v[12:13], v[14:15], v[0:1] neg_lo:[0,1] neg_hi:[0,1]
	s_delay_alu instid0(VALU_DEP_2) | instskip(SKIP_1) | instid1(VALU_DEP_2)
	v_pk_add_f32 v[8:9], v[16:17], v[20:21] neg_lo:[0,1] neg_hi:[0,1]
	v_mov_b32_e32 v12, v6
	v_pk_add_f32 v[8:9], v[10:11], v[8:9] neg_lo:[0,1] neg_hi:[0,1]
	s_delay_alu instid0(VALU_DEP_1) | instskip(NEXT) | instid1(VALU_DEP_1)
	v_pk_add_f32 v[10:11], v[12:13], v[8:9]
	v_mov_b32_e32 v12, v11
	s_delay_alu instid0(VALU_DEP_1) | instskip(NEXT) | instid1(VALU_DEP_1)
	v_pk_add_f32 v[12:13], v[10:11], v[12:13]
	v_pk_add_f32 v[14:15], v[4:5], v[12:13]
	s_delay_alu instid0(VALU_DEP_1) | instskip(NEXT) | instid1(VALU_DEP_1)
	v_mov_b32_e32 v11, v14
	v_pk_add_f32 v[16:17], v[10:11], v[6:7] neg_lo:[0,1] neg_hi:[0,1]
	s_delay_alu instid0(VALU_DEP_1) | instskip(NEXT) | instid1(VALU_DEP_1)
	v_dual_mov_b32 v9, v12 :: v_dual_sub_f32 v1, v10, v16
	v_pk_add_f32 v[8:9], v[8:9], v[16:17] neg_lo:[0,1] neg_hi:[0,1]
	s_delay_alu instid0(VALU_DEP_2) | instskip(NEXT) | instid1(VALU_DEP_1)
	v_sub_f32_e32 v1, v6, v1
	v_add_f32_e32 v1, v8, v1
	s_delay_alu instid0(VALU_DEP_1) | instskip(NEXT) | instid1(VALU_DEP_1)
	v_add_f32_e32 v1, v1, v9
	v_add_f32_e32 v1, v14, v1
	s_delay_alu instid0(VALU_DEP_1) | instskip(SKIP_1) | instid1(VALU_DEP_2)
	v_cndmask_b32_e32 v1, 0x7f800000, v1, vcc_lo
	v_cmp_gt_f32_e64 vcc_lo, 0x33800000, |v22|
	v_cndmask_b32_e32 v1, v1, v22, vcc_lo
	s_delay_alu instid0(VALU_DEP_1) | instskip(NEXT) | instid1(VALU_DEP_1)
	v_div_scale_f32 v4, null, s9, s9, v1
	v_rcp_f32_e32 v6, v4
	v_nop
	s_delay_alu instid0(TRANS32_DEP_1) | instskip(NEXT) | instid1(VALU_DEP_1)
	v_fma_f32 v7, -v4, v6, 1.0
	v_fmac_f32_e32 v6, v7, v6
	v_div_scale_f32 v7, vcc_lo, v1, s9, v1
	s_delay_alu instid0(VALU_DEP_1) | instskip(NEXT) | instid1(VALU_DEP_1)
	v_mul_f32_e32 v8, v7, v6
	v_fma_f32 v9, -v4, v8, v7
	s_delay_alu instid0(VALU_DEP_1) | instskip(NEXT) | instid1(VALU_DEP_1)
	v_fmac_f32_e32 v8, v9, v6
	v_fma_f32 v4, -v4, v8, v7
	s_delay_alu instid0(VALU_DEP_1) | instskip(NEXT) | instid1(VALU_DEP_1)
	v_div_fmas_f32 v4, v4, v6, v8
	v_div_fixup_f32 v4, v4, s9, v1
.LBB11_7:
	s_or_b32 exec_lo, exec_lo, s3
	v_mul_f32_e32 v1, s9, v5
	s_mov_b32 s3, exec_lo
	s_delay_alu instid0(VALU_DEP_1)
	v_cmpx_nlt_f32_e32 s10, v1
	s_cbranch_execz .LBB11_9
; %bb.8:
	v_mul_f32_e32 v5, 0x3fb8aa3b, v1
	v_cmp_ngt_f32_e32 vcc_lo, 0xc2ce8ed0, v1
	s_mov_b32 s11, 0x3e9b6dac
	s_delay_alu instid0(VALU_DEP_2) | instskip(SKIP_1) | instid1(VALU_DEP_2)
	v_rndne_f32_e32 v6, v5
	v_fma_f32 v7, 0x3fb8aa3b, v1, -v5
	v_sub_f32_e32 v5, v5, v6
	s_delay_alu instid0(VALU_DEP_2) | instskip(SKIP_1) | instid1(VALU_DEP_2)
	v_fmamk_f32 v7, v1, 0x32a5705f, v7
	v_cvt_i32_f32_e32 v6, v6
	v_add_f32_e32 v5, v5, v7
	s_delay_alu instid0(VALU_DEP_1) | instskip(SKIP_1) | instid1(TRANS32_DEP_1)
	v_exp_f32_e32 v5, v5
	v_nop
	v_ldexp_f32 v5, v5, v6
	s_delay_alu instid0(VALU_DEP_1) | instskip(SKIP_1) | instid1(VALU_DEP_2)
	v_cndmask_b32_e32 v5, 0, v5, vcc_lo
	v_cmp_nlt_f32_e32 vcc_lo, 0x42b17218, v1
	v_cndmask_b32_e32 v5, 0x7f800000, v5, vcc_lo
	s_delay_alu instid0(VALU_DEP_1) | instskip(NEXT) | instid1(VALU_DEP_1)
	v_add_f32_e32 v1, 1.0, v5
	v_cvt_f64_f32_e32 v[6:7], v1
	s_delay_alu instid0(VALU_DEP_1) | instskip(SKIP_1) | instid1(VALU_DEP_1)
	v_frexp_exp_i32_f64_e32 v6, v[6:7]
	v_frexp_mant_f32_e32 v7, v1
	v_cmp_gt_f32_e32 vcc_lo, 0x3f2aaaab, v7
	s_delay_alu instid0(VALU_DEP_3) | instskip(NEXT) | instid1(VALU_DEP_1)
	v_subrev_co_ci_u32_e64 v12, null, 0, v6, vcc_lo
	v_dual_add_f32 v6, -1.0, v1 :: v_dual_sub_nc_u32 v7, 0, v12
	s_delay_alu instid0(VALU_DEP_1) | instskip(NEXT) | instid1(VALU_DEP_2)
	v_dual_sub_f32 v8, v6, v1 :: v_dual_sub_f32 v6, v5, v6
	v_ldexp_f32 v1, v1, v7
	s_delay_alu instid0(VALU_DEP_1) | instskip(NEXT) | instid1(VALU_DEP_1)
	v_dual_add_f32 v8, 1.0, v8 :: v_dual_add_f32 v9, 1.0, v1
	v_dual_add_f32 v11, -1.0, v1 :: v_dual_add_f32 v6, v6, v8
	s_delay_alu instid0(VALU_DEP_1) | instskip(NEXT) | instid1(VALU_DEP_3)
	v_ldexp_f32 v6, v6, v7
	v_add_f32_e32 v8, -1.0, v9
	s_delay_alu instid0(VALU_DEP_1) | instskip(SKIP_1) | instid1(VALU_DEP_2)
	v_dual_sub_f32 v7, v1, v8 :: v_dual_add_f32 v8, 1.0, v11
	v_cmp_neq_f32_e32 vcc_lo, 0x7f800000, v5
	v_dual_sub_f32 v1, v1, v8 :: v_dual_add_f32 v10, v6, v7
	s_delay_alu instid0(VALU_DEP_1) | instskip(NEXT) | instid1(VALU_DEP_1)
	v_dual_add_f32 v1, v6, v1 :: v_dual_add_f32 v13, v9, v10
	v_add_f32_e32 v7, v11, v1
	s_delay_alu instid0(VALU_DEP_2) | instskip(SKIP_1) | instid1(TRANS32_DEP_1)
	v_rcp_f32_e32 v14, v13
	v_nop
	v_dual_sub_f32 v6, v9, v13 :: v_dual_mul_f32 v15, v7, v14
	s_delay_alu instid0(VALU_DEP_1) | instskip(SKIP_1) | instid1(VALU_DEP_2)
	v_dual_mul_f32 v8, v13, v15 :: v_dual_add_f32 v16, v10, v6
	v_sub_f32_e32 v17, v11, v7
	v_fma_f32 v10, v15, v13, -v8
	s_delay_alu instid0(VALU_DEP_1) | instskip(NEXT) | instid1(VALU_DEP_1)
	v_dual_add_f32 v1, v1, v17 :: v_dual_fmac_f32 v10, v15, v16
	v_add_f32_e32 v6, v8, v10
	s_delay_alu instid0(VALU_DEP_1) | instskip(NEXT) | instid1(VALU_DEP_1)
	v_dual_sub_f32 v9, v7, v6 :: v_dual_mov_b32 v11, v6
	v_pk_add_f32 v[6:7], v[6:7], v[8:9] neg_lo:[0,1] neg_hi:[0,1]
	s_delay_alu instid0(VALU_DEP_1) | instskip(NEXT) | instid1(VALU_DEP_1)
	v_pk_add_f32 v[6:7], v[6:7], v[10:11] neg_lo:[0,1] neg_hi:[0,1]
	v_add_f32_e32 v1, v1, v7
	s_delay_alu instid0(VALU_DEP_1) | instskip(NEXT) | instid1(VALU_DEP_1)
	v_add_f32_e32 v1, v6, v1
	v_add_f32_e32 v7, v9, v1
	s_delay_alu instid0(VALU_DEP_1) | instskip(NEXT) | instid1(VALU_DEP_1)
	v_mul_f32_e32 v17, v14, v7
	v_mul_f32_e32 v10, v13, v17
	s_delay_alu instid0(VALU_DEP_1) | instskip(NEXT) | instid1(VALU_DEP_1)
	v_fma_f32 v8, v17, v13, -v10
	v_fmac_f32_e32 v8, v17, v16
	s_delay_alu instid0(VALU_DEP_1) | instskip(NEXT) | instid1(VALU_DEP_1)
	v_dual_add_f32 v6, v10, v8 :: v_dual_sub_f32 v13, v9, v7
	v_dual_sub_f32 v11, v7, v6 :: v_dual_mov_b32 v9, v6
	s_delay_alu instid0(VALU_DEP_1) | instskip(SKIP_1) | instid1(VALU_DEP_4)
	v_pk_add_f32 v[6:7], v[6:7], v[10:11] neg_lo:[0,1] neg_hi:[0,1]
	v_add_f32_e32 v10, v15, v17
	v_add_f32_e32 v1, v1, v13
	s_delay_alu instid0(VALU_DEP_3) | instskip(SKIP_1) | instid1(VALU_DEP_2)
	v_pk_add_f32 v[6:7], v[6:7], v[8:9] neg_lo:[0,1] neg_hi:[0,1]
	v_cvt_f32_i32_e32 v8, v12
	v_add_f32_e32 v1, v1, v7
	s_delay_alu instid0(VALU_DEP_1) | instskip(SKIP_1) | instid1(VALU_DEP_1)
	v_add_f32_e32 v1, v6, v1
	v_sub_f32_e32 v6, v10, v15
	v_dual_sub_f32 v6, v17, v6 :: v_dual_add_f32 v1, v11, v1
	s_delay_alu instid0(VALU_DEP_1) | instskip(NEXT) | instid1(VALU_DEP_1)
	v_mul_f32_e32 v1, v14, v1
	v_dual_add_f32 v1, v6, v1 :: v_dual_mov_b32 v6, 0x3f317218
	s_delay_alu instid0(VALU_DEP_1) | instskip(NEXT) | instid1(VALU_DEP_1)
	v_add_f32_e32 v11, v10, v1
	v_mul_f32_e32 v7, v11, v11
	s_delay_alu instid0(VALU_DEP_1) | instskip(SKIP_1) | instid1(VALU_DEP_2)
	v_fmaak_f32 v13, s11, v7, 0x3ecc95a3
	v_mul_f32_e32 v9, v11, v7
	v_fmaak_f32 v7, v7, v13, 0x3f2aaada
	s_delay_alu instid0(VALU_DEP_1) | instskip(NEXT) | instid1(VALU_DEP_1)
	v_pk_mul_f32 v[6:7], v[8:9], v[6:7]
	v_fma_f32 v12, 0x3f317218, v8, -v6
	s_delay_alu instid0(VALU_DEP_1) | instskip(SKIP_1) | instid1(VALU_DEP_1)
	v_fmamk_f32 v8, v8, 0xb102e308, v12
	v_sub_f32_e32 v12, v11, v10
	v_sub_f32_e32 v1, v1, v12
	v_ldexp_f32 v9, v11, 1
	v_mov_b32_e32 v12, v6
	s_delay_alu instid0(VALU_DEP_3) | instskip(NEXT) | instid1(VALU_DEP_3)
	v_ldexp_f32 v1, v1, 1
	v_pk_add_f32 v[10:11], v[6:7], v[8:9]
	s_delay_alu instid0(VALU_DEP_1) | instskip(NEXT) | instid1(VALU_DEP_1)
	v_dual_sub_f32 v9, v11, v9 :: v_dual_mov_b32 v20, v11
	v_sub_f32_e32 v9, v7, v9
	s_delay_alu instid0(VALU_DEP_3) | instskip(NEXT) | instid1(VALU_DEP_2)
	v_pk_add_f32 v[6:7], v[10:11], v[6:7] neg_lo:[0,1] neg_hi:[0,1]
	v_dual_add_f32 v13, v1, v9 :: v_dual_mov_b32 v9, v10
	s_delay_alu instid0(VALU_DEP_1) | instskip(NEXT) | instid1(VALU_DEP_1)
	v_pk_add_f32 v[14:15], v[10:11], v[12:13]
	v_mov_b32_e32 v7, v15
	s_delay_alu instid0(VALU_DEP_1) | instskip(SKIP_2) | instid1(VALU_DEP_3)
	v_pk_add_f32 v[16:17], v[8:9], v[6:7]
	v_mov_b32_e32 v16, v15
	v_pk_add_f32 v[6:7], v[8:9], v[6:7] neg_lo:[0,1] neg_hi:[0,1]
	v_dual_mov_b32 v12, v17 :: v_dual_mov_b32 v7, v17
	s_delay_alu instid0(VALU_DEP_1) | instskip(SKIP_1) | instid1(VALU_DEP_2)
	v_pk_add_f32 v[18:19], v[12:13], v[10:11] neg_lo:[0,1] neg_hi:[0,1]
	v_dual_mov_b32 v11, v10 :: v_dual_mov_b32 v10, v13
	v_dual_mov_b32 v1, v18 :: v_dual_mov_b32 v21, v18
	s_delay_alu instid0(VALU_DEP_1) | instskip(NEXT) | instid1(VALU_DEP_2)
	v_pk_add_f32 v[14:15], v[14:15], v[0:1] neg_lo:[0,1] neg_hi:[0,1]
	v_pk_add_f32 v[8:9], v[16:17], v[20:21] neg_lo:[0,1] neg_hi:[0,1]
	v_mov_b32_e32 v14, v6
	s_delay_alu instid0(VALU_DEP_2) | instskip(NEXT) | instid1(VALU_DEP_1)
	v_pk_add_f32 v[8:9], v[10:11], v[8:9] neg_lo:[0,1] neg_hi:[0,1]
	v_pk_add_f32 v[10:11], v[14:15], v[8:9]
	s_delay_alu instid0(VALU_DEP_1) | instskip(NEXT) | instid1(VALU_DEP_1)
	v_mov_b32_e32 v14, v11
	v_pk_add_f32 v[14:15], v[10:11], v[14:15]
	s_delay_alu instid0(VALU_DEP_1) | instskip(NEXT) | instid1(VALU_DEP_1)
	v_pk_add_f32 v[12:13], v[12:13], v[14:15]
	v_mov_b32_e32 v11, v12
	s_delay_alu instid0(VALU_DEP_1) | instskip(NEXT) | instid1(VALU_DEP_1)
	v_pk_add_f32 v[16:17], v[10:11], v[6:7] neg_lo:[0,1] neg_hi:[0,1]
	v_sub_f32_e32 v1, v10, v16
	s_delay_alu instid0(VALU_DEP_1) | instskip(SKIP_1) | instid1(VALU_DEP_1)
	v_sub_f32_e32 v1, v6, v1
	v_mov_b32_e32 v9, v14
	v_pk_add_f32 v[8:9], v[8:9], v[16:17] neg_lo:[0,1] neg_hi:[0,1]
	s_delay_alu instid0(VALU_DEP_1) | instskip(NEXT) | instid1(VALU_DEP_1)
	v_add_f32_e32 v1, v8, v1
	v_add_f32_e32 v1, v1, v9
	s_delay_alu instid0(VALU_DEP_1) | instskip(NEXT) | instid1(VALU_DEP_1)
	v_add_f32_e32 v1, v12, v1
	v_cndmask_b32_e32 v1, 0x7f800000, v1, vcc_lo
	v_cmp_gt_f32_e64 vcc_lo, 0x33800000, |v5|
	s_delay_alu instid0(VALU_DEP_2) | instskip(NEXT) | instid1(VALU_DEP_1)
	v_cndmask_b32_e32 v1, v1, v5, vcc_lo
	v_div_scale_f32 v5, null, s9, s9, v1
	s_delay_alu instid0(VALU_DEP_1) | instskip(SKIP_1) | instid1(TRANS32_DEP_1)
	v_rcp_f32_e32 v6, v5
	v_nop
	v_fma_f32 v7, -v5, v6, 1.0
	s_delay_alu instid0(VALU_DEP_1) | instskip(SKIP_1) | instid1(VALU_DEP_1)
	v_fmac_f32_e32 v6, v7, v6
	v_div_scale_f32 v7, vcc_lo, v1, s9, v1
	v_mul_f32_e32 v8, v7, v6
	s_delay_alu instid0(VALU_DEP_1) | instskip(NEXT) | instid1(VALU_DEP_1)
	v_fma_f32 v9, -v5, v8, v7
	v_fmac_f32_e32 v8, v9, v6
	s_delay_alu instid0(VALU_DEP_1) | instskip(NEXT) | instid1(VALU_DEP_1)
	v_fma_f32 v5, -v5, v8, v7
	v_div_fmas_f32 v5, v5, v6, v8
	s_delay_alu instid0(VALU_DEP_1)
	v_div_fixup_f32 v5, v5, s9, v1
.LBB11_9:
	s_or_b32 exec_lo, exec_lo, s3
	s_add_nc_u64 s[12:13], s[4:5], s[0:1]
	s_mov_b32 s0, 0
	s_clause 0x1
	global_store_b64 v0, v[2:3], s[12:13] scale_offset
	global_store_b64 v0, v[4:5], s[12:13] offset:2048 scale_offset
.LBB11_10:
	s_and_b32 vcc_lo, exec_lo, s0
	s_cbranch_vccz .LBB11_37
; %bb.11:
	v_cmp_gt_i32_e64 s0, s8, v0
	v_dual_mov_b32 v13, 0 :: v_dual_bitop2_b32 v1, s2, v0 bitop3:0x54
	v_or_b32_e32 v10, 0x100, v0
	s_wait_xcnt 0x1
	v_dual_mov_b32 v6, 0 :: v_dual_mov_b32 v2, v0
	s_wait_xcnt 0x0
	s_and_saveexec_b32 s1, s0
	s_cbranch_execz .LBB11_13
; %bb.12:
	global_load_b32 v6, v1, s[6:7] scale_offset
	v_or_b32_e32 v2, 0x100, v0
.LBB11_13:
	s_wait_xcnt 0x0
	s_or_b32 exec_lo, exec_lo, s1
	s_delay_alu instid0(SALU_CYCLE_1) | instskip(NEXT) | instid1(VALU_DEP_1)
	s_mov_b32 s1, exec_lo
	v_cmpx_gt_i32_e64 s8, v2
	s_cbranch_execz .LBB11_15
; %bb.14:
	v_add_nc_u32_e32 v3, s2, v2
	v_add_nc_u32_e32 v2, 0x100, v2
	global_load_b32 v13, v3, s[6:7] scale_offset
.LBB11_15:
	s_wait_xcnt 0x0
	s_or_b32 exec_lo, exec_lo, s1
	v_dual_mov_b32 v11, 0 :: v_dual_mov_b32 v12, 0
	s_mov_b32 s1, exec_lo
	v_cmpx_gt_i32_e64 s8, v2
	s_cbranch_execz .LBB11_17
; %bb.16:
	v_add_nc_u32_e32 v3, s2, v2
	v_add_nc_u32_e32 v2, 0x100, v2
	global_load_b32 v12, v3, s[6:7] scale_offset
.LBB11_17:
	s_wait_xcnt 0x0
	s_or_b32 exec_lo, exec_lo, s1
	s_delay_alu instid0(SALU_CYCLE_1)
	s_mov_b32 s1, exec_lo
	v_cmpx_gt_i32_e64 s8, v2
	s_cbranch_execz .LBB11_19
; %bb.18:
	v_add_nc_u32_e32 v2, s2, v2
	global_load_b32 v11, v2, s[6:7] scale_offset
.LBB11_19:
	s_wait_xcnt 0x0
	s_or_b32 exec_lo, exec_lo, s1
	v_mov_b32_e32 v2, 0
	s_delay_alu instid0(VALU_DEP_1)
	v_dual_mov_b32 v3, v2 :: v_dual_mov_b32 v4, v2
	v_mov_b32_e32 v5, v2
	s_and_saveexec_b32 s1, s0
	s_cbranch_execz .LBB11_23
; %bb.20:
	s_wait_loadcnt 0x0
	v_mul_f32_e32 v2, s9, v6
	s_mov_b32 s3, exec_lo
	s_delay_alu instid0(VALU_DEP_1)
	v_cmpx_nlt_f32_e32 s10, v2
	s_cbranch_execz .LBB11_22
; %bb.21:
	v_mul_f32_e32 v3, 0x3fb8aa3b, v2
	v_cmp_ngt_f32_e32 vcc_lo, 0xc2ce8ed0, v2
	s_mov_b32 s6, 0x3e9b6dac
	s_delay_alu instid0(VALU_DEP_2) | instskip(SKIP_1) | instid1(VALU_DEP_2)
	v_rndne_f32_e32 v4, v3
	v_fma_f32 v5, 0x3fb8aa3b, v2, -v3
	v_sub_f32_e32 v3, v3, v4
	s_delay_alu instid0(VALU_DEP_2) | instskip(SKIP_1) | instid1(VALU_DEP_2)
	v_fmamk_f32 v5, v2, 0x32a5705f, v5
	v_cvt_i32_f32_e32 v4, v4
	v_add_f32_e32 v3, v3, v5
	s_delay_alu instid0(VALU_DEP_1) | instskip(SKIP_1) | instid1(TRANS32_DEP_1)
	v_exp_f32_e32 v3, v3
	v_nop
	v_ldexp_f32 v3, v3, v4
	s_delay_alu instid0(VALU_DEP_1) | instskip(SKIP_1) | instid1(VALU_DEP_2)
	v_cndmask_b32_e32 v3, 0, v3, vcc_lo
	v_cmp_nlt_f32_e32 vcc_lo, 0x42b17218, v2
	v_cndmask_b32_e32 v22, 0x7f800000, v3, vcc_lo
	s_delay_alu instid0(VALU_DEP_1) | instskip(NEXT) | instid1(VALU_DEP_1)
	v_add_f32_e32 v4, 1.0, v22
	v_cvt_f64_f32_e32 v[2:3], v4
	s_delay_alu instid0(VALU_DEP_1) | instskip(SKIP_1) | instid1(VALU_DEP_1)
	v_frexp_exp_i32_f64_e32 v2, v[2:3]
	v_frexp_mant_f32_e32 v3, v4
	v_cmp_gt_f32_e32 vcc_lo, 0x3f2aaaab, v3
	s_delay_alu instid0(VALU_DEP_3) | instskip(SKIP_1) | instid1(VALU_DEP_2)
	v_subrev_co_ci_u32_e64 v8, null, 0, v2, vcc_lo
	v_add_f32_e32 v2, -1.0, v4
	v_sub_nc_u32_e32 v3, 0, v8
	v_cmp_neq_f32_e32 vcc_lo, 0x7f800000, v22
	s_delay_alu instid0(VALU_DEP_3) | instskip(SKIP_1) | instid1(VALU_DEP_4)
	v_sub_f32_e32 v5, v2, v4
	v_sub_f32_e32 v2, v22, v2
	v_ldexp_f32 v4, v4, v3
	s_delay_alu instid0(VALU_DEP_1) | instskip(NEXT) | instid1(VALU_DEP_1)
	v_dual_add_f32 v5, 1.0, v5 :: v_dual_add_f32 v7, -1.0, v4
	v_dual_add_f32 v6, 1.0, v4 :: v_dual_add_f32 v2, v2, v5
	s_delay_alu instid0(VALU_DEP_1) | instskip(NEXT) | instid1(VALU_DEP_2)
	v_add_f32_e32 v5, -1.0, v6
	v_ldexp_f32 v2, v2, v3
	s_delay_alu instid0(VALU_DEP_2) | instskip(NEXT) | instid1(VALU_DEP_1)
	v_dual_sub_f32 v3, v4, v5 :: v_dual_add_f32 v5, 1.0, v7
	v_dual_add_f32 v9, v2, v3 :: v_dual_sub_f32 v3, v4, v5
	s_delay_alu instid0(VALU_DEP_1) | instskip(NEXT) | instid1(VALU_DEP_1)
	v_add_f32_e32 v15, v2, v3
	v_dual_add_f32 v14, v6, v9 :: v_dual_add_f32 v3, v7, v15
	s_delay_alu instid0(VALU_DEP_1) | instskip(NEXT) | instid1(VALU_DEP_1)
	v_rcp_f32_e32 v16, v14
	v_sub_f32_e32 v18, v7, v3
	s_delay_alu instid0(TRANS32_DEP_1) | instskip(NEXT) | instid1(VALU_DEP_1)
	v_mul_f32_e32 v17, v3, v16
	v_mul_f32_e32 v4, v14, v17
	s_delay_alu instid0(VALU_DEP_1) | instskip(NEXT) | instid1(VALU_DEP_1)
	v_dual_sub_f32 v2, v6, v14 :: v_dual_fma_f32 v6, v17, v14, -v4
	v_add_f32_e32 v9, v9, v2
	s_delay_alu instid0(VALU_DEP_1) | instskip(NEXT) | instid1(VALU_DEP_1)
	v_fmac_f32_e32 v6, v17, v9
	v_add_f32_e32 v2, v4, v6
	s_delay_alu instid0(VALU_DEP_1) | instskip(NEXT) | instid1(VALU_DEP_1)
	v_dual_sub_f32 v5, v3, v2 :: v_dual_mov_b32 v7, v2
	v_pk_add_f32 v[2:3], v[2:3], v[4:5] neg_lo:[0,1] neg_hi:[0,1]
	v_add_f32_e32 v4, v15, v18
	s_delay_alu instid0(VALU_DEP_2) | instskip(NEXT) | instid1(VALU_DEP_1)
	v_pk_add_f32 v[2:3], v[2:3], v[6:7] neg_lo:[0,1] neg_hi:[0,1]
	v_add_f32_e32 v3, v4, v3
	s_delay_alu instid0(VALU_DEP_1) | instskip(NEXT) | instid1(VALU_DEP_1)
	v_add_f32_e32 v15, v2, v3
	v_add_f32_e32 v3, v5, v15
	s_delay_alu instid0(VALU_DEP_1) | instskip(NEXT) | instid1(VALU_DEP_1)
	v_mul_f32_e32 v18, v16, v3
	v_mul_f32_e32 v6, v14, v18
	s_delay_alu instid0(VALU_DEP_1) | instskip(NEXT) | instid1(VALU_DEP_1)
	v_fma_f32 v4, v18, v14, -v6
	v_dual_fmac_f32 v4, v18, v9 :: v_dual_sub_f32 v9, v5, v3
	s_delay_alu instid0(VALU_DEP_1) | instskip(NEXT) | instid1(VALU_DEP_1)
	v_add_f32_e32 v2, v6, v4
	v_dual_sub_f32 v7, v3, v2 :: v_dual_mov_b32 v5, v2
	s_delay_alu instid0(VALU_DEP_1) | instskip(NEXT) | instid1(VALU_DEP_4)
	v_pk_add_f32 v[2:3], v[2:3], v[6:7] neg_lo:[0,1] neg_hi:[0,1]
	v_add_f32_e32 v6, v15, v9
	s_delay_alu instid0(VALU_DEP_2) | instskip(SKIP_1) | instid1(VALU_DEP_2)
	v_pk_add_f32 v[2:3], v[2:3], v[4:5] neg_lo:[0,1] neg_hi:[0,1]
	v_cvt_f32_i32_e32 v4, v8
	v_dual_add_f32 v3, v6, v3 :: v_dual_add_f32 v6, v17, v18
	s_delay_alu instid0(VALU_DEP_1) | instskip(NEXT) | instid1(VALU_DEP_1)
	v_add_f32_e32 v2, v2, v3
	v_dual_sub_f32 v3, v6, v17 :: v_dual_add_f32 v2, v7, v2
	s_delay_alu instid0(VALU_DEP_1) | instskip(NEXT) | instid1(VALU_DEP_1)
	v_dual_sub_f32 v3, v18, v3 :: v_dual_mul_f32 v2, v16, v2
	v_dual_add_f32 v9, v3, v2 :: v_dual_mov_b32 v2, 0x3f317218
	s_delay_alu instid0(VALU_DEP_1) | instskip(NEXT) | instid1(VALU_DEP_1)
	v_add_f32_e32 v7, v6, v9
	v_mul_f32_e32 v3, v7, v7
	s_delay_alu instid0(VALU_DEP_1) | instskip(NEXT) | instid1(VALU_DEP_1)
	v_dual_fmaak_f32 v14, s6, v3, 0x3ecc95a3 :: v_dual_mul_f32 v5, v7, v3
	v_fmaak_f32 v3, v3, v14, 0x3f2aaada
	s_delay_alu instid0(VALU_DEP_1) | instskip(SKIP_1) | instid1(VALU_DEP_2)
	v_pk_mul_f32 v[2:3], v[4:5], v[2:3]
	v_ldexp_f32 v5, v7, 1
	v_fma_f32 v8, 0x3f317218, v4, -v2
	s_delay_alu instid0(VALU_DEP_1) | instskip(SKIP_1) | instid1(VALU_DEP_2)
	v_fmamk_f32 v4, v4, 0xb102e308, v8
	v_sub_f32_e32 v8, v7, v6
	v_pk_add_f32 v[6:7], v[2:3], v[4:5]
	s_delay_alu instid0(VALU_DEP_1) | instskip(NEXT) | instid1(VALU_DEP_1)
	v_dual_sub_f32 v5, v7, v5 :: v_dual_sub_f32 v8, v9, v8
	v_sub_f32_e32 v5, v3, v5
	s_delay_alu instid0(VALU_DEP_2) | instskip(SKIP_2) | instid1(VALU_DEP_3)
	v_ldexp_f32 v9, v8, 1
	v_mov_b32_e32 v8, v2
	v_pk_add_f32 v[2:3], v[6:7], v[2:3] neg_lo:[0,1] neg_hi:[0,1]
	v_dual_add_f32 v9, v9, v5 :: v_dual_mov_b32 v5, v6
	s_delay_alu instid0(VALU_DEP_1) | instskip(NEXT) | instid1(VALU_DEP_1)
	v_pk_add_f32 v[14:15], v[6:7], v[8:9]
	v_dual_mov_b32 v20, v7 :: v_dual_mov_b32 v3, v15
	s_delay_alu instid0(VALU_DEP_1) | instskip(NEXT) | instid1(VALU_DEP_1)
	v_pk_add_f32 v[16:17], v[4:5], v[2:3]
	v_dual_mov_b32 v16, v15 :: v_dual_mov_b32 v8, v17
	v_pk_add_f32 v[2:3], v[4:5], v[2:3] neg_lo:[0,1] neg_hi:[0,1]
	v_mov_b32_e32 v3, v17
	s_delay_alu instid0(VALU_DEP_3) | instskip(SKIP_1) | instid1(VALU_DEP_2)
	v_pk_add_f32 v[18:19], v[8:9], v[6:7] neg_lo:[0,1] neg_hi:[0,1]
	v_dual_mov_b32 v7, v6 :: v_dual_mov_b32 v6, v9
	v_dual_mov_b32 v9, v18 :: v_dual_mov_b32 v21, v18
	s_delay_alu instid0(VALU_DEP_1) | instskip(NEXT) | instid1(VALU_DEP_2)
	v_pk_add_f32 v[14:15], v[14:15], v[8:9] neg_lo:[0,1] neg_hi:[0,1]
	v_pk_add_f32 v[4:5], v[16:17], v[20:21] neg_lo:[0,1] neg_hi:[0,1]
	v_mov_b32_e32 v14, v2
	s_delay_alu instid0(VALU_DEP_2) | instskip(NEXT) | instid1(VALU_DEP_1)
	v_pk_add_f32 v[4:5], v[6:7], v[4:5] neg_lo:[0,1] neg_hi:[0,1]
	v_pk_add_f32 v[6:7], v[14:15], v[4:5]
	s_delay_alu instid0(VALU_DEP_1) | instskip(NEXT) | instid1(VALU_DEP_1)
	v_mov_b32_e32 v14, v7
	v_pk_add_f32 v[14:15], v[6:7], v[14:15]
	s_delay_alu instid0(VALU_DEP_1) | instskip(NEXT) | instid1(VALU_DEP_1)
	v_pk_add_f32 v[8:9], v[8:9], v[14:15]
	v_mov_b32_e32 v7, v8
	s_delay_alu instid0(VALU_DEP_1) | instskip(NEXT) | instid1(VALU_DEP_1)
	v_pk_add_f32 v[16:17], v[6:7], v[2:3] neg_lo:[0,1] neg_hi:[0,1]
	v_sub_f32_e32 v3, v6, v16
	s_delay_alu instid0(VALU_DEP_1) | instskip(SKIP_1) | instid1(VALU_DEP_1)
	v_sub_f32_e32 v2, v2, v3
	v_mov_b32_e32 v5, v14
	v_pk_add_f32 v[4:5], v[4:5], v[16:17] neg_lo:[0,1] neg_hi:[0,1]
	s_delay_alu instid0(VALU_DEP_1) | instskip(NEXT) | instid1(VALU_DEP_1)
	v_add_f32_e32 v2, v4, v2
	v_add_f32_e32 v2, v2, v5
	s_delay_alu instid0(VALU_DEP_1) | instskip(NEXT) | instid1(VALU_DEP_1)
	v_add_f32_e32 v2, v8, v2
	v_cndmask_b32_e32 v2, 0x7f800000, v2, vcc_lo
	v_cmp_gt_f32_e64 vcc_lo, 0x33800000, |v22|
	s_delay_alu instid0(VALU_DEP_2) | instskip(NEXT) | instid1(VALU_DEP_1)
	v_cndmask_b32_e32 v2, v2, v22, vcc_lo
	v_div_scale_f32 v3, null, s9, s9, v2
	s_delay_alu instid0(VALU_DEP_1) | instskip(SKIP_1) | instid1(TRANS32_DEP_1)
	v_rcp_f32_e32 v4, v3
	v_nop
	v_fma_f32 v5, -v3, v4, 1.0
	s_delay_alu instid0(VALU_DEP_1) | instskip(SKIP_1) | instid1(VALU_DEP_1)
	v_fmac_f32_e32 v4, v5, v4
	v_div_scale_f32 v5, vcc_lo, v2, s9, v2
	v_mul_f32_e32 v6, v5, v4
	s_delay_alu instid0(VALU_DEP_1) | instskip(NEXT) | instid1(VALU_DEP_1)
	v_fma_f32 v7, -v3, v6, v5
	v_fmac_f32_e32 v6, v7, v4
	s_delay_alu instid0(VALU_DEP_1) | instskip(NEXT) | instid1(VALU_DEP_1)
	v_fma_f32 v3, -v3, v6, v5
	v_div_fmas_f32 v3, v3, v4, v6
	s_delay_alu instid0(VALU_DEP_1)
	v_div_fixup_f32 v6, v3, s9, v2
.LBB11_22:
	s_or_b32 exec_lo, exec_lo, s3
	v_mov_b32_e32 v7, 0
	s_delay_alu instid0(VALU_DEP_1) | instskip(NEXT) | instid1(VALU_DEP_3)
	v_dual_mov_b32 v8, v7 :: v_dual_mov_b32 v9, v7
	v_mov_b64_e32 v[2:3], v[6:7]
	s_delay_alu instid0(VALU_DEP_2)
	v_mov_b64_e32 v[4:5], v[8:9]
.LBB11_23:
	s_or_b32 exec_lo, exec_lo, s1
	s_delay_alu instid0(SALU_CYCLE_1)
	s_mov_b32 s1, exec_lo
	v_cmpx_gt_i32_e64 s8, v10
	s_cbranch_execz .LBB11_27
; %bb.24:
	s_wait_loadcnt 0x0
	v_mul_f32_e32 v3, s9, v13
	s_mov_b32 s3, exec_lo
	s_delay_alu instid0(VALU_DEP_1)
	v_cmpx_nlt_f32_e32 s10, v3
	s_cbranch_execz .LBB11_26
; %bb.25:
	v_mul_f32_e32 v6, 0x3fb8aa3b, v3
	v_cmp_ngt_f32_e32 vcc_lo, 0xc2ce8ed0, v3
	s_mov_b32 s6, 0x3e9b6dac
	s_delay_alu instid0(VALU_DEP_2) | instskip(SKIP_1) | instid1(VALU_DEP_2)
	v_rndne_f32_e32 v7, v6
	v_fma_f32 v8, 0x3fb8aa3b, v3, -v6
	v_sub_f32_e32 v6, v6, v7
	s_delay_alu instid0(VALU_DEP_2) | instskip(SKIP_1) | instid1(VALU_DEP_2)
	v_fmamk_f32 v8, v3, 0x32a5705f, v8
	v_cvt_i32_f32_e32 v7, v7
	v_add_f32_e32 v6, v6, v8
	s_delay_alu instid0(VALU_DEP_1) | instskip(SKIP_1) | instid1(TRANS32_DEP_1)
	v_exp_f32_e32 v6, v6
	v_nop
	v_ldexp_f32 v6, v6, v7
	s_delay_alu instid0(VALU_DEP_1) | instskip(SKIP_1) | instid1(VALU_DEP_2)
	v_cndmask_b32_e32 v6, 0, v6, vcc_lo
	v_cmp_nlt_f32_e32 vcc_lo, 0x42b17218, v3
	v_cndmask_b32_e32 v13, 0x7f800000, v6, vcc_lo
	s_delay_alu instid0(VALU_DEP_1) | instskip(NEXT) | instid1(VALU_DEP_1)
	v_add_f32_e32 v3, 1.0, v13
	v_cvt_f64_f32_e32 v[6:7], v3
	s_delay_alu instid0(VALU_DEP_1) | instskip(SKIP_1) | instid1(VALU_DEP_1)
	v_frexp_exp_i32_f64_e32 v6, v[6:7]
	v_frexp_mant_f32_e32 v7, v3
	v_cmp_gt_f32_e32 vcc_lo, 0x3f2aaaab, v7
	s_delay_alu instid0(VALU_DEP_3) | instskip(SKIP_2) | instid1(VALU_DEP_2)
	v_subrev_co_ci_u32_e64 v16, null, 0, v6, vcc_lo
	v_add_f32_e32 v6, -1.0, v3
	v_cmp_neq_f32_e32 vcc_lo, 0x7f800000, v13
	v_dual_sub_f32 v8, v6, v3 :: v_dual_sub_nc_u32 v7, 0, v16
	v_sub_f32_e32 v6, v13, v6
	s_delay_alu instid0(VALU_DEP_2) | instskip(NEXT) | instid1(VALU_DEP_1)
	v_ldexp_f32 v3, v3, v7
	v_dual_add_f32 v8, 1.0, v8 :: v_dual_add_f32 v9, 1.0, v3
	s_delay_alu instid0(VALU_DEP_1) | instskip(NEXT) | instid1(VALU_DEP_2)
	v_dual_add_f32 v15, -1.0, v3 :: v_dual_add_f32 v6, v6, v8
	v_add_f32_e32 v8, -1.0, v9
	s_delay_alu instid0(VALU_DEP_2) | instskip(NEXT) | instid1(VALU_DEP_2)
	v_ldexp_f32 v6, v6, v7
	v_dual_sub_f32 v7, v3, v8 :: v_dual_add_f32 v8, 1.0, v15
	s_delay_alu instid0(VALU_DEP_1) | instskip(NEXT) | instid1(VALU_DEP_1)
	v_dual_add_f32 v14, v6, v7 :: v_dual_sub_f32 v3, v3, v8
	v_dual_add_f32 v17, v9, v14 :: v_dual_add_f32 v3, v6, v3
	s_delay_alu instid0(VALU_DEP_1) | instskip(NEXT) | instid1(VALU_DEP_1)
	v_rcp_f32_e32 v18, v17
	v_dual_add_f32 v7, v15, v3 :: v_dual_sub_f32 v6, v9, v17
	s_delay_alu instid0(VALU_DEP_1) | instskip(NEXT) | instid1(TRANS32_DEP_1)
	v_sub_f32_e32 v21, v15, v7
	v_mul_f32_e32 v19, v7, v18
	s_delay_alu instid0(VALU_DEP_2) | instskip(NEXT) | instid1(VALU_DEP_2)
	v_dual_add_f32 v20, v14, v6 :: v_dual_add_f32 v3, v3, v21
	v_mul_f32_e32 v8, v17, v19
	s_delay_alu instid0(VALU_DEP_1) | instskip(NEXT) | instid1(VALU_DEP_1)
	v_fma_f32 v14, v19, v17, -v8
	v_fmac_f32_e32 v14, v19, v20
	s_delay_alu instid0(VALU_DEP_1) | instskip(NEXT) | instid1(VALU_DEP_1)
	v_add_f32_e32 v6, v8, v14
	v_dual_sub_f32 v9, v7, v6 :: v_dual_mov_b32 v15, v6
	s_delay_alu instid0(VALU_DEP_1) | instskip(NEXT) | instid1(VALU_DEP_1)
	v_pk_add_f32 v[6:7], v[6:7], v[8:9] neg_lo:[0,1] neg_hi:[0,1]
	v_pk_add_f32 v[6:7], v[6:7], v[14:15] neg_lo:[0,1] neg_hi:[0,1]
	s_delay_alu instid0(VALU_DEP_1) | instskip(NEXT) | instid1(VALU_DEP_1)
	v_add_f32_e32 v3, v3, v7
	v_add_f32_e32 v3, v6, v3
	s_delay_alu instid0(VALU_DEP_1) | instskip(NEXT) | instid1(VALU_DEP_1)
	v_add_f32_e32 v7, v9, v3
	v_mul_f32_e32 v21, v18, v7
	s_delay_alu instid0(VALU_DEP_1) | instskip(NEXT) | instid1(VALU_DEP_1)
	v_mul_f32_e32 v14, v17, v21
	v_fma_f32 v8, v21, v17, -v14
	v_sub_f32_e32 v17, v9, v7
	s_delay_alu instid0(VALU_DEP_1) | instskip(NEXT) | instid1(VALU_DEP_1)
	v_dual_fmac_f32 v8, v21, v20 :: v_dual_add_f32 v3, v3, v17
	v_add_f32_e32 v6, v14, v8
	s_delay_alu instid0(VALU_DEP_1) | instskip(NEXT) | instid1(VALU_DEP_1)
	v_dual_sub_f32 v15, v7, v6 :: v_dual_mov_b32 v9, v6
	v_pk_add_f32 v[6:7], v[6:7], v[14:15] neg_lo:[0,1] neg_hi:[0,1]
	s_delay_alu instid0(VALU_DEP_1) | instskip(SKIP_1) | instid1(VALU_DEP_2)
	v_pk_add_f32 v[6:7], v[6:7], v[8:9] neg_lo:[0,1] neg_hi:[0,1]
	v_cvt_f32_i32_e32 v8, v16
	v_add_f32_e32 v3, v3, v7
	s_delay_alu instid0(VALU_DEP_1) | instskip(NEXT) | instid1(VALU_DEP_1)
	v_dual_add_f32 v14, v19, v21 :: v_dual_add_f32 v3, v6, v3
	v_sub_f32_e32 v6, v14, v19
	s_delay_alu instid0(VALU_DEP_1) | instskip(NEXT) | instid1(VALU_DEP_1)
	v_dual_add_f32 v3, v15, v3 :: v_dual_sub_f32 v6, v21, v6
	v_mul_f32_e32 v3, v18, v3
	s_delay_alu instid0(VALU_DEP_1) | instskip(NEXT) | instid1(VALU_DEP_1)
	v_dual_add_f32 v3, v6, v3 :: v_dual_mov_b32 v6, 0x3f317218
	v_add_f32_e32 v15, v14, v3
	s_delay_alu instid0(VALU_DEP_1) | instskip(NEXT) | instid1(VALU_DEP_1)
	v_mul_f32_e32 v7, v15, v15
	v_fmaak_f32 v17, s6, v7, 0x3ecc95a3
	v_mul_f32_e32 v9, v15, v7
	s_delay_alu instid0(VALU_DEP_2) | instskip(NEXT) | instid1(VALU_DEP_1)
	v_fmaak_f32 v7, v7, v17, 0x3f2aaada
	v_pk_mul_f32 v[6:7], v[8:9], v[6:7]
	s_delay_alu instid0(VALU_DEP_1) | instskip(NEXT) | instid1(VALU_DEP_1)
	v_fma_f32 v16, 0x3f317218, v8, -v6
	v_fmamk_f32 v8, v8, 0xb102e308, v16
	v_sub_f32_e32 v16, v15, v14
	s_delay_alu instid0(VALU_DEP_1) | instskip(SKIP_2) | instid1(VALU_DEP_3)
	v_sub_f32_e32 v3, v3, v16
	v_ldexp_f32 v9, v15, 1
	v_mov_b32_e32 v16, v6
	v_ldexp_f32 v3, v3, 1
	s_delay_alu instid0(VALU_DEP_3) | instskip(NEXT) | instid1(VALU_DEP_1)
	v_pk_add_f32 v[14:15], v[6:7], v[8:9]
	v_dual_sub_f32 v9, v15, v9 :: v_dual_mov_b32 v24, v15
	s_delay_alu instid0(VALU_DEP_1) | instskip(NEXT) | instid1(VALU_DEP_3)
	v_sub_f32_e32 v9, v7, v9
	v_pk_add_f32 v[6:7], v[14:15], v[6:7] neg_lo:[0,1] neg_hi:[0,1]
	s_delay_alu instid0(VALU_DEP_2) | instskip(NEXT) | instid1(VALU_DEP_1)
	v_dual_add_f32 v17, v3, v9 :: v_dual_mov_b32 v9, v14
	v_pk_add_f32 v[18:19], v[14:15], v[16:17]
	s_delay_alu instid0(VALU_DEP_1) | instskip(NEXT) | instid1(VALU_DEP_1)
	v_mov_b32_e32 v7, v19
	v_pk_add_f32 v[20:21], v[8:9], v[6:7]
	v_mov_b32_e32 v20, v19
	v_pk_add_f32 v[6:7], v[8:9], v[6:7] neg_lo:[0,1] neg_hi:[0,1]
	s_delay_alu instid0(VALU_DEP_3) | instskip(NEXT) | instid1(VALU_DEP_1)
	v_dual_mov_b32 v16, v21 :: v_dual_mov_b32 v7, v21
	v_pk_add_f32 v[22:23], v[16:17], v[14:15] neg_lo:[0,1] neg_hi:[0,1]
	v_dual_mov_b32 v15, v14 :: v_dual_mov_b32 v14, v17
	s_delay_alu instid0(VALU_DEP_2) | instskip(NEXT) | instid1(VALU_DEP_1)
	v_dual_mov_b32 v3, v22 :: v_dual_mov_b32 v25, v22
	v_pk_add_f32 v[18:19], v[18:19], v[2:3] neg_lo:[0,1] neg_hi:[0,1]
	s_delay_alu instid0(VALU_DEP_2) | instskip(SKIP_1) | instid1(VALU_DEP_2)
	v_pk_add_f32 v[8:9], v[20:21], v[24:25] neg_lo:[0,1] neg_hi:[0,1]
	v_mov_b32_e32 v18, v6
	v_pk_add_f32 v[8:9], v[14:15], v[8:9] neg_lo:[0,1] neg_hi:[0,1]
	s_delay_alu instid0(VALU_DEP_1) | instskip(NEXT) | instid1(VALU_DEP_1)
	v_pk_add_f32 v[14:15], v[18:19], v[8:9]
	v_mov_b32_e32 v18, v15
	s_delay_alu instid0(VALU_DEP_1) | instskip(NEXT) | instid1(VALU_DEP_1)
	v_pk_add_f32 v[18:19], v[14:15], v[18:19]
	v_pk_add_f32 v[16:17], v[16:17], v[18:19]
	s_delay_alu instid0(VALU_DEP_1) | instskip(NEXT) | instid1(VALU_DEP_1)
	v_mov_b32_e32 v15, v16
	v_pk_add_f32 v[20:21], v[14:15], v[6:7] neg_lo:[0,1] neg_hi:[0,1]
	s_delay_alu instid0(VALU_DEP_1) | instskip(NEXT) | instid1(VALU_DEP_1)
	v_sub_f32_e32 v3, v14, v20
	v_sub_f32_e32 v3, v6, v3
	v_mov_b32_e32 v9, v18
	s_delay_alu instid0(VALU_DEP_1) | instskip(NEXT) | instid1(VALU_DEP_1)
	v_pk_add_f32 v[8:9], v[8:9], v[20:21] neg_lo:[0,1] neg_hi:[0,1]
	v_add_f32_e32 v3, v8, v3
	s_delay_alu instid0(VALU_DEP_1) | instskip(NEXT) | instid1(VALU_DEP_1)
	v_add_f32_e32 v3, v3, v9
	v_add_f32_e32 v3, v16, v3
	s_delay_alu instid0(VALU_DEP_1) | instskip(SKIP_1) | instid1(VALU_DEP_2)
	v_cndmask_b32_e32 v3, 0x7f800000, v3, vcc_lo
	v_cmp_gt_f32_e64 vcc_lo, 0x33800000, |v13|
	v_cndmask_b32_e32 v3, v3, v13, vcc_lo
	s_delay_alu instid0(VALU_DEP_1) | instskip(NEXT) | instid1(VALU_DEP_1)
	v_div_scale_f32 v6, null, s9, s9, v3
	v_rcp_f32_e32 v7, v6
	v_nop
	s_delay_alu instid0(TRANS32_DEP_1) | instskip(NEXT) | instid1(VALU_DEP_1)
	v_fma_f32 v8, -v6, v7, 1.0
	v_fmac_f32_e32 v7, v8, v7
	v_div_scale_f32 v8, vcc_lo, v3, s9, v3
	s_delay_alu instid0(VALU_DEP_1) | instskip(NEXT) | instid1(VALU_DEP_1)
	v_mul_f32_e32 v9, v8, v7
	v_fma_f32 v13, -v6, v9, v8
	s_delay_alu instid0(VALU_DEP_1) | instskip(NEXT) | instid1(VALU_DEP_1)
	v_fmac_f32_e32 v9, v13, v7
	v_fma_f32 v6, -v6, v9, v8
	s_delay_alu instid0(VALU_DEP_1) | instskip(NEXT) | instid1(VALU_DEP_1)
	v_div_fmas_f32 v6, v6, v7, v9
	v_div_fixup_f32 v13, v6, s9, v3
.LBB11_26:
	s_or_b32 exec_lo, exec_lo, s3
	s_delay_alu instid0(VALU_DEP_1)
	v_mov_b32_e32 v3, v13
.LBB11_27:
	s_or_b32 exec_lo, exec_lo, s1
	s_wait_loadcnt 0x0
	v_or_b32_e32 v6, 0x200, v0
	s_mov_b32 s1, exec_lo
	s_delay_alu instid0(VALU_DEP_1)
	v_cmpx_gt_i32_e64 s8, v6
	s_cbranch_execz .LBB11_31
; %bb.28:
	v_mul_f32_e32 v4, s9, v12
	s_mov_b32 s3, exec_lo
	s_delay_alu instid0(VALU_DEP_1)
	v_cmpx_nlt_f32_e32 s10, v4
	s_cbranch_execz .LBB11_30
; %bb.29:
	v_mul_f32_e32 v6, 0x3fb8aa3b, v4
	v_cmp_ngt_f32_e32 vcc_lo, 0xc2ce8ed0, v4
	s_mov_b32 s6, 0x3e9b6dac
	s_delay_alu instid0(VALU_DEP_2) | instskip(SKIP_1) | instid1(VALU_DEP_2)
	v_rndne_f32_e32 v7, v6
	v_fma_f32 v8, 0x3fb8aa3b, v4, -v6
	v_sub_f32_e32 v6, v6, v7
	s_delay_alu instid0(VALU_DEP_2) | instskip(SKIP_1) | instid1(VALU_DEP_2)
	v_fmamk_f32 v8, v4, 0x32a5705f, v8
	v_cvt_i32_f32_e32 v7, v7
	v_add_f32_e32 v6, v6, v8
	s_delay_alu instid0(VALU_DEP_1) | instskip(SKIP_1) | instid1(TRANS32_DEP_1)
	v_exp_f32_e32 v6, v6
	v_nop
	v_ldexp_f32 v6, v6, v7
	s_delay_alu instid0(VALU_DEP_1) | instskip(SKIP_1) | instid1(VALU_DEP_2)
	v_cndmask_b32_e32 v6, 0, v6, vcc_lo
	v_cmp_nlt_f32_e32 vcc_lo, 0x42b17218, v4
	v_cndmask_b32_e32 v24, 0x7f800000, v6, vcc_lo
	s_delay_alu instid0(VALU_DEP_1) | instskip(NEXT) | instid1(VALU_DEP_1)
	v_add_f32_e32 v4, 1.0, v24
	v_cvt_f64_f32_e32 v[6:7], v4
	s_delay_alu instid0(VALU_DEP_1) | instskip(SKIP_1) | instid1(VALU_DEP_1)
	v_frexp_exp_i32_f64_e32 v6, v[6:7]
	v_frexp_mant_f32_e32 v7, v4
	v_cmp_gt_f32_e32 vcc_lo, 0x3f2aaaab, v7
	s_delay_alu instid0(VALU_DEP_3) | instskip(NEXT) | instid1(VALU_DEP_1)
	v_subrev_co_ci_u32_e64 v14, null, 0, v6, vcc_lo
	v_dual_add_f32 v6, -1.0, v4 :: v_dual_sub_nc_u32 v7, 0, v14
	s_delay_alu instid0(VALU_DEP_1) | instskip(NEXT) | instid1(VALU_DEP_2)
	v_sub_f32_e32 v8, v6, v4
	v_ldexp_f32 v4, v4, v7
	s_delay_alu instid0(VALU_DEP_1) | instskip(NEXT) | instid1(VALU_DEP_3)
	v_dual_add_f32 v9, 1.0, v4 :: v_dual_add_f32 v13, -1.0, v4
	v_dual_sub_f32 v6, v24, v6 :: v_dual_add_f32 v8, 1.0, v8
	v_cmp_neq_f32_e32 vcc_lo, 0x7f800000, v24
	s_delay_alu instid0(VALU_DEP_2) | instskip(NEXT) | instid1(VALU_DEP_1)
	v_dual_add_f32 v6, v6, v8 :: v_dual_add_f32 v8, -1.0, v9
	v_ldexp_f32 v6, v6, v7
	s_delay_alu instid0(VALU_DEP_2) | instskip(NEXT) | instid1(VALU_DEP_1)
	v_dual_sub_f32 v7, v4, v8 :: v_dual_add_f32 v8, 1.0, v13
	v_dual_add_f32 v12, v6, v7 :: v_dual_sub_f32 v4, v4, v8
	s_delay_alu instid0(VALU_DEP_1) | instskip(NEXT) | instid1(VALU_DEP_1)
	v_add_f32_e32 v15, v9, v12
	v_dual_add_f32 v4, v6, v4 :: v_dual_sub_f32 v6, v9, v15
	s_delay_alu instid0(VALU_DEP_1) | instskip(SKIP_1) | instid1(VALU_DEP_2)
	v_add_f32_e32 v18, v12, v6
	v_rcp_f32_e32 v16, v15
	v_add_f32_e32 v7, v13, v4
	s_delay_alu instid0(TRANS32_DEP_1) | instid1(VALU_DEP_1)
	v_mul_f32_e32 v17, v7, v16
	s_delay_alu instid0(VALU_DEP_1) | instskip(NEXT) | instid1(VALU_DEP_1)
	v_dual_mul_f32 v8, v15, v17 :: v_dual_sub_f32 v19, v13, v7
	v_fma_f32 v12, v17, v15, -v8
	s_delay_alu instid0(VALU_DEP_1) | instskip(NEXT) | instid1(VALU_DEP_1)
	v_dual_add_f32 v4, v4, v19 :: v_dual_fmac_f32 v12, v17, v18
	v_add_f32_e32 v6, v8, v12
	s_delay_alu instid0(VALU_DEP_1) | instskip(NEXT) | instid1(VALU_DEP_1)
	v_dual_sub_f32 v9, v7, v6 :: v_dual_mov_b32 v13, v6
	v_pk_add_f32 v[6:7], v[6:7], v[8:9] neg_lo:[0,1] neg_hi:[0,1]
	s_delay_alu instid0(VALU_DEP_1) | instskip(NEXT) | instid1(VALU_DEP_1)
	v_pk_add_f32 v[6:7], v[6:7], v[12:13] neg_lo:[0,1] neg_hi:[0,1]
	v_add_f32_e32 v4, v4, v7
	s_delay_alu instid0(VALU_DEP_1) | instskip(NEXT) | instid1(VALU_DEP_1)
	v_add_f32_e32 v4, v6, v4
	v_add_f32_e32 v7, v9, v4
	s_delay_alu instid0(VALU_DEP_1) | instskip(NEXT) | instid1(VALU_DEP_1)
	v_mul_f32_e32 v19, v16, v7
	v_mul_f32_e32 v12, v15, v19
	s_delay_alu instid0(VALU_DEP_1) | instskip(NEXT) | instid1(VALU_DEP_1)
	v_fma_f32 v8, v19, v15, -v12
	v_dual_sub_f32 v15, v9, v7 :: v_dual_fmac_f32 v8, v19, v18
	s_delay_alu instid0(VALU_DEP_1) | instskip(NEXT) | instid1(VALU_DEP_2)
	v_add_f32_e32 v4, v4, v15
	v_add_f32_e32 v6, v12, v8
	s_delay_alu instid0(VALU_DEP_1) | instskip(NEXT) | instid1(VALU_DEP_1)
	v_dual_sub_f32 v13, v7, v6 :: v_dual_mov_b32 v9, v6
	v_pk_add_f32 v[6:7], v[6:7], v[12:13] neg_lo:[0,1] neg_hi:[0,1]
	v_add_f32_e32 v12, v17, v19
	s_delay_alu instid0(VALU_DEP_2) | instskip(SKIP_1) | instid1(VALU_DEP_2)
	v_pk_add_f32 v[6:7], v[6:7], v[8:9] neg_lo:[0,1] neg_hi:[0,1]
	v_cvt_f32_i32_e32 v8, v14
	v_add_f32_e32 v4, v4, v7
	s_delay_alu instid0(VALU_DEP_1) | instskip(NEXT) | instid1(VALU_DEP_1)
	v_dual_add_f32 v4, v6, v4 :: v_dual_sub_f32 v6, v12, v17
	v_dual_add_f32 v4, v13, v4 :: v_dual_sub_f32 v6, v19, v6
	s_delay_alu instid0(VALU_DEP_1) | instskip(NEXT) | instid1(VALU_DEP_1)
	v_mul_f32_e32 v4, v16, v4
	v_add_f32_e32 v4, v6, v4
	s_delay_alu instid0(VALU_DEP_1) | instskip(NEXT) | instid1(VALU_DEP_1)
	v_dual_mov_b32 v6, 0x3f317218 :: v_dual_add_f32 v13, v12, v4
	v_mul_f32_e32 v7, v13, v13
	s_delay_alu instid0(VALU_DEP_1) | instskip(SKIP_1) | instid1(VALU_DEP_2)
	v_fmaak_f32 v15, s6, v7, 0x3ecc95a3
	v_mul_f32_e32 v9, v13, v7
	v_fmaak_f32 v7, v7, v15, 0x3f2aaada
	s_delay_alu instid0(VALU_DEP_1) | instskip(SKIP_1) | instid1(VALU_DEP_2)
	v_pk_mul_f32 v[6:7], v[8:9], v[6:7]
	v_ldexp_f32 v9, v13, 1
	v_fma_f32 v14, 0x3f317218, v8, -v6
	s_delay_alu instid0(VALU_DEP_1) | instskip(SKIP_1) | instid1(VALU_DEP_2)
	v_fmamk_f32 v8, v8, 0xb102e308, v14
	v_sub_f32_e32 v14, v13, v12
	v_pk_add_f32 v[12:13], v[6:7], v[8:9]
	s_delay_alu instid0(VALU_DEP_1) | instskip(NEXT) | instid1(VALU_DEP_1)
	v_sub_f32_e32 v9, v13, v9
	v_dual_sub_f32 v9, v7, v9 :: v_dual_sub_f32 v4, v4, v14
	v_mov_b32_e32 v14, v6
	s_delay_alu instid0(VALU_DEP_4) | instskip(NEXT) | instid1(VALU_DEP_3)
	v_pk_add_f32 v[6:7], v[12:13], v[6:7] neg_lo:[0,1] neg_hi:[0,1]
	v_ldexp_f32 v4, v4, 1
	s_delay_alu instid0(VALU_DEP_1) | instskip(SKIP_1) | instid1(VALU_DEP_2)
	v_add_f32_e32 v15, v4, v9
	v_mov_b32_e32 v9, v12
	v_pk_add_f32 v[16:17], v[12:13], v[14:15]
	s_delay_alu instid0(VALU_DEP_1) | instskip(NEXT) | instid1(VALU_DEP_1)
	v_dual_mov_b32 v22, v13 :: v_dual_mov_b32 v7, v17
	v_pk_add_f32 v[18:19], v[8:9], v[6:7]
	s_delay_alu instid0(VALU_DEP_1) | instskip(SKIP_2) | instid1(VALU_DEP_3)
	v_dual_mov_b32 v18, v17 :: v_dual_mov_b32 v4, v19
	v_pk_add_f32 v[6:7], v[8:9], v[6:7] neg_lo:[0,1] neg_hi:[0,1]
	v_mov_b32_e32 v7, v19
	v_pk_add_f32 v[20:21], v[4:5], v[12:13] neg_lo:[0,1] neg_hi:[0,1]
	v_dual_mov_b32 v13, v12 :: v_dual_mov_b32 v12, v15
	s_delay_alu instid0(VALU_DEP_2) | instskip(NEXT) | instid1(VALU_DEP_1)
	v_dual_mov_b32 v15, v20 :: v_dual_mov_b32 v23, v20
	v_pk_add_f32 v[14:15], v[16:17], v[14:15] neg_lo:[0,1] neg_hi:[0,1]
	s_delay_alu instid0(VALU_DEP_2) | instskip(SKIP_1) | instid1(VALU_DEP_2)
	v_pk_add_f32 v[8:9], v[18:19], v[22:23] neg_lo:[0,1] neg_hi:[0,1]
	v_mov_b32_e32 v14, v6
	v_pk_add_f32 v[8:9], v[12:13], v[8:9] neg_lo:[0,1] neg_hi:[0,1]
	s_delay_alu instid0(VALU_DEP_1) | instskip(NEXT) | instid1(VALU_DEP_1)
	v_pk_add_f32 v[12:13], v[14:15], v[8:9]
	v_mov_b32_e32 v14, v13
	s_delay_alu instid0(VALU_DEP_1) | instskip(NEXT) | instid1(VALU_DEP_1)
	v_pk_add_f32 v[14:15], v[12:13], v[14:15]
	v_pk_add_f32 v[16:17], v[4:5], v[14:15]
	s_delay_alu instid0(VALU_DEP_1) | instskip(NEXT) | instid1(VALU_DEP_1)
	v_mov_b32_e32 v13, v16
	v_pk_add_f32 v[18:19], v[12:13], v[6:7] neg_lo:[0,1] neg_hi:[0,1]
	s_delay_alu instid0(VALU_DEP_1) | instskip(NEXT) | instid1(VALU_DEP_1)
	v_dual_mov_b32 v9, v14 :: v_dual_sub_f32 v4, v12, v18
	v_pk_add_f32 v[8:9], v[8:9], v[18:19] neg_lo:[0,1] neg_hi:[0,1]
	s_delay_alu instid0(VALU_DEP_2) | instskip(NEXT) | instid1(VALU_DEP_1)
	v_sub_f32_e32 v4, v6, v4
	v_add_f32_e32 v4, v8, v4
	s_delay_alu instid0(VALU_DEP_1) | instskip(NEXT) | instid1(VALU_DEP_1)
	v_add_f32_e32 v4, v4, v9
	v_add_f32_e32 v4, v16, v4
	s_delay_alu instid0(VALU_DEP_1) | instskip(SKIP_1) | instid1(VALU_DEP_2)
	v_cndmask_b32_e32 v4, 0x7f800000, v4, vcc_lo
	v_cmp_gt_f32_e64 vcc_lo, 0x33800000, |v24|
	v_cndmask_b32_e32 v4, v4, v24, vcc_lo
	s_delay_alu instid0(VALU_DEP_1) | instskip(NEXT) | instid1(VALU_DEP_1)
	v_div_scale_f32 v6, null, s9, s9, v4
	v_rcp_f32_e32 v7, v6
	v_nop
	s_delay_alu instid0(TRANS32_DEP_1) | instskip(NEXT) | instid1(VALU_DEP_1)
	v_fma_f32 v8, -v6, v7, 1.0
	v_fmac_f32_e32 v7, v8, v7
	v_div_scale_f32 v8, vcc_lo, v4, s9, v4
	s_delay_alu instid0(VALU_DEP_1) | instskip(NEXT) | instid1(VALU_DEP_1)
	v_mul_f32_e32 v9, v8, v7
	v_fma_f32 v12, -v6, v9, v8
	s_delay_alu instid0(VALU_DEP_1) | instskip(NEXT) | instid1(VALU_DEP_1)
	v_fmac_f32_e32 v9, v12, v7
	v_fma_f32 v6, -v6, v9, v8
	s_delay_alu instid0(VALU_DEP_1) | instskip(NEXT) | instid1(VALU_DEP_1)
	v_div_fmas_f32 v6, v6, v7, v9
	v_div_fixup_f32 v12, v6, s9, v4
.LBB11_30:
	s_or_b32 exec_lo, exec_lo, s3
	s_delay_alu instid0(VALU_DEP_1)
	v_mov_b32_e32 v4, v12
.LBB11_31:
	s_or_b32 exec_lo, exec_lo, s1
	v_or_b32_e32 v6, 0x300, v0
	s_mov_b32 s1, exec_lo
	s_delay_alu instid0(VALU_DEP_1)
	v_cmpx_gt_i32_e64 s8, v6
	s_cbranch_execnz .LBB11_38
; %bb.32:
	s_or_b32 exec_lo, exec_lo, s1
	s_and_saveexec_b32 s1, s0
	s_delay_alu instid0(SALU_CYCLE_1)
	s_xor_b32 s0, exec_lo, s1
	s_cbranch_execnz .LBB11_41
.LBB11_33:
	s_or_b32 exec_lo, exec_lo, s0
	s_delay_alu instid0(SALU_CYCLE_1)
	s_mov_b32 s0, exec_lo
	v_cmpx_gt_i32_e64 s8, v0
	s_cbranch_execnz .LBB11_42
.LBB11_34:
	s_or_b32 exec_lo, exec_lo, s0
	s_delay_alu instid0(SALU_CYCLE_1)
	s_mov_b32 s0, exec_lo
	v_cmpx_gt_i32_e64 s8, v0
	s_cbranch_execnz .LBB11_43
.LBB11_35:
	s_or_b32 exec_lo, exec_lo, s0
	s_delay_alu instid0(SALU_CYCLE_1)
	s_mov_b32 s0, exec_lo
	v_cmpx_gt_i32_e64 s8, v0
	s_cbranch_execz .LBB11_37
.LBB11_36:
	v_add_nc_u32_e32 v0, s2, v0
	global_store_b32 v0, v5, s[4:5] scale_offset
.LBB11_37:
	s_endpgm
.LBB11_38:
	v_mul_f32_e32 v5, s9, v11
	s_mov_b32 s3, exec_lo
	s_delay_alu instid0(VALU_DEP_1)
	v_cmpx_nlt_f32_e32 s10, v5
	s_cbranch_execz .LBB11_40
; %bb.39:
	v_mul_f32_e32 v6, 0x3fb8aa3b, v5
	v_cmp_ngt_f32_e32 vcc_lo, 0xc2ce8ed0, v5
	s_mov_b32 s6, 0x3e9b6dac
	s_delay_alu instid0(VALU_DEP_2) | instskip(SKIP_1) | instid1(VALU_DEP_2)
	v_rndne_f32_e32 v7, v6
	v_fma_f32 v8, 0x3fb8aa3b, v5, -v6
	v_sub_f32_e32 v6, v6, v7
	s_delay_alu instid0(VALU_DEP_2) | instskip(SKIP_1) | instid1(VALU_DEP_2)
	v_fmamk_f32 v8, v5, 0x32a5705f, v8
	v_cvt_i32_f32_e32 v7, v7
	v_add_f32_e32 v6, v6, v8
	s_delay_alu instid0(VALU_DEP_1) | instskip(SKIP_1) | instid1(TRANS32_DEP_1)
	v_exp_f32_e32 v6, v6
	v_nop
	v_ldexp_f32 v6, v6, v7
	s_delay_alu instid0(VALU_DEP_1) | instskip(SKIP_1) | instid1(VALU_DEP_2)
	v_cndmask_b32_e32 v6, 0, v6, vcc_lo
	v_cmp_nlt_f32_e32 vcc_lo, 0x42b17218, v5
	v_cndmask_b32_e32 v11, 0x7f800000, v6, vcc_lo
	s_delay_alu instid0(VALU_DEP_1) | instskip(NEXT) | instid1(VALU_DEP_1)
	v_add_f32_e32 v5, 1.0, v11
	v_cvt_f64_f32_e32 v[6:7], v5
	s_delay_alu instid0(VALU_DEP_1) | instskip(SKIP_1) | instid1(VALU_DEP_1)
	v_frexp_exp_i32_f64_e32 v6, v[6:7]
	v_frexp_mant_f32_e32 v7, v5
	v_cmp_gt_f32_e32 vcc_lo, 0x3f2aaaab, v7
	s_delay_alu instid0(VALU_DEP_3) | instskip(SKIP_2) | instid1(VALU_DEP_2)
	v_subrev_co_ci_u32_e64 v14, null, 0, v6, vcc_lo
	v_add_f32_e32 v6, -1.0, v5
	v_cmp_neq_f32_e32 vcc_lo, 0x7f800000, v11
	v_dual_sub_f32 v8, v6, v5 :: v_dual_sub_nc_u32 v7, 0, v14
	v_sub_f32_e32 v6, v11, v6
	s_delay_alu instid0(VALU_DEP_2) | instskip(NEXT) | instid1(VALU_DEP_1)
	v_ldexp_f32 v5, v5, v7
	v_dual_add_f32 v8, 1.0, v8 :: v_dual_add_f32 v9, 1.0, v5
	s_delay_alu instid0(VALU_DEP_1) | instskip(NEXT) | instid1(VALU_DEP_2)
	v_dual_add_f32 v13, -1.0, v5 :: v_dual_add_f32 v6, v6, v8
	v_add_f32_e32 v8, -1.0, v9
	s_delay_alu instid0(VALU_DEP_2) | instskip(NEXT) | instid1(VALU_DEP_2)
	v_ldexp_f32 v6, v6, v7
	v_dual_sub_f32 v7, v5, v8 :: v_dual_add_f32 v8, 1.0, v13
	s_delay_alu instid0(VALU_DEP_1) | instskip(NEXT) | instid1(VALU_DEP_1)
	v_dual_add_f32 v12, v6, v7 :: v_dual_sub_f32 v5, v5, v8
	v_dual_add_f32 v15, v9, v12 :: v_dual_add_f32 v5, v6, v5
	s_delay_alu instid0(VALU_DEP_1) | instskip(SKIP_1) | instid1(VALU_DEP_1)
	v_rcp_f32_e32 v16, v15
	v_sub_f32_e32 v6, v9, v15
	v_dual_add_f32 v7, v13, v5 :: v_dual_add_f32 v18, v12, v6
	s_delay_alu instid0(TRANS32_DEP_1) | instid1(VALU_DEP_1)
	v_dual_mul_f32 v17, v7, v16 :: v_dual_sub_f32 v19, v13, v7
	s_delay_alu instid0(VALU_DEP_1) | instskip(NEXT) | instid1(VALU_DEP_1)
	v_dual_mul_f32 v8, v15, v17 :: v_dual_add_f32 v5, v5, v19
	v_fma_f32 v12, v17, v15, -v8
	s_delay_alu instid0(VALU_DEP_1) | instskip(NEXT) | instid1(VALU_DEP_1)
	v_fmac_f32_e32 v12, v17, v18
	v_add_f32_e32 v6, v8, v12
	s_delay_alu instid0(VALU_DEP_1) | instskip(NEXT) | instid1(VALU_DEP_1)
	v_dual_sub_f32 v9, v7, v6 :: v_dual_mov_b32 v13, v6
	v_pk_add_f32 v[6:7], v[6:7], v[8:9] neg_lo:[0,1] neg_hi:[0,1]
	s_delay_alu instid0(VALU_DEP_1) | instskip(NEXT) | instid1(VALU_DEP_1)
	v_pk_add_f32 v[6:7], v[6:7], v[12:13] neg_lo:[0,1] neg_hi:[0,1]
	v_add_f32_e32 v5, v5, v7
	s_delay_alu instid0(VALU_DEP_1) | instskip(NEXT) | instid1(VALU_DEP_1)
	v_add_f32_e32 v5, v6, v5
	v_add_f32_e32 v7, v9, v5
	s_delay_alu instid0(VALU_DEP_1) | instskip(NEXT) | instid1(VALU_DEP_1)
	v_mul_f32_e32 v19, v16, v7
	v_mul_f32_e32 v12, v15, v19
	s_delay_alu instid0(VALU_DEP_1) | instskip(NEXT) | instid1(VALU_DEP_1)
	v_fma_f32 v8, v19, v15, -v12
	v_dual_sub_f32 v15, v9, v7 :: v_dual_fmac_f32 v8, v19, v18
	s_delay_alu instid0(VALU_DEP_1) | instskip(NEXT) | instid1(VALU_DEP_1)
	v_dual_add_f32 v5, v5, v15 :: v_dual_add_f32 v6, v12, v8
	v_dual_sub_f32 v13, v7, v6 :: v_dual_mov_b32 v9, v6
	s_delay_alu instid0(VALU_DEP_1) | instskip(NEXT) | instid1(VALU_DEP_1)
	v_pk_add_f32 v[6:7], v[6:7], v[12:13] neg_lo:[0,1] neg_hi:[0,1]
	v_pk_add_f32 v[6:7], v[6:7], v[8:9] neg_lo:[0,1] neg_hi:[0,1]
	v_add_f32_e32 v12, v17, v19
	v_cvt_f32_i32_e32 v8, v14
	s_delay_alu instid0(VALU_DEP_3) | instskip(NEXT) | instid1(VALU_DEP_1)
	v_add_f32_e32 v5, v5, v7
	v_add_f32_e32 v5, v6, v5
	s_delay_alu instid0(VALU_DEP_4) | instskip(NEXT) | instid1(VALU_DEP_1)
	v_sub_f32_e32 v6, v12, v17
	v_dual_add_f32 v5, v13, v5 :: v_dual_sub_f32 v6, v19, v6
	s_delay_alu instid0(VALU_DEP_1) | instskip(NEXT) | instid1(VALU_DEP_1)
	v_mul_f32_e32 v5, v16, v5
	v_dual_add_f32 v5, v6, v5 :: v_dual_mov_b32 v6, 0x3f317218
	s_delay_alu instid0(VALU_DEP_1) | instskip(NEXT) | instid1(VALU_DEP_1)
	v_add_f32_e32 v13, v12, v5
	v_mul_f32_e32 v7, v13, v13
	s_delay_alu instid0(VALU_DEP_1) | instskip(SKIP_1) | instid1(VALU_DEP_2)
	v_fmaak_f32 v15, s6, v7, 0x3ecc95a3
	v_mul_f32_e32 v9, v13, v7
	v_fmaak_f32 v7, v7, v15, 0x3f2aaada
	s_delay_alu instid0(VALU_DEP_1) | instskip(NEXT) | instid1(VALU_DEP_1)
	v_pk_mul_f32 v[6:7], v[8:9], v[6:7]
	v_fma_f32 v14, 0x3f317218, v8, -v6
	s_delay_alu instid0(VALU_DEP_1) | instskip(SKIP_1) | instid1(VALU_DEP_1)
	v_fmamk_f32 v8, v8, 0xb102e308, v14
	v_sub_f32_e32 v14, v13, v12
	v_sub_f32_e32 v5, v5, v14
	v_ldexp_f32 v9, v13, 1
	v_mov_b32_e32 v14, v6
	s_delay_alu instid0(VALU_DEP_3) | instskip(NEXT) | instid1(VALU_DEP_3)
	v_ldexp_f32 v5, v5, 1
	v_pk_add_f32 v[12:13], v[6:7], v[8:9]
	s_delay_alu instid0(VALU_DEP_1) | instskip(NEXT) | instid1(VALU_DEP_1)
	v_sub_f32_e32 v9, v13, v9
	v_sub_f32_e32 v9, v7, v9
	s_delay_alu instid0(VALU_DEP_3) | instskip(NEXT) | instid1(VALU_DEP_2)
	v_pk_add_f32 v[6:7], v[12:13], v[6:7] neg_lo:[0,1] neg_hi:[0,1]
	v_dual_add_f32 v15, v5, v9 :: v_dual_mov_b32 v9, v12
	s_delay_alu instid0(VALU_DEP_1) | instskip(NEXT) | instid1(VALU_DEP_1)
	v_pk_add_f32 v[16:17], v[12:13], v[14:15]
	v_dual_mov_b32 v22, v13 :: v_dual_mov_b32 v7, v17
	s_delay_alu instid0(VALU_DEP_1) | instskip(SKIP_2) | instid1(VALU_DEP_3)
	v_pk_add_f32 v[18:19], v[8:9], v[6:7]
	v_mov_b32_e32 v18, v17
	v_pk_add_f32 v[6:7], v[8:9], v[6:7] neg_lo:[0,1] neg_hi:[0,1]
	v_dual_mov_b32 v14, v19 :: v_dual_mov_b32 v7, v19
	s_delay_alu instid0(VALU_DEP_1) | instskip(SKIP_1) | instid1(VALU_DEP_2)
	v_pk_add_f32 v[20:21], v[14:15], v[12:13] neg_lo:[0,1] neg_hi:[0,1]
	v_dual_mov_b32 v13, v12 :: v_dual_mov_b32 v12, v15
	v_dual_mov_b32 v5, v20 :: v_dual_mov_b32 v23, v20
	s_delay_alu instid0(VALU_DEP_1) | instskip(NEXT) | instid1(VALU_DEP_2)
	v_pk_add_f32 v[16:17], v[16:17], v[4:5] neg_lo:[0,1] neg_hi:[0,1]
	v_pk_add_f32 v[8:9], v[18:19], v[22:23] neg_lo:[0,1] neg_hi:[0,1]
	v_mov_b32_e32 v16, v6
	s_delay_alu instid0(VALU_DEP_2) | instskip(NEXT) | instid1(VALU_DEP_1)
	v_pk_add_f32 v[8:9], v[12:13], v[8:9] neg_lo:[0,1] neg_hi:[0,1]
	v_pk_add_f32 v[12:13], v[16:17], v[8:9]
	s_delay_alu instid0(VALU_DEP_1) | instskip(NEXT) | instid1(VALU_DEP_1)
	v_mov_b32_e32 v16, v13
	v_pk_add_f32 v[16:17], v[12:13], v[16:17]
	s_delay_alu instid0(VALU_DEP_1) | instskip(NEXT) | instid1(VALU_DEP_1)
	v_pk_add_f32 v[14:15], v[14:15], v[16:17]
	v_mov_b32_e32 v13, v14
	s_delay_alu instid0(VALU_DEP_1) | instskip(NEXT) | instid1(VALU_DEP_1)
	v_pk_add_f32 v[18:19], v[12:13], v[6:7] neg_lo:[0,1] neg_hi:[0,1]
	v_sub_f32_e32 v5, v12, v18
	s_delay_alu instid0(VALU_DEP_1) | instskip(NEXT) | instid1(VALU_DEP_1)
	v_dual_mov_b32 v9, v16 :: v_dual_sub_f32 v5, v6, v5
	v_pk_add_f32 v[8:9], v[8:9], v[18:19] neg_lo:[0,1] neg_hi:[0,1]
	s_delay_alu instid0(VALU_DEP_1) | instskip(NEXT) | instid1(VALU_DEP_1)
	v_add_f32_e32 v5, v8, v5
	v_add_f32_e32 v5, v5, v9
	s_delay_alu instid0(VALU_DEP_1) | instskip(NEXT) | instid1(VALU_DEP_1)
	v_add_f32_e32 v5, v14, v5
	v_cndmask_b32_e32 v5, 0x7f800000, v5, vcc_lo
	v_cmp_gt_f32_e64 vcc_lo, 0x33800000, |v11|
	s_delay_alu instid0(VALU_DEP_2) | instskip(NEXT) | instid1(VALU_DEP_1)
	v_cndmask_b32_e32 v5, v5, v11, vcc_lo
	v_div_scale_f32 v6, null, s9, s9, v5
	s_delay_alu instid0(VALU_DEP_1) | instskip(SKIP_1) | instid1(TRANS32_DEP_1)
	v_rcp_f32_e32 v7, v6
	v_nop
	v_fma_f32 v8, -v6, v7, 1.0
	s_delay_alu instid0(VALU_DEP_1) | instskip(SKIP_1) | instid1(VALU_DEP_1)
	v_fmac_f32_e32 v7, v8, v7
	v_div_scale_f32 v8, vcc_lo, v5, s9, v5
	v_mul_f32_e32 v9, v8, v7
	s_delay_alu instid0(VALU_DEP_1) | instskip(NEXT) | instid1(VALU_DEP_1)
	v_fma_f32 v11, -v6, v9, v8
	v_fmac_f32_e32 v9, v11, v7
	s_delay_alu instid0(VALU_DEP_1) | instskip(NEXT) | instid1(VALU_DEP_1)
	v_fma_f32 v6, -v6, v9, v8
	v_div_fmas_f32 v6, v6, v7, v9
	s_delay_alu instid0(VALU_DEP_1)
	v_div_fixup_f32 v11, v6, s9, v5
.LBB11_40:
	s_or_b32 exec_lo, exec_lo, s3
	s_delay_alu instid0(VALU_DEP_1) | instskip(SKIP_2) | instid1(SALU_CYCLE_1)
	v_mov_b32_e32 v5, v11
	s_or_b32 exec_lo, exec_lo, s1
	s_and_saveexec_b32 s1, s0
	s_xor_b32 s0, exec_lo, s1
	s_cbranch_execz .LBB11_33
.LBB11_41:
	v_mov_b32_e32 v0, v10
	global_store_b32 v1, v2, s[4:5] scale_offset
	s_wait_xcnt 0x0
	s_or_b32 exec_lo, exec_lo, s0
	s_delay_alu instid0(SALU_CYCLE_1)
	s_mov_b32 s0, exec_lo
	v_cmpx_gt_i32_e64 s8, v0
	s_cbranch_execz .LBB11_34
.LBB11_42:
	v_add_nc_u32_e32 v1, s2, v0
	v_add_nc_u32_e32 v0, 0x100, v0
	global_store_b32 v1, v3, s[4:5] scale_offset
	s_wait_xcnt 0x0
	s_or_b32 exec_lo, exec_lo, s0
	s_delay_alu instid0(SALU_CYCLE_1)
	s_mov_b32 s0, exec_lo
	v_cmpx_gt_i32_e64 s8, v0
	s_cbranch_execz .LBB11_35
.LBB11_43:
	v_add_nc_u32_e32 v1, s2, v0
	v_add_nc_u32_e32 v0, 0x100, v0
	global_store_b32 v1, v4, s[4:5] scale_offset
	s_wait_xcnt 0x0
	s_or_b32 exec_lo, exec_lo, s0
	s_delay_alu instid0(SALU_CYCLE_1)
	s_mov_b32 s0, exec_lo
	v_cmpx_gt_i32_e64 s8, v0
	s_cbranch_execnz .LBB11_36
	s_branch .LBB11_37
	.section	.rodata,"a",@progbits
	.p2align	6, 0x0
	.amdhsa_kernel _ZN2at6native29vectorized_elementwise_kernelILi2EZZZNS0_12_GLOBAL__N_115softplus_kernelERNS_18TensorIteratorBaseERKN3c106ScalarES8_ENKUlvE_clEvENKUlvE0_clEvEUlfE_St5arrayIPcLm2EEEEviT0_T1_
		.amdhsa_group_segment_fixed_size 0
		.amdhsa_private_segment_fixed_size 0
		.amdhsa_kernarg_size 32
		.amdhsa_user_sgpr_count 2
		.amdhsa_user_sgpr_dispatch_ptr 0
		.amdhsa_user_sgpr_queue_ptr 0
		.amdhsa_user_sgpr_kernarg_segment_ptr 1
		.amdhsa_user_sgpr_dispatch_id 0
		.amdhsa_user_sgpr_kernarg_preload_length 0
		.amdhsa_user_sgpr_kernarg_preload_offset 0
		.amdhsa_user_sgpr_private_segment_size 0
		.amdhsa_wavefront_size32 1
		.amdhsa_uses_dynamic_stack 0
		.amdhsa_enable_private_segment 0
		.amdhsa_system_sgpr_workgroup_id_x 1
		.amdhsa_system_sgpr_workgroup_id_y 0
		.amdhsa_system_sgpr_workgroup_id_z 0
		.amdhsa_system_sgpr_workgroup_info 0
		.amdhsa_system_vgpr_workitem_id 0
		.amdhsa_next_free_vgpr 26
		.amdhsa_next_free_sgpr 14
		.amdhsa_named_barrier_count 0
		.amdhsa_reserve_vcc 1
		.amdhsa_float_round_mode_32 0
		.amdhsa_float_round_mode_16_64 0
		.amdhsa_float_denorm_mode_32 3
		.amdhsa_float_denorm_mode_16_64 3
		.amdhsa_fp16_overflow 0
		.amdhsa_memory_ordered 1
		.amdhsa_forward_progress 1
		.amdhsa_inst_pref_size 72
		.amdhsa_round_robin_scheduling 0
		.amdhsa_exception_fp_ieee_invalid_op 0
		.amdhsa_exception_fp_denorm_src 0
		.amdhsa_exception_fp_ieee_div_zero 0
		.amdhsa_exception_fp_ieee_overflow 0
		.amdhsa_exception_fp_ieee_underflow 0
		.amdhsa_exception_fp_ieee_inexact 0
		.amdhsa_exception_int_div_zero 0
	.end_amdhsa_kernel
	.section	.text._ZN2at6native29vectorized_elementwise_kernelILi2EZZZNS0_12_GLOBAL__N_115softplus_kernelERNS_18TensorIteratorBaseERKN3c106ScalarES8_ENKUlvE_clEvENKUlvE0_clEvEUlfE_St5arrayIPcLm2EEEEviT0_T1_,"axG",@progbits,_ZN2at6native29vectorized_elementwise_kernelILi2EZZZNS0_12_GLOBAL__N_115softplus_kernelERNS_18TensorIteratorBaseERKN3c106ScalarES8_ENKUlvE_clEvENKUlvE0_clEvEUlfE_St5arrayIPcLm2EEEEviT0_T1_,comdat
.Lfunc_end11:
	.size	_ZN2at6native29vectorized_elementwise_kernelILi2EZZZNS0_12_GLOBAL__N_115softplus_kernelERNS_18TensorIteratorBaseERKN3c106ScalarES8_ENKUlvE_clEvENKUlvE0_clEvEUlfE_St5arrayIPcLm2EEEEviT0_T1_, .Lfunc_end11-_ZN2at6native29vectorized_elementwise_kernelILi2EZZZNS0_12_GLOBAL__N_115softplus_kernelERNS_18TensorIteratorBaseERKN3c106ScalarES8_ENKUlvE_clEvENKUlvE0_clEvEUlfE_St5arrayIPcLm2EEEEviT0_T1_
                                        ; -- End function
	.set _ZN2at6native29vectorized_elementwise_kernelILi2EZZZNS0_12_GLOBAL__N_115softplus_kernelERNS_18TensorIteratorBaseERKN3c106ScalarES8_ENKUlvE_clEvENKUlvE0_clEvEUlfE_St5arrayIPcLm2EEEEviT0_T1_.num_vgpr, 26
	.set _ZN2at6native29vectorized_elementwise_kernelILi2EZZZNS0_12_GLOBAL__N_115softplus_kernelERNS_18TensorIteratorBaseERKN3c106ScalarES8_ENKUlvE_clEvENKUlvE0_clEvEUlfE_St5arrayIPcLm2EEEEviT0_T1_.num_agpr, 0
	.set _ZN2at6native29vectorized_elementwise_kernelILi2EZZZNS0_12_GLOBAL__N_115softplus_kernelERNS_18TensorIteratorBaseERKN3c106ScalarES8_ENKUlvE_clEvENKUlvE0_clEvEUlfE_St5arrayIPcLm2EEEEviT0_T1_.numbered_sgpr, 14
	.set _ZN2at6native29vectorized_elementwise_kernelILi2EZZZNS0_12_GLOBAL__N_115softplus_kernelERNS_18TensorIteratorBaseERKN3c106ScalarES8_ENKUlvE_clEvENKUlvE0_clEvEUlfE_St5arrayIPcLm2EEEEviT0_T1_.num_named_barrier, 0
	.set _ZN2at6native29vectorized_elementwise_kernelILi2EZZZNS0_12_GLOBAL__N_115softplus_kernelERNS_18TensorIteratorBaseERKN3c106ScalarES8_ENKUlvE_clEvENKUlvE0_clEvEUlfE_St5arrayIPcLm2EEEEviT0_T1_.private_seg_size, 0
	.set _ZN2at6native29vectorized_elementwise_kernelILi2EZZZNS0_12_GLOBAL__N_115softplus_kernelERNS_18TensorIteratorBaseERKN3c106ScalarES8_ENKUlvE_clEvENKUlvE0_clEvEUlfE_St5arrayIPcLm2EEEEviT0_T1_.uses_vcc, 1
	.set _ZN2at6native29vectorized_elementwise_kernelILi2EZZZNS0_12_GLOBAL__N_115softplus_kernelERNS_18TensorIteratorBaseERKN3c106ScalarES8_ENKUlvE_clEvENKUlvE0_clEvEUlfE_St5arrayIPcLm2EEEEviT0_T1_.uses_flat_scratch, 0
	.set _ZN2at6native29vectorized_elementwise_kernelILi2EZZZNS0_12_GLOBAL__N_115softplus_kernelERNS_18TensorIteratorBaseERKN3c106ScalarES8_ENKUlvE_clEvENKUlvE0_clEvEUlfE_St5arrayIPcLm2EEEEviT0_T1_.has_dyn_sized_stack, 0
	.set _ZN2at6native29vectorized_elementwise_kernelILi2EZZZNS0_12_GLOBAL__N_115softplus_kernelERNS_18TensorIteratorBaseERKN3c106ScalarES8_ENKUlvE_clEvENKUlvE0_clEvEUlfE_St5arrayIPcLm2EEEEviT0_T1_.has_recursion, 0
	.set _ZN2at6native29vectorized_elementwise_kernelILi2EZZZNS0_12_GLOBAL__N_115softplus_kernelERNS_18TensorIteratorBaseERKN3c106ScalarES8_ENKUlvE_clEvENKUlvE0_clEvEUlfE_St5arrayIPcLm2EEEEviT0_T1_.has_indirect_call, 0
	.section	.AMDGPU.csdata,"",@progbits
; Kernel info:
; codeLenInByte = 9136
; TotalNumSgprs: 16
; NumVgprs: 26
; ScratchSize: 0
; MemoryBound: 0
; FloatMode: 240
; IeeeMode: 1
; LDSByteSize: 0 bytes/workgroup (compile time only)
; SGPRBlocks: 0
; VGPRBlocks: 1
; NumSGPRsForWavesPerEU: 16
; NumVGPRsForWavesPerEU: 26
; NamedBarCnt: 0
; Occupancy: 16
; WaveLimiterHint : 1
; COMPUTE_PGM_RSRC2:SCRATCH_EN: 0
; COMPUTE_PGM_RSRC2:USER_SGPR: 2
; COMPUTE_PGM_RSRC2:TRAP_HANDLER: 0
; COMPUTE_PGM_RSRC2:TGID_X_EN: 1
; COMPUTE_PGM_RSRC2:TGID_Y_EN: 0
; COMPUTE_PGM_RSRC2:TGID_Z_EN: 0
; COMPUTE_PGM_RSRC2:TIDIG_COMP_CNT: 0
	.section	.text._ZN2at6native27unrolled_elementwise_kernelIZZZNS0_12_GLOBAL__N_115softplus_kernelERNS_18TensorIteratorBaseERKN3c106ScalarES8_ENKUlvE_clEvENKUlvE0_clEvEUlfE_St5arrayIPcLm2EELi4E23TrivialOffsetCalculatorILi1EjESG_NS0_6memory15LoadWithoutCastENSH_16StoreWithoutCastEEEviT_T0_T2_T3_T4_T5_,"axG",@progbits,_ZN2at6native27unrolled_elementwise_kernelIZZZNS0_12_GLOBAL__N_115softplus_kernelERNS_18TensorIteratorBaseERKN3c106ScalarES8_ENKUlvE_clEvENKUlvE0_clEvEUlfE_St5arrayIPcLm2EELi4E23TrivialOffsetCalculatorILi1EjESG_NS0_6memory15LoadWithoutCastENSH_16StoreWithoutCastEEEviT_T0_T2_T3_T4_T5_,comdat
	.globl	_ZN2at6native27unrolled_elementwise_kernelIZZZNS0_12_GLOBAL__N_115softplus_kernelERNS_18TensorIteratorBaseERKN3c106ScalarES8_ENKUlvE_clEvENKUlvE0_clEvEUlfE_St5arrayIPcLm2EELi4E23TrivialOffsetCalculatorILi1EjESG_NS0_6memory15LoadWithoutCastENSH_16StoreWithoutCastEEEviT_T0_T2_T3_T4_T5_ ; -- Begin function _ZN2at6native27unrolled_elementwise_kernelIZZZNS0_12_GLOBAL__N_115softplus_kernelERNS_18TensorIteratorBaseERKN3c106ScalarES8_ENKUlvE_clEvENKUlvE0_clEvEUlfE_St5arrayIPcLm2EELi4E23TrivialOffsetCalculatorILi1EjESG_NS0_6memory15LoadWithoutCastENSH_16StoreWithoutCastEEEviT_T0_T2_T3_T4_T5_
	.p2align	8
	.type	_ZN2at6native27unrolled_elementwise_kernelIZZZNS0_12_GLOBAL__N_115softplus_kernelERNS_18TensorIteratorBaseERKN3c106ScalarES8_ENKUlvE_clEvENKUlvE0_clEvEUlfE_St5arrayIPcLm2EELi4E23TrivialOffsetCalculatorILi1EjESG_NS0_6memory15LoadWithoutCastENSH_16StoreWithoutCastEEEviT_T0_T2_T3_T4_T5_,@function
_ZN2at6native27unrolled_elementwise_kernelIZZZNS0_12_GLOBAL__N_115softplus_kernelERNS_18TensorIteratorBaseERKN3c106ScalarES8_ENKUlvE_clEvENKUlvE0_clEvEUlfE_St5arrayIPcLm2EELi4E23TrivialOffsetCalculatorILi1EjESG_NS0_6memory15LoadWithoutCastENSH_16StoreWithoutCastEEEviT_T0_T2_T3_T4_T5_: ; @_ZN2at6native27unrolled_elementwise_kernelIZZZNS0_12_GLOBAL__N_115softplus_kernelERNS_18TensorIteratorBaseERKN3c106ScalarES8_ENKUlvE_clEvENKUlvE0_clEvEUlfE_St5arrayIPcLm2EELi4E23TrivialOffsetCalculatorILi1EjESG_NS0_6memory15LoadWithoutCastENSH_16StoreWithoutCastEEEviT_T0_T2_T3_T4_T5_
; %bb.0:
	s_clause 0x1
	s_load_b96 s[8:10], s[0:1], 0x0
	s_load_b128 s[4:7], s[0:1], 0x10
	s_bfe_u32 s2, ttmp6, 0x4000c
	s_wait_xcnt 0x0
	s_and_b32 s0, ttmp6, 15
	s_add_co_i32 s2, s2, 1
	v_dual_mov_b32 v13, 0 :: v_dual_mov_b32 v6, 0
	s_mul_i32 s1, ttmp9, s2
	s_getreg_b32 s2, hwreg(HW_REG_IB_STS2, 6, 4)
	s_add_co_i32 s0, s0, s1
	s_cmp_eq_u32 s2, 0
	v_or_b32_e32 v1, 0x100, v0
	s_cselect_b32 s0, ttmp9, s0
	v_mov_b32_e32 v2, v0
	s_lshl_b32 s1, s0, 10
	s_delay_alu instid0(SALU_CYCLE_1) | instskip(SKIP_2) | instid1(SALU_CYCLE_1)
	v_or_b32_e32 v10, s1, v0
	s_wait_kmcnt 0x0
	s_sub_co_i32 s2, s8, s1
	v_cmp_gt_i32_e64 s0, s2, v0
	s_and_saveexec_b32 s3, s0
	s_cbranch_execz .LBB12_2
; %bb.1:
	global_load_b32 v6, v10, s[6:7] scale_offset
	v_or_b32_e32 v2, 0x100, v0
.LBB12_2:
	s_wait_xcnt 0x0
	s_or_b32 exec_lo, exec_lo, s3
	s_delay_alu instid0(SALU_CYCLE_1) | instskip(NEXT) | instid1(VALU_DEP_1)
	s_mov_b32 s3, exec_lo
	v_cmpx_gt_i32_e64 s2, v2
	s_cbranch_execz .LBB12_4
; %bb.3:
	v_add_nc_u32_e32 v3, s1, v2
	v_add_nc_u32_e32 v2, 0x100, v2
	global_load_b32 v13, v3, s[6:7] scale_offset
.LBB12_4:
	s_wait_xcnt 0x0
	s_or_b32 exec_lo, exec_lo, s3
	v_dual_mov_b32 v11, 0 :: v_dual_mov_b32 v12, 0
	s_mov_b32 s3, exec_lo
	v_cmpx_gt_i32_e64 s2, v2
	s_cbranch_execz .LBB12_6
; %bb.5:
	v_add_nc_u32_e32 v3, s1, v2
	v_add_nc_u32_e32 v2, 0x100, v2
	global_load_b32 v12, v3, s[6:7] scale_offset
.LBB12_6:
	s_wait_xcnt 0x0
	s_or_b32 exec_lo, exec_lo, s3
	s_delay_alu instid0(SALU_CYCLE_1)
	s_mov_b32 s3, exec_lo
	v_cmpx_gt_i32_e64 s2, v2
	s_cbranch_execz .LBB12_8
; %bb.7:
	v_add_nc_u32_e32 v2, s1, v2
	global_load_b32 v11, v2, s[6:7] scale_offset
.LBB12_8:
	s_wait_xcnt 0x0
	s_or_b32 exec_lo, exec_lo, s3
	v_mov_b32_e32 v2, 0
	s_delay_alu instid0(VALU_DEP_1)
	v_dual_mov_b32 v3, v2 :: v_dual_mov_b32 v4, v2
	v_mov_b32_e32 v5, v2
	s_and_saveexec_b32 s3, s0
	s_cbranch_execz .LBB12_12
; %bb.9:
	s_wait_loadcnt 0x0
	v_mul_f32_e32 v2, s9, v6
	s_mov_b32 s6, exec_lo
	s_delay_alu instid0(VALU_DEP_1)
	v_cmpx_nlt_f32_e32 s10, v2
	s_cbranch_execz .LBB12_11
; %bb.10:
	v_mul_f32_e32 v3, 0x3fb8aa3b, v2
	v_cmp_ngt_f32_e32 vcc_lo, 0xc2ce8ed0, v2
	s_mov_b32 s7, 0x3e9b6dac
	s_delay_alu instid0(VALU_DEP_2) | instskip(SKIP_1) | instid1(VALU_DEP_2)
	v_rndne_f32_e32 v4, v3
	v_fma_f32 v5, 0x3fb8aa3b, v2, -v3
	v_sub_f32_e32 v3, v3, v4
	s_delay_alu instid0(VALU_DEP_2) | instskip(SKIP_1) | instid1(VALU_DEP_2)
	v_fmamk_f32 v5, v2, 0x32a5705f, v5
	v_cvt_i32_f32_e32 v4, v4
	v_add_f32_e32 v3, v3, v5
	s_delay_alu instid0(VALU_DEP_1) | instskip(SKIP_1) | instid1(TRANS32_DEP_1)
	v_exp_f32_e32 v3, v3
	v_nop
	v_ldexp_f32 v3, v3, v4
	s_delay_alu instid0(VALU_DEP_1) | instskip(SKIP_1) | instid1(VALU_DEP_2)
	v_cndmask_b32_e32 v3, 0, v3, vcc_lo
	v_cmp_nlt_f32_e32 vcc_lo, 0x42b17218, v2
	v_cndmask_b32_e32 v22, 0x7f800000, v3, vcc_lo
	s_delay_alu instid0(VALU_DEP_1) | instskip(NEXT) | instid1(VALU_DEP_1)
	v_add_f32_e32 v4, 1.0, v22
	v_cvt_f64_f32_e32 v[2:3], v4
	s_delay_alu instid0(VALU_DEP_1) | instskip(SKIP_1) | instid1(VALU_DEP_1)
	v_frexp_exp_i32_f64_e32 v2, v[2:3]
	v_frexp_mant_f32_e32 v3, v4
	v_cmp_gt_f32_e32 vcc_lo, 0x3f2aaaab, v3
	s_delay_alu instid0(VALU_DEP_3) | instskip(SKIP_1) | instid1(VALU_DEP_2)
	v_subrev_co_ci_u32_e64 v8, null, 0, v2, vcc_lo
	v_add_f32_e32 v2, -1.0, v4
	v_sub_nc_u32_e32 v3, 0, v8
	v_cmp_neq_f32_e32 vcc_lo, 0x7f800000, v22
	s_delay_alu instid0(VALU_DEP_3) | instskip(SKIP_1) | instid1(VALU_DEP_4)
	v_sub_f32_e32 v5, v2, v4
	v_sub_f32_e32 v2, v22, v2
	v_ldexp_f32 v4, v4, v3
	s_delay_alu instid0(VALU_DEP_1) | instskip(NEXT) | instid1(VALU_DEP_1)
	v_dual_add_f32 v5, 1.0, v5 :: v_dual_add_f32 v7, -1.0, v4
	v_dual_add_f32 v6, 1.0, v4 :: v_dual_add_f32 v2, v2, v5
	s_delay_alu instid0(VALU_DEP_1) | instskip(NEXT) | instid1(VALU_DEP_2)
	v_add_f32_e32 v5, -1.0, v6
	v_ldexp_f32 v2, v2, v3
	s_delay_alu instid0(VALU_DEP_2) | instskip(NEXT) | instid1(VALU_DEP_1)
	v_dual_sub_f32 v3, v4, v5 :: v_dual_add_f32 v5, 1.0, v7
	v_dual_add_f32 v9, v2, v3 :: v_dual_sub_f32 v3, v4, v5
	s_delay_alu instid0(VALU_DEP_1) | instskip(NEXT) | instid1(VALU_DEP_1)
	v_add_f32_e32 v15, v2, v3
	v_dual_add_f32 v14, v6, v9 :: v_dual_add_f32 v3, v7, v15
	s_delay_alu instid0(VALU_DEP_1) | instskip(NEXT) | instid1(VALU_DEP_1)
	v_rcp_f32_e32 v16, v14
	v_sub_f32_e32 v18, v7, v3
	s_delay_alu instid0(TRANS32_DEP_1) | instskip(NEXT) | instid1(VALU_DEP_1)
	v_mul_f32_e32 v17, v3, v16
	v_mul_f32_e32 v4, v14, v17
	s_delay_alu instid0(VALU_DEP_1) | instskip(NEXT) | instid1(VALU_DEP_1)
	v_dual_sub_f32 v2, v6, v14 :: v_dual_fma_f32 v6, v17, v14, -v4
	v_add_f32_e32 v9, v9, v2
	s_delay_alu instid0(VALU_DEP_1) | instskip(NEXT) | instid1(VALU_DEP_1)
	v_fmac_f32_e32 v6, v17, v9
	v_add_f32_e32 v2, v4, v6
	s_delay_alu instid0(VALU_DEP_1) | instskip(NEXT) | instid1(VALU_DEP_1)
	v_dual_sub_f32 v5, v3, v2 :: v_dual_mov_b32 v7, v2
	v_pk_add_f32 v[2:3], v[2:3], v[4:5] neg_lo:[0,1] neg_hi:[0,1]
	v_add_f32_e32 v4, v15, v18
	s_delay_alu instid0(VALU_DEP_2) | instskip(NEXT) | instid1(VALU_DEP_1)
	v_pk_add_f32 v[2:3], v[2:3], v[6:7] neg_lo:[0,1] neg_hi:[0,1]
	v_add_f32_e32 v3, v4, v3
	s_delay_alu instid0(VALU_DEP_1) | instskip(NEXT) | instid1(VALU_DEP_1)
	v_add_f32_e32 v15, v2, v3
	v_add_f32_e32 v3, v5, v15
	s_delay_alu instid0(VALU_DEP_1) | instskip(NEXT) | instid1(VALU_DEP_1)
	v_mul_f32_e32 v18, v16, v3
	v_mul_f32_e32 v6, v14, v18
	s_delay_alu instid0(VALU_DEP_1) | instskip(NEXT) | instid1(VALU_DEP_1)
	v_fma_f32 v4, v18, v14, -v6
	v_dual_fmac_f32 v4, v18, v9 :: v_dual_sub_f32 v9, v5, v3
	s_delay_alu instid0(VALU_DEP_1) | instskip(NEXT) | instid1(VALU_DEP_1)
	v_add_f32_e32 v2, v6, v4
	v_dual_sub_f32 v7, v3, v2 :: v_dual_mov_b32 v5, v2
	s_delay_alu instid0(VALU_DEP_1) | instskip(NEXT) | instid1(VALU_DEP_4)
	v_pk_add_f32 v[2:3], v[2:3], v[6:7] neg_lo:[0,1] neg_hi:[0,1]
	v_add_f32_e32 v6, v15, v9
	s_delay_alu instid0(VALU_DEP_2) | instskip(SKIP_1) | instid1(VALU_DEP_2)
	v_pk_add_f32 v[2:3], v[2:3], v[4:5] neg_lo:[0,1] neg_hi:[0,1]
	v_cvt_f32_i32_e32 v4, v8
	v_dual_add_f32 v3, v6, v3 :: v_dual_add_f32 v6, v17, v18
	s_delay_alu instid0(VALU_DEP_1) | instskip(NEXT) | instid1(VALU_DEP_1)
	v_add_f32_e32 v2, v2, v3
	v_dual_sub_f32 v3, v6, v17 :: v_dual_add_f32 v2, v7, v2
	s_delay_alu instid0(VALU_DEP_1) | instskip(NEXT) | instid1(VALU_DEP_1)
	v_dual_sub_f32 v3, v18, v3 :: v_dual_mul_f32 v2, v16, v2
	v_dual_add_f32 v9, v3, v2 :: v_dual_mov_b32 v2, 0x3f317218
	s_delay_alu instid0(VALU_DEP_1) | instskip(NEXT) | instid1(VALU_DEP_1)
	v_add_f32_e32 v7, v6, v9
	v_mul_f32_e32 v3, v7, v7
	s_delay_alu instid0(VALU_DEP_1) | instskip(NEXT) | instid1(VALU_DEP_1)
	v_dual_fmaak_f32 v14, s7, v3, 0x3ecc95a3 :: v_dual_mul_f32 v5, v7, v3
	v_fmaak_f32 v3, v3, v14, 0x3f2aaada
	s_delay_alu instid0(VALU_DEP_1) | instskip(SKIP_1) | instid1(VALU_DEP_2)
	v_pk_mul_f32 v[2:3], v[4:5], v[2:3]
	v_ldexp_f32 v5, v7, 1
	v_fma_f32 v8, 0x3f317218, v4, -v2
	s_delay_alu instid0(VALU_DEP_1) | instskip(SKIP_1) | instid1(VALU_DEP_2)
	v_fmamk_f32 v4, v4, 0xb102e308, v8
	v_sub_f32_e32 v8, v7, v6
	v_pk_add_f32 v[6:7], v[2:3], v[4:5]
	s_delay_alu instid0(VALU_DEP_1) | instskip(NEXT) | instid1(VALU_DEP_1)
	v_dual_sub_f32 v5, v7, v5 :: v_dual_sub_f32 v8, v9, v8
	v_sub_f32_e32 v5, v3, v5
	s_delay_alu instid0(VALU_DEP_2) | instskip(SKIP_2) | instid1(VALU_DEP_3)
	v_ldexp_f32 v9, v8, 1
	v_mov_b32_e32 v8, v2
	v_pk_add_f32 v[2:3], v[6:7], v[2:3] neg_lo:[0,1] neg_hi:[0,1]
	v_dual_add_f32 v9, v9, v5 :: v_dual_mov_b32 v5, v6
	s_delay_alu instid0(VALU_DEP_1) | instskip(NEXT) | instid1(VALU_DEP_1)
	v_pk_add_f32 v[14:15], v[6:7], v[8:9]
	v_dual_mov_b32 v20, v7 :: v_dual_mov_b32 v3, v15
	s_delay_alu instid0(VALU_DEP_1) | instskip(NEXT) | instid1(VALU_DEP_1)
	v_pk_add_f32 v[16:17], v[4:5], v[2:3]
	v_dual_mov_b32 v16, v15 :: v_dual_mov_b32 v8, v17
	v_pk_add_f32 v[2:3], v[4:5], v[2:3] neg_lo:[0,1] neg_hi:[0,1]
	v_mov_b32_e32 v3, v17
	s_delay_alu instid0(VALU_DEP_3) | instskip(SKIP_1) | instid1(VALU_DEP_2)
	v_pk_add_f32 v[18:19], v[8:9], v[6:7] neg_lo:[0,1] neg_hi:[0,1]
	v_dual_mov_b32 v7, v6 :: v_dual_mov_b32 v6, v9
	v_dual_mov_b32 v9, v18 :: v_dual_mov_b32 v21, v18
	s_delay_alu instid0(VALU_DEP_1) | instskip(NEXT) | instid1(VALU_DEP_2)
	v_pk_add_f32 v[14:15], v[14:15], v[8:9] neg_lo:[0,1] neg_hi:[0,1]
	v_pk_add_f32 v[4:5], v[16:17], v[20:21] neg_lo:[0,1] neg_hi:[0,1]
	v_mov_b32_e32 v14, v2
	s_delay_alu instid0(VALU_DEP_2) | instskip(NEXT) | instid1(VALU_DEP_1)
	v_pk_add_f32 v[4:5], v[6:7], v[4:5] neg_lo:[0,1] neg_hi:[0,1]
	v_pk_add_f32 v[6:7], v[14:15], v[4:5]
	s_delay_alu instid0(VALU_DEP_1) | instskip(NEXT) | instid1(VALU_DEP_1)
	v_mov_b32_e32 v14, v7
	v_pk_add_f32 v[14:15], v[6:7], v[14:15]
	s_delay_alu instid0(VALU_DEP_1) | instskip(NEXT) | instid1(VALU_DEP_1)
	v_pk_add_f32 v[8:9], v[8:9], v[14:15]
	v_mov_b32_e32 v7, v8
	s_delay_alu instid0(VALU_DEP_1) | instskip(NEXT) | instid1(VALU_DEP_1)
	v_pk_add_f32 v[16:17], v[6:7], v[2:3] neg_lo:[0,1] neg_hi:[0,1]
	v_sub_f32_e32 v3, v6, v16
	s_delay_alu instid0(VALU_DEP_1) | instskip(SKIP_1) | instid1(VALU_DEP_1)
	v_sub_f32_e32 v2, v2, v3
	v_mov_b32_e32 v5, v14
	v_pk_add_f32 v[4:5], v[4:5], v[16:17] neg_lo:[0,1] neg_hi:[0,1]
	s_delay_alu instid0(VALU_DEP_1) | instskip(NEXT) | instid1(VALU_DEP_1)
	v_add_f32_e32 v2, v4, v2
	v_add_f32_e32 v2, v2, v5
	s_delay_alu instid0(VALU_DEP_1) | instskip(NEXT) | instid1(VALU_DEP_1)
	v_add_f32_e32 v2, v8, v2
	v_cndmask_b32_e32 v2, 0x7f800000, v2, vcc_lo
	v_cmp_gt_f32_e64 vcc_lo, 0x33800000, |v22|
	s_delay_alu instid0(VALU_DEP_2) | instskip(NEXT) | instid1(VALU_DEP_1)
	v_cndmask_b32_e32 v2, v2, v22, vcc_lo
	v_div_scale_f32 v3, null, s9, s9, v2
	s_delay_alu instid0(VALU_DEP_1) | instskip(SKIP_1) | instid1(TRANS32_DEP_1)
	v_rcp_f32_e32 v4, v3
	v_nop
	v_fma_f32 v5, -v3, v4, 1.0
	s_delay_alu instid0(VALU_DEP_1) | instskip(SKIP_1) | instid1(VALU_DEP_1)
	v_fmac_f32_e32 v4, v5, v4
	v_div_scale_f32 v5, vcc_lo, v2, s9, v2
	v_mul_f32_e32 v6, v5, v4
	s_delay_alu instid0(VALU_DEP_1) | instskip(NEXT) | instid1(VALU_DEP_1)
	v_fma_f32 v7, -v3, v6, v5
	v_fmac_f32_e32 v6, v7, v4
	s_delay_alu instid0(VALU_DEP_1) | instskip(NEXT) | instid1(VALU_DEP_1)
	v_fma_f32 v3, -v3, v6, v5
	v_div_fmas_f32 v3, v3, v4, v6
	s_delay_alu instid0(VALU_DEP_1)
	v_div_fixup_f32 v6, v3, s9, v2
.LBB12_11:
	s_or_b32 exec_lo, exec_lo, s6
	v_mov_b32_e32 v7, 0
	s_delay_alu instid0(VALU_DEP_1) | instskip(NEXT) | instid1(VALU_DEP_3)
	v_dual_mov_b32 v8, v7 :: v_dual_mov_b32 v9, v7
	v_mov_b64_e32 v[2:3], v[6:7]
	s_delay_alu instid0(VALU_DEP_2)
	v_mov_b64_e32 v[4:5], v[8:9]
.LBB12_12:
	s_or_b32 exec_lo, exec_lo, s3
	s_delay_alu instid0(SALU_CYCLE_1)
	s_mov_b32 s3, exec_lo
	v_cmpx_gt_i32_e64 s2, v1
	s_cbranch_execz .LBB12_16
; %bb.13:
	s_wait_loadcnt 0x0
	v_mul_f32_e32 v3, s9, v13
	s_mov_b32 s6, exec_lo
	s_delay_alu instid0(VALU_DEP_1)
	v_cmpx_nlt_f32_e32 s10, v3
	s_cbranch_execz .LBB12_15
; %bb.14:
	v_mul_f32_e32 v6, 0x3fb8aa3b, v3
	v_cmp_ngt_f32_e32 vcc_lo, 0xc2ce8ed0, v3
	s_mov_b32 s7, 0x3e9b6dac
	s_delay_alu instid0(VALU_DEP_2) | instskip(SKIP_1) | instid1(VALU_DEP_2)
	v_rndne_f32_e32 v7, v6
	v_fma_f32 v8, 0x3fb8aa3b, v3, -v6
	v_sub_f32_e32 v6, v6, v7
	s_delay_alu instid0(VALU_DEP_2) | instskip(SKIP_1) | instid1(VALU_DEP_2)
	v_fmamk_f32 v8, v3, 0x32a5705f, v8
	v_cvt_i32_f32_e32 v7, v7
	v_add_f32_e32 v6, v6, v8
	s_delay_alu instid0(VALU_DEP_1) | instskip(SKIP_1) | instid1(TRANS32_DEP_1)
	v_exp_f32_e32 v6, v6
	v_nop
	v_ldexp_f32 v6, v6, v7
	s_delay_alu instid0(VALU_DEP_1) | instskip(SKIP_1) | instid1(VALU_DEP_2)
	v_cndmask_b32_e32 v6, 0, v6, vcc_lo
	v_cmp_nlt_f32_e32 vcc_lo, 0x42b17218, v3
	v_cndmask_b32_e32 v13, 0x7f800000, v6, vcc_lo
	s_delay_alu instid0(VALU_DEP_1) | instskip(NEXT) | instid1(VALU_DEP_1)
	v_add_f32_e32 v3, 1.0, v13
	v_cvt_f64_f32_e32 v[6:7], v3
	s_delay_alu instid0(VALU_DEP_1) | instskip(SKIP_1) | instid1(VALU_DEP_1)
	v_frexp_exp_i32_f64_e32 v6, v[6:7]
	v_frexp_mant_f32_e32 v7, v3
	v_cmp_gt_f32_e32 vcc_lo, 0x3f2aaaab, v7
	s_delay_alu instid0(VALU_DEP_3) | instskip(SKIP_2) | instid1(VALU_DEP_2)
	v_subrev_co_ci_u32_e64 v16, null, 0, v6, vcc_lo
	v_add_f32_e32 v6, -1.0, v3
	v_cmp_neq_f32_e32 vcc_lo, 0x7f800000, v13
	v_dual_sub_f32 v8, v6, v3 :: v_dual_sub_nc_u32 v7, 0, v16
	v_sub_f32_e32 v6, v13, v6
	s_delay_alu instid0(VALU_DEP_2) | instskip(NEXT) | instid1(VALU_DEP_1)
	v_ldexp_f32 v3, v3, v7
	v_dual_add_f32 v8, 1.0, v8 :: v_dual_add_f32 v9, 1.0, v3
	s_delay_alu instid0(VALU_DEP_1) | instskip(NEXT) | instid1(VALU_DEP_2)
	v_dual_add_f32 v15, -1.0, v3 :: v_dual_add_f32 v6, v6, v8
	v_add_f32_e32 v8, -1.0, v9
	s_delay_alu instid0(VALU_DEP_2) | instskip(NEXT) | instid1(VALU_DEP_2)
	v_ldexp_f32 v6, v6, v7
	v_dual_sub_f32 v7, v3, v8 :: v_dual_add_f32 v8, 1.0, v15
	s_delay_alu instid0(VALU_DEP_1) | instskip(NEXT) | instid1(VALU_DEP_1)
	v_dual_add_f32 v14, v6, v7 :: v_dual_sub_f32 v3, v3, v8
	v_dual_add_f32 v17, v9, v14 :: v_dual_add_f32 v3, v6, v3
	s_delay_alu instid0(VALU_DEP_1) | instskip(NEXT) | instid1(VALU_DEP_1)
	v_rcp_f32_e32 v18, v17
	v_dual_add_f32 v7, v15, v3 :: v_dual_sub_f32 v6, v9, v17
	s_delay_alu instid0(VALU_DEP_1) | instskip(NEXT) | instid1(TRANS32_DEP_1)
	v_sub_f32_e32 v21, v15, v7
	v_mul_f32_e32 v19, v7, v18
	s_delay_alu instid0(VALU_DEP_2) | instskip(NEXT) | instid1(VALU_DEP_2)
	v_dual_add_f32 v20, v14, v6 :: v_dual_add_f32 v3, v3, v21
	v_mul_f32_e32 v8, v17, v19
	s_delay_alu instid0(VALU_DEP_1) | instskip(NEXT) | instid1(VALU_DEP_1)
	v_fma_f32 v14, v19, v17, -v8
	v_fmac_f32_e32 v14, v19, v20
	s_delay_alu instid0(VALU_DEP_1) | instskip(NEXT) | instid1(VALU_DEP_1)
	v_add_f32_e32 v6, v8, v14
	v_dual_sub_f32 v9, v7, v6 :: v_dual_mov_b32 v15, v6
	s_delay_alu instid0(VALU_DEP_1) | instskip(NEXT) | instid1(VALU_DEP_1)
	v_pk_add_f32 v[6:7], v[6:7], v[8:9] neg_lo:[0,1] neg_hi:[0,1]
	v_pk_add_f32 v[6:7], v[6:7], v[14:15] neg_lo:[0,1] neg_hi:[0,1]
	s_delay_alu instid0(VALU_DEP_1) | instskip(NEXT) | instid1(VALU_DEP_1)
	v_add_f32_e32 v3, v3, v7
	v_add_f32_e32 v3, v6, v3
	s_delay_alu instid0(VALU_DEP_1) | instskip(NEXT) | instid1(VALU_DEP_1)
	v_add_f32_e32 v7, v9, v3
	v_mul_f32_e32 v21, v18, v7
	s_delay_alu instid0(VALU_DEP_1) | instskip(NEXT) | instid1(VALU_DEP_1)
	v_mul_f32_e32 v14, v17, v21
	v_fma_f32 v8, v21, v17, -v14
	v_sub_f32_e32 v17, v9, v7
	s_delay_alu instid0(VALU_DEP_1) | instskip(NEXT) | instid1(VALU_DEP_1)
	v_dual_fmac_f32 v8, v21, v20 :: v_dual_add_f32 v3, v3, v17
	v_add_f32_e32 v6, v14, v8
	s_delay_alu instid0(VALU_DEP_1) | instskip(NEXT) | instid1(VALU_DEP_1)
	v_dual_sub_f32 v15, v7, v6 :: v_dual_mov_b32 v9, v6
	v_pk_add_f32 v[6:7], v[6:7], v[14:15] neg_lo:[0,1] neg_hi:[0,1]
	s_delay_alu instid0(VALU_DEP_1) | instskip(SKIP_1) | instid1(VALU_DEP_2)
	v_pk_add_f32 v[6:7], v[6:7], v[8:9] neg_lo:[0,1] neg_hi:[0,1]
	v_cvt_f32_i32_e32 v8, v16
	v_add_f32_e32 v3, v3, v7
	s_delay_alu instid0(VALU_DEP_1) | instskip(NEXT) | instid1(VALU_DEP_1)
	v_dual_add_f32 v14, v19, v21 :: v_dual_add_f32 v3, v6, v3
	v_sub_f32_e32 v6, v14, v19
	s_delay_alu instid0(VALU_DEP_1) | instskip(NEXT) | instid1(VALU_DEP_1)
	v_dual_add_f32 v3, v15, v3 :: v_dual_sub_f32 v6, v21, v6
	v_mul_f32_e32 v3, v18, v3
	s_delay_alu instid0(VALU_DEP_1) | instskip(NEXT) | instid1(VALU_DEP_1)
	v_dual_add_f32 v3, v6, v3 :: v_dual_mov_b32 v6, 0x3f317218
	v_add_f32_e32 v15, v14, v3
	s_delay_alu instid0(VALU_DEP_1) | instskip(NEXT) | instid1(VALU_DEP_1)
	v_mul_f32_e32 v7, v15, v15
	v_fmaak_f32 v17, s7, v7, 0x3ecc95a3
	v_mul_f32_e32 v9, v15, v7
	s_delay_alu instid0(VALU_DEP_2) | instskip(NEXT) | instid1(VALU_DEP_1)
	v_fmaak_f32 v7, v7, v17, 0x3f2aaada
	v_pk_mul_f32 v[6:7], v[8:9], v[6:7]
	s_delay_alu instid0(VALU_DEP_1) | instskip(NEXT) | instid1(VALU_DEP_1)
	v_fma_f32 v16, 0x3f317218, v8, -v6
	v_fmamk_f32 v8, v8, 0xb102e308, v16
	v_sub_f32_e32 v16, v15, v14
	s_delay_alu instid0(VALU_DEP_1) | instskip(SKIP_2) | instid1(VALU_DEP_3)
	v_sub_f32_e32 v3, v3, v16
	v_ldexp_f32 v9, v15, 1
	v_mov_b32_e32 v16, v6
	v_ldexp_f32 v3, v3, 1
	s_delay_alu instid0(VALU_DEP_3) | instskip(NEXT) | instid1(VALU_DEP_1)
	v_pk_add_f32 v[14:15], v[6:7], v[8:9]
	v_dual_sub_f32 v9, v15, v9 :: v_dual_mov_b32 v24, v15
	s_delay_alu instid0(VALU_DEP_1) | instskip(NEXT) | instid1(VALU_DEP_3)
	v_sub_f32_e32 v9, v7, v9
	v_pk_add_f32 v[6:7], v[14:15], v[6:7] neg_lo:[0,1] neg_hi:[0,1]
	s_delay_alu instid0(VALU_DEP_2) | instskip(NEXT) | instid1(VALU_DEP_1)
	v_dual_add_f32 v17, v3, v9 :: v_dual_mov_b32 v9, v14
	v_pk_add_f32 v[18:19], v[14:15], v[16:17]
	s_delay_alu instid0(VALU_DEP_1) | instskip(NEXT) | instid1(VALU_DEP_1)
	v_mov_b32_e32 v7, v19
	v_pk_add_f32 v[20:21], v[8:9], v[6:7]
	v_mov_b32_e32 v20, v19
	v_pk_add_f32 v[6:7], v[8:9], v[6:7] neg_lo:[0,1] neg_hi:[0,1]
	s_delay_alu instid0(VALU_DEP_3) | instskip(NEXT) | instid1(VALU_DEP_1)
	v_dual_mov_b32 v16, v21 :: v_dual_mov_b32 v7, v21
	v_pk_add_f32 v[22:23], v[16:17], v[14:15] neg_lo:[0,1] neg_hi:[0,1]
	v_dual_mov_b32 v15, v14 :: v_dual_mov_b32 v14, v17
	s_delay_alu instid0(VALU_DEP_2) | instskip(NEXT) | instid1(VALU_DEP_1)
	v_dual_mov_b32 v3, v22 :: v_dual_mov_b32 v25, v22
	v_pk_add_f32 v[18:19], v[18:19], v[2:3] neg_lo:[0,1] neg_hi:[0,1]
	s_delay_alu instid0(VALU_DEP_2) | instskip(SKIP_1) | instid1(VALU_DEP_2)
	v_pk_add_f32 v[8:9], v[20:21], v[24:25] neg_lo:[0,1] neg_hi:[0,1]
	v_mov_b32_e32 v18, v6
	v_pk_add_f32 v[8:9], v[14:15], v[8:9] neg_lo:[0,1] neg_hi:[0,1]
	s_delay_alu instid0(VALU_DEP_1) | instskip(NEXT) | instid1(VALU_DEP_1)
	v_pk_add_f32 v[14:15], v[18:19], v[8:9]
	v_mov_b32_e32 v18, v15
	s_delay_alu instid0(VALU_DEP_1) | instskip(NEXT) | instid1(VALU_DEP_1)
	v_pk_add_f32 v[18:19], v[14:15], v[18:19]
	v_pk_add_f32 v[16:17], v[16:17], v[18:19]
	s_delay_alu instid0(VALU_DEP_1) | instskip(NEXT) | instid1(VALU_DEP_1)
	v_mov_b32_e32 v15, v16
	v_pk_add_f32 v[20:21], v[14:15], v[6:7] neg_lo:[0,1] neg_hi:[0,1]
	s_delay_alu instid0(VALU_DEP_1) | instskip(NEXT) | instid1(VALU_DEP_1)
	v_sub_f32_e32 v3, v14, v20
	v_sub_f32_e32 v3, v6, v3
	v_mov_b32_e32 v9, v18
	s_delay_alu instid0(VALU_DEP_1) | instskip(NEXT) | instid1(VALU_DEP_1)
	v_pk_add_f32 v[8:9], v[8:9], v[20:21] neg_lo:[0,1] neg_hi:[0,1]
	v_add_f32_e32 v3, v8, v3
	s_delay_alu instid0(VALU_DEP_1) | instskip(NEXT) | instid1(VALU_DEP_1)
	v_add_f32_e32 v3, v3, v9
	v_add_f32_e32 v3, v16, v3
	s_delay_alu instid0(VALU_DEP_1) | instskip(SKIP_1) | instid1(VALU_DEP_2)
	v_cndmask_b32_e32 v3, 0x7f800000, v3, vcc_lo
	v_cmp_gt_f32_e64 vcc_lo, 0x33800000, |v13|
	v_cndmask_b32_e32 v3, v3, v13, vcc_lo
	s_delay_alu instid0(VALU_DEP_1) | instskip(NEXT) | instid1(VALU_DEP_1)
	v_div_scale_f32 v6, null, s9, s9, v3
	v_rcp_f32_e32 v7, v6
	v_nop
	s_delay_alu instid0(TRANS32_DEP_1) | instskip(NEXT) | instid1(VALU_DEP_1)
	v_fma_f32 v8, -v6, v7, 1.0
	v_fmac_f32_e32 v7, v8, v7
	v_div_scale_f32 v8, vcc_lo, v3, s9, v3
	s_delay_alu instid0(VALU_DEP_1) | instskip(NEXT) | instid1(VALU_DEP_1)
	v_mul_f32_e32 v9, v8, v7
	v_fma_f32 v13, -v6, v9, v8
	s_delay_alu instid0(VALU_DEP_1) | instskip(NEXT) | instid1(VALU_DEP_1)
	v_fmac_f32_e32 v9, v13, v7
	v_fma_f32 v6, -v6, v9, v8
	s_delay_alu instid0(VALU_DEP_1) | instskip(NEXT) | instid1(VALU_DEP_1)
	v_div_fmas_f32 v6, v6, v7, v9
	v_div_fixup_f32 v13, v6, s9, v3
.LBB12_15:
	s_or_b32 exec_lo, exec_lo, s6
	s_delay_alu instid0(VALU_DEP_1)
	v_mov_b32_e32 v3, v13
.LBB12_16:
	s_or_b32 exec_lo, exec_lo, s3
	s_wait_loadcnt 0x0
	v_or_b32_e32 v6, 0x200, v0
	s_mov_b32 s3, exec_lo
	s_delay_alu instid0(VALU_DEP_1)
	v_cmpx_gt_i32_e64 s2, v6
	s_cbranch_execz .LBB12_20
; %bb.17:
	v_mul_f32_e32 v4, s9, v12
	s_mov_b32 s6, exec_lo
	s_delay_alu instid0(VALU_DEP_1)
	v_cmpx_nlt_f32_e32 s10, v4
	s_cbranch_execz .LBB12_19
; %bb.18:
	v_mul_f32_e32 v6, 0x3fb8aa3b, v4
	v_cmp_ngt_f32_e32 vcc_lo, 0xc2ce8ed0, v4
	s_mov_b32 s7, 0x3e9b6dac
	s_delay_alu instid0(VALU_DEP_2) | instskip(SKIP_1) | instid1(VALU_DEP_2)
	v_rndne_f32_e32 v7, v6
	v_fma_f32 v8, 0x3fb8aa3b, v4, -v6
	v_sub_f32_e32 v6, v6, v7
	s_delay_alu instid0(VALU_DEP_2) | instskip(SKIP_1) | instid1(VALU_DEP_2)
	v_fmamk_f32 v8, v4, 0x32a5705f, v8
	v_cvt_i32_f32_e32 v7, v7
	v_add_f32_e32 v6, v6, v8
	s_delay_alu instid0(VALU_DEP_1) | instskip(SKIP_1) | instid1(TRANS32_DEP_1)
	v_exp_f32_e32 v6, v6
	v_nop
	v_ldexp_f32 v6, v6, v7
	s_delay_alu instid0(VALU_DEP_1) | instskip(SKIP_1) | instid1(VALU_DEP_2)
	v_cndmask_b32_e32 v6, 0, v6, vcc_lo
	v_cmp_nlt_f32_e32 vcc_lo, 0x42b17218, v4
	v_cndmask_b32_e32 v24, 0x7f800000, v6, vcc_lo
	s_delay_alu instid0(VALU_DEP_1) | instskip(NEXT) | instid1(VALU_DEP_1)
	v_add_f32_e32 v4, 1.0, v24
	v_cvt_f64_f32_e32 v[6:7], v4
	s_delay_alu instid0(VALU_DEP_1) | instskip(SKIP_1) | instid1(VALU_DEP_1)
	v_frexp_exp_i32_f64_e32 v6, v[6:7]
	v_frexp_mant_f32_e32 v7, v4
	v_cmp_gt_f32_e32 vcc_lo, 0x3f2aaaab, v7
	s_delay_alu instid0(VALU_DEP_3) | instskip(NEXT) | instid1(VALU_DEP_1)
	v_subrev_co_ci_u32_e64 v14, null, 0, v6, vcc_lo
	v_dual_add_f32 v6, -1.0, v4 :: v_dual_sub_nc_u32 v7, 0, v14
	s_delay_alu instid0(VALU_DEP_1) | instskip(NEXT) | instid1(VALU_DEP_2)
	v_sub_f32_e32 v8, v6, v4
	v_ldexp_f32 v4, v4, v7
	s_delay_alu instid0(VALU_DEP_1) | instskip(NEXT) | instid1(VALU_DEP_3)
	v_dual_add_f32 v9, 1.0, v4 :: v_dual_add_f32 v13, -1.0, v4
	v_dual_sub_f32 v6, v24, v6 :: v_dual_add_f32 v8, 1.0, v8
	v_cmp_neq_f32_e32 vcc_lo, 0x7f800000, v24
	s_delay_alu instid0(VALU_DEP_2) | instskip(NEXT) | instid1(VALU_DEP_1)
	v_dual_add_f32 v6, v6, v8 :: v_dual_add_f32 v8, -1.0, v9
	v_ldexp_f32 v6, v6, v7
	s_delay_alu instid0(VALU_DEP_2) | instskip(NEXT) | instid1(VALU_DEP_1)
	v_dual_sub_f32 v7, v4, v8 :: v_dual_add_f32 v8, 1.0, v13
	v_dual_add_f32 v12, v6, v7 :: v_dual_sub_f32 v4, v4, v8
	s_delay_alu instid0(VALU_DEP_1) | instskip(NEXT) | instid1(VALU_DEP_1)
	v_add_f32_e32 v15, v9, v12
	v_dual_add_f32 v4, v6, v4 :: v_dual_sub_f32 v6, v9, v15
	s_delay_alu instid0(VALU_DEP_1) | instskip(SKIP_1) | instid1(VALU_DEP_2)
	v_add_f32_e32 v18, v12, v6
	v_rcp_f32_e32 v16, v15
	v_add_f32_e32 v7, v13, v4
	s_delay_alu instid0(TRANS32_DEP_1) | instid1(VALU_DEP_1)
	v_mul_f32_e32 v17, v7, v16
	s_delay_alu instid0(VALU_DEP_1) | instskip(NEXT) | instid1(VALU_DEP_1)
	v_dual_mul_f32 v8, v15, v17 :: v_dual_sub_f32 v19, v13, v7
	v_fma_f32 v12, v17, v15, -v8
	s_delay_alu instid0(VALU_DEP_1) | instskip(NEXT) | instid1(VALU_DEP_1)
	v_dual_add_f32 v4, v4, v19 :: v_dual_fmac_f32 v12, v17, v18
	v_add_f32_e32 v6, v8, v12
	s_delay_alu instid0(VALU_DEP_1) | instskip(NEXT) | instid1(VALU_DEP_1)
	v_dual_sub_f32 v9, v7, v6 :: v_dual_mov_b32 v13, v6
	v_pk_add_f32 v[6:7], v[6:7], v[8:9] neg_lo:[0,1] neg_hi:[0,1]
	s_delay_alu instid0(VALU_DEP_1) | instskip(NEXT) | instid1(VALU_DEP_1)
	v_pk_add_f32 v[6:7], v[6:7], v[12:13] neg_lo:[0,1] neg_hi:[0,1]
	v_add_f32_e32 v4, v4, v7
	s_delay_alu instid0(VALU_DEP_1) | instskip(NEXT) | instid1(VALU_DEP_1)
	v_add_f32_e32 v4, v6, v4
	v_add_f32_e32 v7, v9, v4
	s_delay_alu instid0(VALU_DEP_1) | instskip(NEXT) | instid1(VALU_DEP_1)
	v_mul_f32_e32 v19, v16, v7
	v_mul_f32_e32 v12, v15, v19
	s_delay_alu instid0(VALU_DEP_1) | instskip(NEXT) | instid1(VALU_DEP_1)
	v_fma_f32 v8, v19, v15, -v12
	v_dual_sub_f32 v15, v9, v7 :: v_dual_fmac_f32 v8, v19, v18
	s_delay_alu instid0(VALU_DEP_1) | instskip(NEXT) | instid1(VALU_DEP_2)
	v_add_f32_e32 v4, v4, v15
	v_add_f32_e32 v6, v12, v8
	s_delay_alu instid0(VALU_DEP_1) | instskip(NEXT) | instid1(VALU_DEP_1)
	v_dual_sub_f32 v13, v7, v6 :: v_dual_mov_b32 v9, v6
	v_pk_add_f32 v[6:7], v[6:7], v[12:13] neg_lo:[0,1] neg_hi:[0,1]
	v_add_f32_e32 v12, v17, v19
	s_delay_alu instid0(VALU_DEP_2) | instskip(SKIP_1) | instid1(VALU_DEP_2)
	v_pk_add_f32 v[6:7], v[6:7], v[8:9] neg_lo:[0,1] neg_hi:[0,1]
	v_cvt_f32_i32_e32 v8, v14
	v_add_f32_e32 v4, v4, v7
	s_delay_alu instid0(VALU_DEP_1) | instskip(NEXT) | instid1(VALU_DEP_1)
	v_dual_add_f32 v4, v6, v4 :: v_dual_sub_f32 v6, v12, v17
	v_dual_add_f32 v4, v13, v4 :: v_dual_sub_f32 v6, v19, v6
	s_delay_alu instid0(VALU_DEP_1) | instskip(NEXT) | instid1(VALU_DEP_1)
	v_mul_f32_e32 v4, v16, v4
	v_add_f32_e32 v4, v6, v4
	s_delay_alu instid0(VALU_DEP_1) | instskip(NEXT) | instid1(VALU_DEP_1)
	v_dual_mov_b32 v6, 0x3f317218 :: v_dual_add_f32 v13, v12, v4
	v_mul_f32_e32 v7, v13, v13
	s_delay_alu instid0(VALU_DEP_1) | instskip(SKIP_1) | instid1(VALU_DEP_2)
	v_fmaak_f32 v15, s7, v7, 0x3ecc95a3
	v_mul_f32_e32 v9, v13, v7
	v_fmaak_f32 v7, v7, v15, 0x3f2aaada
	s_delay_alu instid0(VALU_DEP_1) | instskip(SKIP_1) | instid1(VALU_DEP_2)
	v_pk_mul_f32 v[6:7], v[8:9], v[6:7]
	v_ldexp_f32 v9, v13, 1
	v_fma_f32 v14, 0x3f317218, v8, -v6
	s_delay_alu instid0(VALU_DEP_1) | instskip(SKIP_1) | instid1(VALU_DEP_2)
	v_fmamk_f32 v8, v8, 0xb102e308, v14
	v_sub_f32_e32 v14, v13, v12
	v_pk_add_f32 v[12:13], v[6:7], v[8:9]
	s_delay_alu instid0(VALU_DEP_1) | instskip(NEXT) | instid1(VALU_DEP_1)
	v_sub_f32_e32 v9, v13, v9
	v_dual_sub_f32 v9, v7, v9 :: v_dual_sub_f32 v4, v4, v14
	v_mov_b32_e32 v14, v6
	s_delay_alu instid0(VALU_DEP_4) | instskip(NEXT) | instid1(VALU_DEP_3)
	v_pk_add_f32 v[6:7], v[12:13], v[6:7] neg_lo:[0,1] neg_hi:[0,1]
	v_ldexp_f32 v4, v4, 1
	s_delay_alu instid0(VALU_DEP_1) | instskip(SKIP_1) | instid1(VALU_DEP_2)
	v_add_f32_e32 v15, v4, v9
	v_mov_b32_e32 v9, v12
	v_pk_add_f32 v[16:17], v[12:13], v[14:15]
	s_delay_alu instid0(VALU_DEP_1) | instskip(NEXT) | instid1(VALU_DEP_1)
	v_dual_mov_b32 v22, v13 :: v_dual_mov_b32 v7, v17
	v_pk_add_f32 v[18:19], v[8:9], v[6:7]
	s_delay_alu instid0(VALU_DEP_1) | instskip(SKIP_2) | instid1(VALU_DEP_3)
	v_dual_mov_b32 v18, v17 :: v_dual_mov_b32 v4, v19
	v_pk_add_f32 v[6:7], v[8:9], v[6:7] neg_lo:[0,1] neg_hi:[0,1]
	v_mov_b32_e32 v7, v19
	v_pk_add_f32 v[20:21], v[4:5], v[12:13] neg_lo:[0,1] neg_hi:[0,1]
	v_dual_mov_b32 v13, v12 :: v_dual_mov_b32 v12, v15
	s_delay_alu instid0(VALU_DEP_2) | instskip(NEXT) | instid1(VALU_DEP_1)
	v_dual_mov_b32 v15, v20 :: v_dual_mov_b32 v23, v20
	v_pk_add_f32 v[14:15], v[16:17], v[14:15] neg_lo:[0,1] neg_hi:[0,1]
	s_delay_alu instid0(VALU_DEP_2) | instskip(SKIP_1) | instid1(VALU_DEP_2)
	v_pk_add_f32 v[8:9], v[18:19], v[22:23] neg_lo:[0,1] neg_hi:[0,1]
	v_mov_b32_e32 v14, v6
	v_pk_add_f32 v[8:9], v[12:13], v[8:9] neg_lo:[0,1] neg_hi:[0,1]
	s_delay_alu instid0(VALU_DEP_1) | instskip(NEXT) | instid1(VALU_DEP_1)
	v_pk_add_f32 v[12:13], v[14:15], v[8:9]
	v_mov_b32_e32 v14, v13
	s_delay_alu instid0(VALU_DEP_1) | instskip(NEXT) | instid1(VALU_DEP_1)
	v_pk_add_f32 v[14:15], v[12:13], v[14:15]
	v_pk_add_f32 v[16:17], v[4:5], v[14:15]
	s_delay_alu instid0(VALU_DEP_1) | instskip(NEXT) | instid1(VALU_DEP_1)
	v_mov_b32_e32 v13, v16
	v_pk_add_f32 v[18:19], v[12:13], v[6:7] neg_lo:[0,1] neg_hi:[0,1]
	s_delay_alu instid0(VALU_DEP_1) | instskip(NEXT) | instid1(VALU_DEP_1)
	v_dual_mov_b32 v9, v14 :: v_dual_sub_f32 v4, v12, v18
	v_pk_add_f32 v[8:9], v[8:9], v[18:19] neg_lo:[0,1] neg_hi:[0,1]
	s_delay_alu instid0(VALU_DEP_2) | instskip(NEXT) | instid1(VALU_DEP_1)
	v_sub_f32_e32 v4, v6, v4
	v_add_f32_e32 v4, v8, v4
	s_delay_alu instid0(VALU_DEP_1) | instskip(NEXT) | instid1(VALU_DEP_1)
	v_add_f32_e32 v4, v4, v9
	v_add_f32_e32 v4, v16, v4
	s_delay_alu instid0(VALU_DEP_1) | instskip(SKIP_1) | instid1(VALU_DEP_2)
	v_cndmask_b32_e32 v4, 0x7f800000, v4, vcc_lo
	v_cmp_gt_f32_e64 vcc_lo, 0x33800000, |v24|
	v_cndmask_b32_e32 v4, v4, v24, vcc_lo
	s_delay_alu instid0(VALU_DEP_1) | instskip(NEXT) | instid1(VALU_DEP_1)
	v_div_scale_f32 v6, null, s9, s9, v4
	v_rcp_f32_e32 v7, v6
	v_nop
	s_delay_alu instid0(TRANS32_DEP_1) | instskip(NEXT) | instid1(VALU_DEP_1)
	v_fma_f32 v8, -v6, v7, 1.0
	v_fmac_f32_e32 v7, v8, v7
	v_div_scale_f32 v8, vcc_lo, v4, s9, v4
	s_delay_alu instid0(VALU_DEP_1) | instskip(NEXT) | instid1(VALU_DEP_1)
	v_mul_f32_e32 v9, v8, v7
	v_fma_f32 v12, -v6, v9, v8
	s_delay_alu instid0(VALU_DEP_1) | instskip(NEXT) | instid1(VALU_DEP_1)
	v_fmac_f32_e32 v9, v12, v7
	v_fma_f32 v6, -v6, v9, v8
	s_delay_alu instid0(VALU_DEP_1) | instskip(NEXT) | instid1(VALU_DEP_1)
	v_div_fmas_f32 v6, v6, v7, v9
	v_div_fixup_f32 v12, v6, s9, v4
.LBB12_19:
	s_or_b32 exec_lo, exec_lo, s6
	s_delay_alu instid0(VALU_DEP_1)
	v_mov_b32_e32 v4, v12
.LBB12_20:
	s_or_b32 exec_lo, exec_lo, s3
	v_or_b32_e32 v6, 0x300, v0
	s_mov_b32 s3, exec_lo
	s_delay_alu instid0(VALU_DEP_1)
	v_cmpx_gt_i32_e64 s2, v6
	s_cbranch_execnz .LBB12_26
; %bb.21:
	s_or_b32 exec_lo, exec_lo, s3
	s_and_saveexec_b32 s3, s0
	s_delay_alu instid0(SALU_CYCLE_1)
	s_xor_b32 s0, exec_lo, s3
	s_cbranch_execnz .LBB12_29
.LBB12_22:
	s_or_b32 exec_lo, exec_lo, s0
	s_delay_alu instid0(SALU_CYCLE_1)
	s_mov_b32 s0, exec_lo
	v_cmpx_gt_i32_e64 s2, v0
	s_cbranch_execnz .LBB12_30
.LBB12_23:
	s_or_b32 exec_lo, exec_lo, s0
	s_delay_alu instid0(SALU_CYCLE_1)
	s_mov_b32 s0, exec_lo
	v_cmpx_gt_i32_e64 s2, v0
	s_cbranch_execnz .LBB12_31
.LBB12_24:
	s_or_b32 exec_lo, exec_lo, s0
	s_delay_alu instid0(SALU_CYCLE_1)
	s_mov_b32 s0, exec_lo
	v_cmpx_gt_i32_e64 s2, v0
	s_cbranch_execnz .LBB12_32
.LBB12_25:
	s_endpgm
.LBB12_26:
	v_mul_f32_e32 v5, s9, v11
	s_mov_b32 s6, exec_lo
	s_delay_alu instid0(VALU_DEP_1)
	v_cmpx_nlt_f32_e32 s10, v5
	s_cbranch_execz .LBB12_28
; %bb.27:
	v_mul_f32_e32 v6, 0x3fb8aa3b, v5
	v_cmp_ngt_f32_e32 vcc_lo, 0xc2ce8ed0, v5
	s_mov_b32 s7, 0x3e9b6dac
	s_delay_alu instid0(VALU_DEP_2) | instskip(SKIP_1) | instid1(VALU_DEP_2)
	v_rndne_f32_e32 v7, v6
	v_fma_f32 v8, 0x3fb8aa3b, v5, -v6
	v_sub_f32_e32 v6, v6, v7
	s_delay_alu instid0(VALU_DEP_2) | instskip(SKIP_1) | instid1(VALU_DEP_2)
	v_fmamk_f32 v8, v5, 0x32a5705f, v8
	v_cvt_i32_f32_e32 v7, v7
	v_add_f32_e32 v6, v6, v8
	s_delay_alu instid0(VALU_DEP_1) | instskip(SKIP_1) | instid1(TRANS32_DEP_1)
	v_exp_f32_e32 v6, v6
	v_nop
	v_ldexp_f32 v6, v6, v7
	s_delay_alu instid0(VALU_DEP_1) | instskip(SKIP_1) | instid1(VALU_DEP_2)
	v_cndmask_b32_e32 v6, 0, v6, vcc_lo
	v_cmp_nlt_f32_e32 vcc_lo, 0x42b17218, v5
	v_cndmask_b32_e32 v11, 0x7f800000, v6, vcc_lo
	s_delay_alu instid0(VALU_DEP_1) | instskip(NEXT) | instid1(VALU_DEP_1)
	v_add_f32_e32 v5, 1.0, v11
	v_cvt_f64_f32_e32 v[6:7], v5
	s_delay_alu instid0(VALU_DEP_1) | instskip(SKIP_1) | instid1(VALU_DEP_1)
	v_frexp_exp_i32_f64_e32 v6, v[6:7]
	v_frexp_mant_f32_e32 v7, v5
	v_cmp_gt_f32_e32 vcc_lo, 0x3f2aaaab, v7
	s_delay_alu instid0(VALU_DEP_3) | instskip(SKIP_2) | instid1(VALU_DEP_2)
	v_subrev_co_ci_u32_e64 v14, null, 0, v6, vcc_lo
	v_add_f32_e32 v6, -1.0, v5
	v_cmp_neq_f32_e32 vcc_lo, 0x7f800000, v11
	v_dual_sub_f32 v8, v6, v5 :: v_dual_sub_nc_u32 v7, 0, v14
	v_sub_f32_e32 v6, v11, v6
	s_delay_alu instid0(VALU_DEP_2) | instskip(NEXT) | instid1(VALU_DEP_1)
	v_ldexp_f32 v5, v5, v7
	v_dual_add_f32 v8, 1.0, v8 :: v_dual_add_f32 v9, 1.0, v5
	s_delay_alu instid0(VALU_DEP_1) | instskip(NEXT) | instid1(VALU_DEP_2)
	v_dual_add_f32 v13, -1.0, v5 :: v_dual_add_f32 v6, v6, v8
	v_add_f32_e32 v8, -1.0, v9
	s_delay_alu instid0(VALU_DEP_2) | instskip(NEXT) | instid1(VALU_DEP_2)
	v_ldexp_f32 v6, v6, v7
	v_dual_sub_f32 v7, v5, v8 :: v_dual_add_f32 v8, 1.0, v13
	s_delay_alu instid0(VALU_DEP_1) | instskip(NEXT) | instid1(VALU_DEP_1)
	v_dual_add_f32 v12, v6, v7 :: v_dual_sub_f32 v5, v5, v8
	v_dual_add_f32 v15, v9, v12 :: v_dual_add_f32 v5, v6, v5
	s_delay_alu instid0(VALU_DEP_1) | instskip(SKIP_1) | instid1(VALU_DEP_1)
	v_rcp_f32_e32 v16, v15
	v_sub_f32_e32 v6, v9, v15
	v_dual_add_f32 v7, v13, v5 :: v_dual_add_f32 v18, v12, v6
	s_delay_alu instid0(TRANS32_DEP_1) | instid1(VALU_DEP_1)
	v_dual_mul_f32 v17, v7, v16 :: v_dual_sub_f32 v19, v13, v7
	s_delay_alu instid0(VALU_DEP_1) | instskip(NEXT) | instid1(VALU_DEP_1)
	v_dual_mul_f32 v8, v15, v17 :: v_dual_add_f32 v5, v5, v19
	v_fma_f32 v12, v17, v15, -v8
	s_delay_alu instid0(VALU_DEP_1) | instskip(NEXT) | instid1(VALU_DEP_1)
	v_fmac_f32_e32 v12, v17, v18
	v_add_f32_e32 v6, v8, v12
	s_delay_alu instid0(VALU_DEP_1) | instskip(NEXT) | instid1(VALU_DEP_1)
	v_dual_sub_f32 v9, v7, v6 :: v_dual_mov_b32 v13, v6
	v_pk_add_f32 v[6:7], v[6:7], v[8:9] neg_lo:[0,1] neg_hi:[0,1]
	s_delay_alu instid0(VALU_DEP_1) | instskip(NEXT) | instid1(VALU_DEP_1)
	v_pk_add_f32 v[6:7], v[6:7], v[12:13] neg_lo:[0,1] neg_hi:[0,1]
	v_add_f32_e32 v5, v5, v7
	s_delay_alu instid0(VALU_DEP_1) | instskip(NEXT) | instid1(VALU_DEP_1)
	v_add_f32_e32 v5, v6, v5
	v_add_f32_e32 v7, v9, v5
	s_delay_alu instid0(VALU_DEP_1) | instskip(NEXT) | instid1(VALU_DEP_1)
	v_mul_f32_e32 v19, v16, v7
	v_mul_f32_e32 v12, v15, v19
	s_delay_alu instid0(VALU_DEP_1) | instskip(NEXT) | instid1(VALU_DEP_1)
	v_fma_f32 v8, v19, v15, -v12
	v_dual_sub_f32 v15, v9, v7 :: v_dual_fmac_f32 v8, v19, v18
	s_delay_alu instid0(VALU_DEP_1) | instskip(NEXT) | instid1(VALU_DEP_1)
	v_dual_add_f32 v5, v5, v15 :: v_dual_add_f32 v6, v12, v8
	v_dual_sub_f32 v13, v7, v6 :: v_dual_mov_b32 v9, v6
	s_delay_alu instid0(VALU_DEP_1) | instskip(NEXT) | instid1(VALU_DEP_1)
	v_pk_add_f32 v[6:7], v[6:7], v[12:13] neg_lo:[0,1] neg_hi:[0,1]
	v_pk_add_f32 v[6:7], v[6:7], v[8:9] neg_lo:[0,1] neg_hi:[0,1]
	v_add_f32_e32 v12, v17, v19
	v_cvt_f32_i32_e32 v8, v14
	s_delay_alu instid0(VALU_DEP_3) | instskip(NEXT) | instid1(VALU_DEP_1)
	v_add_f32_e32 v5, v5, v7
	v_add_f32_e32 v5, v6, v5
	s_delay_alu instid0(VALU_DEP_4) | instskip(NEXT) | instid1(VALU_DEP_1)
	v_sub_f32_e32 v6, v12, v17
	v_dual_add_f32 v5, v13, v5 :: v_dual_sub_f32 v6, v19, v6
	s_delay_alu instid0(VALU_DEP_1) | instskip(NEXT) | instid1(VALU_DEP_1)
	v_mul_f32_e32 v5, v16, v5
	v_dual_add_f32 v5, v6, v5 :: v_dual_mov_b32 v6, 0x3f317218
	s_delay_alu instid0(VALU_DEP_1) | instskip(NEXT) | instid1(VALU_DEP_1)
	v_add_f32_e32 v13, v12, v5
	v_mul_f32_e32 v7, v13, v13
	s_delay_alu instid0(VALU_DEP_1) | instskip(SKIP_1) | instid1(VALU_DEP_2)
	v_fmaak_f32 v15, s7, v7, 0x3ecc95a3
	v_mul_f32_e32 v9, v13, v7
	v_fmaak_f32 v7, v7, v15, 0x3f2aaada
	s_delay_alu instid0(VALU_DEP_1) | instskip(NEXT) | instid1(VALU_DEP_1)
	v_pk_mul_f32 v[6:7], v[8:9], v[6:7]
	v_fma_f32 v14, 0x3f317218, v8, -v6
	s_delay_alu instid0(VALU_DEP_1) | instskip(SKIP_1) | instid1(VALU_DEP_1)
	v_fmamk_f32 v8, v8, 0xb102e308, v14
	v_sub_f32_e32 v14, v13, v12
	v_sub_f32_e32 v5, v5, v14
	v_ldexp_f32 v9, v13, 1
	v_mov_b32_e32 v14, v6
	s_delay_alu instid0(VALU_DEP_3) | instskip(NEXT) | instid1(VALU_DEP_3)
	v_ldexp_f32 v5, v5, 1
	v_pk_add_f32 v[12:13], v[6:7], v[8:9]
	s_delay_alu instid0(VALU_DEP_1) | instskip(NEXT) | instid1(VALU_DEP_1)
	v_sub_f32_e32 v9, v13, v9
	v_sub_f32_e32 v9, v7, v9
	s_delay_alu instid0(VALU_DEP_3) | instskip(NEXT) | instid1(VALU_DEP_2)
	v_pk_add_f32 v[6:7], v[12:13], v[6:7] neg_lo:[0,1] neg_hi:[0,1]
	v_dual_add_f32 v15, v5, v9 :: v_dual_mov_b32 v9, v12
	s_delay_alu instid0(VALU_DEP_1) | instskip(NEXT) | instid1(VALU_DEP_1)
	v_pk_add_f32 v[16:17], v[12:13], v[14:15]
	v_dual_mov_b32 v22, v13 :: v_dual_mov_b32 v7, v17
	s_delay_alu instid0(VALU_DEP_1) | instskip(SKIP_2) | instid1(VALU_DEP_3)
	v_pk_add_f32 v[18:19], v[8:9], v[6:7]
	v_mov_b32_e32 v18, v17
	v_pk_add_f32 v[6:7], v[8:9], v[6:7] neg_lo:[0,1] neg_hi:[0,1]
	v_dual_mov_b32 v14, v19 :: v_dual_mov_b32 v7, v19
	s_delay_alu instid0(VALU_DEP_1) | instskip(SKIP_1) | instid1(VALU_DEP_2)
	v_pk_add_f32 v[20:21], v[14:15], v[12:13] neg_lo:[0,1] neg_hi:[0,1]
	v_dual_mov_b32 v13, v12 :: v_dual_mov_b32 v12, v15
	v_dual_mov_b32 v5, v20 :: v_dual_mov_b32 v23, v20
	s_delay_alu instid0(VALU_DEP_1) | instskip(NEXT) | instid1(VALU_DEP_2)
	v_pk_add_f32 v[16:17], v[16:17], v[4:5] neg_lo:[0,1] neg_hi:[0,1]
	v_pk_add_f32 v[8:9], v[18:19], v[22:23] neg_lo:[0,1] neg_hi:[0,1]
	v_mov_b32_e32 v16, v6
	s_delay_alu instid0(VALU_DEP_2) | instskip(NEXT) | instid1(VALU_DEP_1)
	v_pk_add_f32 v[8:9], v[12:13], v[8:9] neg_lo:[0,1] neg_hi:[0,1]
	v_pk_add_f32 v[12:13], v[16:17], v[8:9]
	s_delay_alu instid0(VALU_DEP_1) | instskip(NEXT) | instid1(VALU_DEP_1)
	v_mov_b32_e32 v16, v13
	v_pk_add_f32 v[16:17], v[12:13], v[16:17]
	s_delay_alu instid0(VALU_DEP_1) | instskip(NEXT) | instid1(VALU_DEP_1)
	v_pk_add_f32 v[14:15], v[14:15], v[16:17]
	v_mov_b32_e32 v13, v14
	s_delay_alu instid0(VALU_DEP_1) | instskip(NEXT) | instid1(VALU_DEP_1)
	v_pk_add_f32 v[18:19], v[12:13], v[6:7] neg_lo:[0,1] neg_hi:[0,1]
	v_sub_f32_e32 v5, v12, v18
	s_delay_alu instid0(VALU_DEP_1) | instskip(NEXT) | instid1(VALU_DEP_1)
	v_dual_mov_b32 v9, v16 :: v_dual_sub_f32 v5, v6, v5
	v_pk_add_f32 v[8:9], v[8:9], v[18:19] neg_lo:[0,1] neg_hi:[0,1]
	s_delay_alu instid0(VALU_DEP_1) | instskip(NEXT) | instid1(VALU_DEP_1)
	v_add_f32_e32 v5, v8, v5
	v_add_f32_e32 v5, v5, v9
	s_delay_alu instid0(VALU_DEP_1) | instskip(NEXT) | instid1(VALU_DEP_1)
	v_add_f32_e32 v5, v14, v5
	v_cndmask_b32_e32 v5, 0x7f800000, v5, vcc_lo
	v_cmp_gt_f32_e64 vcc_lo, 0x33800000, |v11|
	s_delay_alu instid0(VALU_DEP_2) | instskip(NEXT) | instid1(VALU_DEP_1)
	v_cndmask_b32_e32 v5, v5, v11, vcc_lo
	v_div_scale_f32 v6, null, s9, s9, v5
	s_delay_alu instid0(VALU_DEP_1) | instskip(SKIP_1) | instid1(TRANS32_DEP_1)
	v_rcp_f32_e32 v7, v6
	v_nop
	v_fma_f32 v8, -v6, v7, 1.0
	s_delay_alu instid0(VALU_DEP_1) | instskip(SKIP_1) | instid1(VALU_DEP_1)
	v_fmac_f32_e32 v7, v8, v7
	v_div_scale_f32 v8, vcc_lo, v5, s9, v5
	v_mul_f32_e32 v9, v8, v7
	s_delay_alu instid0(VALU_DEP_1) | instskip(NEXT) | instid1(VALU_DEP_1)
	v_fma_f32 v11, -v6, v9, v8
	v_fmac_f32_e32 v9, v11, v7
	s_delay_alu instid0(VALU_DEP_1) | instskip(NEXT) | instid1(VALU_DEP_1)
	v_fma_f32 v6, -v6, v9, v8
	v_div_fmas_f32 v6, v6, v7, v9
	s_delay_alu instid0(VALU_DEP_1)
	v_div_fixup_f32 v11, v6, s9, v5
.LBB12_28:
	s_or_b32 exec_lo, exec_lo, s6
	s_delay_alu instid0(VALU_DEP_1) | instskip(SKIP_2) | instid1(SALU_CYCLE_1)
	v_mov_b32_e32 v5, v11
	s_or_b32 exec_lo, exec_lo, s3
	s_and_saveexec_b32 s3, s0
	s_xor_b32 s0, exec_lo, s3
	s_cbranch_execz .LBB12_22
.LBB12_29:
	v_mov_b32_e32 v0, v1
	global_store_b32 v10, v2, s[4:5] scale_offset
	s_wait_xcnt 0x0
	s_or_b32 exec_lo, exec_lo, s0
	s_delay_alu instid0(SALU_CYCLE_1)
	s_mov_b32 s0, exec_lo
	v_cmpx_gt_i32_e64 s2, v0
	s_cbranch_execz .LBB12_23
.LBB12_30:
	v_add_nc_u32_e32 v1, 0x100, v0
	s_delay_alu instid0(VALU_DEP_1) | instskip(SKIP_3) | instid1(SALU_CYCLE_1)
	v_dual_add_nc_u32 v2, s1, v0 :: v_dual_mov_b32 v0, v1
	global_store_b32 v2, v3, s[4:5] scale_offset
	s_wait_xcnt 0x0
	s_or_b32 exec_lo, exec_lo, s0
	s_mov_b32 s0, exec_lo
	v_cmpx_gt_i32_e64 s2, v0
	s_cbranch_execz .LBB12_24
.LBB12_31:
	v_add_nc_u32_e32 v1, 0x100, v0
	s_delay_alu instid0(VALU_DEP_1) | instskip(SKIP_3) | instid1(SALU_CYCLE_1)
	v_dual_add_nc_u32 v2, s1, v0 :: v_dual_mov_b32 v0, v1
	global_store_b32 v2, v4, s[4:5] scale_offset
	s_wait_xcnt 0x0
	s_or_b32 exec_lo, exec_lo, s0
	s_mov_b32 s0, exec_lo
	v_cmpx_gt_i32_e64 s2, v0
	s_cbranch_execz .LBB12_25
.LBB12_32:
	v_add_nc_u32_e32 v0, s1, v0
	global_store_b32 v0, v5, s[4:5] scale_offset
	s_endpgm
	.section	.rodata,"a",@progbits
	.p2align	6, 0x0
	.amdhsa_kernel _ZN2at6native27unrolled_elementwise_kernelIZZZNS0_12_GLOBAL__N_115softplus_kernelERNS_18TensorIteratorBaseERKN3c106ScalarES8_ENKUlvE_clEvENKUlvE0_clEvEUlfE_St5arrayIPcLm2EELi4E23TrivialOffsetCalculatorILi1EjESG_NS0_6memory15LoadWithoutCastENSH_16StoreWithoutCastEEEviT_T0_T2_T3_T4_T5_
		.amdhsa_group_segment_fixed_size 0
		.amdhsa_private_segment_fixed_size 0
		.amdhsa_kernarg_size 36
		.amdhsa_user_sgpr_count 2
		.amdhsa_user_sgpr_dispatch_ptr 0
		.amdhsa_user_sgpr_queue_ptr 0
		.amdhsa_user_sgpr_kernarg_segment_ptr 1
		.amdhsa_user_sgpr_dispatch_id 0
		.amdhsa_user_sgpr_kernarg_preload_length 0
		.amdhsa_user_sgpr_kernarg_preload_offset 0
		.amdhsa_user_sgpr_private_segment_size 0
		.amdhsa_wavefront_size32 1
		.amdhsa_uses_dynamic_stack 0
		.amdhsa_enable_private_segment 0
		.amdhsa_system_sgpr_workgroup_id_x 1
		.amdhsa_system_sgpr_workgroup_id_y 0
		.amdhsa_system_sgpr_workgroup_id_z 0
		.amdhsa_system_sgpr_workgroup_info 0
		.amdhsa_system_vgpr_workitem_id 0
		.amdhsa_next_free_vgpr 26
		.amdhsa_next_free_sgpr 11
		.amdhsa_named_barrier_count 0
		.amdhsa_reserve_vcc 1
		.amdhsa_float_round_mode_32 0
		.amdhsa_float_round_mode_16_64 0
		.amdhsa_float_denorm_mode_32 3
		.amdhsa_float_denorm_mode_16_64 3
		.amdhsa_fp16_overflow 0
		.amdhsa_memory_ordered 1
		.amdhsa_forward_progress 1
		.amdhsa_inst_pref_size 39
		.amdhsa_round_robin_scheduling 0
		.amdhsa_exception_fp_ieee_invalid_op 0
		.amdhsa_exception_fp_denorm_src 0
		.amdhsa_exception_fp_ieee_div_zero 0
		.amdhsa_exception_fp_ieee_overflow 0
		.amdhsa_exception_fp_ieee_underflow 0
		.amdhsa_exception_fp_ieee_inexact 0
		.amdhsa_exception_int_div_zero 0
	.end_amdhsa_kernel
	.section	.text._ZN2at6native27unrolled_elementwise_kernelIZZZNS0_12_GLOBAL__N_115softplus_kernelERNS_18TensorIteratorBaseERKN3c106ScalarES8_ENKUlvE_clEvENKUlvE0_clEvEUlfE_St5arrayIPcLm2EELi4E23TrivialOffsetCalculatorILi1EjESG_NS0_6memory15LoadWithoutCastENSH_16StoreWithoutCastEEEviT_T0_T2_T3_T4_T5_,"axG",@progbits,_ZN2at6native27unrolled_elementwise_kernelIZZZNS0_12_GLOBAL__N_115softplus_kernelERNS_18TensorIteratorBaseERKN3c106ScalarES8_ENKUlvE_clEvENKUlvE0_clEvEUlfE_St5arrayIPcLm2EELi4E23TrivialOffsetCalculatorILi1EjESG_NS0_6memory15LoadWithoutCastENSH_16StoreWithoutCastEEEviT_T0_T2_T3_T4_T5_,comdat
.Lfunc_end12:
	.size	_ZN2at6native27unrolled_elementwise_kernelIZZZNS0_12_GLOBAL__N_115softplus_kernelERNS_18TensorIteratorBaseERKN3c106ScalarES8_ENKUlvE_clEvENKUlvE0_clEvEUlfE_St5arrayIPcLm2EELi4E23TrivialOffsetCalculatorILi1EjESG_NS0_6memory15LoadWithoutCastENSH_16StoreWithoutCastEEEviT_T0_T2_T3_T4_T5_, .Lfunc_end12-_ZN2at6native27unrolled_elementwise_kernelIZZZNS0_12_GLOBAL__N_115softplus_kernelERNS_18TensorIteratorBaseERKN3c106ScalarES8_ENKUlvE_clEvENKUlvE0_clEvEUlfE_St5arrayIPcLm2EELi4E23TrivialOffsetCalculatorILi1EjESG_NS0_6memory15LoadWithoutCastENSH_16StoreWithoutCastEEEviT_T0_T2_T3_T4_T5_
                                        ; -- End function
	.set _ZN2at6native27unrolled_elementwise_kernelIZZZNS0_12_GLOBAL__N_115softplus_kernelERNS_18TensorIteratorBaseERKN3c106ScalarES8_ENKUlvE_clEvENKUlvE0_clEvEUlfE_St5arrayIPcLm2EELi4E23TrivialOffsetCalculatorILi1EjESG_NS0_6memory15LoadWithoutCastENSH_16StoreWithoutCastEEEviT_T0_T2_T3_T4_T5_.num_vgpr, 26
	.set _ZN2at6native27unrolled_elementwise_kernelIZZZNS0_12_GLOBAL__N_115softplus_kernelERNS_18TensorIteratorBaseERKN3c106ScalarES8_ENKUlvE_clEvENKUlvE0_clEvEUlfE_St5arrayIPcLm2EELi4E23TrivialOffsetCalculatorILi1EjESG_NS0_6memory15LoadWithoutCastENSH_16StoreWithoutCastEEEviT_T0_T2_T3_T4_T5_.num_agpr, 0
	.set _ZN2at6native27unrolled_elementwise_kernelIZZZNS0_12_GLOBAL__N_115softplus_kernelERNS_18TensorIteratorBaseERKN3c106ScalarES8_ENKUlvE_clEvENKUlvE0_clEvEUlfE_St5arrayIPcLm2EELi4E23TrivialOffsetCalculatorILi1EjESG_NS0_6memory15LoadWithoutCastENSH_16StoreWithoutCastEEEviT_T0_T2_T3_T4_T5_.numbered_sgpr, 11
	.set _ZN2at6native27unrolled_elementwise_kernelIZZZNS0_12_GLOBAL__N_115softplus_kernelERNS_18TensorIteratorBaseERKN3c106ScalarES8_ENKUlvE_clEvENKUlvE0_clEvEUlfE_St5arrayIPcLm2EELi4E23TrivialOffsetCalculatorILi1EjESG_NS0_6memory15LoadWithoutCastENSH_16StoreWithoutCastEEEviT_T0_T2_T3_T4_T5_.num_named_barrier, 0
	.set _ZN2at6native27unrolled_elementwise_kernelIZZZNS0_12_GLOBAL__N_115softplus_kernelERNS_18TensorIteratorBaseERKN3c106ScalarES8_ENKUlvE_clEvENKUlvE0_clEvEUlfE_St5arrayIPcLm2EELi4E23TrivialOffsetCalculatorILi1EjESG_NS0_6memory15LoadWithoutCastENSH_16StoreWithoutCastEEEviT_T0_T2_T3_T4_T5_.private_seg_size, 0
	.set _ZN2at6native27unrolled_elementwise_kernelIZZZNS0_12_GLOBAL__N_115softplus_kernelERNS_18TensorIteratorBaseERKN3c106ScalarES8_ENKUlvE_clEvENKUlvE0_clEvEUlfE_St5arrayIPcLm2EELi4E23TrivialOffsetCalculatorILi1EjESG_NS0_6memory15LoadWithoutCastENSH_16StoreWithoutCastEEEviT_T0_T2_T3_T4_T5_.uses_vcc, 1
	.set _ZN2at6native27unrolled_elementwise_kernelIZZZNS0_12_GLOBAL__N_115softplus_kernelERNS_18TensorIteratorBaseERKN3c106ScalarES8_ENKUlvE_clEvENKUlvE0_clEvEUlfE_St5arrayIPcLm2EELi4E23TrivialOffsetCalculatorILi1EjESG_NS0_6memory15LoadWithoutCastENSH_16StoreWithoutCastEEEviT_T0_T2_T3_T4_T5_.uses_flat_scratch, 0
	.set _ZN2at6native27unrolled_elementwise_kernelIZZZNS0_12_GLOBAL__N_115softplus_kernelERNS_18TensorIteratorBaseERKN3c106ScalarES8_ENKUlvE_clEvENKUlvE0_clEvEUlfE_St5arrayIPcLm2EELi4E23TrivialOffsetCalculatorILi1EjESG_NS0_6memory15LoadWithoutCastENSH_16StoreWithoutCastEEEviT_T0_T2_T3_T4_T5_.has_dyn_sized_stack, 0
	.set _ZN2at6native27unrolled_elementwise_kernelIZZZNS0_12_GLOBAL__N_115softplus_kernelERNS_18TensorIteratorBaseERKN3c106ScalarES8_ENKUlvE_clEvENKUlvE0_clEvEUlfE_St5arrayIPcLm2EELi4E23TrivialOffsetCalculatorILi1EjESG_NS0_6memory15LoadWithoutCastENSH_16StoreWithoutCastEEEviT_T0_T2_T3_T4_T5_.has_recursion, 0
	.set _ZN2at6native27unrolled_elementwise_kernelIZZZNS0_12_GLOBAL__N_115softplus_kernelERNS_18TensorIteratorBaseERKN3c106ScalarES8_ENKUlvE_clEvENKUlvE0_clEvEUlfE_St5arrayIPcLm2EELi4E23TrivialOffsetCalculatorILi1EjESG_NS0_6memory15LoadWithoutCastENSH_16StoreWithoutCastEEEviT_T0_T2_T3_T4_T5_.has_indirect_call, 0
	.section	.AMDGPU.csdata,"",@progbits
; Kernel info:
; codeLenInByte = 4904
; TotalNumSgprs: 13
; NumVgprs: 26
; ScratchSize: 0
; MemoryBound: 0
; FloatMode: 240
; IeeeMode: 1
; LDSByteSize: 0 bytes/workgroup (compile time only)
; SGPRBlocks: 0
; VGPRBlocks: 1
; NumSGPRsForWavesPerEU: 13
; NumVGPRsForWavesPerEU: 26
; NamedBarCnt: 0
; Occupancy: 16
; WaveLimiterHint : 0
; COMPUTE_PGM_RSRC2:SCRATCH_EN: 0
; COMPUTE_PGM_RSRC2:USER_SGPR: 2
; COMPUTE_PGM_RSRC2:TRAP_HANDLER: 0
; COMPUTE_PGM_RSRC2:TGID_X_EN: 1
; COMPUTE_PGM_RSRC2:TGID_Y_EN: 0
; COMPUTE_PGM_RSRC2:TGID_Z_EN: 0
; COMPUTE_PGM_RSRC2:TIDIG_COMP_CNT: 0
	.section	.text._ZN2at6native32elementwise_kernel_manual_unrollILi128ELi4EZNS0_22gpu_kernel_impl_nocastIZZZNS0_12_GLOBAL__N_115softplus_kernelERNS_18TensorIteratorBaseERKN3c106ScalarES9_ENKUlvE_clEvENKUlvE0_clEvEUlfE_EEvS5_RKT_EUlibE_EEviT1_,"axG",@progbits,_ZN2at6native32elementwise_kernel_manual_unrollILi128ELi4EZNS0_22gpu_kernel_impl_nocastIZZZNS0_12_GLOBAL__N_115softplus_kernelERNS_18TensorIteratorBaseERKN3c106ScalarES9_ENKUlvE_clEvENKUlvE0_clEvEUlfE_EEvS5_RKT_EUlibE_EEviT1_,comdat
	.globl	_ZN2at6native32elementwise_kernel_manual_unrollILi128ELi4EZNS0_22gpu_kernel_impl_nocastIZZZNS0_12_GLOBAL__N_115softplus_kernelERNS_18TensorIteratorBaseERKN3c106ScalarES9_ENKUlvE_clEvENKUlvE0_clEvEUlfE_EEvS5_RKT_EUlibE_EEviT1_ ; -- Begin function _ZN2at6native32elementwise_kernel_manual_unrollILi128ELi4EZNS0_22gpu_kernel_impl_nocastIZZZNS0_12_GLOBAL__N_115softplus_kernelERNS_18TensorIteratorBaseERKN3c106ScalarES9_ENKUlvE_clEvENKUlvE0_clEvEUlfE_EEvS5_RKT_EUlibE_EEviT1_
	.p2align	8
	.type	_ZN2at6native32elementwise_kernel_manual_unrollILi128ELi4EZNS0_22gpu_kernel_impl_nocastIZZZNS0_12_GLOBAL__N_115softplus_kernelERNS_18TensorIteratorBaseERKN3c106ScalarES9_ENKUlvE_clEvENKUlvE0_clEvEUlfE_EEvS5_RKT_EUlibE_EEviT1_,@function
_ZN2at6native32elementwise_kernel_manual_unrollILi128ELi4EZNS0_22gpu_kernel_impl_nocastIZZZNS0_12_GLOBAL__N_115softplus_kernelERNS_18TensorIteratorBaseERKN3c106ScalarES9_ENKUlvE_clEvENKUlvE0_clEvEUlfE_EEvS5_RKT_EUlibE_EEviT1_: ; @_ZN2at6native32elementwise_kernel_manual_unrollILi128ELi4EZNS0_22gpu_kernel_impl_nocastIZZZNS0_12_GLOBAL__N_115softplus_kernelERNS_18TensorIteratorBaseERKN3c106ScalarES9_ENKUlvE_clEvENKUlvE0_clEvEUlfE_EEvS5_RKT_EUlibE_EEviT1_
; %bb.0:
	s_clause 0x1
	s_load_b32 s30, s[0:1], 0x8
	s_load_b32 s36, s[0:1], 0x0
	s_bfe_u32 s2, ttmp6, 0x4000c
	s_and_b32 s3, ttmp6, 15
	s_add_co_i32 s2, s2, 1
	s_getreg_b32 s4, hwreg(HW_REG_IB_STS2, 6, 4)
	s_mul_i32 s2, ttmp9, s2
	s_add_nc_u64 s[12:13], s[0:1], 8
	s_add_co_i32 s3, s3, s2
	s_cmp_eq_u32 s4, 0
	s_mov_b32 s19, 0
	s_cselect_b32 s2, ttmp9, s3
	s_wait_xcnt 0x0
	s_mov_b32 s0, exec_lo
	v_lshl_or_b32 v0, s2, 9, v0
	s_delay_alu instid0(VALU_DEP_1) | instskip(SKIP_2) | instid1(SALU_CYCLE_1)
	v_or_b32_e32 v8, 0x180, v0
	s_wait_kmcnt 0x0
	s_add_co_i32 s31, s30, -1
	s_cmp_gt_u32 s31, 1
	s_cselect_b32 s33, -1, 0
	v_cmpx_le_i32_e64 s36, v8
	s_xor_b32 s34, exec_lo, s0
	s_cbranch_execz .LBB13_7
; %bb.1:
	s_clause 0x4
	s_load_b128 s[4:7], s[12:13], 0x4
	s_load_b64 s[16:17], s[12:13], 0x14
	s_load_b128 s[8:11], s[12:13], 0xc4
	s_load_b128 s[0:3], s[12:13], 0x148
	s_load_b64 s[14:15], s[12:13], 0x158
	s_cmp_lg_u32 s30, 0
	s_add_nc_u64 s[22:23], s[12:13], 0xc4
	s_cselect_b32 s38, -1, 0
	s_min_u32 s37, s31, 15
	s_cmp_gt_u32 s30, 1
	s_mov_b32 s21, s19
	s_cselect_b32 s35, -1, 0
	s_wait_kmcnt 0x0
	s_mov_b32 s18, s5
	s_mov_b32 s20, s16
	s_mov_b32 s5, exec_lo
	v_cmpx_gt_i32_e64 s36, v0
	s_cbranch_execz .LBB13_14
; %bb.2:
	s_and_not1_b32 vcc_lo, exec_lo, s33
	s_cbranch_vccnz .LBB13_21
; %bb.3:
	s_and_not1_b32 vcc_lo, exec_lo, s38
	s_cbranch_vccnz .LBB13_81
; %bb.4:
	s_add_co_i32 s16, s37, 1
	s_cmp_eq_u32 s31, 2
	s_cbranch_scc1 .LBB13_83
; %bb.5:
	v_dual_mov_b32 v2, 0 :: v_dual_mov_b32 v3, 0
	v_mov_b32_e32 v1, v0
	s_and_b32 s24, s16, 28
	s_mov_b32 s25, 0
	s_mov_b64 s[26:27], s[12:13]
	s_mov_b64 s[28:29], s[22:23]
.LBB13_6:                               ; =>This Inner Loop Header: Depth=1
	s_clause 0x1
	s_load_b256 s[40:47], s[26:27], 0x4
	s_load_b128 s[56:59], s[26:27], 0x24
	s_load_b256 s[48:55], s[28:29], 0x0
	s_add_co_i32 s25, s25, 4
	s_wait_xcnt 0x0
	s_add_nc_u64 s[26:27], s[26:27], 48
	s_cmp_lg_u32 s24, s25
	s_add_nc_u64 s[28:29], s[28:29], 32
	s_wait_kmcnt 0x0
	v_mul_hi_u32 v4, s41, v1
	s_delay_alu instid0(VALU_DEP_1) | instskip(NEXT) | instid1(VALU_DEP_1)
	v_add_nc_u32_e32 v4, v1, v4
	v_lshrrev_b32_e32 v4, s42, v4
	s_delay_alu instid0(VALU_DEP_1) | instskip(NEXT) | instid1(VALU_DEP_1)
	v_mul_hi_u32 v5, s44, v4
	v_add_nc_u32_e32 v5, v4, v5
	s_delay_alu instid0(VALU_DEP_1) | instskip(NEXT) | instid1(VALU_DEP_1)
	v_lshrrev_b32_e32 v5, s45, v5
	v_mul_hi_u32 v6, s47, v5
	s_delay_alu instid0(VALU_DEP_1) | instskip(SKIP_1) | instid1(VALU_DEP_1)
	v_add_nc_u32_e32 v6, v5, v6
	v_mul_lo_u32 v7, v4, s40
	v_sub_nc_u32_e32 v1, v1, v7
	v_mul_lo_u32 v7, v5, s43
	s_delay_alu instid0(VALU_DEP_4) | instskip(NEXT) | instid1(VALU_DEP_3)
	v_lshrrev_b32_e32 v6, s56, v6
	v_mad_u32 v3, v1, s49, v3
	v_mad_u32 v1, v1, s48, v2
	s_delay_alu instid0(VALU_DEP_4) | instskip(NEXT) | instid1(VALU_DEP_4)
	v_sub_nc_u32_e32 v2, v4, v7
	v_mul_hi_u32 v8, s58, v6
	v_mul_lo_u32 v4, v6, s46
	s_delay_alu instid0(VALU_DEP_3) | instskip(SKIP_1) | instid1(VALU_DEP_4)
	v_mad_u32 v3, v2, s51, v3
	v_mad_u32 v2, v2, s50, v1
	v_add_nc_u32_e32 v7, v6, v8
	s_delay_alu instid0(VALU_DEP_1) | instskip(NEXT) | instid1(VALU_DEP_1)
	v_dual_sub_nc_u32 v4, v5, v4 :: v_dual_lshrrev_b32 v1, s59, v7
	v_mad_u32 v3, v4, s53, v3
	s_delay_alu instid0(VALU_DEP_4) | instskip(NEXT) | instid1(VALU_DEP_3)
	v_mad_u32 v2, v4, s52, v2
	v_mul_lo_u32 v5, v1, s57
	s_delay_alu instid0(VALU_DEP_1) | instskip(NEXT) | instid1(VALU_DEP_1)
	v_sub_nc_u32_e32 v4, v6, v5
	v_mad_u32 v3, v4, s55, v3
	s_delay_alu instid0(VALU_DEP_4)
	v_mad_u32 v2, v4, s54, v2
	s_cbranch_scc1 .LBB13_6
	s_branch .LBB13_84
.LBB13_7:
	s_and_not1_saveexec_b32 s0, s34
	s_cbranch_execz .LBB13_113
.LBB13_8:
	v_cndmask_b32_e64 v6, 0, 1, s33
	s_and_not1_b32 vcc_lo, exec_lo, s33
	s_cbranch_vccnz .LBB13_20
; %bb.9:
	s_cmp_lg_u32 s30, 0
	s_mov_b32 s6, 0
	s_cbranch_scc0 .LBB13_23
; %bb.10:
	s_min_u32 s1, s31, 15
	s_delay_alu instid0(SALU_CYCLE_1)
	s_add_co_i32 s1, s1, 1
	s_cmp_eq_u32 s31, 2
	s_cbranch_scc1 .LBB13_24
; %bb.11:
	v_dual_mov_b32 v2, 0 :: v_dual_mov_b32 v3, 0
	v_mov_b32_e32 v1, v0
	s_and_b32 s0, s1, 28
	s_add_nc_u64 s[2:3], s[12:13], 0xc4
	s_mov_b32 s7, 0
	s_mov_b64 s[4:5], s[12:13]
.LBB13_12:                              ; =>This Inner Loop Header: Depth=1
	s_clause 0x1
	s_load_b256 s[16:23], s[4:5], 0x4
	s_load_b128 s[8:11], s[4:5], 0x24
	s_load_b256 s[36:43], s[2:3], 0x0
	s_add_co_i32 s7, s7, 4
	s_wait_xcnt 0x0
	s_add_nc_u64 s[4:5], s[4:5], 48
	s_cmp_lg_u32 s0, s7
	s_add_nc_u64 s[2:3], s[2:3], 32
	s_wait_kmcnt 0x0
	v_mul_hi_u32 v4, s17, v1
	s_delay_alu instid0(VALU_DEP_1) | instskip(NEXT) | instid1(VALU_DEP_1)
	v_add_nc_u32_e32 v4, v1, v4
	v_lshrrev_b32_e32 v4, s18, v4
	s_delay_alu instid0(VALU_DEP_1) | instskip(NEXT) | instid1(VALU_DEP_1)
	v_mul_hi_u32 v5, s20, v4
	v_add_nc_u32_e32 v5, v4, v5
	s_delay_alu instid0(VALU_DEP_1) | instskip(NEXT) | instid1(VALU_DEP_1)
	v_lshrrev_b32_e32 v5, s21, v5
	v_mul_hi_u32 v7, s23, v5
	s_delay_alu instid0(VALU_DEP_1) | instskip(SKIP_1) | instid1(VALU_DEP_2)
	v_add_nc_u32_e32 v7, v5, v7
	v_mul_lo_u32 v9, v4, s16
	v_lshrrev_b32_e32 v7, s8, v7
	s_delay_alu instid0(VALU_DEP_1) | instskip(NEXT) | instid1(VALU_DEP_3)
	v_mul_hi_u32 v10, s10, v7
	v_sub_nc_u32_e32 v1, v1, v9
	v_mul_lo_u32 v9, v5, s19
	s_delay_alu instid0(VALU_DEP_2) | instskip(SKIP_1) | instid1(VALU_DEP_3)
	v_mad_u32 v3, v1, s37, v3
	v_mad_u32 v1, v1, s36, v2
	v_sub_nc_u32_e32 v2, v4, v9
	v_mul_lo_u32 v4, v7, s22
	v_add_nc_u32_e32 v9, v7, v10
	s_delay_alu instid0(VALU_DEP_3) | instskip(SKIP_1) | instid1(VALU_DEP_3)
	v_mad_u32 v3, v2, s39, v3
	v_mad_u32 v2, v2, s38, v1
	v_dual_sub_nc_u32 v4, v5, v4 :: v_dual_lshrrev_b32 v1, s11, v9
	s_delay_alu instid0(VALU_DEP_1) | instskip(NEXT) | instid1(VALU_DEP_2)
	v_mad_u32 v3, v4, s41, v3
	v_mul_lo_u32 v5, v1, s9
	s_delay_alu instid0(VALU_DEP_4) | instskip(NEXT) | instid1(VALU_DEP_2)
	v_mad_u32 v2, v4, s40, v2
	v_sub_nc_u32_e32 v4, v7, v5
	s_delay_alu instid0(VALU_DEP_1) | instskip(NEXT) | instid1(VALU_DEP_3)
	v_mad_u32 v3, v4, s43, v3
	v_mad_u32 v2, v4, s42, v2
	s_cbranch_scc1 .LBB13_12
; %bb.13:
	s_and_b32 s4, s1, 3
	s_mov_b32 s1, 0
	s_cmp_eq_u32 s4, 0
	s_cbranch_scc0 .LBB13_25
	s_branch .LBB13_27
.LBB13_14:
	s_or_b32 exec_lo, exec_lo, s5
	s_delay_alu instid0(SALU_CYCLE_1)
	s_mov_b32 s5, exec_lo
	v_cmpx_gt_i32_e64 s36, v0
	s_cbranch_execz .LBB13_93
.LBB13_15:
	s_and_not1_b32 vcc_lo, exec_lo, s33
	s_cbranch_vccnz .LBB13_22
; %bb.16:
	s_and_not1_b32 vcc_lo, exec_lo, s38
	s_cbranch_vccnz .LBB13_82
; %bb.17:
	s_add_co_i32 s16, s37, 1
	s_cmp_eq_u32 s31, 2
	s_cbranch_scc1 .LBB13_101
; %bb.18:
	v_dual_mov_b32 v2, 0 :: v_dual_mov_b32 v3, 0
	v_mov_b32_e32 v1, v0
	s_and_b32 s24, s16, 28
	s_mov_b32 s25, 0
	s_mov_b64 s[26:27], s[12:13]
	s_mov_b64 s[28:29], s[22:23]
.LBB13_19:                              ; =>This Inner Loop Header: Depth=1
	s_clause 0x1
	s_load_b256 s[40:47], s[26:27], 0x4
	s_load_b128 s[56:59], s[26:27], 0x24
	s_load_b256 s[48:55], s[28:29], 0x0
	s_add_co_i32 s25, s25, 4
	s_wait_xcnt 0x0
	s_add_nc_u64 s[26:27], s[26:27], 48
	s_cmp_eq_u32 s24, s25
	s_add_nc_u64 s[28:29], s[28:29], 32
	s_wait_kmcnt 0x0
	v_mul_hi_u32 v4, s41, v1
	s_delay_alu instid0(VALU_DEP_1) | instskip(NEXT) | instid1(VALU_DEP_1)
	v_add_nc_u32_e32 v4, v1, v4
	v_lshrrev_b32_e32 v4, s42, v4
	s_delay_alu instid0(VALU_DEP_1) | instskip(NEXT) | instid1(VALU_DEP_1)
	v_mul_hi_u32 v5, s44, v4
	v_add_nc_u32_e32 v5, v4, v5
	s_delay_alu instid0(VALU_DEP_1) | instskip(NEXT) | instid1(VALU_DEP_1)
	v_lshrrev_b32_e32 v5, s45, v5
	v_mul_hi_u32 v6, s47, v5
	s_delay_alu instid0(VALU_DEP_1) | instskip(SKIP_1) | instid1(VALU_DEP_1)
	v_add_nc_u32_e32 v6, v5, v6
	v_mul_lo_u32 v7, v4, s40
	v_sub_nc_u32_e32 v1, v1, v7
	v_mul_lo_u32 v7, v5, s43
	s_delay_alu instid0(VALU_DEP_4) | instskip(NEXT) | instid1(VALU_DEP_3)
	v_lshrrev_b32_e32 v6, s56, v6
	v_mad_u32 v3, v1, s49, v3
	v_mad_u32 v1, v1, s48, v2
	s_delay_alu instid0(VALU_DEP_4) | instskip(NEXT) | instid1(VALU_DEP_4)
	v_sub_nc_u32_e32 v2, v4, v7
	v_mul_hi_u32 v8, s58, v6
	v_mul_lo_u32 v4, v6, s46
	s_delay_alu instid0(VALU_DEP_3) | instskip(SKIP_1) | instid1(VALU_DEP_4)
	v_mad_u32 v3, v2, s51, v3
	v_mad_u32 v2, v2, s50, v1
	v_add_nc_u32_e32 v7, v6, v8
	s_delay_alu instid0(VALU_DEP_1) | instskip(NEXT) | instid1(VALU_DEP_1)
	v_dual_sub_nc_u32 v4, v5, v4 :: v_dual_lshrrev_b32 v1, s59, v7
	v_mad_u32 v3, v4, s53, v3
	s_delay_alu instid0(VALU_DEP_4) | instskip(NEXT) | instid1(VALU_DEP_3)
	v_mad_u32 v2, v4, s52, v2
	v_mul_lo_u32 v5, v1, s57
	s_delay_alu instid0(VALU_DEP_1) | instskip(NEXT) | instid1(VALU_DEP_1)
	v_sub_nc_u32_e32 v4, v6, v5
	v_mad_u32 v3, v4, s55, v3
	s_delay_alu instid0(VALU_DEP_4)
	v_mad_u32 v2, v4, s54, v2
	s_cbranch_scc0 .LBB13_19
	s_branch .LBB13_102
.LBB13_20:
	s_mov_b32 s6, -1
                                        ; implicit-def: $vgpr3
	s_branch .LBB13_27
.LBB13_21:
                                        ; implicit-def: $vgpr3
	s_branch .LBB13_88
.LBB13_22:
                                        ; implicit-def: $vgpr3
	s_branch .LBB13_106
.LBB13_23:
	v_dual_mov_b32 v3, 0 :: v_dual_mov_b32 v2, 0
	s_branch .LBB13_27
.LBB13_24:
	v_mov_b64_e32 v[2:3], 0
	v_mov_b32_e32 v1, v0
	s_mov_b32 s0, 0
	s_and_b32 s4, s1, 3
	s_mov_b32 s1, 0
	s_cmp_eq_u32 s4, 0
	s_cbranch_scc1 .LBB13_27
.LBB13_25:
	s_lshl_b32 s2, s0, 3
	s_mov_b32 s3, s1
	s_mul_u64 s[8:9], s[0:1], 12
	s_add_nc_u64 s[2:3], s[12:13], s[2:3]
	s_delay_alu instid0(SALU_CYCLE_1)
	s_add_nc_u64 s[0:1], s[2:3], 0xc4
	s_add_nc_u64 s[2:3], s[12:13], s[8:9]
.LBB13_26:                              ; =>This Inner Loop Header: Depth=1
	s_load_b96 s[8:10], s[2:3], 0x4
	s_add_co_i32 s4, s4, -1
	s_wait_xcnt 0x0
	s_add_nc_u64 s[2:3], s[2:3], 12
	s_cmp_lg_u32 s4, 0
	s_wait_kmcnt 0x0
	v_mul_hi_u32 v4, s9, v1
	s_delay_alu instid0(VALU_DEP_1) | instskip(NEXT) | instid1(VALU_DEP_1)
	v_add_nc_u32_e32 v4, v1, v4
	v_lshrrev_b32_e32 v4, s10, v4
	s_load_b64 s[10:11], s[0:1], 0x0
	s_wait_xcnt 0x0
	s_add_nc_u64 s[0:1], s[0:1], 8
	s_delay_alu instid0(VALU_DEP_1) | instskip(NEXT) | instid1(VALU_DEP_1)
	v_mul_lo_u32 v5, v4, s8
	v_sub_nc_u32_e32 v1, v1, v5
	s_wait_kmcnt 0x0
	s_delay_alu instid0(VALU_DEP_1)
	v_mad_u32 v3, v1, s11, v3
	v_mad_u32 v2, v1, s10, v2
	v_mov_b32_e32 v1, v4
	s_cbranch_scc1 .LBB13_26
.LBB13_27:
	s_and_not1_b32 vcc_lo, exec_lo, s6
	s_cbranch_vccnz .LBB13_30
; %bb.28:
	s_clause 0x1
	s_load_b96 s[0:2], s[12:13], 0x4
	s_load_b64 s[4:5], s[12:13], 0xc4
	s_cmp_lt_u32 s30, 2
	s_wait_kmcnt 0x0
	v_mul_hi_u32 v1, s1, v0
	s_delay_alu instid0(VALU_DEP_1) | instskip(NEXT) | instid1(VALU_DEP_1)
	v_add_nc_u32_e32 v1, v0, v1
	v_lshrrev_b32_e32 v1, s2, v1
	s_delay_alu instid0(VALU_DEP_1) | instskip(NEXT) | instid1(VALU_DEP_1)
	v_mul_lo_u32 v2, v1, s0
	v_sub_nc_u32_e32 v2, v0, v2
	s_delay_alu instid0(VALU_DEP_1)
	v_mul_lo_u32 v3, v2, s5
	v_mul_lo_u32 v2, v2, s4
	s_cbranch_scc1 .LBB13_30
; %bb.29:
	s_clause 0x1
	s_load_b96 s[0:2], s[12:13], 0x10
	s_load_b64 s[4:5], s[12:13], 0xcc
	s_wait_kmcnt 0x0
	v_mul_hi_u32 v4, s1, v1
	s_delay_alu instid0(VALU_DEP_1) | instskip(NEXT) | instid1(VALU_DEP_1)
	v_add_nc_u32_e32 v4, v1, v4
	v_lshrrev_b32_e32 v4, s2, v4
	s_delay_alu instid0(VALU_DEP_1) | instskip(NEXT) | instid1(VALU_DEP_1)
	v_mul_lo_u32 v4, v4, s0
	v_sub_nc_u32_e32 v1, v1, v4
	s_delay_alu instid0(VALU_DEP_1)
	v_mad_u32 v2, v1, s4, v2
	v_mad_u32 v3, v1, s5, v3
.LBB13_30:
	v_cmp_ne_u32_e32 vcc_lo, 1, v6
	v_add_nc_u32_e32 v1, 0x80, v0
	s_cbranch_vccnz .LBB13_36
; %bb.31:
	s_cmp_lg_u32 s30, 0
	s_mov_b32 s6, 0
	s_cbranch_scc0 .LBB13_37
; %bb.32:
	s_min_u32 s1, s31, 15
	s_delay_alu instid0(SALU_CYCLE_1)
	s_add_co_i32 s1, s1, 1
	s_cmp_eq_u32 s31, 2
	s_cbranch_scc1 .LBB13_38
; %bb.33:
	v_dual_mov_b32 v4, 0 :: v_dual_mov_b32 v5, 0
	v_mov_b32_e32 v7, v1
	s_and_b32 s0, s1, 28
	s_add_nc_u64 s[2:3], s[12:13], 0xc4
	s_mov_b32 s7, 0
	s_mov_b64 s[4:5], s[12:13]
.LBB13_34:                              ; =>This Inner Loop Header: Depth=1
	s_clause 0x1
	s_load_b256 s[16:23], s[4:5], 0x4
	s_load_b128 s[8:11], s[4:5], 0x24
	s_load_b256 s[36:43], s[2:3], 0x0
	s_add_co_i32 s7, s7, 4
	s_wait_xcnt 0x0
	s_add_nc_u64 s[4:5], s[4:5], 48
	s_cmp_lg_u32 s0, s7
	s_add_nc_u64 s[2:3], s[2:3], 32
	s_wait_kmcnt 0x0
	v_mul_hi_u32 v9, s17, v7
	s_delay_alu instid0(VALU_DEP_1) | instskip(NEXT) | instid1(VALU_DEP_1)
	v_add_nc_u32_e32 v9, v7, v9
	v_lshrrev_b32_e32 v9, s18, v9
	s_delay_alu instid0(VALU_DEP_1) | instskip(NEXT) | instid1(VALU_DEP_1)
	v_mul_hi_u32 v10, s20, v9
	v_add_nc_u32_e32 v10, v9, v10
	s_delay_alu instid0(VALU_DEP_1) | instskip(NEXT) | instid1(VALU_DEP_1)
	v_lshrrev_b32_e32 v10, s21, v10
	v_mul_hi_u32 v11, s23, v10
	s_delay_alu instid0(VALU_DEP_1) | instskip(SKIP_1) | instid1(VALU_DEP_1)
	v_add_nc_u32_e32 v11, v10, v11
	v_mul_lo_u32 v12, v9, s16
	v_sub_nc_u32_e32 v7, v7, v12
	v_mul_lo_u32 v12, v10, s19
	s_delay_alu instid0(VALU_DEP_4) | instskip(NEXT) | instid1(VALU_DEP_3)
	v_lshrrev_b32_e32 v11, s8, v11
	v_mad_u32 v5, v7, s37, v5
	v_mad_u32 v4, v7, s36, v4
	s_delay_alu instid0(VALU_DEP_4) | instskip(NEXT) | instid1(VALU_DEP_4)
	v_sub_nc_u32_e32 v7, v9, v12
	v_mul_hi_u32 v13, s10, v11
	v_mul_lo_u32 v9, v11, s22
	s_delay_alu instid0(VALU_DEP_3) | instskip(SKIP_1) | instid1(VALU_DEP_4)
	v_mad_u32 v5, v7, s39, v5
	v_mad_u32 v4, v7, s38, v4
	v_add_nc_u32_e32 v12, v11, v13
	s_delay_alu instid0(VALU_DEP_1) | instskip(NEXT) | instid1(VALU_DEP_1)
	v_dual_sub_nc_u32 v9, v10, v9 :: v_dual_lshrrev_b32 v7, s11, v12
	v_mad_u32 v5, v9, s41, v5
	s_delay_alu instid0(VALU_DEP_4) | instskip(NEXT) | instid1(VALU_DEP_3)
	v_mad_u32 v4, v9, s40, v4
	v_mul_lo_u32 v10, v7, s9
	s_delay_alu instid0(VALU_DEP_1) | instskip(NEXT) | instid1(VALU_DEP_1)
	v_sub_nc_u32_e32 v9, v11, v10
	v_mad_u32 v5, v9, s43, v5
	s_delay_alu instid0(VALU_DEP_4)
	v_mad_u32 v4, v9, s42, v4
	s_cbranch_scc1 .LBB13_34
; %bb.35:
	s_and_b32 s4, s1, 3
	s_mov_b32 s1, 0
	s_cmp_eq_u32 s4, 0
	s_cbranch_scc0 .LBB13_39
	s_branch .LBB13_41
.LBB13_36:
	s_mov_b32 s6, -1
                                        ; implicit-def: $vgpr5
	s_branch .LBB13_41
.LBB13_37:
	v_dual_mov_b32 v5, 0 :: v_dual_mov_b32 v4, 0
	s_branch .LBB13_41
.LBB13_38:
	v_mov_b64_e32 v[4:5], 0
	v_mov_b32_e32 v7, v1
	s_mov_b32 s0, 0
	s_and_b32 s4, s1, 3
	s_mov_b32 s1, 0
	s_cmp_eq_u32 s4, 0
	s_cbranch_scc1 .LBB13_41
.LBB13_39:
	s_lshl_b32 s2, s0, 3
	s_mov_b32 s3, s1
	s_mul_u64 s[8:9], s[0:1], 12
	s_add_nc_u64 s[2:3], s[12:13], s[2:3]
	s_delay_alu instid0(SALU_CYCLE_1)
	s_add_nc_u64 s[0:1], s[2:3], 0xc4
	s_add_nc_u64 s[2:3], s[12:13], s[8:9]
.LBB13_40:                              ; =>This Inner Loop Header: Depth=1
	s_load_b96 s[8:10], s[2:3], 0x4
	s_add_co_i32 s4, s4, -1
	s_wait_xcnt 0x0
	s_add_nc_u64 s[2:3], s[2:3], 12
	s_cmp_lg_u32 s4, 0
	s_wait_kmcnt 0x0
	v_mul_hi_u32 v9, s9, v7
	s_delay_alu instid0(VALU_DEP_1) | instskip(NEXT) | instid1(VALU_DEP_1)
	v_add_nc_u32_e32 v9, v7, v9
	v_lshrrev_b32_e32 v9, s10, v9
	s_load_b64 s[10:11], s[0:1], 0x0
	s_wait_xcnt 0x0
	s_add_nc_u64 s[0:1], s[0:1], 8
	s_delay_alu instid0(VALU_DEP_1) | instskip(NEXT) | instid1(VALU_DEP_1)
	v_mul_lo_u32 v10, v9, s8
	v_sub_nc_u32_e32 v7, v7, v10
	s_wait_kmcnt 0x0
	s_delay_alu instid0(VALU_DEP_1)
	v_mad_u32 v5, v7, s11, v5
	v_mad_u32 v4, v7, s10, v4
	v_mov_b32_e32 v7, v9
	s_cbranch_scc1 .LBB13_40
.LBB13_41:
	s_and_not1_b32 vcc_lo, exec_lo, s6
	s_cbranch_vccnz .LBB13_44
; %bb.42:
	s_clause 0x1
	s_load_b96 s[0:2], s[12:13], 0x4
	s_load_b64 s[4:5], s[12:13], 0xc4
	s_cmp_lt_u32 s30, 2
	s_wait_kmcnt 0x0
	v_mul_hi_u32 v4, s1, v1
	s_delay_alu instid0(VALU_DEP_1) | instskip(NEXT) | instid1(VALU_DEP_1)
	v_add_nc_u32_e32 v4, v1, v4
	v_lshrrev_b32_e32 v7, s2, v4
	s_delay_alu instid0(VALU_DEP_1) | instskip(NEXT) | instid1(VALU_DEP_1)
	v_mul_lo_u32 v4, v7, s0
	v_sub_nc_u32_e32 v1, v1, v4
	s_delay_alu instid0(VALU_DEP_1)
	v_mul_lo_u32 v5, v1, s5
	v_mul_lo_u32 v4, v1, s4
	s_cbranch_scc1 .LBB13_44
; %bb.43:
	s_clause 0x1
	s_load_b96 s[0:2], s[12:13], 0x10
	s_load_b64 s[4:5], s[12:13], 0xcc
	s_wait_kmcnt 0x0
	v_mul_hi_u32 v1, s1, v7
	s_delay_alu instid0(VALU_DEP_1) | instskip(NEXT) | instid1(VALU_DEP_1)
	v_add_nc_u32_e32 v1, v7, v1
	v_lshrrev_b32_e32 v1, s2, v1
	s_delay_alu instid0(VALU_DEP_1) | instskip(NEXT) | instid1(VALU_DEP_1)
	v_mul_lo_u32 v1, v1, s0
	v_sub_nc_u32_e32 v1, v7, v1
	s_delay_alu instid0(VALU_DEP_1)
	v_mad_u32 v4, v1, s4, v4
	v_mad_u32 v5, v1, s5, v5
.LBB13_44:
	v_cmp_ne_u32_e32 vcc_lo, 1, v6
	v_add_nc_u32_e32 v7, 0x100, v0
	s_cbranch_vccnz .LBB13_50
; %bb.45:
	s_cmp_lg_u32 s30, 0
	s_mov_b32 s6, 0
	s_cbranch_scc0 .LBB13_51
; %bb.46:
	s_min_u32 s1, s31, 15
	s_delay_alu instid0(SALU_CYCLE_1)
	s_add_co_i32 s1, s1, 1
	s_cmp_eq_u32 s31, 2
	s_cbranch_scc1 .LBB13_52
; %bb.47:
	v_dual_mov_b32 v0, 0 :: v_dual_mov_b32 v1, 0
	v_mov_b32_e32 v9, v7
	s_and_b32 s0, s1, 28
	s_add_nc_u64 s[2:3], s[12:13], 0xc4
	s_mov_b32 s7, 0
	s_mov_b64 s[4:5], s[12:13]
.LBB13_48:                              ; =>This Inner Loop Header: Depth=1
	s_clause 0x1
	s_load_b256 s[16:23], s[4:5], 0x4
	s_load_b128 s[8:11], s[4:5], 0x24
	s_load_b256 s[36:43], s[2:3], 0x0
	s_add_co_i32 s7, s7, 4
	s_wait_xcnt 0x0
	s_add_nc_u64 s[4:5], s[4:5], 48
	s_cmp_lg_u32 s0, s7
	s_add_nc_u64 s[2:3], s[2:3], 32
	s_wait_kmcnt 0x0
	v_mul_hi_u32 v10, s17, v9
	s_delay_alu instid0(VALU_DEP_1) | instskip(NEXT) | instid1(VALU_DEP_1)
	v_add_nc_u32_e32 v10, v9, v10
	v_lshrrev_b32_e32 v10, s18, v10
	s_delay_alu instid0(VALU_DEP_1) | instskip(NEXT) | instid1(VALU_DEP_1)
	v_mul_hi_u32 v11, s20, v10
	v_add_nc_u32_e32 v11, v10, v11
	s_delay_alu instid0(VALU_DEP_1) | instskip(NEXT) | instid1(VALU_DEP_1)
	v_lshrrev_b32_e32 v11, s21, v11
	v_mul_hi_u32 v12, s23, v11
	s_delay_alu instid0(VALU_DEP_1) | instskip(SKIP_1) | instid1(VALU_DEP_1)
	v_add_nc_u32_e32 v12, v11, v12
	v_mul_lo_u32 v13, v10, s16
	v_sub_nc_u32_e32 v9, v9, v13
	v_mul_lo_u32 v13, v11, s19
	s_delay_alu instid0(VALU_DEP_4) | instskip(NEXT) | instid1(VALU_DEP_3)
	v_lshrrev_b32_e32 v12, s8, v12
	v_mad_u32 v1, v9, s37, v1
	v_mad_u32 v0, v9, s36, v0
	s_delay_alu instid0(VALU_DEP_4) | instskip(NEXT) | instid1(VALU_DEP_4)
	v_sub_nc_u32_e32 v9, v10, v13
	v_mul_hi_u32 v14, s10, v12
	v_mul_lo_u32 v10, v12, s22
	s_delay_alu instid0(VALU_DEP_3) | instskip(SKIP_1) | instid1(VALU_DEP_4)
	v_mad_u32 v1, v9, s39, v1
	v_mad_u32 v0, v9, s38, v0
	v_add_nc_u32_e32 v13, v12, v14
	s_delay_alu instid0(VALU_DEP_1) | instskip(NEXT) | instid1(VALU_DEP_1)
	v_dual_sub_nc_u32 v10, v11, v10 :: v_dual_lshrrev_b32 v9, s11, v13
	v_mad_u32 v1, v10, s41, v1
	s_delay_alu instid0(VALU_DEP_4) | instskip(NEXT) | instid1(VALU_DEP_3)
	v_mad_u32 v0, v10, s40, v0
	v_mul_lo_u32 v11, v9, s9
	s_delay_alu instid0(VALU_DEP_1) | instskip(NEXT) | instid1(VALU_DEP_1)
	v_sub_nc_u32_e32 v10, v12, v11
	v_mad_u32 v1, v10, s43, v1
	s_delay_alu instid0(VALU_DEP_4)
	v_mad_u32 v0, v10, s42, v0
	s_cbranch_scc1 .LBB13_48
; %bb.49:
	s_and_b32 s4, s1, 3
	s_mov_b32 s1, 0
	s_cmp_eq_u32 s4, 0
	s_cbranch_scc0 .LBB13_53
	s_branch .LBB13_55
.LBB13_50:
	s_mov_b32 s6, -1
                                        ; implicit-def: $vgpr1
	s_branch .LBB13_55
.LBB13_51:
	v_dual_mov_b32 v1, 0 :: v_dual_mov_b32 v0, 0
	s_branch .LBB13_55
.LBB13_52:
	v_mov_b64_e32 v[0:1], 0
	v_mov_b32_e32 v9, v7
	s_mov_b32 s0, 0
	s_and_b32 s4, s1, 3
	s_mov_b32 s1, 0
	s_cmp_eq_u32 s4, 0
	s_cbranch_scc1 .LBB13_55
.LBB13_53:
	s_lshl_b32 s2, s0, 3
	s_mov_b32 s3, s1
	s_mul_u64 s[8:9], s[0:1], 12
	s_add_nc_u64 s[2:3], s[12:13], s[2:3]
	s_delay_alu instid0(SALU_CYCLE_1)
	s_add_nc_u64 s[0:1], s[2:3], 0xc4
	s_add_nc_u64 s[2:3], s[12:13], s[8:9]
.LBB13_54:                              ; =>This Inner Loop Header: Depth=1
	s_load_b96 s[8:10], s[2:3], 0x4
	s_add_co_i32 s4, s4, -1
	s_wait_xcnt 0x0
	s_add_nc_u64 s[2:3], s[2:3], 12
	s_cmp_lg_u32 s4, 0
	s_wait_kmcnt 0x0
	v_mul_hi_u32 v10, s9, v9
	s_delay_alu instid0(VALU_DEP_1) | instskip(NEXT) | instid1(VALU_DEP_1)
	v_add_nc_u32_e32 v10, v9, v10
	v_lshrrev_b32_e32 v10, s10, v10
	s_load_b64 s[10:11], s[0:1], 0x0
	s_wait_xcnt 0x0
	s_add_nc_u64 s[0:1], s[0:1], 8
	s_delay_alu instid0(VALU_DEP_1) | instskip(NEXT) | instid1(VALU_DEP_1)
	v_mul_lo_u32 v11, v10, s8
	v_sub_nc_u32_e32 v9, v9, v11
	s_wait_kmcnt 0x0
	s_delay_alu instid0(VALU_DEP_1)
	v_mad_u32 v1, v9, s11, v1
	v_mad_u32 v0, v9, s10, v0
	v_mov_b32_e32 v9, v10
	s_cbranch_scc1 .LBB13_54
.LBB13_55:
	s_and_not1_b32 vcc_lo, exec_lo, s6
	s_cbranch_vccnz .LBB13_58
; %bb.56:
	s_clause 0x1
	s_load_b96 s[0:2], s[12:13], 0x4
	s_load_b64 s[4:5], s[12:13], 0xc4
	s_cmp_lt_u32 s30, 2
	s_wait_kmcnt 0x0
	v_mul_hi_u32 v0, s1, v7
	s_delay_alu instid0(VALU_DEP_1) | instskip(NEXT) | instid1(VALU_DEP_1)
	v_add_nc_u32_e32 v0, v7, v0
	v_lshrrev_b32_e32 v9, s2, v0
	s_delay_alu instid0(VALU_DEP_1) | instskip(NEXT) | instid1(VALU_DEP_1)
	v_mul_lo_u32 v0, v9, s0
	v_sub_nc_u32_e32 v0, v7, v0
	s_delay_alu instid0(VALU_DEP_1)
	v_mul_lo_u32 v1, v0, s5
	v_mul_lo_u32 v0, v0, s4
	s_cbranch_scc1 .LBB13_58
; %bb.57:
	s_clause 0x1
	s_load_b96 s[0:2], s[12:13], 0x10
	s_load_b64 s[4:5], s[12:13], 0xcc
	s_wait_kmcnt 0x0
	v_mul_hi_u32 v7, s1, v9
	s_delay_alu instid0(VALU_DEP_1) | instskip(NEXT) | instid1(VALU_DEP_1)
	v_add_nc_u32_e32 v7, v9, v7
	v_lshrrev_b32_e32 v7, s2, v7
	s_delay_alu instid0(VALU_DEP_1) | instskip(NEXT) | instid1(VALU_DEP_1)
	v_mul_lo_u32 v7, v7, s0
	v_sub_nc_u32_e32 v7, v9, v7
	s_delay_alu instid0(VALU_DEP_1)
	v_mad_u32 v0, v7, s4, v0
	v_mad_u32 v1, v7, s5, v1
.LBB13_58:
	v_cmp_ne_u32_e32 vcc_lo, 1, v6
	s_cbranch_vccnz .LBB13_64
; %bb.59:
	s_cmp_lg_u32 s30, 0
	s_mov_b32 s6, 0
	s_cbranch_scc0 .LBB13_65
; %bb.60:
	s_min_u32 s1, s31, 15
	s_delay_alu instid0(SALU_CYCLE_1)
	s_add_co_i32 s1, s1, 1
	s_cmp_eq_u32 s31, 2
	s_cbranch_scc1 .LBB13_66
; %bb.61:
	v_dual_mov_b32 v6, 0 :: v_dual_mov_b32 v7, 0
	v_mov_b32_e32 v9, v8
	s_and_b32 s0, s1, 28
	s_add_nc_u64 s[2:3], s[12:13], 0xc4
	s_mov_b32 s7, 0
	s_mov_b64 s[4:5], s[12:13]
.LBB13_62:                              ; =>This Inner Loop Header: Depth=1
	s_clause 0x1
	s_load_b256 s[16:23], s[4:5], 0x4
	s_load_b128 s[8:11], s[4:5], 0x24
	s_load_b256 s[36:43], s[2:3], 0x0
	s_add_co_i32 s7, s7, 4
	s_wait_xcnt 0x0
	s_add_nc_u64 s[4:5], s[4:5], 48
	s_cmp_lg_u32 s0, s7
	s_add_nc_u64 s[2:3], s[2:3], 32
	s_wait_kmcnt 0x0
	v_mul_hi_u32 v10, s17, v9
	s_delay_alu instid0(VALU_DEP_1) | instskip(NEXT) | instid1(VALU_DEP_1)
	v_add_nc_u32_e32 v10, v9, v10
	v_lshrrev_b32_e32 v10, s18, v10
	s_delay_alu instid0(VALU_DEP_1) | instskip(NEXT) | instid1(VALU_DEP_1)
	v_mul_hi_u32 v11, s20, v10
	v_add_nc_u32_e32 v11, v10, v11
	s_delay_alu instid0(VALU_DEP_1) | instskip(NEXT) | instid1(VALU_DEP_1)
	v_lshrrev_b32_e32 v11, s21, v11
	v_mul_hi_u32 v12, s23, v11
	s_delay_alu instid0(VALU_DEP_1) | instskip(SKIP_1) | instid1(VALU_DEP_1)
	v_add_nc_u32_e32 v12, v11, v12
	v_mul_lo_u32 v13, v10, s16
	v_sub_nc_u32_e32 v9, v9, v13
	v_mul_lo_u32 v13, v11, s19
	s_delay_alu instid0(VALU_DEP_4) | instskip(NEXT) | instid1(VALU_DEP_3)
	v_lshrrev_b32_e32 v12, s8, v12
	v_mad_u32 v7, v9, s37, v7
	v_mad_u32 v6, v9, s36, v6
	s_delay_alu instid0(VALU_DEP_4) | instskip(NEXT) | instid1(VALU_DEP_4)
	v_sub_nc_u32_e32 v9, v10, v13
	v_mul_hi_u32 v14, s10, v12
	v_mul_lo_u32 v10, v12, s22
	s_delay_alu instid0(VALU_DEP_3) | instskip(SKIP_1) | instid1(VALU_DEP_4)
	v_mad_u32 v7, v9, s39, v7
	v_mad_u32 v6, v9, s38, v6
	v_add_nc_u32_e32 v13, v12, v14
	s_delay_alu instid0(VALU_DEP_1) | instskip(NEXT) | instid1(VALU_DEP_1)
	v_dual_sub_nc_u32 v10, v11, v10 :: v_dual_lshrrev_b32 v9, s11, v13
	v_mad_u32 v7, v10, s41, v7
	s_delay_alu instid0(VALU_DEP_4) | instskip(NEXT) | instid1(VALU_DEP_3)
	v_mad_u32 v6, v10, s40, v6
	v_mul_lo_u32 v11, v9, s9
	s_delay_alu instid0(VALU_DEP_1) | instskip(NEXT) | instid1(VALU_DEP_1)
	v_sub_nc_u32_e32 v10, v12, v11
	v_mad_u32 v7, v10, s43, v7
	s_delay_alu instid0(VALU_DEP_4)
	v_mad_u32 v6, v10, s42, v6
	s_cbranch_scc1 .LBB13_62
; %bb.63:
	s_and_b32 s4, s1, 3
	s_mov_b32 s1, 0
	s_cmp_eq_u32 s4, 0
	s_cbranch_scc0 .LBB13_67
	s_branch .LBB13_69
.LBB13_64:
	s_mov_b32 s6, -1
                                        ; implicit-def: $vgpr7
	s_branch .LBB13_69
.LBB13_65:
	v_dual_mov_b32 v7, 0 :: v_dual_mov_b32 v6, 0
	s_branch .LBB13_69
.LBB13_66:
	v_mov_b64_e32 v[6:7], 0
	v_mov_b32_e32 v9, v8
	s_mov_b32 s0, 0
	s_and_b32 s4, s1, 3
	s_mov_b32 s1, 0
	s_cmp_eq_u32 s4, 0
	s_cbranch_scc1 .LBB13_69
.LBB13_67:
	s_lshl_b32 s2, s0, 3
	s_mov_b32 s3, s1
	s_mul_u64 s[8:9], s[0:1], 12
	s_add_nc_u64 s[2:3], s[12:13], s[2:3]
	s_delay_alu instid0(SALU_CYCLE_1)
	s_add_nc_u64 s[0:1], s[2:3], 0xc4
	s_add_nc_u64 s[2:3], s[12:13], s[8:9]
.LBB13_68:                              ; =>This Inner Loop Header: Depth=1
	s_load_b96 s[8:10], s[2:3], 0x4
	s_add_co_i32 s4, s4, -1
	s_wait_xcnt 0x0
	s_add_nc_u64 s[2:3], s[2:3], 12
	s_cmp_lg_u32 s4, 0
	s_wait_kmcnt 0x0
	v_mul_hi_u32 v10, s9, v9
	s_delay_alu instid0(VALU_DEP_1) | instskip(NEXT) | instid1(VALU_DEP_1)
	v_add_nc_u32_e32 v10, v9, v10
	v_lshrrev_b32_e32 v10, s10, v10
	s_load_b64 s[10:11], s[0:1], 0x0
	s_wait_xcnt 0x0
	s_add_nc_u64 s[0:1], s[0:1], 8
	s_delay_alu instid0(VALU_DEP_1) | instskip(NEXT) | instid1(VALU_DEP_1)
	v_mul_lo_u32 v11, v10, s8
	v_sub_nc_u32_e32 v9, v9, v11
	s_wait_kmcnt 0x0
	s_delay_alu instid0(VALU_DEP_1)
	v_mad_u32 v7, v9, s11, v7
	v_mad_u32 v6, v9, s10, v6
	v_mov_b32_e32 v9, v10
	s_cbranch_scc1 .LBB13_68
.LBB13_69:
	s_and_not1_b32 vcc_lo, exec_lo, s6
	s_cbranch_vccnz .LBB13_72
; %bb.70:
	s_clause 0x1
	s_load_b96 s[0:2], s[12:13], 0x4
	s_load_b64 s[4:5], s[12:13], 0xc4
	s_cmp_lt_u32 s30, 2
	s_wait_kmcnt 0x0
	v_mul_hi_u32 v6, s1, v8
	s_delay_alu instid0(VALU_DEP_1) | instskip(NEXT) | instid1(VALU_DEP_1)
	v_add_nc_u32_e32 v6, v8, v6
	v_lshrrev_b32_e32 v9, s2, v6
	s_delay_alu instid0(VALU_DEP_1) | instskip(NEXT) | instid1(VALU_DEP_1)
	v_mul_lo_u32 v6, v9, s0
	v_sub_nc_u32_e32 v6, v8, v6
	s_delay_alu instid0(VALU_DEP_1)
	v_mul_lo_u32 v7, v6, s5
	v_mul_lo_u32 v6, v6, s4
	s_cbranch_scc1 .LBB13_72
; %bb.71:
	s_clause 0x1
	s_load_b96 s[0:2], s[12:13], 0x10
	s_load_b64 s[4:5], s[12:13], 0xcc
	s_wait_kmcnt 0x0
	v_mul_hi_u32 v8, s1, v9
	s_delay_alu instid0(VALU_DEP_1) | instskip(NEXT) | instid1(VALU_DEP_1)
	v_add_nc_u32_e32 v8, v9, v8
	v_lshrrev_b32_e32 v8, s2, v8
	s_delay_alu instid0(VALU_DEP_1) | instskip(NEXT) | instid1(VALU_DEP_1)
	v_mul_lo_u32 v8, v8, s0
	v_sub_nc_u32_e32 v8, v9, v8
	s_delay_alu instid0(VALU_DEP_1)
	v_mad_u32 v6, v8, s4, v6
	v_mad_u32 v7, v8, s5, v7
.LBB13_72:
	s_clause 0x1
	s_load_b128 s[0:3], s[12:13], 0x148
	s_load_b64 s[4:5], s[12:13], 0x158
	s_mov_b32 s6, exec_lo
	s_wait_kmcnt 0x0
	global_load_b32 v3, v3, s[2:3]
	s_wait_loadcnt 0x0
	v_mul_f32_e32 v8, s4, v3
	s_wait_xcnt 0x0
	s_delay_alu instid0(VALU_DEP_1)
	v_cmpx_nlt_f32_e32 s5, v8
	s_cbranch_execz .LBB13_74
; %bb.73:
	v_mul_f32_e32 v3, 0x3fb8aa3b, v8
	v_cmp_ngt_f32_e32 vcc_lo, 0xc2ce8ed0, v8
	s_mov_b32 s7, 0x3e9b6dac
	s_delay_alu instid0(VALU_DEP_2) | instskip(SKIP_1) | instid1(VALU_DEP_1)
	v_rndne_f32_e32 v9, v3
	v_fma_f32 v10, 0x3fb8aa3b, v8, -v3
	v_dual_sub_f32 v3, v3, v9 :: v_dual_fmamk_f32 v10, v8, 0x32a5705f, v10
	v_cvt_i32_f32_e32 v9, v9
	s_delay_alu instid0(VALU_DEP_2) | instskip(NEXT) | instid1(VALU_DEP_1)
	v_add_f32_e32 v3, v3, v10
	v_exp_f32_e32 v3, v3
	v_nop
	s_delay_alu instid0(TRANS32_DEP_1) | instskip(NEXT) | instid1(VALU_DEP_1)
	v_ldexp_f32 v3, v3, v9
	v_cndmask_b32_e32 v3, 0, v3, vcc_lo
	v_cmp_nlt_f32_e32 vcc_lo, 0x42b17218, v8
	s_delay_alu instid0(VALU_DEP_2) | instskip(NEXT) | instid1(VALU_DEP_1)
	v_cndmask_b32_e32 v24, 0x7f800000, v3, vcc_lo
	v_add_f32_e32 v3, 1.0, v24
	s_delay_alu instid0(VALU_DEP_1) | instskip(NEXT) | instid1(VALU_DEP_1)
	v_cvt_f64_f32_e32 v[8:9], v3
	v_frexp_exp_i32_f64_e32 v8, v[8:9]
	v_frexp_mant_f32_e32 v9, v3
	s_delay_alu instid0(VALU_DEP_1) | instskip(NEXT) | instid1(VALU_DEP_3)
	v_cmp_gt_f32_e32 vcc_lo, 0x3f2aaaab, v9
	v_subrev_co_ci_u32_e64 v14, null, 0, v8, vcc_lo
	s_delay_alu instid0(VALU_DEP_1) | instskip(NEXT) | instid1(VALU_DEP_1)
	v_dual_add_f32 v8, -1.0, v3 :: v_dual_sub_nc_u32 v9, 0, v14
	v_sub_f32_e32 v10, v8, v3
	s_delay_alu instid0(VALU_DEP_2) | instskip(NEXT) | instid1(VALU_DEP_1)
	v_ldexp_f32 v3, v3, v9
	v_dual_add_f32 v10, 1.0, v10 :: v_dual_add_f32 v11, 1.0, v3
	v_dual_add_f32 v13, -1.0, v3 :: v_dual_sub_f32 v8, v24, v8
	v_cmp_neq_f32_e32 vcc_lo, 0x7f800000, v24
	s_delay_alu instid0(VALU_DEP_2) | instskip(NEXT) | instid1(VALU_DEP_1)
	v_dual_add_f32 v8, v8, v10 :: v_dual_add_f32 v10, -1.0, v11
	v_ldexp_f32 v8, v8, v9
	s_delay_alu instid0(VALU_DEP_2) | instskip(NEXT) | instid1(VALU_DEP_1)
	v_dual_sub_f32 v9, v3, v10 :: v_dual_add_f32 v10, 1.0, v13
	v_add_f32_e32 v12, v8, v9
	s_delay_alu instid0(VALU_DEP_1) | instskip(NEXT) | instid1(VALU_DEP_1)
	v_add_f32_e32 v15, v11, v12
	v_rcp_f32_e32 v16, v15
	s_delay_alu instid0(VALU_DEP_3) | instskip(NEXT) | instid1(VALU_DEP_1)
	v_sub_f32_e32 v3, v3, v10
	v_add_f32_e32 v3, v8, v3
	v_sub_f32_e32 v8, v11, v15
	s_delay_alu instid0(VALU_DEP_1)
	v_dual_add_f32 v9, v13, v3 :: v_dual_add_f32 v18, v12, v8
	s_delay_alu instid0(TRANS32_DEP_1) | instid1(VALU_DEP_1)
	v_mul_f32_e32 v17, v9, v16
	v_sub_f32_e32 v19, v13, v9
	s_delay_alu instid0(VALU_DEP_2) | instskip(NEXT) | instid1(VALU_DEP_2)
	v_mul_f32_e32 v10, v15, v17
	v_add_f32_e32 v3, v3, v19
	s_delay_alu instid0(VALU_DEP_2) | instskip(NEXT) | instid1(VALU_DEP_1)
	v_fma_f32 v12, v17, v15, -v10
	v_fmac_f32_e32 v12, v17, v18
	s_delay_alu instid0(VALU_DEP_1) | instskip(NEXT) | instid1(VALU_DEP_1)
	v_add_f32_e32 v8, v10, v12
	v_dual_sub_f32 v11, v9, v8 :: v_dual_mov_b32 v13, v8
	s_delay_alu instid0(VALU_DEP_1) | instskip(NEXT) | instid1(VALU_DEP_1)
	v_pk_add_f32 v[8:9], v[8:9], v[10:11] neg_lo:[0,1] neg_hi:[0,1]
	v_pk_add_f32 v[8:9], v[8:9], v[12:13] neg_lo:[0,1] neg_hi:[0,1]
	s_delay_alu instid0(VALU_DEP_1) | instskip(NEXT) | instid1(VALU_DEP_1)
	v_add_f32_e32 v3, v3, v9
	v_add_f32_e32 v3, v8, v3
	s_delay_alu instid0(VALU_DEP_1) | instskip(NEXT) | instid1(VALU_DEP_1)
	v_add_f32_e32 v9, v11, v3
	v_mul_f32_e32 v19, v16, v9
	s_delay_alu instid0(VALU_DEP_1) | instskip(NEXT) | instid1(VALU_DEP_1)
	v_mul_f32_e32 v12, v15, v19
	v_fma_f32 v10, v19, v15, -v12
	s_delay_alu instid0(VALU_DEP_1) | instskip(NEXT) | instid1(VALU_DEP_1)
	v_fmac_f32_e32 v10, v19, v18
	v_dual_add_f32 v8, v12, v10 :: v_dual_sub_f32 v15, v11, v9
	s_delay_alu instid0(VALU_DEP_1) | instskip(NEXT) | instid1(VALU_DEP_1)
	v_dual_sub_f32 v13, v9, v8 :: v_dual_mov_b32 v11, v8
	v_pk_add_f32 v[8:9], v[8:9], v[12:13] neg_lo:[0,1] neg_hi:[0,1]
	v_add_f32_e32 v12, v17, v19
	s_delay_alu instid0(VALU_DEP_4) | instskip(NEXT) | instid1(VALU_DEP_3)
	v_add_f32_e32 v3, v3, v15
	v_pk_add_f32 v[8:9], v[8:9], v[10:11] neg_lo:[0,1] neg_hi:[0,1]
	v_cvt_f32_i32_e32 v10, v14
	s_delay_alu instid0(VALU_DEP_2) | instskip(NEXT) | instid1(VALU_DEP_1)
	v_add_f32_e32 v3, v3, v9
	v_add_f32_e32 v3, v8, v3
	v_sub_f32_e32 v8, v12, v17
	s_delay_alu instid0(VALU_DEP_1) | instskip(NEXT) | instid1(VALU_DEP_1)
	v_dual_sub_f32 v8, v19, v8 :: v_dual_add_f32 v3, v13, v3
	v_mul_f32_e32 v3, v16, v3
	s_delay_alu instid0(VALU_DEP_1) | instskip(NEXT) | instid1(VALU_DEP_1)
	v_dual_add_f32 v3, v8, v3 :: v_dual_mov_b32 v8, 0x3f317218
	v_add_f32_e32 v13, v12, v3
	s_delay_alu instid0(VALU_DEP_1) | instskip(NEXT) | instid1(VALU_DEP_1)
	v_mul_f32_e32 v9, v13, v13
	v_fmaak_f32 v15, s7, v9, 0x3ecc95a3
	v_mul_f32_e32 v11, v13, v9
	s_delay_alu instid0(VALU_DEP_2) | instskip(NEXT) | instid1(VALU_DEP_1)
	v_fmaak_f32 v9, v9, v15, 0x3f2aaada
	v_pk_mul_f32 v[8:9], v[10:11], v[8:9]
	s_delay_alu instid0(VALU_DEP_1) | instskip(NEXT) | instid1(VALU_DEP_1)
	v_fma_f32 v14, 0x3f317218, v10, -v8
	v_fmamk_f32 v10, v10, 0xb102e308, v14
	v_sub_f32_e32 v14, v13, v12
	s_delay_alu instid0(VALU_DEP_1) | instskip(SKIP_2) | instid1(VALU_DEP_3)
	v_sub_f32_e32 v3, v3, v14
	v_ldexp_f32 v11, v13, 1
	v_mov_b32_e32 v14, v8
	v_ldexp_f32 v3, v3, 1
	s_delay_alu instid0(VALU_DEP_3) | instskip(NEXT) | instid1(VALU_DEP_1)
	v_pk_add_f32 v[12:13], v[8:9], v[10:11]
	v_dual_sub_f32 v11, v13, v11 :: v_dual_mov_b32 v22, v13
	s_delay_alu instid0(VALU_DEP_1) | instskip(NEXT) | instid1(VALU_DEP_3)
	v_sub_f32_e32 v11, v9, v11
	v_pk_add_f32 v[8:9], v[12:13], v[8:9] neg_lo:[0,1] neg_hi:[0,1]
	s_delay_alu instid0(VALU_DEP_2) | instskip(NEXT) | instid1(VALU_DEP_1)
	v_dual_add_f32 v15, v3, v11 :: v_dual_mov_b32 v11, v12
	v_pk_add_f32 v[16:17], v[12:13], v[14:15]
	s_delay_alu instid0(VALU_DEP_1) | instskip(NEXT) | instid1(VALU_DEP_1)
	v_mov_b32_e32 v9, v17
	v_pk_add_f32 v[18:19], v[10:11], v[8:9]
	v_mov_b32_e32 v18, v17
	v_pk_add_f32 v[8:9], v[10:11], v[8:9] neg_lo:[0,1] neg_hi:[0,1]
	s_delay_alu instid0(VALU_DEP_3) | instskip(NEXT) | instid1(VALU_DEP_1)
	v_dual_mov_b32 v14, v19 :: v_dual_mov_b32 v9, v19
	v_pk_add_f32 v[20:21], v[14:15], v[12:13] neg_lo:[0,1] neg_hi:[0,1]
	v_dual_mov_b32 v13, v12 :: v_dual_mov_b32 v12, v15
	s_delay_alu instid0(VALU_DEP_2) | instskip(NEXT) | instid1(VALU_DEP_1)
	v_dual_mov_b32 v3, v20 :: v_dual_mov_b32 v23, v20
	v_pk_add_f32 v[16:17], v[16:17], v[2:3] neg_lo:[0,1] neg_hi:[0,1]
	s_delay_alu instid0(VALU_DEP_2) | instskip(SKIP_1) | instid1(VALU_DEP_2)
	v_pk_add_f32 v[10:11], v[18:19], v[22:23] neg_lo:[0,1] neg_hi:[0,1]
	v_mov_b32_e32 v16, v8
	v_pk_add_f32 v[10:11], v[12:13], v[10:11] neg_lo:[0,1] neg_hi:[0,1]
	s_delay_alu instid0(VALU_DEP_1) | instskip(NEXT) | instid1(VALU_DEP_1)
	v_pk_add_f32 v[12:13], v[16:17], v[10:11]
	v_mov_b32_e32 v16, v13
	s_delay_alu instid0(VALU_DEP_1) | instskip(NEXT) | instid1(VALU_DEP_1)
	v_pk_add_f32 v[16:17], v[12:13], v[16:17]
	v_pk_add_f32 v[14:15], v[14:15], v[16:17]
	s_delay_alu instid0(VALU_DEP_1) | instskip(NEXT) | instid1(VALU_DEP_1)
	v_mov_b32_e32 v13, v14
	v_pk_add_f32 v[18:19], v[12:13], v[8:9] neg_lo:[0,1] neg_hi:[0,1]
	s_delay_alu instid0(VALU_DEP_1) | instskip(NEXT) | instid1(VALU_DEP_1)
	v_sub_f32_e32 v3, v12, v18
	v_sub_f32_e32 v3, v8, v3
	v_mov_b32_e32 v11, v16
	s_delay_alu instid0(VALU_DEP_1) | instskip(NEXT) | instid1(VALU_DEP_1)
	v_pk_add_f32 v[10:11], v[10:11], v[18:19] neg_lo:[0,1] neg_hi:[0,1]
	v_add_f32_e32 v3, v10, v3
	s_delay_alu instid0(VALU_DEP_1) | instskip(NEXT) | instid1(VALU_DEP_1)
	v_add_f32_e32 v3, v3, v11
	v_add_f32_e32 v3, v14, v3
	s_delay_alu instid0(VALU_DEP_1) | instskip(SKIP_1) | instid1(VALU_DEP_2)
	v_cndmask_b32_e32 v3, 0x7f800000, v3, vcc_lo
	v_cmp_gt_f32_e64 vcc_lo, 0x33800000, |v24|
	v_cndmask_b32_e32 v3, v3, v24, vcc_lo
	s_delay_alu instid0(VALU_DEP_1) | instskip(NEXT) | instid1(VALU_DEP_1)
	v_div_scale_f32 v8, null, s4, s4, v3
	v_rcp_f32_e32 v9, v8
	v_nop
	s_delay_alu instid0(TRANS32_DEP_1) | instskip(NEXT) | instid1(VALU_DEP_1)
	v_fma_f32 v10, -v8, v9, 1.0
	v_fmac_f32_e32 v9, v10, v9
	v_div_scale_f32 v10, vcc_lo, v3, s4, v3
	s_delay_alu instid0(VALU_DEP_1) | instskip(NEXT) | instid1(VALU_DEP_1)
	v_mul_f32_e32 v11, v10, v9
	v_fma_f32 v12, -v8, v11, v10
	s_delay_alu instid0(VALU_DEP_1) | instskip(NEXT) | instid1(VALU_DEP_1)
	v_fmac_f32_e32 v11, v12, v9
	v_fma_f32 v8, -v8, v11, v10
	s_delay_alu instid0(VALU_DEP_1) | instskip(NEXT) | instid1(VALU_DEP_1)
	v_div_fmas_f32 v8, v8, v9, v11
	v_div_fixup_f32 v3, v8, s4, v3
.LBB13_74:
	s_or_b32 exec_lo, exec_lo, s6
	global_load_b32 v5, v5, s[2:3]
	s_mov_b32 s6, exec_lo
	s_wait_loadcnt 0x0
	v_mul_f32_e32 v8, s4, v5
	s_wait_xcnt 0x0
	s_delay_alu instid0(VALU_DEP_1)
	v_cmpx_nlt_f32_e32 s5, v8
	s_cbranch_execz .LBB13_76
; %bb.75:
	v_mul_f32_e32 v5, 0x3fb8aa3b, v8
	v_cmp_ngt_f32_e32 vcc_lo, 0xc2ce8ed0, v8
	s_mov_b32 s7, 0x3e9b6dac
	s_delay_alu instid0(VALU_DEP_2) | instskip(SKIP_1) | instid1(VALU_DEP_1)
	v_rndne_f32_e32 v9, v5
	v_fma_f32 v10, 0x3fb8aa3b, v8, -v5
	v_dual_sub_f32 v5, v5, v9 :: v_dual_fmamk_f32 v10, v8, 0x32a5705f, v10
	v_cvt_i32_f32_e32 v9, v9
	s_delay_alu instid0(VALU_DEP_2) | instskip(NEXT) | instid1(VALU_DEP_1)
	v_add_f32_e32 v5, v5, v10
	v_exp_f32_e32 v5, v5
	v_nop
	s_delay_alu instid0(TRANS32_DEP_1) | instskip(NEXT) | instid1(VALU_DEP_1)
	v_ldexp_f32 v5, v5, v9
	v_cndmask_b32_e32 v5, 0, v5, vcc_lo
	v_cmp_nlt_f32_e32 vcc_lo, 0x42b17218, v8
	s_delay_alu instid0(VALU_DEP_2) | instskip(NEXT) | instid1(VALU_DEP_1)
	v_cndmask_b32_e32 v24, 0x7f800000, v5, vcc_lo
	v_add_f32_e32 v5, 1.0, v24
	s_delay_alu instid0(VALU_DEP_1) | instskip(NEXT) | instid1(VALU_DEP_1)
	v_cvt_f64_f32_e32 v[8:9], v5
	v_frexp_exp_i32_f64_e32 v8, v[8:9]
	v_frexp_mant_f32_e32 v9, v5
	s_delay_alu instid0(VALU_DEP_1) | instskip(NEXT) | instid1(VALU_DEP_3)
	v_cmp_gt_f32_e32 vcc_lo, 0x3f2aaaab, v9
	v_subrev_co_ci_u32_e64 v14, null, 0, v8, vcc_lo
	s_delay_alu instid0(VALU_DEP_1) | instskip(NEXT) | instid1(VALU_DEP_1)
	v_dual_add_f32 v8, -1.0, v5 :: v_dual_sub_nc_u32 v9, 0, v14
	v_sub_f32_e32 v10, v8, v5
	s_delay_alu instid0(VALU_DEP_2) | instskip(NEXT) | instid1(VALU_DEP_1)
	v_ldexp_f32 v5, v5, v9
	v_dual_add_f32 v11, 1.0, v5 :: v_dual_sub_f32 v8, v24, v8
	s_delay_alu instid0(VALU_DEP_3) | instskip(SKIP_1) | instid1(VALU_DEP_2)
	v_dual_add_f32 v13, -1.0, v5 :: v_dual_add_f32 v10, 1.0, v10
	v_cmp_neq_f32_e32 vcc_lo, 0x7f800000, v24
	v_dual_add_f32 v8, v8, v10 :: v_dual_add_f32 v10, -1.0, v11
	s_delay_alu instid0(VALU_DEP_1) | instskip(NEXT) | instid1(VALU_DEP_2)
	v_ldexp_f32 v8, v8, v9
	v_dual_sub_f32 v9, v5, v10 :: v_dual_add_f32 v10, 1.0, v13
	s_delay_alu instid0(VALU_DEP_1) | instskip(NEXT) | instid1(VALU_DEP_1)
	v_dual_add_f32 v12, v8, v9 :: v_dual_sub_f32 v5, v5, v10
	v_dual_add_f32 v15, v11, v12 :: v_dual_add_f32 v5, v8, v5
	s_delay_alu instid0(VALU_DEP_1) | instskip(NEXT) | instid1(VALU_DEP_1)
	v_rcp_f32_e32 v16, v15
	v_dual_add_f32 v9, v13, v5 :: v_dual_sub_f32 v8, v11, v15
	s_delay_alu instid0(VALU_DEP_1) | instskip(NEXT) | instid1(TRANS32_DEP_1)
	v_sub_f32_e32 v19, v13, v9
	v_mul_f32_e32 v17, v9, v16
	s_delay_alu instid0(VALU_DEP_2) | instskip(NEXT) | instid1(VALU_DEP_2)
	v_dual_add_f32 v18, v12, v8 :: v_dual_add_f32 v5, v5, v19
	v_mul_f32_e32 v10, v15, v17
	s_delay_alu instid0(VALU_DEP_1) | instskip(NEXT) | instid1(VALU_DEP_1)
	v_fma_f32 v12, v17, v15, -v10
	v_fmac_f32_e32 v12, v17, v18
	s_delay_alu instid0(VALU_DEP_1) | instskip(NEXT) | instid1(VALU_DEP_1)
	v_add_f32_e32 v8, v10, v12
	v_dual_sub_f32 v11, v9, v8 :: v_dual_mov_b32 v13, v8
	s_delay_alu instid0(VALU_DEP_1) | instskip(NEXT) | instid1(VALU_DEP_1)
	v_pk_add_f32 v[8:9], v[8:9], v[10:11] neg_lo:[0,1] neg_hi:[0,1]
	v_pk_add_f32 v[8:9], v[8:9], v[12:13] neg_lo:[0,1] neg_hi:[0,1]
	s_delay_alu instid0(VALU_DEP_1) | instskip(NEXT) | instid1(VALU_DEP_1)
	v_add_f32_e32 v5, v5, v9
	v_add_f32_e32 v5, v8, v5
	s_delay_alu instid0(VALU_DEP_1) | instskip(NEXT) | instid1(VALU_DEP_1)
	v_add_f32_e32 v9, v11, v5
	v_mul_f32_e32 v19, v16, v9
	s_delay_alu instid0(VALU_DEP_1) | instskip(NEXT) | instid1(VALU_DEP_1)
	v_mul_f32_e32 v12, v15, v19
	v_fma_f32 v10, v19, v15, -v12
	v_sub_f32_e32 v15, v11, v9
	s_delay_alu instid0(VALU_DEP_1) | instskip(NEXT) | instid1(VALU_DEP_1)
	v_dual_fmac_f32 v10, v19, v18 :: v_dual_add_f32 v5, v5, v15
	v_add_f32_e32 v8, v12, v10
	s_delay_alu instid0(VALU_DEP_1) | instskip(NEXT) | instid1(VALU_DEP_1)
	v_dual_sub_f32 v13, v9, v8 :: v_dual_mov_b32 v11, v8
	v_pk_add_f32 v[8:9], v[8:9], v[12:13] neg_lo:[0,1] neg_hi:[0,1]
	s_delay_alu instid0(VALU_DEP_1) | instskip(SKIP_1) | instid1(VALU_DEP_2)
	v_pk_add_f32 v[8:9], v[8:9], v[10:11] neg_lo:[0,1] neg_hi:[0,1]
	v_cvt_f32_i32_e32 v10, v14
	v_add_f32_e32 v5, v5, v9
	s_delay_alu instid0(VALU_DEP_1) | instskip(NEXT) | instid1(VALU_DEP_1)
	v_dual_add_f32 v12, v17, v19 :: v_dual_add_f32 v5, v8, v5
	v_sub_f32_e32 v8, v12, v17
	s_delay_alu instid0(VALU_DEP_1) | instskip(NEXT) | instid1(VALU_DEP_1)
	v_dual_add_f32 v5, v13, v5 :: v_dual_sub_f32 v8, v19, v8
	v_mul_f32_e32 v5, v16, v5
	s_delay_alu instid0(VALU_DEP_1) | instskip(NEXT) | instid1(VALU_DEP_1)
	v_dual_add_f32 v5, v8, v5 :: v_dual_mov_b32 v8, 0x3f317218
	v_add_f32_e32 v13, v12, v5
	s_delay_alu instid0(VALU_DEP_1) | instskip(NEXT) | instid1(VALU_DEP_1)
	v_mul_f32_e32 v9, v13, v13
	v_fmaak_f32 v15, s7, v9, 0x3ecc95a3
	v_mul_f32_e32 v11, v13, v9
	s_delay_alu instid0(VALU_DEP_2) | instskip(NEXT) | instid1(VALU_DEP_1)
	v_fmaak_f32 v9, v9, v15, 0x3f2aaada
	v_pk_mul_f32 v[8:9], v[10:11], v[8:9]
	s_delay_alu instid0(VALU_DEP_1) | instskip(NEXT) | instid1(VALU_DEP_1)
	v_fma_f32 v14, 0x3f317218, v10, -v8
	v_fmamk_f32 v10, v10, 0xb102e308, v14
	v_sub_f32_e32 v14, v13, v12
	s_delay_alu instid0(VALU_DEP_1) | instskip(SKIP_2) | instid1(VALU_DEP_3)
	v_sub_f32_e32 v5, v5, v14
	v_ldexp_f32 v11, v13, 1
	v_mov_b32_e32 v14, v8
	v_ldexp_f32 v5, v5, 1
	s_delay_alu instid0(VALU_DEP_3) | instskip(NEXT) | instid1(VALU_DEP_1)
	v_pk_add_f32 v[12:13], v[8:9], v[10:11]
	v_dual_sub_f32 v11, v13, v11 :: v_dual_mov_b32 v22, v13
	s_delay_alu instid0(VALU_DEP_1) | instskip(NEXT) | instid1(VALU_DEP_3)
	v_sub_f32_e32 v11, v9, v11
	v_pk_add_f32 v[8:9], v[12:13], v[8:9] neg_lo:[0,1] neg_hi:[0,1]
	s_delay_alu instid0(VALU_DEP_2) | instskip(NEXT) | instid1(VALU_DEP_1)
	v_dual_add_f32 v15, v5, v11 :: v_dual_mov_b32 v11, v12
	v_pk_add_f32 v[16:17], v[12:13], v[14:15]
	s_delay_alu instid0(VALU_DEP_1) | instskip(NEXT) | instid1(VALU_DEP_1)
	v_mov_b32_e32 v9, v17
	v_pk_add_f32 v[18:19], v[10:11], v[8:9]
	v_mov_b32_e32 v18, v17
	v_pk_add_f32 v[8:9], v[10:11], v[8:9] neg_lo:[0,1] neg_hi:[0,1]
	s_delay_alu instid0(VALU_DEP_3) | instskip(NEXT) | instid1(VALU_DEP_1)
	v_dual_mov_b32 v14, v19 :: v_dual_mov_b32 v9, v19
	v_pk_add_f32 v[20:21], v[14:15], v[12:13] neg_lo:[0,1] neg_hi:[0,1]
	v_dual_mov_b32 v13, v12 :: v_dual_mov_b32 v12, v15
	s_delay_alu instid0(VALU_DEP_2) | instskip(NEXT) | instid1(VALU_DEP_1)
	v_dual_mov_b32 v5, v20 :: v_dual_mov_b32 v23, v20
	v_pk_add_f32 v[16:17], v[16:17], v[4:5] neg_lo:[0,1] neg_hi:[0,1]
	s_delay_alu instid0(VALU_DEP_2) | instskip(SKIP_1) | instid1(VALU_DEP_2)
	v_pk_add_f32 v[10:11], v[18:19], v[22:23] neg_lo:[0,1] neg_hi:[0,1]
	v_mov_b32_e32 v16, v8
	v_pk_add_f32 v[10:11], v[12:13], v[10:11] neg_lo:[0,1] neg_hi:[0,1]
	s_delay_alu instid0(VALU_DEP_1) | instskip(NEXT) | instid1(VALU_DEP_1)
	v_pk_add_f32 v[12:13], v[16:17], v[10:11]
	v_mov_b32_e32 v16, v13
	s_delay_alu instid0(VALU_DEP_1) | instskip(NEXT) | instid1(VALU_DEP_1)
	v_pk_add_f32 v[16:17], v[12:13], v[16:17]
	v_pk_add_f32 v[14:15], v[14:15], v[16:17]
	s_delay_alu instid0(VALU_DEP_1) | instskip(NEXT) | instid1(VALU_DEP_1)
	v_mov_b32_e32 v13, v14
	v_pk_add_f32 v[18:19], v[12:13], v[8:9] neg_lo:[0,1] neg_hi:[0,1]
	s_delay_alu instid0(VALU_DEP_1) | instskip(NEXT) | instid1(VALU_DEP_1)
	v_sub_f32_e32 v5, v12, v18
	v_sub_f32_e32 v5, v8, v5
	v_mov_b32_e32 v11, v16
	s_delay_alu instid0(VALU_DEP_1) | instskip(NEXT) | instid1(VALU_DEP_1)
	v_pk_add_f32 v[10:11], v[10:11], v[18:19] neg_lo:[0,1] neg_hi:[0,1]
	v_add_f32_e32 v5, v10, v5
	s_delay_alu instid0(VALU_DEP_1) | instskip(NEXT) | instid1(VALU_DEP_1)
	v_add_f32_e32 v5, v5, v11
	v_add_f32_e32 v5, v14, v5
	s_delay_alu instid0(VALU_DEP_1) | instskip(SKIP_1) | instid1(VALU_DEP_2)
	v_cndmask_b32_e32 v5, 0x7f800000, v5, vcc_lo
	v_cmp_gt_f32_e64 vcc_lo, 0x33800000, |v24|
	v_cndmask_b32_e32 v5, v5, v24, vcc_lo
	s_delay_alu instid0(VALU_DEP_1) | instskip(NEXT) | instid1(VALU_DEP_1)
	v_div_scale_f32 v8, null, s4, s4, v5
	v_rcp_f32_e32 v9, v8
	v_nop
	s_delay_alu instid0(TRANS32_DEP_1) | instskip(NEXT) | instid1(VALU_DEP_1)
	v_fma_f32 v10, -v8, v9, 1.0
	v_fmac_f32_e32 v9, v10, v9
	v_div_scale_f32 v10, vcc_lo, v5, s4, v5
	s_delay_alu instid0(VALU_DEP_1) | instskip(NEXT) | instid1(VALU_DEP_1)
	v_mul_f32_e32 v11, v10, v9
	v_fma_f32 v12, -v8, v11, v10
	s_delay_alu instid0(VALU_DEP_1) | instskip(NEXT) | instid1(VALU_DEP_1)
	v_fmac_f32_e32 v11, v12, v9
	v_fma_f32 v8, -v8, v11, v10
	s_delay_alu instid0(VALU_DEP_1) | instskip(NEXT) | instid1(VALU_DEP_1)
	v_div_fmas_f32 v8, v8, v9, v11
	v_div_fixup_f32 v5, v8, s4, v5
.LBB13_76:
	s_or_b32 exec_lo, exec_lo, s6
	global_load_b32 v1, v1, s[2:3]
	s_mov_b32 s6, exec_lo
	s_wait_loadcnt 0x0
	v_mul_f32_e32 v8, s4, v1
	s_wait_xcnt 0x0
	s_delay_alu instid0(VALU_DEP_1)
	v_cmpx_nlt_f32_e32 s5, v8
	s_cbranch_execz .LBB13_78
; %bb.77:
	v_mul_f32_e32 v1, 0x3fb8aa3b, v8
	v_cmp_ngt_f32_e32 vcc_lo, 0xc2ce8ed0, v8
	s_mov_b32 s7, 0x3e9b6dac
	s_delay_alu instid0(VALU_DEP_2) | instskip(SKIP_1) | instid1(VALU_DEP_1)
	v_rndne_f32_e32 v9, v1
	v_fma_f32 v10, 0x3fb8aa3b, v8, -v1
	v_dual_sub_f32 v1, v1, v9 :: v_dual_fmamk_f32 v10, v8, 0x32a5705f, v10
	v_cvt_i32_f32_e32 v9, v9
	s_delay_alu instid0(VALU_DEP_2) | instskip(NEXT) | instid1(VALU_DEP_1)
	v_add_f32_e32 v1, v1, v10
	v_exp_f32_e32 v1, v1
	v_nop
	s_delay_alu instid0(TRANS32_DEP_1) | instskip(NEXT) | instid1(VALU_DEP_1)
	v_ldexp_f32 v1, v1, v9
	v_cndmask_b32_e32 v1, 0, v1, vcc_lo
	v_cmp_nlt_f32_e32 vcc_lo, 0x42b17218, v8
	s_delay_alu instid0(VALU_DEP_2) | instskip(NEXT) | instid1(VALU_DEP_1)
	v_cndmask_b32_e32 v24, 0x7f800000, v1, vcc_lo
	v_add_f32_e32 v1, 1.0, v24
	s_delay_alu instid0(VALU_DEP_1) | instskip(NEXT) | instid1(VALU_DEP_1)
	v_cvt_f64_f32_e32 v[8:9], v1
	v_frexp_exp_i32_f64_e32 v8, v[8:9]
	v_frexp_mant_f32_e32 v9, v1
	s_delay_alu instid0(VALU_DEP_1) | instskip(NEXT) | instid1(VALU_DEP_3)
	v_cmp_gt_f32_e32 vcc_lo, 0x3f2aaaab, v9
	v_subrev_co_ci_u32_e64 v14, null, 0, v8, vcc_lo
	s_delay_alu instid0(VALU_DEP_1) | instskip(NEXT) | instid1(VALU_DEP_1)
	v_dual_add_f32 v8, -1.0, v1 :: v_dual_sub_nc_u32 v9, 0, v14
	v_sub_f32_e32 v10, v8, v1
	s_delay_alu instid0(VALU_DEP_2) | instskip(NEXT) | instid1(VALU_DEP_1)
	v_ldexp_f32 v1, v1, v9
	v_dual_add_f32 v11, 1.0, v1 :: v_dual_sub_f32 v8, v24, v8
	s_delay_alu instid0(VALU_DEP_3) | instskip(SKIP_1) | instid1(VALU_DEP_2)
	v_dual_add_f32 v13, -1.0, v1 :: v_dual_add_f32 v10, 1.0, v10
	v_cmp_neq_f32_e32 vcc_lo, 0x7f800000, v24
	v_dual_add_f32 v8, v8, v10 :: v_dual_add_f32 v10, -1.0, v11
	s_delay_alu instid0(VALU_DEP_1) | instskip(NEXT) | instid1(VALU_DEP_2)
	v_ldexp_f32 v8, v8, v9
	v_dual_sub_f32 v9, v1, v10 :: v_dual_add_f32 v10, 1.0, v13
	s_delay_alu instid0(VALU_DEP_1) | instskip(NEXT) | instid1(VALU_DEP_1)
	v_dual_add_f32 v12, v8, v9 :: v_dual_sub_f32 v1, v1, v10
	v_dual_add_f32 v15, v11, v12 :: v_dual_add_f32 v1, v8, v1
	s_delay_alu instid0(VALU_DEP_1) | instskip(NEXT) | instid1(VALU_DEP_1)
	v_rcp_f32_e32 v16, v15
	v_dual_add_f32 v9, v13, v1 :: v_dual_sub_f32 v8, v11, v15
	s_delay_alu instid0(VALU_DEP_1) | instskip(NEXT) | instid1(TRANS32_DEP_1)
	v_sub_f32_e32 v19, v13, v9
	v_mul_f32_e32 v17, v9, v16
	s_delay_alu instid0(VALU_DEP_2) | instskip(NEXT) | instid1(VALU_DEP_2)
	v_dual_add_f32 v18, v12, v8 :: v_dual_add_f32 v1, v1, v19
	v_mul_f32_e32 v10, v15, v17
	s_delay_alu instid0(VALU_DEP_1) | instskip(NEXT) | instid1(VALU_DEP_1)
	v_fma_f32 v12, v17, v15, -v10
	v_fmac_f32_e32 v12, v17, v18
	s_delay_alu instid0(VALU_DEP_1) | instskip(NEXT) | instid1(VALU_DEP_1)
	v_add_f32_e32 v8, v10, v12
	v_dual_sub_f32 v11, v9, v8 :: v_dual_mov_b32 v13, v8
	s_delay_alu instid0(VALU_DEP_1) | instskip(NEXT) | instid1(VALU_DEP_1)
	v_pk_add_f32 v[8:9], v[8:9], v[10:11] neg_lo:[0,1] neg_hi:[0,1]
	v_pk_add_f32 v[8:9], v[8:9], v[12:13] neg_lo:[0,1] neg_hi:[0,1]
	s_delay_alu instid0(VALU_DEP_1) | instskip(NEXT) | instid1(VALU_DEP_1)
	v_add_f32_e32 v1, v1, v9
	v_add_f32_e32 v1, v8, v1
	s_delay_alu instid0(VALU_DEP_1) | instskip(NEXT) | instid1(VALU_DEP_1)
	v_add_f32_e32 v9, v11, v1
	v_mul_f32_e32 v19, v16, v9
	s_delay_alu instid0(VALU_DEP_1) | instskip(NEXT) | instid1(VALU_DEP_1)
	v_mul_f32_e32 v12, v15, v19
	v_fma_f32 v10, v19, v15, -v12
	v_sub_f32_e32 v15, v11, v9
	s_delay_alu instid0(VALU_DEP_1) | instskip(NEXT) | instid1(VALU_DEP_1)
	v_dual_fmac_f32 v10, v19, v18 :: v_dual_add_f32 v1, v1, v15
	v_add_f32_e32 v8, v12, v10
	s_delay_alu instid0(VALU_DEP_1) | instskip(NEXT) | instid1(VALU_DEP_1)
	v_dual_sub_f32 v13, v9, v8 :: v_dual_mov_b32 v11, v8
	v_pk_add_f32 v[8:9], v[8:9], v[12:13] neg_lo:[0,1] neg_hi:[0,1]
	s_delay_alu instid0(VALU_DEP_1) | instskip(SKIP_1) | instid1(VALU_DEP_2)
	v_pk_add_f32 v[8:9], v[8:9], v[10:11] neg_lo:[0,1] neg_hi:[0,1]
	v_cvt_f32_i32_e32 v10, v14
	v_add_f32_e32 v1, v1, v9
	s_delay_alu instid0(VALU_DEP_1) | instskip(NEXT) | instid1(VALU_DEP_1)
	v_dual_add_f32 v12, v17, v19 :: v_dual_add_f32 v1, v8, v1
	v_sub_f32_e32 v8, v12, v17
	s_delay_alu instid0(VALU_DEP_1) | instskip(NEXT) | instid1(VALU_DEP_1)
	v_dual_add_f32 v1, v13, v1 :: v_dual_sub_f32 v8, v19, v8
	v_mul_f32_e32 v1, v16, v1
	s_delay_alu instid0(VALU_DEP_1) | instskip(NEXT) | instid1(VALU_DEP_1)
	v_dual_add_f32 v1, v8, v1 :: v_dual_mov_b32 v8, 0x3f317218
	v_add_f32_e32 v13, v12, v1
	s_delay_alu instid0(VALU_DEP_1) | instskip(NEXT) | instid1(VALU_DEP_1)
	v_mul_f32_e32 v9, v13, v13
	v_fmaak_f32 v15, s7, v9, 0x3ecc95a3
	v_mul_f32_e32 v11, v13, v9
	s_delay_alu instid0(VALU_DEP_2) | instskip(NEXT) | instid1(VALU_DEP_1)
	v_fmaak_f32 v9, v9, v15, 0x3f2aaada
	v_pk_mul_f32 v[8:9], v[10:11], v[8:9]
	s_delay_alu instid0(VALU_DEP_1) | instskip(NEXT) | instid1(VALU_DEP_1)
	v_fma_f32 v14, 0x3f317218, v10, -v8
	v_fmamk_f32 v10, v10, 0xb102e308, v14
	v_sub_f32_e32 v14, v13, v12
	s_delay_alu instid0(VALU_DEP_1) | instskip(SKIP_2) | instid1(VALU_DEP_3)
	v_sub_f32_e32 v1, v1, v14
	v_ldexp_f32 v11, v13, 1
	v_mov_b32_e32 v14, v8
	v_ldexp_f32 v1, v1, 1
	s_delay_alu instid0(VALU_DEP_3) | instskip(NEXT) | instid1(VALU_DEP_1)
	v_pk_add_f32 v[12:13], v[8:9], v[10:11]
	v_dual_sub_f32 v11, v13, v11 :: v_dual_mov_b32 v22, v13
	s_delay_alu instid0(VALU_DEP_1) | instskip(NEXT) | instid1(VALU_DEP_3)
	v_sub_f32_e32 v11, v9, v11
	v_pk_add_f32 v[8:9], v[12:13], v[8:9] neg_lo:[0,1] neg_hi:[0,1]
	s_delay_alu instid0(VALU_DEP_2) | instskip(NEXT) | instid1(VALU_DEP_1)
	v_dual_add_f32 v15, v1, v11 :: v_dual_mov_b32 v11, v12
	v_pk_add_f32 v[16:17], v[12:13], v[14:15]
	s_delay_alu instid0(VALU_DEP_1) | instskip(NEXT) | instid1(VALU_DEP_1)
	v_mov_b32_e32 v9, v17
	v_pk_add_f32 v[18:19], v[10:11], v[8:9]
	v_mov_b32_e32 v18, v17
	v_pk_add_f32 v[8:9], v[10:11], v[8:9] neg_lo:[0,1] neg_hi:[0,1]
	s_delay_alu instid0(VALU_DEP_3) | instskip(NEXT) | instid1(VALU_DEP_1)
	v_dual_mov_b32 v14, v19 :: v_dual_mov_b32 v9, v19
	v_pk_add_f32 v[20:21], v[14:15], v[12:13] neg_lo:[0,1] neg_hi:[0,1]
	v_dual_mov_b32 v13, v12 :: v_dual_mov_b32 v12, v15
	s_delay_alu instid0(VALU_DEP_2) | instskip(NEXT) | instid1(VALU_DEP_1)
	v_dual_mov_b32 v1, v20 :: v_dual_mov_b32 v23, v20
	v_pk_add_f32 v[16:17], v[16:17], v[0:1] neg_lo:[0,1] neg_hi:[0,1]
	s_delay_alu instid0(VALU_DEP_2) | instskip(SKIP_1) | instid1(VALU_DEP_2)
	v_pk_add_f32 v[10:11], v[18:19], v[22:23] neg_lo:[0,1] neg_hi:[0,1]
	v_mov_b32_e32 v16, v8
	v_pk_add_f32 v[10:11], v[12:13], v[10:11] neg_lo:[0,1] neg_hi:[0,1]
	s_delay_alu instid0(VALU_DEP_1) | instskip(NEXT) | instid1(VALU_DEP_1)
	v_pk_add_f32 v[12:13], v[16:17], v[10:11]
	v_mov_b32_e32 v16, v13
	s_delay_alu instid0(VALU_DEP_1) | instskip(NEXT) | instid1(VALU_DEP_1)
	v_pk_add_f32 v[16:17], v[12:13], v[16:17]
	v_pk_add_f32 v[14:15], v[14:15], v[16:17]
	s_delay_alu instid0(VALU_DEP_1) | instskip(NEXT) | instid1(VALU_DEP_1)
	v_mov_b32_e32 v13, v14
	v_pk_add_f32 v[18:19], v[12:13], v[8:9] neg_lo:[0,1] neg_hi:[0,1]
	s_delay_alu instid0(VALU_DEP_1) | instskip(NEXT) | instid1(VALU_DEP_1)
	v_sub_f32_e32 v1, v12, v18
	v_sub_f32_e32 v1, v8, v1
	v_mov_b32_e32 v11, v16
	s_delay_alu instid0(VALU_DEP_1) | instskip(NEXT) | instid1(VALU_DEP_1)
	v_pk_add_f32 v[10:11], v[10:11], v[18:19] neg_lo:[0,1] neg_hi:[0,1]
	v_add_f32_e32 v1, v10, v1
	s_delay_alu instid0(VALU_DEP_1) | instskip(NEXT) | instid1(VALU_DEP_1)
	v_add_f32_e32 v1, v1, v11
	v_add_f32_e32 v1, v14, v1
	s_delay_alu instid0(VALU_DEP_1) | instskip(SKIP_1) | instid1(VALU_DEP_2)
	v_cndmask_b32_e32 v1, 0x7f800000, v1, vcc_lo
	v_cmp_gt_f32_e64 vcc_lo, 0x33800000, |v24|
	v_cndmask_b32_e32 v1, v1, v24, vcc_lo
	s_delay_alu instid0(VALU_DEP_1) | instskip(NEXT) | instid1(VALU_DEP_1)
	v_div_scale_f32 v8, null, s4, s4, v1
	v_rcp_f32_e32 v9, v8
	v_nop
	s_delay_alu instid0(TRANS32_DEP_1) | instskip(NEXT) | instid1(VALU_DEP_1)
	v_fma_f32 v10, -v8, v9, 1.0
	v_fmac_f32_e32 v9, v10, v9
	v_div_scale_f32 v10, vcc_lo, v1, s4, v1
	s_delay_alu instid0(VALU_DEP_1) | instskip(NEXT) | instid1(VALU_DEP_1)
	v_mul_f32_e32 v11, v10, v9
	v_fma_f32 v12, -v8, v11, v10
	s_delay_alu instid0(VALU_DEP_1) | instskip(NEXT) | instid1(VALU_DEP_1)
	v_fmac_f32_e32 v11, v12, v9
	v_fma_f32 v8, -v8, v11, v10
	s_delay_alu instid0(VALU_DEP_1) | instskip(NEXT) | instid1(VALU_DEP_1)
	v_div_fmas_f32 v8, v8, v9, v11
	v_div_fixup_f32 v1, v8, s4, v1
.LBB13_78:
	s_or_b32 exec_lo, exec_lo, s6
	global_load_b32 v8, v7, s[2:3]
	s_wait_xcnt 0x0
	s_mov_b32 s2, exec_lo
	s_wait_loadcnt 0x0
	v_mul_f32_e32 v7, s4, v8
	s_delay_alu instid0(VALU_DEP_1)
	v_cmpx_nlt_f32_e32 s5, v7
	s_cbranch_execz .LBB13_80
; %bb.79:
	v_mul_f32_e32 v8, 0x3fb8aa3b, v7
	v_cmp_ngt_f32_e32 vcc_lo, 0xc2ce8ed0, v7
	s_mov_b32 s3, 0x3e9b6dac
	s_delay_alu instid0(VALU_DEP_2) | instskip(SKIP_1) | instid1(VALU_DEP_2)
	v_rndne_f32_e32 v9, v8
	v_fma_f32 v10, 0x3fb8aa3b, v7, -v8
	v_sub_f32_e32 v8, v8, v9
	s_delay_alu instid0(VALU_DEP_2) | instskip(SKIP_1) | instid1(VALU_DEP_2)
	v_fmamk_f32 v10, v7, 0x32a5705f, v10
	v_cvt_i32_f32_e32 v9, v9
	v_add_f32_e32 v8, v8, v10
	s_delay_alu instid0(VALU_DEP_1) | instskip(SKIP_1) | instid1(TRANS32_DEP_1)
	v_exp_f32_e32 v8, v8
	v_nop
	v_ldexp_f32 v8, v8, v9
	s_delay_alu instid0(VALU_DEP_1) | instskip(SKIP_1) | instid1(VALU_DEP_2)
	v_cndmask_b32_e32 v8, 0, v8, vcc_lo
	v_cmp_nlt_f32_e32 vcc_lo, 0x42b17218, v7
	v_cndmask_b32_e32 v24, 0x7f800000, v8, vcc_lo
	s_delay_alu instid0(VALU_DEP_1) | instskip(NEXT) | instid1(VALU_DEP_1)
	v_add_f32_e32 v7, 1.0, v24
	v_cvt_f64_f32_e32 v[8:9], v7
	s_delay_alu instid0(VALU_DEP_1) | instskip(SKIP_1) | instid1(VALU_DEP_1)
	v_frexp_exp_i32_f64_e32 v8, v[8:9]
	v_frexp_mant_f32_e32 v9, v7
	v_cmp_gt_f32_e32 vcc_lo, 0x3f2aaaab, v9
	s_delay_alu instid0(VALU_DEP_3) | instskip(NEXT) | instid1(VALU_DEP_1)
	v_subrev_co_ci_u32_e64 v14, null, 0, v8, vcc_lo
	v_dual_add_f32 v8, -1.0, v7 :: v_dual_sub_nc_u32 v9, 0, v14
	s_delay_alu instid0(VALU_DEP_1) | instskip(NEXT) | instid1(VALU_DEP_2)
	v_sub_f32_e32 v10, v8, v7
	v_ldexp_f32 v7, v7, v9
	s_delay_alu instid0(VALU_DEP_1) | instskip(SKIP_2) | instid1(VALU_DEP_2)
	v_dual_add_f32 v10, 1.0, v10 :: v_dual_add_f32 v11, 1.0, v7
	v_dual_add_f32 v13, -1.0, v7 :: v_dual_sub_f32 v8, v24, v8
	v_cmp_neq_f32_e32 vcc_lo, 0x7f800000, v24
	v_dual_add_f32 v8, v8, v10 :: v_dual_add_f32 v10, -1.0, v11
	s_delay_alu instid0(VALU_DEP_1) | instskip(NEXT) | instid1(VALU_DEP_2)
	v_ldexp_f32 v8, v8, v9
	v_dual_sub_f32 v9, v7, v10 :: v_dual_add_f32 v10, 1.0, v13
	s_delay_alu instid0(VALU_DEP_1) | instskip(NEXT) | instid1(VALU_DEP_1)
	v_dual_add_f32 v12, v8, v9 :: v_dual_sub_f32 v7, v7, v10
	v_dual_add_f32 v15, v11, v12 :: v_dual_add_f32 v7, v8, v7
	s_delay_alu instid0(VALU_DEP_1) | instskip(NEXT) | instid1(VALU_DEP_1)
	v_rcp_f32_e32 v16, v15
	v_add_f32_e32 v9, v13, v7
	s_delay_alu instid0(TRANS32_DEP_1) | instid1(VALU_DEP_1)
	v_dual_sub_f32 v8, v11, v15 :: v_dual_mul_f32 v17, v9, v16
	s_delay_alu instid0(VALU_DEP_1) | instskip(SKIP_1) | instid1(VALU_DEP_2)
	v_dual_mul_f32 v10, v15, v17 :: v_dual_add_f32 v18, v12, v8
	v_sub_f32_e32 v19, v13, v9
	v_fma_f32 v12, v17, v15, -v10
	s_delay_alu instid0(VALU_DEP_1) | instskip(NEXT) | instid1(VALU_DEP_1)
	v_dual_add_f32 v7, v7, v19 :: v_dual_fmac_f32 v12, v17, v18
	v_add_f32_e32 v8, v10, v12
	s_delay_alu instid0(VALU_DEP_1) | instskip(NEXT) | instid1(VALU_DEP_1)
	v_dual_sub_f32 v11, v9, v8 :: v_dual_mov_b32 v13, v8
	v_pk_add_f32 v[8:9], v[8:9], v[10:11] neg_lo:[0,1] neg_hi:[0,1]
	s_delay_alu instid0(VALU_DEP_1) | instskip(NEXT) | instid1(VALU_DEP_1)
	v_pk_add_f32 v[8:9], v[8:9], v[12:13] neg_lo:[0,1] neg_hi:[0,1]
	v_add_f32_e32 v7, v7, v9
	s_delay_alu instid0(VALU_DEP_1) | instskip(NEXT) | instid1(VALU_DEP_1)
	v_add_f32_e32 v7, v8, v7
	v_add_f32_e32 v9, v11, v7
	s_delay_alu instid0(VALU_DEP_1) | instskip(NEXT) | instid1(VALU_DEP_1)
	v_mul_f32_e32 v19, v16, v9
	v_mul_f32_e32 v12, v15, v19
	s_delay_alu instid0(VALU_DEP_1) | instskip(NEXT) | instid1(VALU_DEP_1)
	v_fma_f32 v10, v19, v15, -v12
	v_fmac_f32_e32 v10, v19, v18
	s_delay_alu instid0(VALU_DEP_1) | instskip(NEXT) | instid1(VALU_DEP_1)
	v_dual_add_f32 v8, v12, v10 :: v_dual_sub_f32 v15, v11, v9
	v_dual_sub_f32 v13, v9, v8 :: v_dual_mov_b32 v11, v8
	s_delay_alu instid0(VALU_DEP_1) | instskip(SKIP_1) | instid1(VALU_DEP_4)
	v_pk_add_f32 v[8:9], v[8:9], v[12:13] neg_lo:[0,1] neg_hi:[0,1]
	v_add_f32_e32 v12, v17, v19
	v_add_f32_e32 v7, v7, v15
	s_delay_alu instid0(VALU_DEP_3) | instskip(SKIP_1) | instid1(VALU_DEP_2)
	v_pk_add_f32 v[8:9], v[8:9], v[10:11] neg_lo:[0,1] neg_hi:[0,1]
	v_cvt_f32_i32_e32 v10, v14
	v_add_f32_e32 v7, v7, v9
	s_delay_alu instid0(VALU_DEP_1) | instskip(SKIP_1) | instid1(VALU_DEP_1)
	v_add_f32_e32 v7, v8, v7
	v_sub_f32_e32 v8, v12, v17
	v_dual_sub_f32 v8, v19, v8 :: v_dual_add_f32 v7, v13, v7
	s_delay_alu instid0(VALU_DEP_1) | instskip(NEXT) | instid1(VALU_DEP_1)
	v_mul_f32_e32 v7, v16, v7
	v_dual_add_f32 v7, v8, v7 :: v_dual_mov_b32 v8, 0x3f317218
	s_delay_alu instid0(VALU_DEP_1) | instskip(NEXT) | instid1(VALU_DEP_1)
	v_add_f32_e32 v13, v12, v7
	v_mul_f32_e32 v9, v13, v13
	s_delay_alu instid0(VALU_DEP_1) | instskip(SKIP_1) | instid1(VALU_DEP_2)
	v_fmaak_f32 v15, s3, v9, 0x3ecc95a3
	v_mul_f32_e32 v11, v13, v9
	v_fmaak_f32 v9, v9, v15, 0x3f2aaada
	s_delay_alu instid0(VALU_DEP_1) | instskip(NEXT) | instid1(VALU_DEP_1)
	v_pk_mul_f32 v[8:9], v[10:11], v[8:9]
	v_fma_f32 v14, 0x3f317218, v10, -v8
	s_delay_alu instid0(VALU_DEP_1) | instskip(SKIP_1) | instid1(VALU_DEP_1)
	v_fmamk_f32 v10, v10, 0xb102e308, v14
	v_sub_f32_e32 v14, v13, v12
	v_sub_f32_e32 v7, v7, v14
	v_ldexp_f32 v11, v13, 1
	v_mov_b32_e32 v14, v8
	s_delay_alu instid0(VALU_DEP_3) | instskip(NEXT) | instid1(VALU_DEP_3)
	v_ldexp_f32 v7, v7, 1
	v_pk_add_f32 v[12:13], v[8:9], v[10:11]
	s_delay_alu instid0(VALU_DEP_1) | instskip(NEXT) | instid1(VALU_DEP_1)
	v_dual_sub_f32 v11, v13, v11 :: v_dual_mov_b32 v22, v13
	v_sub_f32_e32 v11, v9, v11
	s_delay_alu instid0(VALU_DEP_3) | instskip(NEXT) | instid1(VALU_DEP_2)
	v_pk_add_f32 v[8:9], v[12:13], v[8:9] neg_lo:[0,1] neg_hi:[0,1]
	v_dual_add_f32 v15, v7, v11 :: v_dual_mov_b32 v11, v12
	s_delay_alu instid0(VALU_DEP_1) | instskip(NEXT) | instid1(VALU_DEP_1)
	v_pk_add_f32 v[16:17], v[12:13], v[14:15]
	v_mov_b32_e32 v9, v17
	s_delay_alu instid0(VALU_DEP_1) | instskip(SKIP_2) | instid1(VALU_DEP_3)
	v_pk_add_f32 v[18:19], v[10:11], v[8:9]
	v_mov_b32_e32 v18, v17
	v_pk_add_f32 v[8:9], v[10:11], v[8:9] neg_lo:[0,1] neg_hi:[0,1]
	v_dual_mov_b32 v14, v19 :: v_dual_mov_b32 v9, v19
	s_delay_alu instid0(VALU_DEP_1) | instskip(SKIP_1) | instid1(VALU_DEP_2)
	v_pk_add_f32 v[20:21], v[14:15], v[12:13] neg_lo:[0,1] neg_hi:[0,1]
	v_dual_mov_b32 v13, v12 :: v_dual_mov_b32 v12, v15
	v_dual_mov_b32 v7, v20 :: v_dual_mov_b32 v23, v20
	s_delay_alu instid0(VALU_DEP_1) | instskip(NEXT) | instid1(VALU_DEP_2)
	v_pk_add_f32 v[16:17], v[16:17], v[6:7] neg_lo:[0,1] neg_hi:[0,1]
	v_pk_add_f32 v[10:11], v[18:19], v[22:23] neg_lo:[0,1] neg_hi:[0,1]
	v_mov_b32_e32 v16, v8
	s_delay_alu instid0(VALU_DEP_2) | instskip(NEXT) | instid1(VALU_DEP_1)
	v_pk_add_f32 v[10:11], v[12:13], v[10:11] neg_lo:[0,1] neg_hi:[0,1]
	v_pk_add_f32 v[12:13], v[16:17], v[10:11]
	s_delay_alu instid0(VALU_DEP_1) | instskip(NEXT) | instid1(VALU_DEP_1)
	v_mov_b32_e32 v16, v13
	v_pk_add_f32 v[16:17], v[12:13], v[16:17]
	s_delay_alu instid0(VALU_DEP_1) | instskip(NEXT) | instid1(VALU_DEP_1)
	v_pk_add_f32 v[14:15], v[14:15], v[16:17]
	v_mov_b32_e32 v13, v14
	s_delay_alu instid0(VALU_DEP_1) | instskip(NEXT) | instid1(VALU_DEP_1)
	v_pk_add_f32 v[18:19], v[12:13], v[8:9] neg_lo:[0,1] neg_hi:[0,1]
	v_sub_f32_e32 v7, v12, v18
	s_delay_alu instid0(VALU_DEP_1) | instskip(SKIP_1) | instid1(VALU_DEP_1)
	v_sub_f32_e32 v7, v8, v7
	v_mov_b32_e32 v11, v16
	v_pk_add_f32 v[10:11], v[10:11], v[18:19] neg_lo:[0,1] neg_hi:[0,1]
	s_delay_alu instid0(VALU_DEP_1) | instskip(NEXT) | instid1(VALU_DEP_1)
	v_add_f32_e32 v7, v10, v7
	v_add_f32_e32 v7, v7, v11
	s_delay_alu instid0(VALU_DEP_1) | instskip(NEXT) | instid1(VALU_DEP_1)
	v_add_f32_e32 v7, v14, v7
	v_cndmask_b32_e32 v7, 0x7f800000, v7, vcc_lo
	v_cmp_gt_f32_e64 vcc_lo, 0x33800000, |v24|
	s_delay_alu instid0(VALU_DEP_2) | instskip(NEXT) | instid1(VALU_DEP_1)
	v_cndmask_b32_e32 v7, v7, v24, vcc_lo
	v_div_scale_f32 v8, null, s4, s4, v7
	s_delay_alu instid0(VALU_DEP_1) | instskip(SKIP_1) | instid1(TRANS32_DEP_1)
	v_rcp_f32_e32 v9, v8
	v_nop
	v_fma_f32 v10, -v8, v9, 1.0
	s_delay_alu instid0(VALU_DEP_1) | instskip(SKIP_1) | instid1(VALU_DEP_1)
	v_fmac_f32_e32 v9, v10, v9
	v_div_scale_f32 v10, vcc_lo, v7, s4, v7
	v_mul_f32_e32 v11, v10, v9
	s_delay_alu instid0(VALU_DEP_1) | instskip(NEXT) | instid1(VALU_DEP_1)
	v_fma_f32 v12, -v8, v11, v10
	v_fmac_f32_e32 v11, v12, v9
	s_delay_alu instid0(VALU_DEP_1) | instskip(NEXT) | instid1(VALU_DEP_1)
	v_fma_f32 v8, -v8, v11, v10
	v_div_fmas_f32 v8, v8, v9, v11
	s_delay_alu instid0(VALU_DEP_1)
	v_div_fixup_f32 v8, v8, s4, v7
.LBB13_80:
	s_or_b32 exec_lo, exec_lo, s2
	s_clause 0x3
	global_store_b32 v2, v3, s[0:1]
	global_store_b32 v4, v5, s[0:1]
	;; [unrolled: 1-line block ×4, first 2 shown]
	s_endpgm
.LBB13_81:
	v_dual_mov_b32 v3, 0 :: v_dual_mov_b32 v2, 0
	s_branch .LBB13_87
.LBB13_82:
	v_dual_mov_b32 v3, 0 :: v_dual_mov_b32 v2, 0
	s_branch .LBB13_105
.LBB13_83:
	v_mov_b64_e32 v[2:3], 0
	v_mov_b32_e32 v1, v0
	s_mov_b32 s24, 0
.LBB13_84:
	s_and_b32 s16, s16, 3
	s_mov_b32 s25, 0
	s_cmp_eq_u32 s16, 0
	s_cbranch_scc1 .LBB13_87
; %bb.85:
	s_lshl_b32 s26, s24, 3
	s_mov_b32 s27, s25
	s_mul_u64 s[28:29], s[24:25], 12
	s_add_nc_u64 s[26:27], s[12:13], s[26:27]
	s_delay_alu instid0(SALU_CYCLE_1)
	s_add_nc_u64 s[24:25], s[26:27], 0xc4
	s_add_nc_u64 s[26:27], s[12:13], s[28:29]
.LBB13_86:                              ; =>This Inner Loop Header: Depth=1
	s_load_b96 s[40:42], s[26:27], 0x4
	s_load_b64 s[28:29], s[24:25], 0x0
	s_add_co_i32 s16, s16, -1
	s_wait_xcnt 0x0
	s_add_nc_u64 s[26:27], s[26:27], 12
	s_cmp_lg_u32 s16, 0
	s_add_nc_u64 s[24:25], s[24:25], 8
	s_wait_kmcnt 0x0
	v_mul_hi_u32 v4, s41, v1
	s_delay_alu instid0(VALU_DEP_1) | instskip(NEXT) | instid1(VALU_DEP_1)
	v_add_nc_u32_e32 v4, v1, v4
	v_lshrrev_b32_e32 v4, s42, v4
	s_delay_alu instid0(VALU_DEP_1) | instskip(NEXT) | instid1(VALU_DEP_1)
	v_mul_lo_u32 v5, v4, s40
	v_sub_nc_u32_e32 v1, v1, v5
	s_delay_alu instid0(VALU_DEP_1)
	v_mad_u32 v3, v1, s29, v3
	v_mad_u32 v2, v1, s28, v2
	v_mov_b32_e32 v1, v4
	s_cbranch_scc1 .LBB13_86
.LBB13_87:
	s_cbranch_execnz .LBB13_90
.LBB13_88:
	v_mov_b32_e32 v1, 0
	s_and_not1_b32 vcc_lo, exec_lo, s35
	s_delay_alu instid0(VALU_DEP_1) | instskip(NEXT) | instid1(VALU_DEP_1)
	v_mul_u64_e32 v[2:3], s[18:19], v[0:1]
	v_add_nc_u32_e32 v2, v0, v3
	s_delay_alu instid0(VALU_DEP_1) | instskip(NEXT) | instid1(VALU_DEP_1)
	v_lshrrev_b32_e32 v4, s6, v2
	v_mul_lo_u32 v2, v4, s4
	s_delay_alu instid0(VALU_DEP_1) | instskip(NEXT) | instid1(VALU_DEP_1)
	v_sub_nc_u32_e32 v2, v0, v2
	v_mul_lo_u32 v3, v2, s9
	v_mul_lo_u32 v2, v2, s8
	s_cbranch_vccnz .LBB13_90
; %bb.89:
	v_mov_b32_e32 v5, v1
	s_delay_alu instid0(VALU_DEP_1) | instskip(NEXT) | instid1(VALU_DEP_1)
	v_mul_u64_e32 v[6:7], s[20:21], v[4:5]
	v_add_nc_u32_e32 v1, v4, v7
	s_delay_alu instid0(VALU_DEP_1) | instskip(NEXT) | instid1(VALU_DEP_1)
	v_lshrrev_b32_e32 v1, s17, v1
	v_mul_lo_u32 v1, v1, s7
	s_delay_alu instid0(VALU_DEP_1) | instskip(NEXT) | instid1(VALU_DEP_1)
	v_sub_nc_u32_e32 v1, v4, v1
	v_mad_u32 v2, v1, s10, v2
	v_mad_u32 v3, v1, s11, v3
.LBB13_90:
	global_load_b32 v3, v3, s[2:3]
	s_mov_b32 s16, exec_lo
	s_wait_loadcnt 0x0
	v_mul_f32_e32 v1, s14, v3
	s_delay_alu instid0(VALU_DEP_1)
	v_cmpx_nlt_f32_e32 s15, v1
	s_cbranch_execz .LBB13_92
; %bb.91:
	v_mul_f32_e32 v3, 0x3fb8aa3b, v1
	v_cmp_ngt_f32_e32 vcc_lo, 0xc2ce8ed0, v1
	s_mov_b32 s24, 0x3e9b6dac
	s_delay_alu instid0(VALU_DEP_2) | instskip(SKIP_1) | instid1(VALU_DEP_2)
	v_rndne_f32_e32 v4, v3
	v_fma_f32 v5, 0x3fb8aa3b, v1, -v3
	v_sub_f32_e32 v3, v3, v4
	s_delay_alu instid0(VALU_DEP_2) | instskip(SKIP_1) | instid1(VALU_DEP_2)
	v_fmamk_f32 v5, v1, 0x32a5705f, v5
	v_cvt_i32_f32_e32 v4, v4
	v_add_f32_e32 v3, v3, v5
	s_delay_alu instid0(VALU_DEP_1) | instskip(SKIP_1) | instid1(TRANS32_DEP_1)
	v_exp_f32_e32 v3, v3
	v_nop
	v_ldexp_f32 v3, v3, v4
	s_delay_alu instid0(VALU_DEP_1) | instskip(SKIP_1) | instid1(VALU_DEP_2)
	v_cndmask_b32_e32 v3, 0, v3, vcc_lo
	v_cmp_nlt_f32_e32 vcc_lo, 0x42b17218, v1
	v_cndmask_b32_e32 v3, 0x7f800000, v3, vcc_lo
	s_delay_alu instid0(VALU_DEP_1) | instskip(NEXT) | instid1(VALU_DEP_1)
	v_add_f32_e32 v1, 1.0, v3
	v_cvt_f64_f32_e32 v[4:5], v1
	s_delay_alu instid0(VALU_DEP_1) | instskip(SKIP_1) | instid1(VALU_DEP_1)
	v_frexp_exp_i32_f64_e32 v4, v[4:5]
	v_frexp_mant_f32_e32 v5, v1
	v_cmp_gt_f32_e32 vcc_lo, 0x3f2aaaab, v5
	s_delay_alu instid0(VALU_DEP_3) | instskip(NEXT) | instid1(VALU_DEP_1)
	v_subrev_co_ci_u32_e64 v10, null, 0, v4, vcc_lo
	v_dual_add_f32 v4, -1.0, v1 :: v_dual_sub_nc_u32 v5, 0, v10
	s_delay_alu instid0(VALU_DEP_1) | instskip(NEXT) | instid1(VALU_DEP_2)
	v_dual_sub_f32 v6, v4, v1 :: v_dual_sub_f32 v4, v3, v4
	v_ldexp_f32 v1, v1, v5
	s_delay_alu instid0(VALU_DEP_1) | instskip(NEXT) | instid1(VALU_DEP_1)
	v_dual_add_f32 v6, 1.0, v6 :: v_dual_add_f32 v7, 1.0, v1
	v_dual_add_f32 v9, -1.0, v1 :: v_dual_add_f32 v4, v4, v6
	v_cmp_neq_f32_e32 vcc_lo, 0x7f800000, v3
	s_delay_alu instid0(VALU_DEP_3) | instskip(NEXT) | instid1(VALU_DEP_3)
	v_add_f32_e32 v6, -1.0, v7
	v_ldexp_f32 v4, v4, v5
	s_delay_alu instid0(VALU_DEP_2) | instskip(NEXT) | instid1(VALU_DEP_1)
	v_dual_sub_f32 v5, v1, v6 :: v_dual_add_f32 v6, 1.0, v9
	v_dual_add_f32 v8, v4, v5 :: v_dual_sub_f32 v1, v1, v6
	s_delay_alu instid0(VALU_DEP_1) | instskip(NEXT) | instid1(VALU_DEP_1)
	v_dual_add_f32 v11, v7, v8 :: v_dual_add_f32 v1, v4, v1
	v_rcp_f32_e32 v12, v11
	s_delay_alu instid0(VALU_DEP_1) | instskip(NEXT) | instid1(VALU_DEP_1)
	v_dual_add_f32 v5, v9, v1 :: v_dual_sub_f32 v4, v7, v11
	v_sub_f32_e32 v15, v9, v5
	s_delay_alu instid0(TRANS32_DEP_1) | instskip(NEXT) | instid1(VALU_DEP_2)
	v_mul_f32_e32 v13, v5, v12
	v_dual_add_f32 v14, v8, v4 :: v_dual_add_f32 v1, v1, v15
	s_delay_alu instid0(VALU_DEP_2) | instskip(NEXT) | instid1(VALU_DEP_1)
	v_mul_f32_e32 v6, v11, v13
	v_fma_f32 v8, v13, v11, -v6
	s_delay_alu instid0(VALU_DEP_1) | instskip(NEXT) | instid1(VALU_DEP_1)
	v_fmac_f32_e32 v8, v13, v14
	v_add_f32_e32 v4, v6, v8
	s_delay_alu instid0(VALU_DEP_1) | instskip(NEXT) | instid1(VALU_DEP_1)
	v_dual_sub_f32 v7, v5, v4 :: v_dual_mov_b32 v9, v4
	v_pk_add_f32 v[4:5], v[4:5], v[6:7] neg_lo:[0,1] neg_hi:[0,1]
	s_delay_alu instid0(VALU_DEP_1) | instskip(NEXT) | instid1(VALU_DEP_1)
	v_pk_add_f32 v[4:5], v[4:5], v[8:9] neg_lo:[0,1] neg_hi:[0,1]
	v_add_f32_e32 v1, v1, v5
	s_delay_alu instid0(VALU_DEP_1) | instskip(NEXT) | instid1(VALU_DEP_1)
	v_add_f32_e32 v1, v4, v1
	v_add_f32_e32 v5, v7, v1
	s_delay_alu instid0(VALU_DEP_1) | instskip(NEXT) | instid1(VALU_DEP_1)
	v_mul_f32_e32 v15, v12, v5
	v_mul_f32_e32 v8, v11, v15
	s_delay_alu instid0(VALU_DEP_1) | instskip(SKIP_1) | instid1(VALU_DEP_1)
	v_fma_f32 v6, v15, v11, -v8
	v_sub_f32_e32 v11, v7, v5
	v_dual_fmac_f32 v6, v15, v14 :: v_dual_add_f32 v1, v1, v11
	s_delay_alu instid0(VALU_DEP_1) | instskip(NEXT) | instid1(VALU_DEP_1)
	v_add_f32_e32 v4, v8, v6
	v_dual_sub_f32 v9, v5, v4 :: v_dual_mov_b32 v7, v4
	s_delay_alu instid0(VALU_DEP_1) | instskip(NEXT) | instid1(VALU_DEP_1)
	v_pk_add_f32 v[4:5], v[4:5], v[8:9] neg_lo:[0,1] neg_hi:[0,1]
	v_pk_add_f32 v[4:5], v[4:5], v[6:7] neg_lo:[0,1] neg_hi:[0,1]
	v_cvt_f32_i32_e32 v6, v10
	s_delay_alu instid0(VALU_DEP_2) | instskip(NEXT) | instid1(VALU_DEP_1)
	v_add_f32_e32 v1, v1, v5
	v_dual_add_f32 v8, v13, v15 :: v_dual_add_f32 v1, v4, v1
	s_delay_alu instid0(VALU_DEP_1) | instskip(NEXT) | instid1(VALU_DEP_1)
	v_sub_f32_e32 v4, v8, v13
	v_dual_add_f32 v1, v9, v1 :: v_dual_sub_f32 v4, v15, v4
	s_delay_alu instid0(VALU_DEP_1) | instskip(NEXT) | instid1(VALU_DEP_1)
	v_mul_f32_e32 v1, v12, v1
	v_dual_add_f32 v1, v4, v1 :: v_dual_mov_b32 v4, 0x3f317218
	s_delay_alu instid0(VALU_DEP_1) | instskip(NEXT) | instid1(VALU_DEP_1)
	v_add_f32_e32 v9, v8, v1
	v_mul_f32_e32 v5, v9, v9
	s_delay_alu instid0(VALU_DEP_1) | instskip(SKIP_1) | instid1(VALU_DEP_2)
	v_fmaak_f32 v11, s24, v5, 0x3ecc95a3
	v_mul_f32_e32 v7, v9, v5
	v_fmaak_f32 v5, v5, v11, 0x3f2aaada
	s_delay_alu instid0(VALU_DEP_1) | instskip(NEXT) | instid1(VALU_DEP_1)
	v_pk_mul_f32 v[4:5], v[6:7], v[4:5]
	v_fma_f32 v10, 0x3f317218, v6, -v4
	s_delay_alu instid0(VALU_DEP_1) | instskip(SKIP_1) | instid1(VALU_DEP_1)
	v_fmamk_f32 v6, v6, 0xb102e308, v10
	v_sub_f32_e32 v10, v9, v8
	v_sub_f32_e32 v1, v1, v10
	v_ldexp_f32 v7, v9, 1
	v_mov_b32_e32 v10, v4
	s_delay_alu instid0(VALU_DEP_3) | instskip(NEXT) | instid1(VALU_DEP_3)
	v_ldexp_f32 v1, v1, 1
	v_pk_add_f32 v[8:9], v[4:5], v[6:7]
	s_delay_alu instid0(VALU_DEP_1) | instskip(NEXT) | instid1(VALU_DEP_1)
	v_dual_sub_f32 v7, v9, v7 :: v_dual_mov_b32 v18, v9
	v_sub_f32_e32 v7, v5, v7
	s_delay_alu instid0(VALU_DEP_3) | instskip(NEXT) | instid1(VALU_DEP_2)
	v_pk_add_f32 v[4:5], v[8:9], v[4:5] neg_lo:[0,1] neg_hi:[0,1]
	v_dual_add_f32 v11, v1, v7 :: v_dual_mov_b32 v7, v8
	s_delay_alu instid0(VALU_DEP_1) | instskip(NEXT) | instid1(VALU_DEP_1)
	v_pk_add_f32 v[12:13], v[8:9], v[10:11]
	v_mov_b32_e32 v5, v13
	s_delay_alu instid0(VALU_DEP_1) | instskip(SKIP_2) | instid1(VALU_DEP_3)
	v_pk_add_f32 v[14:15], v[6:7], v[4:5]
	v_mov_b32_e32 v14, v13
	v_pk_add_f32 v[4:5], v[6:7], v[4:5] neg_lo:[0,1] neg_hi:[0,1]
	v_dual_mov_b32 v10, v15 :: v_dual_mov_b32 v5, v15
	s_delay_alu instid0(VALU_DEP_1) | instskip(SKIP_1) | instid1(VALU_DEP_2)
	v_pk_add_f32 v[16:17], v[10:11], v[8:9] neg_lo:[0,1] neg_hi:[0,1]
	v_dual_mov_b32 v9, v8 :: v_dual_mov_b32 v8, v11
	v_dual_mov_b32 v1, v16 :: v_dual_mov_b32 v19, v16
	s_delay_alu instid0(VALU_DEP_1) | instskip(NEXT) | instid1(VALU_DEP_2)
	v_pk_add_f32 v[12:13], v[12:13], v[0:1] neg_lo:[0,1] neg_hi:[0,1]
	v_pk_add_f32 v[6:7], v[14:15], v[18:19] neg_lo:[0,1] neg_hi:[0,1]
	v_mov_b32_e32 v12, v4
	s_delay_alu instid0(VALU_DEP_2) | instskip(NEXT) | instid1(VALU_DEP_1)
	v_pk_add_f32 v[6:7], v[8:9], v[6:7] neg_lo:[0,1] neg_hi:[0,1]
	v_pk_add_f32 v[8:9], v[12:13], v[6:7]
	s_delay_alu instid0(VALU_DEP_1) | instskip(NEXT) | instid1(VALU_DEP_1)
	v_mov_b32_e32 v12, v9
	v_pk_add_f32 v[12:13], v[8:9], v[12:13]
	s_delay_alu instid0(VALU_DEP_1) | instskip(NEXT) | instid1(VALU_DEP_1)
	v_pk_add_f32 v[10:11], v[10:11], v[12:13]
	v_mov_b32_e32 v9, v10
	s_delay_alu instid0(VALU_DEP_1) | instskip(NEXT) | instid1(VALU_DEP_1)
	v_pk_add_f32 v[14:15], v[8:9], v[4:5] neg_lo:[0,1] neg_hi:[0,1]
	v_sub_f32_e32 v1, v8, v14
	s_delay_alu instid0(VALU_DEP_1) | instskip(SKIP_1) | instid1(VALU_DEP_1)
	v_sub_f32_e32 v1, v4, v1
	v_mov_b32_e32 v7, v12
	v_pk_add_f32 v[6:7], v[6:7], v[14:15] neg_lo:[0,1] neg_hi:[0,1]
	s_delay_alu instid0(VALU_DEP_1) | instskip(NEXT) | instid1(VALU_DEP_1)
	v_add_f32_e32 v1, v6, v1
	v_add_f32_e32 v1, v1, v7
	s_delay_alu instid0(VALU_DEP_1) | instskip(NEXT) | instid1(VALU_DEP_1)
	v_add_f32_e32 v1, v10, v1
	v_cndmask_b32_e32 v1, 0x7f800000, v1, vcc_lo
	v_cmp_gt_f32_e64 vcc_lo, 0x33800000, |v3|
	s_delay_alu instid0(VALU_DEP_2) | instskip(NEXT) | instid1(VALU_DEP_1)
	v_cndmask_b32_e32 v1, v1, v3, vcc_lo
	v_div_scale_f32 v3, null, s14, s14, v1
	s_delay_alu instid0(VALU_DEP_1) | instskip(SKIP_1) | instid1(TRANS32_DEP_1)
	v_rcp_f32_e32 v4, v3
	v_nop
	v_fma_f32 v5, -v3, v4, 1.0
	s_delay_alu instid0(VALU_DEP_1) | instskip(SKIP_1) | instid1(VALU_DEP_1)
	v_fmac_f32_e32 v4, v5, v4
	v_div_scale_f32 v5, vcc_lo, v1, s14, v1
	v_mul_f32_e32 v6, v5, v4
	s_delay_alu instid0(VALU_DEP_1) | instskip(NEXT) | instid1(VALU_DEP_1)
	v_fma_f32 v7, -v3, v6, v5
	v_fmac_f32_e32 v6, v7, v4
	s_delay_alu instid0(VALU_DEP_1) | instskip(NEXT) | instid1(VALU_DEP_1)
	v_fma_f32 v3, -v3, v6, v5
	v_div_fmas_f32 v3, v3, v4, v6
	s_delay_alu instid0(VALU_DEP_1)
	v_div_fixup_f32 v3, v3, s14, v1
.LBB13_92:
	s_or_b32 exec_lo, exec_lo, s16
	v_add_nc_u32_e32 v0, 0x80, v0
	global_store_b32 v2, v3, s[0:1]
	s_wait_xcnt 0x0
	s_or_b32 exec_lo, exec_lo, s5
	s_delay_alu instid0(SALU_CYCLE_1)
	s_mov_b32 s5, exec_lo
	v_cmpx_gt_i32_e64 s36, v0
	s_cbranch_execnz .LBB13_15
.LBB13_93:
	s_or_b32 exec_lo, exec_lo, s5
	s_delay_alu instid0(SALU_CYCLE_1)
	s_mov_b32 s5, exec_lo
	v_cmpx_gt_i32_e64 s36, v0
	s_cbranch_execz .LBB13_111
.LBB13_94:
	s_and_not1_b32 vcc_lo, exec_lo, s33
	s_cbranch_vccnz .LBB13_99
; %bb.95:
	s_and_not1_b32 vcc_lo, exec_lo, s38
	s_cbranch_vccnz .LBB13_100
; %bb.96:
	s_add_co_i32 s16, s37, 1
	s_cmp_eq_u32 s31, 2
	s_cbranch_scc1 .LBB13_114
; %bb.97:
	v_dual_mov_b32 v2, 0 :: v_dual_mov_b32 v3, 0
	v_mov_b32_e32 v1, v0
	s_and_b32 s24, s16, 28
	s_mov_b32 s25, 0
	s_mov_b64 s[26:27], s[12:13]
	s_mov_b64 s[28:29], s[22:23]
.LBB13_98:                              ; =>This Inner Loop Header: Depth=1
	s_clause 0x1
	s_load_b256 s[40:47], s[26:27], 0x4
	s_load_b128 s[56:59], s[26:27], 0x24
	s_load_b256 s[48:55], s[28:29], 0x0
	s_add_co_i32 s25, s25, 4
	s_wait_xcnt 0x0
	s_add_nc_u64 s[26:27], s[26:27], 48
	s_cmp_eq_u32 s24, s25
	s_add_nc_u64 s[28:29], s[28:29], 32
	s_wait_kmcnt 0x0
	v_mul_hi_u32 v4, s41, v1
	s_delay_alu instid0(VALU_DEP_1) | instskip(NEXT) | instid1(VALU_DEP_1)
	v_add_nc_u32_e32 v4, v1, v4
	v_lshrrev_b32_e32 v4, s42, v4
	s_delay_alu instid0(VALU_DEP_1) | instskip(NEXT) | instid1(VALU_DEP_1)
	v_mul_hi_u32 v5, s44, v4
	v_add_nc_u32_e32 v5, v4, v5
	s_delay_alu instid0(VALU_DEP_1) | instskip(NEXT) | instid1(VALU_DEP_1)
	v_lshrrev_b32_e32 v5, s45, v5
	v_mul_hi_u32 v6, s47, v5
	s_delay_alu instid0(VALU_DEP_1) | instskip(SKIP_1) | instid1(VALU_DEP_1)
	v_add_nc_u32_e32 v6, v5, v6
	v_mul_lo_u32 v7, v4, s40
	v_sub_nc_u32_e32 v1, v1, v7
	v_mul_lo_u32 v7, v5, s43
	s_delay_alu instid0(VALU_DEP_4) | instskip(NEXT) | instid1(VALU_DEP_3)
	v_lshrrev_b32_e32 v6, s56, v6
	v_mad_u32 v3, v1, s49, v3
	v_mad_u32 v1, v1, s48, v2
	s_delay_alu instid0(VALU_DEP_4) | instskip(NEXT) | instid1(VALU_DEP_4)
	v_sub_nc_u32_e32 v2, v4, v7
	v_mul_hi_u32 v8, s58, v6
	v_mul_lo_u32 v4, v6, s46
	s_delay_alu instid0(VALU_DEP_3) | instskip(SKIP_1) | instid1(VALU_DEP_4)
	v_mad_u32 v3, v2, s51, v3
	v_mad_u32 v2, v2, s50, v1
	v_add_nc_u32_e32 v7, v6, v8
	s_delay_alu instid0(VALU_DEP_1) | instskip(NEXT) | instid1(VALU_DEP_1)
	v_dual_sub_nc_u32 v4, v5, v4 :: v_dual_lshrrev_b32 v1, s59, v7
	v_mad_u32 v3, v4, s53, v3
	s_delay_alu instid0(VALU_DEP_4) | instskip(NEXT) | instid1(VALU_DEP_3)
	v_mad_u32 v2, v4, s52, v2
	v_mul_lo_u32 v5, v1, s57
	s_delay_alu instid0(VALU_DEP_1) | instskip(NEXT) | instid1(VALU_DEP_1)
	v_sub_nc_u32_e32 v4, v6, v5
	v_mad_u32 v3, v4, s55, v3
	s_delay_alu instid0(VALU_DEP_4)
	v_mad_u32 v2, v4, s54, v2
	s_cbranch_scc0 .LBB13_98
	s_branch .LBB13_115
.LBB13_99:
                                        ; implicit-def: $vgpr3
	s_branch .LBB13_119
.LBB13_100:
	v_dual_mov_b32 v3, 0 :: v_dual_mov_b32 v2, 0
	s_branch .LBB13_118
.LBB13_101:
	v_mov_b64_e32 v[2:3], 0
	v_mov_b32_e32 v1, v0
	s_mov_b32 s24, 0
.LBB13_102:
	s_and_b32 s16, s16, 3
	s_mov_b32 s25, 0
	s_cmp_eq_u32 s16, 0
	s_cbranch_scc1 .LBB13_105
; %bb.103:
	s_lshl_b32 s26, s24, 3
	s_mov_b32 s27, s25
	s_mul_u64 s[28:29], s[24:25], 12
	s_add_nc_u64 s[26:27], s[12:13], s[26:27]
	s_delay_alu instid0(SALU_CYCLE_1)
	s_add_nc_u64 s[24:25], s[26:27], 0xc4
	s_add_nc_u64 s[26:27], s[12:13], s[28:29]
.LBB13_104:                             ; =>This Inner Loop Header: Depth=1
	s_load_b96 s[40:42], s[26:27], 0x4
	s_load_b64 s[28:29], s[24:25], 0x0
	s_add_co_i32 s16, s16, -1
	s_wait_xcnt 0x0
	s_add_nc_u64 s[26:27], s[26:27], 12
	s_cmp_lg_u32 s16, 0
	s_add_nc_u64 s[24:25], s[24:25], 8
	s_wait_kmcnt 0x0
	v_mul_hi_u32 v4, s41, v1
	s_delay_alu instid0(VALU_DEP_1) | instskip(NEXT) | instid1(VALU_DEP_1)
	v_add_nc_u32_e32 v4, v1, v4
	v_lshrrev_b32_e32 v4, s42, v4
	s_delay_alu instid0(VALU_DEP_1) | instskip(NEXT) | instid1(VALU_DEP_1)
	v_mul_lo_u32 v5, v4, s40
	v_sub_nc_u32_e32 v1, v1, v5
	s_delay_alu instid0(VALU_DEP_1)
	v_mad_u32 v3, v1, s29, v3
	v_mad_u32 v2, v1, s28, v2
	v_mov_b32_e32 v1, v4
	s_cbranch_scc1 .LBB13_104
.LBB13_105:
	s_cbranch_execnz .LBB13_108
.LBB13_106:
	v_mov_b32_e32 v1, 0
	s_and_not1_b32 vcc_lo, exec_lo, s35
	s_delay_alu instid0(VALU_DEP_1) | instskip(NEXT) | instid1(VALU_DEP_1)
	v_mul_u64_e32 v[2:3], s[18:19], v[0:1]
	v_add_nc_u32_e32 v2, v0, v3
	s_delay_alu instid0(VALU_DEP_1) | instskip(NEXT) | instid1(VALU_DEP_1)
	v_lshrrev_b32_e32 v4, s6, v2
	v_mul_lo_u32 v2, v4, s4
	s_delay_alu instid0(VALU_DEP_1) | instskip(NEXT) | instid1(VALU_DEP_1)
	v_sub_nc_u32_e32 v2, v0, v2
	v_mul_lo_u32 v3, v2, s9
	v_mul_lo_u32 v2, v2, s8
	s_cbranch_vccnz .LBB13_108
; %bb.107:
	v_mov_b32_e32 v5, v1
	s_delay_alu instid0(VALU_DEP_1) | instskip(NEXT) | instid1(VALU_DEP_1)
	v_mul_u64_e32 v[6:7], s[20:21], v[4:5]
	v_add_nc_u32_e32 v1, v4, v7
	s_delay_alu instid0(VALU_DEP_1) | instskip(NEXT) | instid1(VALU_DEP_1)
	v_lshrrev_b32_e32 v1, s17, v1
	v_mul_lo_u32 v1, v1, s7
	s_delay_alu instid0(VALU_DEP_1) | instskip(NEXT) | instid1(VALU_DEP_1)
	v_sub_nc_u32_e32 v1, v4, v1
	v_mad_u32 v2, v1, s10, v2
	v_mad_u32 v3, v1, s11, v3
.LBB13_108:
	global_load_b32 v3, v3, s[2:3]
	s_mov_b32 s16, exec_lo
	s_wait_loadcnt 0x0
	v_mul_f32_e32 v1, s14, v3
	s_wait_xcnt 0x0
	s_delay_alu instid0(VALU_DEP_1)
	v_cmpx_nlt_f32_e32 s15, v1
	s_cbranch_execz .LBB13_110
; %bb.109:
	v_mul_f32_e32 v3, 0x3fb8aa3b, v1
	v_cmp_ngt_f32_e32 vcc_lo, 0xc2ce8ed0, v1
	s_mov_b32 s24, 0x3e9b6dac
	s_delay_alu instid0(VALU_DEP_2) | instskip(SKIP_1) | instid1(VALU_DEP_2)
	v_rndne_f32_e32 v4, v3
	v_fma_f32 v5, 0x3fb8aa3b, v1, -v3
	v_sub_f32_e32 v3, v3, v4
	s_delay_alu instid0(VALU_DEP_2) | instskip(SKIP_1) | instid1(VALU_DEP_2)
	v_fmamk_f32 v5, v1, 0x32a5705f, v5
	v_cvt_i32_f32_e32 v4, v4
	v_add_f32_e32 v3, v3, v5
	s_delay_alu instid0(VALU_DEP_1) | instskip(SKIP_1) | instid1(TRANS32_DEP_1)
	v_exp_f32_e32 v3, v3
	v_nop
	v_ldexp_f32 v3, v3, v4
	s_delay_alu instid0(VALU_DEP_1) | instskip(SKIP_1) | instid1(VALU_DEP_2)
	v_cndmask_b32_e32 v3, 0, v3, vcc_lo
	v_cmp_nlt_f32_e32 vcc_lo, 0x42b17218, v1
	v_cndmask_b32_e32 v3, 0x7f800000, v3, vcc_lo
	s_delay_alu instid0(VALU_DEP_1) | instskip(NEXT) | instid1(VALU_DEP_1)
	v_add_f32_e32 v1, 1.0, v3
	v_cvt_f64_f32_e32 v[4:5], v1
	s_delay_alu instid0(VALU_DEP_1) | instskip(SKIP_1) | instid1(VALU_DEP_1)
	v_frexp_exp_i32_f64_e32 v4, v[4:5]
	v_frexp_mant_f32_e32 v5, v1
	v_cmp_gt_f32_e32 vcc_lo, 0x3f2aaaab, v5
	s_delay_alu instid0(VALU_DEP_3) | instskip(NEXT) | instid1(VALU_DEP_1)
	v_subrev_co_ci_u32_e64 v10, null, 0, v4, vcc_lo
	v_dual_add_f32 v4, -1.0, v1 :: v_dual_sub_nc_u32 v5, 0, v10
	s_delay_alu instid0(VALU_DEP_1) | instskip(NEXT) | instid1(VALU_DEP_2)
	v_dual_sub_f32 v6, v4, v1 :: v_dual_sub_f32 v4, v3, v4
	v_ldexp_f32 v1, v1, v5
	s_delay_alu instid0(VALU_DEP_1) | instskip(NEXT) | instid1(VALU_DEP_1)
	v_dual_add_f32 v6, 1.0, v6 :: v_dual_add_f32 v7, 1.0, v1
	v_dual_add_f32 v9, -1.0, v1 :: v_dual_add_f32 v4, v4, v6
	v_cmp_neq_f32_e32 vcc_lo, 0x7f800000, v3
	s_delay_alu instid0(VALU_DEP_3) | instskip(NEXT) | instid1(VALU_DEP_3)
	v_add_f32_e32 v6, -1.0, v7
	v_ldexp_f32 v4, v4, v5
	s_delay_alu instid0(VALU_DEP_2) | instskip(NEXT) | instid1(VALU_DEP_1)
	v_dual_sub_f32 v5, v1, v6 :: v_dual_add_f32 v6, 1.0, v9
	v_dual_add_f32 v8, v4, v5 :: v_dual_sub_f32 v1, v1, v6
	s_delay_alu instid0(VALU_DEP_1) | instskip(NEXT) | instid1(VALU_DEP_1)
	v_dual_add_f32 v11, v7, v8 :: v_dual_add_f32 v1, v4, v1
	v_rcp_f32_e32 v12, v11
	s_delay_alu instid0(VALU_DEP_1) | instskip(NEXT) | instid1(VALU_DEP_1)
	v_dual_add_f32 v5, v9, v1 :: v_dual_sub_f32 v4, v7, v11
	v_sub_f32_e32 v15, v9, v5
	s_delay_alu instid0(TRANS32_DEP_1) | instskip(NEXT) | instid1(VALU_DEP_2)
	v_mul_f32_e32 v13, v5, v12
	v_dual_add_f32 v14, v8, v4 :: v_dual_add_f32 v1, v1, v15
	s_delay_alu instid0(VALU_DEP_2) | instskip(NEXT) | instid1(VALU_DEP_1)
	v_mul_f32_e32 v6, v11, v13
	v_fma_f32 v8, v13, v11, -v6
	s_delay_alu instid0(VALU_DEP_1) | instskip(NEXT) | instid1(VALU_DEP_1)
	v_fmac_f32_e32 v8, v13, v14
	v_add_f32_e32 v4, v6, v8
	s_delay_alu instid0(VALU_DEP_1) | instskip(NEXT) | instid1(VALU_DEP_1)
	v_dual_sub_f32 v7, v5, v4 :: v_dual_mov_b32 v9, v4
	v_pk_add_f32 v[4:5], v[4:5], v[6:7] neg_lo:[0,1] neg_hi:[0,1]
	s_delay_alu instid0(VALU_DEP_1) | instskip(NEXT) | instid1(VALU_DEP_1)
	v_pk_add_f32 v[4:5], v[4:5], v[8:9] neg_lo:[0,1] neg_hi:[0,1]
	v_add_f32_e32 v1, v1, v5
	s_delay_alu instid0(VALU_DEP_1) | instskip(NEXT) | instid1(VALU_DEP_1)
	v_add_f32_e32 v1, v4, v1
	v_add_f32_e32 v5, v7, v1
	s_delay_alu instid0(VALU_DEP_1) | instskip(NEXT) | instid1(VALU_DEP_1)
	v_mul_f32_e32 v15, v12, v5
	v_mul_f32_e32 v8, v11, v15
	s_delay_alu instid0(VALU_DEP_1) | instskip(SKIP_1) | instid1(VALU_DEP_1)
	v_fma_f32 v6, v15, v11, -v8
	v_sub_f32_e32 v11, v7, v5
	v_dual_fmac_f32 v6, v15, v14 :: v_dual_add_f32 v1, v1, v11
	s_delay_alu instid0(VALU_DEP_1) | instskip(NEXT) | instid1(VALU_DEP_1)
	v_add_f32_e32 v4, v8, v6
	v_dual_sub_f32 v9, v5, v4 :: v_dual_mov_b32 v7, v4
	s_delay_alu instid0(VALU_DEP_1) | instskip(NEXT) | instid1(VALU_DEP_1)
	v_pk_add_f32 v[4:5], v[4:5], v[8:9] neg_lo:[0,1] neg_hi:[0,1]
	v_pk_add_f32 v[4:5], v[4:5], v[6:7] neg_lo:[0,1] neg_hi:[0,1]
	v_cvt_f32_i32_e32 v6, v10
	s_delay_alu instid0(VALU_DEP_2) | instskip(NEXT) | instid1(VALU_DEP_1)
	v_add_f32_e32 v1, v1, v5
	v_dual_add_f32 v8, v13, v15 :: v_dual_add_f32 v1, v4, v1
	s_delay_alu instid0(VALU_DEP_1) | instskip(NEXT) | instid1(VALU_DEP_1)
	v_sub_f32_e32 v4, v8, v13
	v_dual_add_f32 v1, v9, v1 :: v_dual_sub_f32 v4, v15, v4
	s_delay_alu instid0(VALU_DEP_1) | instskip(NEXT) | instid1(VALU_DEP_1)
	v_mul_f32_e32 v1, v12, v1
	v_dual_add_f32 v1, v4, v1 :: v_dual_mov_b32 v4, 0x3f317218
	s_delay_alu instid0(VALU_DEP_1) | instskip(NEXT) | instid1(VALU_DEP_1)
	v_add_f32_e32 v9, v8, v1
	v_mul_f32_e32 v5, v9, v9
	s_delay_alu instid0(VALU_DEP_1) | instskip(SKIP_1) | instid1(VALU_DEP_2)
	v_fmaak_f32 v11, s24, v5, 0x3ecc95a3
	v_mul_f32_e32 v7, v9, v5
	v_fmaak_f32 v5, v5, v11, 0x3f2aaada
	s_delay_alu instid0(VALU_DEP_1) | instskip(NEXT) | instid1(VALU_DEP_1)
	v_pk_mul_f32 v[4:5], v[6:7], v[4:5]
	v_fma_f32 v10, 0x3f317218, v6, -v4
	s_delay_alu instid0(VALU_DEP_1) | instskip(SKIP_1) | instid1(VALU_DEP_1)
	v_fmamk_f32 v6, v6, 0xb102e308, v10
	v_sub_f32_e32 v10, v9, v8
	v_sub_f32_e32 v1, v1, v10
	v_ldexp_f32 v7, v9, 1
	v_mov_b32_e32 v10, v4
	s_delay_alu instid0(VALU_DEP_3) | instskip(NEXT) | instid1(VALU_DEP_3)
	v_ldexp_f32 v1, v1, 1
	v_pk_add_f32 v[8:9], v[4:5], v[6:7]
	s_delay_alu instid0(VALU_DEP_1) | instskip(NEXT) | instid1(VALU_DEP_1)
	v_dual_sub_f32 v7, v9, v7 :: v_dual_mov_b32 v18, v9
	v_sub_f32_e32 v7, v5, v7
	s_delay_alu instid0(VALU_DEP_3) | instskip(NEXT) | instid1(VALU_DEP_2)
	v_pk_add_f32 v[4:5], v[8:9], v[4:5] neg_lo:[0,1] neg_hi:[0,1]
	v_dual_add_f32 v11, v1, v7 :: v_dual_mov_b32 v7, v8
	s_delay_alu instid0(VALU_DEP_1) | instskip(NEXT) | instid1(VALU_DEP_1)
	v_pk_add_f32 v[12:13], v[8:9], v[10:11]
	v_mov_b32_e32 v5, v13
	s_delay_alu instid0(VALU_DEP_1) | instskip(SKIP_2) | instid1(VALU_DEP_3)
	v_pk_add_f32 v[14:15], v[6:7], v[4:5]
	v_mov_b32_e32 v14, v13
	v_pk_add_f32 v[4:5], v[6:7], v[4:5] neg_lo:[0,1] neg_hi:[0,1]
	v_dual_mov_b32 v10, v15 :: v_dual_mov_b32 v5, v15
	s_delay_alu instid0(VALU_DEP_1) | instskip(SKIP_1) | instid1(VALU_DEP_2)
	v_pk_add_f32 v[16:17], v[10:11], v[8:9] neg_lo:[0,1] neg_hi:[0,1]
	v_dual_mov_b32 v9, v8 :: v_dual_mov_b32 v8, v11
	v_dual_mov_b32 v1, v16 :: v_dual_mov_b32 v19, v16
	s_delay_alu instid0(VALU_DEP_1) | instskip(NEXT) | instid1(VALU_DEP_2)
	v_pk_add_f32 v[12:13], v[12:13], v[0:1] neg_lo:[0,1] neg_hi:[0,1]
	v_pk_add_f32 v[6:7], v[14:15], v[18:19] neg_lo:[0,1] neg_hi:[0,1]
	v_mov_b32_e32 v12, v4
	s_delay_alu instid0(VALU_DEP_2) | instskip(NEXT) | instid1(VALU_DEP_1)
	v_pk_add_f32 v[6:7], v[8:9], v[6:7] neg_lo:[0,1] neg_hi:[0,1]
	v_pk_add_f32 v[8:9], v[12:13], v[6:7]
	s_delay_alu instid0(VALU_DEP_1) | instskip(NEXT) | instid1(VALU_DEP_1)
	v_mov_b32_e32 v12, v9
	v_pk_add_f32 v[12:13], v[8:9], v[12:13]
	s_delay_alu instid0(VALU_DEP_1) | instskip(NEXT) | instid1(VALU_DEP_1)
	v_pk_add_f32 v[10:11], v[10:11], v[12:13]
	v_mov_b32_e32 v9, v10
	s_delay_alu instid0(VALU_DEP_1) | instskip(NEXT) | instid1(VALU_DEP_1)
	v_pk_add_f32 v[14:15], v[8:9], v[4:5] neg_lo:[0,1] neg_hi:[0,1]
	v_sub_f32_e32 v1, v8, v14
	s_delay_alu instid0(VALU_DEP_1) | instskip(SKIP_1) | instid1(VALU_DEP_1)
	v_sub_f32_e32 v1, v4, v1
	v_mov_b32_e32 v7, v12
	v_pk_add_f32 v[6:7], v[6:7], v[14:15] neg_lo:[0,1] neg_hi:[0,1]
	s_delay_alu instid0(VALU_DEP_1) | instskip(NEXT) | instid1(VALU_DEP_1)
	v_add_f32_e32 v1, v6, v1
	v_add_f32_e32 v1, v1, v7
	s_delay_alu instid0(VALU_DEP_1) | instskip(NEXT) | instid1(VALU_DEP_1)
	v_add_f32_e32 v1, v10, v1
	v_cndmask_b32_e32 v1, 0x7f800000, v1, vcc_lo
	v_cmp_gt_f32_e64 vcc_lo, 0x33800000, |v3|
	s_delay_alu instid0(VALU_DEP_2) | instskip(NEXT) | instid1(VALU_DEP_1)
	v_cndmask_b32_e32 v1, v1, v3, vcc_lo
	v_div_scale_f32 v3, null, s14, s14, v1
	s_delay_alu instid0(VALU_DEP_1) | instskip(SKIP_1) | instid1(TRANS32_DEP_1)
	v_rcp_f32_e32 v4, v3
	v_nop
	v_fma_f32 v5, -v3, v4, 1.0
	s_delay_alu instid0(VALU_DEP_1) | instskip(SKIP_1) | instid1(VALU_DEP_1)
	v_fmac_f32_e32 v4, v5, v4
	v_div_scale_f32 v5, vcc_lo, v1, s14, v1
	v_mul_f32_e32 v6, v5, v4
	s_delay_alu instid0(VALU_DEP_1) | instskip(NEXT) | instid1(VALU_DEP_1)
	v_fma_f32 v7, -v3, v6, v5
	v_fmac_f32_e32 v6, v7, v4
	s_delay_alu instid0(VALU_DEP_1) | instskip(NEXT) | instid1(VALU_DEP_1)
	v_fma_f32 v3, -v3, v6, v5
	v_div_fmas_f32 v3, v3, v4, v6
	s_delay_alu instid0(VALU_DEP_1)
	v_div_fixup_f32 v3, v3, s14, v1
.LBB13_110:
	s_or_b32 exec_lo, exec_lo, s16
	v_add_nc_u32_e32 v0, 0x80, v0
	global_store_b32 v2, v3, s[0:1]
	s_wait_xcnt 0x0
	s_or_b32 exec_lo, exec_lo, s5
	s_delay_alu instid0(SALU_CYCLE_1)
	s_mov_b32 s5, exec_lo
	v_cmpx_gt_i32_e64 s36, v0
	s_cbranch_execnz .LBB13_94
.LBB13_111:
	s_or_b32 exec_lo, exec_lo, s5
	s_delay_alu instid0(SALU_CYCLE_1)
	s_mov_b32 s5, exec_lo
	v_cmpx_gt_i32_e64 s36, v0
	s_cbranch_execnz .LBB13_124
.LBB13_112:
	s_or_b32 exec_lo, exec_lo, s5
                                        ; implicit-def: $vgpr8
                                        ; implicit-def: $vgpr0
	s_and_not1_saveexec_b32 s0, s34
	s_cbranch_execnz .LBB13_8
.LBB13_113:
	s_endpgm
.LBB13_114:
	v_mov_b64_e32 v[2:3], 0
	v_mov_b32_e32 v1, v0
	s_mov_b32 s24, 0
.LBB13_115:
	s_and_b32 s16, s16, 3
	s_mov_b32 s25, 0
	s_cmp_eq_u32 s16, 0
	s_cbranch_scc1 .LBB13_118
; %bb.116:
	s_lshl_b32 s26, s24, 3
	s_mov_b32 s27, s25
	s_mul_u64 s[28:29], s[24:25], 12
	s_add_nc_u64 s[26:27], s[12:13], s[26:27]
	s_delay_alu instid0(SALU_CYCLE_1)
	s_add_nc_u64 s[24:25], s[26:27], 0xc4
	s_add_nc_u64 s[26:27], s[12:13], s[28:29]
.LBB13_117:                             ; =>This Inner Loop Header: Depth=1
	s_load_b96 s[40:42], s[26:27], 0x4
	s_load_b64 s[28:29], s[24:25], 0x0
	s_add_co_i32 s16, s16, -1
	s_wait_xcnt 0x0
	s_add_nc_u64 s[26:27], s[26:27], 12
	s_cmp_lg_u32 s16, 0
	s_add_nc_u64 s[24:25], s[24:25], 8
	s_wait_kmcnt 0x0
	v_mul_hi_u32 v4, s41, v1
	s_delay_alu instid0(VALU_DEP_1) | instskip(NEXT) | instid1(VALU_DEP_1)
	v_add_nc_u32_e32 v4, v1, v4
	v_lshrrev_b32_e32 v4, s42, v4
	s_delay_alu instid0(VALU_DEP_1) | instskip(NEXT) | instid1(VALU_DEP_1)
	v_mul_lo_u32 v5, v4, s40
	v_sub_nc_u32_e32 v1, v1, v5
	s_delay_alu instid0(VALU_DEP_1)
	v_mad_u32 v3, v1, s29, v3
	v_mad_u32 v2, v1, s28, v2
	v_mov_b32_e32 v1, v4
	s_cbranch_scc1 .LBB13_117
.LBB13_118:
	s_cbranch_execnz .LBB13_121
.LBB13_119:
	v_mov_b32_e32 v1, 0
	s_and_not1_b32 vcc_lo, exec_lo, s35
	s_delay_alu instid0(VALU_DEP_1) | instskip(NEXT) | instid1(VALU_DEP_1)
	v_mul_u64_e32 v[2:3], s[18:19], v[0:1]
	v_add_nc_u32_e32 v2, v0, v3
	s_delay_alu instid0(VALU_DEP_1) | instskip(NEXT) | instid1(VALU_DEP_1)
	v_lshrrev_b32_e32 v4, s6, v2
	v_mul_lo_u32 v2, v4, s4
	s_delay_alu instid0(VALU_DEP_1) | instskip(NEXT) | instid1(VALU_DEP_1)
	v_sub_nc_u32_e32 v2, v0, v2
	v_mul_lo_u32 v3, v2, s9
	v_mul_lo_u32 v2, v2, s8
	s_cbranch_vccnz .LBB13_121
; %bb.120:
	v_mov_b32_e32 v5, v1
	s_delay_alu instid0(VALU_DEP_1) | instskip(NEXT) | instid1(VALU_DEP_1)
	v_mul_u64_e32 v[6:7], s[20:21], v[4:5]
	v_add_nc_u32_e32 v1, v4, v7
	s_delay_alu instid0(VALU_DEP_1) | instskip(NEXT) | instid1(VALU_DEP_1)
	v_lshrrev_b32_e32 v1, s17, v1
	v_mul_lo_u32 v1, v1, s7
	s_delay_alu instid0(VALU_DEP_1) | instskip(NEXT) | instid1(VALU_DEP_1)
	v_sub_nc_u32_e32 v1, v4, v1
	v_mad_u32 v2, v1, s10, v2
	v_mad_u32 v3, v1, s11, v3
.LBB13_121:
	global_load_b32 v3, v3, s[2:3]
	s_mov_b32 s16, exec_lo
	s_wait_loadcnt 0x0
	v_mul_f32_e32 v1, s14, v3
	s_wait_xcnt 0x0
	s_delay_alu instid0(VALU_DEP_1)
	v_cmpx_nlt_f32_e32 s15, v1
	s_cbranch_execz .LBB13_123
; %bb.122:
	v_mul_f32_e32 v3, 0x3fb8aa3b, v1
	v_cmp_ngt_f32_e32 vcc_lo, 0xc2ce8ed0, v1
	s_mov_b32 s24, 0x3e9b6dac
	s_delay_alu instid0(VALU_DEP_2) | instskip(SKIP_1) | instid1(VALU_DEP_2)
	v_rndne_f32_e32 v4, v3
	v_fma_f32 v5, 0x3fb8aa3b, v1, -v3
	v_sub_f32_e32 v3, v3, v4
	s_delay_alu instid0(VALU_DEP_2) | instskip(SKIP_1) | instid1(VALU_DEP_2)
	v_fmamk_f32 v5, v1, 0x32a5705f, v5
	v_cvt_i32_f32_e32 v4, v4
	v_add_f32_e32 v3, v3, v5
	s_delay_alu instid0(VALU_DEP_1) | instskip(SKIP_1) | instid1(TRANS32_DEP_1)
	v_exp_f32_e32 v3, v3
	v_nop
	v_ldexp_f32 v3, v3, v4
	s_delay_alu instid0(VALU_DEP_1) | instskip(SKIP_1) | instid1(VALU_DEP_2)
	v_cndmask_b32_e32 v3, 0, v3, vcc_lo
	v_cmp_nlt_f32_e32 vcc_lo, 0x42b17218, v1
	v_cndmask_b32_e32 v3, 0x7f800000, v3, vcc_lo
	s_delay_alu instid0(VALU_DEP_1) | instskip(NEXT) | instid1(VALU_DEP_1)
	v_add_f32_e32 v1, 1.0, v3
	v_cvt_f64_f32_e32 v[4:5], v1
	s_delay_alu instid0(VALU_DEP_1) | instskip(SKIP_1) | instid1(VALU_DEP_1)
	v_frexp_exp_i32_f64_e32 v4, v[4:5]
	v_frexp_mant_f32_e32 v5, v1
	v_cmp_gt_f32_e32 vcc_lo, 0x3f2aaaab, v5
	s_delay_alu instid0(VALU_DEP_3) | instskip(NEXT) | instid1(VALU_DEP_1)
	v_subrev_co_ci_u32_e64 v10, null, 0, v4, vcc_lo
	v_dual_add_f32 v4, -1.0, v1 :: v_dual_sub_nc_u32 v5, 0, v10
	s_delay_alu instid0(VALU_DEP_1) | instskip(NEXT) | instid1(VALU_DEP_2)
	v_dual_sub_f32 v6, v4, v1 :: v_dual_sub_f32 v4, v3, v4
	v_ldexp_f32 v1, v1, v5
	s_delay_alu instid0(VALU_DEP_1) | instskip(NEXT) | instid1(VALU_DEP_1)
	v_dual_add_f32 v6, 1.0, v6 :: v_dual_add_f32 v7, 1.0, v1
	v_dual_add_f32 v9, -1.0, v1 :: v_dual_add_f32 v4, v4, v6
	v_cmp_neq_f32_e32 vcc_lo, 0x7f800000, v3
	s_delay_alu instid0(VALU_DEP_3) | instskip(NEXT) | instid1(VALU_DEP_3)
	v_add_f32_e32 v6, -1.0, v7
	v_ldexp_f32 v4, v4, v5
	s_delay_alu instid0(VALU_DEP_2) | instskip(NEXT) | instid1(VALU_DEP_1)
	v_dual_sub_f32 v5, v1, v6 :: v_dual_add_f32 v6, 1.0, v9
	v_dual_add_f32 v8, v4, v5 :: v_dual_sub_f32 v1, v1, v6
	s_delay_alu instid0(VALU_DEP_1) | instskip(NEXT) | instid1(VALU_DEP_1)
	v_dual_add_f32 v11, v7, v8 :: v_dual_add_f32 v1, v4, v1
	v_rcp_f32_e32 v12, v11
	s_delay_alu instid0(VALU_DEP_1) | instskip(NEXT) | instid1(VALU_DEP_1)
	v_dual_add_f32 v5, v9, v1 :: v_dual_sub_f32 v4, v7, v11
	v_sub_f32_e32 v15, v9, v5
	s_delay_alu instid0(TRANS32_DEP_1) | instskip(NEXT) | instid1(VALU_DEP_2)
	v_mul_f32_e32 v13, v5, v12
	v_dual_add_f32 v14, v8, v4 :: v_dual_add_f32 v1, v1, v15
	s_delay_alu instid0(VALU_DEP_2) | instskip(NEXT) | instid1(VALU_DEP_1)
	v_mul_f32_e32 v6, v11, v13
	v_fma_f32 v8, v13, v11, -v6
	s_delay_alu instid0(VALU_DEP_1) | instskip(NEXT) | instid1(VALU_DEP_1)
	v_fmac_f32_e32 v8, v13, v14
	v_add_f32_e32 v4, v6, v8
	s_delay_alu instid0(VALU_DEP_1) | instskip(NEXT) | instid1(VALU_DEP_1)
	v_dual_sub_f32 v7, v5, v4 :: v_dual_mov_b32 v9, v4
	v_pk_add_f32 v[4:5], v[4:5], v[6:7] neg_lo:[0,1] neg_hi:[0,1]
	s_delay_alu instid0(VALU_DEP_1) | instskip(NEXT) | instid1(VALU_DEP_1)
	v_pk_add_f32 v[4:5], v[4:5], v[8:9] neg_lo:[0,1] neg_hi:[0,1]
	v_add_f32_e32 v1, v1, v5
	s_delay_alu instid0(VALU_DEP_1) | instskip(NEXT) | instid1(VALU_DEP_1)
	v_add_f32_e32 v1, v4, v1
	v_add_f32_e32 v5, v7, v1
	s_delay_alu instid0(VALU_DEP_1) | instskip(NEXT) | instid1(VALU_DEP_1)
	v_mul_f32_e32 v15, v12, v5
	v_mul_f32_e32 v8, v11, v15
	s_delay_alu instid0(VALU_DEP_1) | instskip(SKIP_1) | instid1(VALU_DEP_1)
	v_fma_f32 v6, v15, v11, -v8
	v_sub_f32_e32 v11, v7, v5
	v_dual_fmac_f32 v6, v15, v14 :: v_dual_add_f32 v1, v1, v11
	s_delay_alu instid0(VALU_DEP_1) | instskip(NEXT) | instid1(VALU_DEP_1)
	v_add_f32_e32 v4, v8, v6
	v_dual_sub_f32 v9, v5, v4 :: v_dual_mov_b32 v7, v4
	s_delay_alu instid0(VALU_DEP_1) | instskip(NEXT) | instid1(VALU_DEP_1)
	v_pk_add_f32 v[4:5], v[4:5], v[8:9] neg_lo:[0,1] neg_hi:[0,1]
	v_pk_add_f32 v[4:5], v[4:5], v[6:7] neg_lo:[0,1] neg_hi:[0,1]
	v_cvt_f32_i32_e32 v6, v10
	s_delay_alu instid0(VALU_DEP_2) | instskip(NEXT) | instid1(VALU_DEP_1)
	v_add_f32_e32 v1, v1, v5
	v_dual_add_f32 v8, v13, v15 :: v_dual_add_f32 v1, v4, v1
	s_delay_alu instid0(VALU_DEP_1) | instskip(NEXT) | instid1(VALU_DEP_1)
	v_sub_f32_e32 v4, v8, v13
	v_dual_add_f32 v1, v9, v1 :: v_dual_sub_f32 v4, v15, v4
	s_delay_alu instid0(VALU_DEP_1) | instskip(NEXT) | instid1(VALU_DEP_1)
	v_mul_f32_e32 v1, v12, v1
	v_dual_add_f32 v1, v4, v1 :: v_dual_mov_b32 v4, 0x3f317218
	s_delay_alu instid0(VALU_DEP_1) | instskip(NEXT) | instid1(VALU_DEP_1)
	v_add_f32_e32 v9, v8, v1
	v_mul_f32_e32 v5, v9, v9
	s_delay_alu instid0(VALU_DEP_1) | instskip(SKIP_1) | instid1(VALU_DEP_2)
	v_fmaak_f32 v11, s24, v5, 0x3ecc95a3
	v_mul_f32_e32 v7, v9, v5
	v_fmaak_f32 v5, v5, v11, 0x3f2aaada
	s_delay_alu instid0(VALU_DEP_1) | instskip(NEXT) | instid1(VALU_DEP_1)
	v_pk_mul_f32 v[4:5], v[6:7], v[4:5]
	v_fma_f32 v10, 0x3f317218, v6, -v4
	s_delay_alu instid0(VALU_DEP_1) | instskip(SKIP_1) | instid1(VALU_DEP_1)
	v_fmamk_f32 v6, v6, 0xb102e308, v10
	v_sub_f32_e32 v10, v9, v8
	v_sub_f32_e32 v1, v1, v10
	v_ldexp_f32 v7, v9, 1
	v_mov_b32_e32 v10, v4
	s_delay_alu instid0(VALU_DEP_3) | instskip(NEXT) | instid1(VALU_DEP_3)
	v_ldexp_f32 v1, v1, 1
	v_pk_add_f32 v[8:9], v[4:5], v[6:7]
	s_delay_alu instid0(VALU_DEP_1) | instskip(NEXT) | instid1(VALU_DEP_1)
	v_dual_sub_f32 v7, v9, v7 :: v_dual_mov_b32 v18, v9
	v_sub_f32_e32 v7, v5, v7
	s_delay_alu instid0(VALU_DEP_3) | instskip(NEXT) | instid1(VALU_DEP_2)
	v_pk_add_f32 v[4:5], v[8:9], v[4:5] neg_lo:[0,1] neg_hi:[0,1]
	v_dual_add_f32 v11, v1, v7 :: v_dual_mov_b32 v7, v8
	s_delay_alu instid0(VALU_DEP_1) | instskip(NEXT) | instid1(VALU_DEP_1)
	v_pk_add_f32 v[12:13], v[8:9], v[10:11]
	v_mov_b32_e32 v5, v13
	s_delay_alu instid0(VALU_DEP_1) | instskip(SKIP_2) | instid1(VALU_DEP_3)
	v_pk_add_f32 v[14:15], v[6:7], v[4:5]
	v_mov_b32_e32 v14, v13
	v_pk_add_f32 v[4:5], v[6:7], v[4:5] neg_lo:[0,1] neg_hi:[0,1]
	v_dual_mov_b32 v10, v15 :: v_dual_mov_b32 v5, v15
	s_delay_alu instid0(VALU_DEP_1) | instskip(SKIP_1) | instid1(VALU_DEP_2)
	v_pk_add_f32 v[16:17], v[10:11], v[8:9] neg_lo:[0,1] neg_hi:[0,1]
	v_dual_mov_b32 v9, v8 :: v_dual_mov_b32 v8, v11
	v_dual_mov_b32 v1, v16 :: v_dual_mov_b32 v19, v16
	s_delay_alu instid0(VALU_DEP_1) | instskip(NEXT) | instid1(VALU_DEP_2)
	v_pk_add_f32 v[12:13], v[12:13], v[0:1] neg_lo:[0,1] neg_hi:[0,1]
	v_pk_add_f32 v[6:7], v[14:15], v[18:19] neg_lo:[0,1] neg_hi:[0,1]
	v_mov_b32_e32 v12, v4
	s_delay_alu instid0(VALU_DEP_2) | instskip(NEXT) | instid1(VALU_DEP_1)
	v_pk_add_f32 v[6:7], v[8:9], v[6:7] neg_lo:[0,1] neg_hi:[0,1]
	v_pk_add_f32 v[8:9], v[12:13], v[6:7]
	s_delay_alu instid0(VALU_DEP_1) | instskip(NEXT) | instid1(VALU_DEP_1)
	v_mov_b32_e32 v12, v9
	v_pk_add_f32 v[12:13], v[8:9], v[12:13]
	s_delay_alu instid0(VALU_DEP_1) | instskip(NEXT) | instid1(VALU_DEP_1)
	v_pk_add_f32 v[10:11], v[10:11], v[12:13]
	v_mov_b32_e32 v9, v10
	s_delay_alu instid0(VALU_DEP_1) | instskip(NEXT) | instid1(VALU_DEP_1)
	v_pk_add_f32 v[14:15], v[8:9], v[4:5] neg_lo:[0,1] neg_hi:[0,1]
	v_sub_f32_e32 v1, v8, v14
	s_delay_alu instid0(VALU_DEP_1) | instskip(SKIP_1) | instid1(VALU_DEP_1)
	v_sub_f32_e32 v1, v4, v1
	v_mov_b32_e32 v7, v12
	v_pk_add_f32 v[6:7], v[6:7], v[14:15] neg_lo:[0,1] neg_hi:[0,1]
	s_delay_alu instid0(VALU_DEP_1) | instskip(NEXT) | instid1(VALU_DEP_1)
	v_add_f32_e32 v1, v6, v1
	v_add_f32_e32 v1, v1, v7
	s_delay_alu instid0(VALU_DEP_1) | instskip(NEXT) | instid1(VALU_DEP_1)
	v_add_f32_e32 v1, v10, v1
	v_cndmask_b32_e32 v1, 0x7f800000, v1, vcc_lo
	v_cmp_gt_f32_e64 vcc_lo, 0x33800000, |v3|
	s_delay_alu instid0(VALU_DEP_2) | instskip(NEXT) | instid1(VALU_DEP_1)
	v_cndmask_b32_e32 v1, v1, v3, vcc_lo
	v_div_scale_f32 v3, null, s14, s14, v1
	s_delay_alu instid0(VALU_DEP_1) | instskip(SKIP_1) | instid1(TRANS32_DEP_1)
	v_rcp_f32_e32 v4, v3
	v_nop
	v_fma_f32 v5, -v3, v4, 1.0
	s_delay_alu instid0(VALU_DEP_1) | instskip(SKIP_1) | instid1(VALU_DEP_1)
	v_fmac_f32_e32 v4, v5, v4
	v_div_scale_f32 v5, vcc_lo, v1, s14, v1
	v_mul_f32_e32 v6, v5, v4
	s_delay_alu instid0(VALU_DEP_1) | instskip(NEXT) | instid1(VALU_DEP_1)
	v_fma_f32 v7, -v3, v6, v5
	v_fmac_f32_e32 v6, v7, v4
	s_delay_alu instid0(VALU_DEP_1) | instskip(NEXT) | instid1(VALU_DEP_1)
	v_fma_f32 v3, -v3, v6, v5
	v_div_fmas_f32 v3, v3, v4, v6
	s_delay_alu instid0(VALU_DEP_1)
	v_div_fixup_f32 v3, v3, s14, v1
.LBB13_123:
	s_or_b32 exec_lo, exec_lo, s16
	v_add_nc_u32_e32 v0, 0x80, v0
	global_store_b32 v2, v3, s[0:1]
	s_wait_xcnt 0x0
	s_or_b32 exec_lo, exec_lo, s5
	s_delay_alu instid0(SALU_CYCLE_1)
	s_mov_b32 s5, exec_lo
	v_cmpx_gt_i32_e64 s36, v0
	s_cbranch_execz .LBB13_112
.LBB13_124:
	s_and_not1_b32 vcc_lo, exec_lo, s33
	s_cbranch_vccnz .LBB13_129
; %bb.125:
	s_and_not1_b32 vcc_lo, exec_lo, s38
	s_cbranch_vccnz .LBB13_130
; %bb.126:
	s_add_co_i32 s37, s37, 1
	s_cmp_eq_u32 s31, 2
	s_cbranch_scc1 .LBB13_131
; %bb.127:
	v_dual_mov_b32 v2, 0 :: v_dual_mov_b32 v3, 0
	v_mov_b32_e32 v1, v0
	s_and_b32 s24, s37, 28
	s_mov_b32 s16, 0
	s_mov_b64 s[26:27], s[12:13]
.LBB13_128:                             ; =>This Inner Loop Header: Depth=1
	s_clause 0x1
	s_load_b256 s[40:47], s[26:27], 0x4
	s_load_b128 s[56:59], s[26:27], 0x24
	s_load_b256 s[48:55], s[22:23], 0x0
	s_add_co_i32 s16, s16, 4
	s_wait_xcnt 0x0
	s_add_nc_u64 s[26:27], s[26:27], 48
	s_cmp_eq_u32 s24, s16
	s_add_nc_u64 s[22:23], s[22:23], 32
	s_wait_kmcnt 0x0
	v_mul_hi_u32 v4, s41, v1
	s_delay_alu instid0(VALU_DEP_1) | instskip(NEXT) | instid1(VALU_DEP_1)
	v_add_nc_u32_e32 v4, v1, v4
	v_lshrrev_b32_e32 v4, s42, v4
	s_delay_alu instid0(VALU_DEP_1) | instskip(NEXT) | instid1(VALU_DEP_1)
	v_mul_hi_u32 v5, s44, v4
	v_add_nc_u32_e32 v5, v4, v5
	s_delay_alu instid0(VALU_DEP_1) | instskip(NEXT) | instid1(VALU_DEP_1)
	v_lshrrev_b32_e32 v5, s45, v5
	v_mul_hi_u32 v6, s47, v5
	s_delay_alu instid0(VALU_DEP_1) | instskip(SKIP_1) | instid1(VALU_DEP_1)
	v_add_nc_u32_e32 v6, v5, v6
	v_mul_lo_u32 v7, v4, s40
	v_sub_nc_u32_e32 v1, v1, v7
	v_mul_lo_u32 v7, v5, s43
	s_delay_alu instid0(VALU_DEP_4) | instskip(NEXT) | instid1(VALU_DEP_3)
	v_lshrrev_b32_e32 v6, s56, v6
	v_mad_u32 v3, v1, s49, v3
	v_mad_u32 v1, v1, s48, v2
	s_delay_alu instid0(VALU_DEP_4) | instskip(NEXT) | instid1(VALU_DEP_4)
	v_sub_nc_u32_e32 v2, v4, v7
	v_mul_hi_u32 v8, s58, v6
	v_mul_lo_u32 v4, v6, s46
	s_delay_alu instid0(VALU_DEP_3) | instskip(SKIP_1) | instid1(VALU_DEP_4)
	v_mad_u32 v3, v2, s51, v3
	v_mad_u32 v2, v2, s50, v1
	v_add_nc_u32_e32 v7, v6, v8
	s_delay_alu instid0(VALU_DEP_1) | instskip(NEXT) | instid1(VALU_DEP_1)
	v_dual_sub_nc_u32 v4, v5, v4 :: v_dual_lshrrev_b32 v1, s59, v7
	v_mad_u32 v3, v4, s53, v3
	s_delay_alu instid0(VALU_DEP_4) | instskip(NEXT) | instid1(VALU_DEP_3)
	v_mad_u32 v2, v4, s52, v2
	v_mul_lo_u32 v5, v1, s57
	s_delay_alu instid0(VALU_DEP_1) | instskip(NEXT) | instid1(VALU_DEP_1)
	v_sub_nc_u32_e32 v4, v6, v5
	v_mad_u32 v3, v4, s55, v3
	s_delay_alu instid0(VALU_DEP_4)
	v_mad_u32 v2, v4, s54, v2
	s_cbranch_scc0 .LBB13_128
	s_branch .LBB13_132
.LBB13_129:
                                        ; implicit-def: $vgpr3
	s_branch .LBB13_136
.LBB13_130:
	v_dual_mov_b32 v3, 0 :: v_dual_mov_b32 v2, 0
	s_branch .LBB13_135
.LBB13_131:
	v_mov_b64_e32 v[2:3], 0
	v_mov_b32_e32 v1, v0
	s_mov_b32 s24, 0
.LBB13_132:
	s_and_b32 s16, s37, 3
	s_mov_b32 s25, 0
	s_cmp_eq_u32 s16, 0
	s_cbranch_scc1 .LBB13_135
; %bb.133:
	s_lshl_b32 s22, s24, 3
	s_mov_b32 s23, s25
	s_mul_u64 s[24:25], s[24:25], 12
	s_add_nc_u64 s[22:23], s[12:13], s[22:23]
	s_add_nc_u64 s[24:25], s[12:13], s[24:25]
	;; [unrolled: 1-line block ×3, first 2 shown]
.LBB13_134:                             ; =>This Inner Loop Header: Depth=1
	s_load_b96 s[36:38], s[24:25], 0x4
	s_load_b64 s[26:27], s[22:23], 0x0
	s_add_co_i32 s16, s16, -1
	s_wait_xcnt 0x0
	s_add_nc_u64 s[24:25], s[24:25], 12
	s_cmp_lg_u32 s16, 0
	s_add_nc_u64 s[22:23], s[22:23], 8
	s_wait_kmcnt 0x0
	v_mul_hi_u32 v4, s37, v1
	s_delay_alu instid0(VALU_DEP_1) | instskip(NEXT) | instid1(VALU_DEP_1)
	v_add_nc_u32_e32 v4, v1, v4
	v_lshrrev_b32_e32 v4, s38, v4
	s_delay_alu instid0(VALU_DEP_1) | instskip(NEXT) | instid1(VALU_DEP_1)
	v_mul_lo_u32 v5, v4, s36
	v_sub_nc_u32_e32 v1, v1, v5
	s_delay_alu instid0(VALU_DEP_1)
	v_mad_u32 v3, v1, s27, v3
	v_mad_u32 v2, v1, s26, v2
	v_mov_b32_e32 v1, v4
	s_cbranch_scc1 .LBB13_134
.LBB13_135:
	s_cbranch_execnz .LBB13_138
.LBB13_136:
	v_mov_b32_e32 v1, 0
	s_and_not1_b32 vcc_lo, exec_lo, s35
	s_delay_alu instid0(VALU_DEP_1) | instskip(NEXT) | instid1(VALU_DEP_1)
	v_mul_u64_e32 v[2:3], s[18:19], v[0:1]
	v_add_nc_u32_e32 v2, v0, v3
	s_delay_alu instid0(VALU_DEP_1) | instskip(NEXT) | instid1(VALU_DEP_1)
	v_lshrrev_b32_e32 v4, s6, v2
	v_mul_lo_u32 v2, v4, s4
	s_delay_alu instid0(VALU_DEP_1) | instskip(NEXT) | instid1(VALU_DEP_1)
	v_sub_nc_u32_e32 v0, v0, v2
	v_mul_lo_u32 v3, v0, s9
	v_mul_lo_u32 v2, v0, s8
	s_cbranch_vccnz .LBB13_138
; %bb.137:
	v_mov_b32_e32 v5, v1
	s_delay_alu instid0(VALU_DEP_1) | instskip(NEXT) | instid1(VALU_DEP_1)
	v_mul_u64_e32 v[0:1], s[20:21], v[4:5]
	v_add_nc_u32_e32 v0, v4, v1
	s_delay_alu instid0(VALU_DEP_1) | instskip(NEXT) | instid1(VALU_DEP_1)
	v_lshrrev_b32_e32 v0, s17, v0
	v_mul_lo_u32 v0, v0, s7
	s_delay_alu instid0(VALU_DEP_1) | instskip(NEXT) | instid1(VALU_DEP_1)
	v_sub_nc_u32_e32 v0, v4, v0
	v_mad_u32 v2, v0, s10, v2
	v_mad_u32 v3, v0, s11, v3
.LBB13_138:
	global_load_b32 v1, v3, s[2:3]
	s_wait_xcnt 0x0
	s_mov_b32 s2, exec_lo
	s_wait_loadcnt 0x0
	v_mul_f32_e32 v0, s14, v1
	s_delay_alu instid0(VALU_DEP_1)
	v_cmpx_nlt_f32_e32 s15, v0
	s_cbranch_execz .LBB13_140
; %bb.139:
	v_mul_f32_e32 v1, 0x3fb8aa3b, v0
	v_cmp_ngt_f32_e32 vcc_lo, 0xc2ce8ed0, v0
	s_mov_b32 s3, 0x3e9b6dac
	s_delay_alu instid0(VALU_DEP_2) | instskip(SKIP_1) | instid1(VALU_DEP_1)
	v_rndne_f32_e32 v3, v1
	v_fma_f32 v4, 0x3fb8aa3b, v0, -v1
	v_dual_sub_f32 v1, v1, v3 :: v_dual_fmamk_f32 v4, v0, 0x32a5705f, v4
	v_cvt_i32_f32_e32 v3, v3
	s_delay_alu instid0(VALU_DEP_2) | instskip(NEXT) | instid1(VALU_DEP_1)
	v_add_f32_e32 v1, v1, v4
	v_exp_f32_e32 v1, v1
	v_nop
	s_delay_alu instid0(TRANS32_DEP_1) | instskip(NEXT) | instid1(VALU_DEP_1)
	v_ldexp_f32 v1, v1, v3
	v_cndmask_b32_e32 v1, 0, v1, vcc_lo
	v_cmp_nlt_f32_e32 vcc_lo, 0x42b17218, v0
	s_delay_alu instid0(VALU_DEP_2) | instskip(NEXT) | instid1(VALU_DEP_1)
	v_cndmask_b32_e32 v18, 0x7f800000, v1, vcc_lo
	v_add_f32_e32 v3, 1.0, v18
	s_delay_alu instid0(VALU_DEP_1) | instskip(NEXT) | instid1(VALU_DEP_1)
	v_cvt_f64_f32_e32 v[0:1], v3
	v_frexp_exp_i32_f64_e32 v0, v[0:1]
	v_frexp_mant_f32_e32 v1, v3
	s_delay_alu instid0(VALU_DEP_1) | instskip(NEXT) | instid1(VALU_DEP_3)
	v_cmp_gt_f32_e32 vcc_lo, 0x3f2aaaab, v1
	v_subrev_co_ci_u32_e64 v8, null, 0, v0, vcc_lo
	s_delay_alu instid0(VALU_DEP_1) | instskip(SKIP_1) | instid1(VALU_DEP_2)
	v_dual_add_f32 v0, -1.0, v3 :: v_dual_sub_nc_u32 v1, 0, v8
	v_cmp_neq_f32_e32 vcc_lo, 0x7f800000, v18
	v_sub_f32_e32 v4, v0, v3
	s_delay_alu instid0(VALU_DEP_3) | instskip(SKIP_1) | instid1(VALU_DEP_2)
	v_ldexp_f32 v3, v3, v1
	v_sub_f32_e32 v0, v18, v0
	v_dual_add_f32 v4, 1.0, v4 :: v_dual_add_f32 v7, -1.0, v3
	s_delay_alu instid0(VALU_DEP_1) | instskip(NEXT) | instid1(VALU_DEP_1)
	v_dual_add_f32 v5, 1.0, v3 :: v_dual_add_f32 v0, v0, v4
	v_add_f32_e32 v4, -1.0, v5
	s_delay_alu instid0(VALU_DEP_2) | instskip(NEXT) | instid1(VALU_DEP_2)
	v_ldexp_f32 v0, v0, v1
	v_dual_sub_f32 v1, v3, v4 :: v_dual_add_f32 v4, 1.0, v7
	s_delay_alu instid0(VALU_DEP_1) | instskip(NEXT) | instid1(VALU_DEP_1)
	v_dual_add_f32 v6, v0, v1 :: v_dual_sub_f32 v1, v3, v4
	v_dual_add_f32 v3, v5, v6 :: v_dual_add_f32 v9, v0, v1
	s_delay_alu instid0(VALU_DEP_1) | instskip(NEXT) | instid1(VALU_DEP_1)
	v_rcp_f32_e32 v10, v3
	v_dual_add_f32 v1, v7, v9 :: v_dual_sub_f32 v0, v5, v3
	s_delay_alu instid0(TRANS32_DEP_1) | instid1(VALU_DEP_1)
	v_dual_sub_f32 v13, v7, v1 :: v_dual_mul_f32 v11, v1, v10
	s_delay_alu instid0(VALU_DEP_1) | instskip(NEXT) | instid1(VALU_DEP_1)
	v_dual_add_f32 v12, v6, v0 :: v_dual_mul_f32 v4, v3, v11
	v_fma_f32 v6, v11, v3, -v4
	s_delay_alu instid0(VALU_DEP_1) | instskip(NEXT) | instid1(VALU_DEP_1)
	v_fmac_f32_e32 v6, v11, v12
	v_add_f32_e32 v0, v4, v6
	s_delay_alu instid0(VALU_DEP_1) | instskip(NEXT) | instid1(VALU_DEP_1)
	v_dual_sub_f32 v5, v1, v0 :: v_dual_mov_b32 v7, v0
	v_pk_add_f32 v[0:1], v[0:1], v[4:5] neg_lo:[0,1] neg_hi:[0,1]
	v_add_f32_e32 v4, v9, v13
	s_delay_alu instid0(VALU_DEP_2) | instskip(NEXT) | instid1(VALU_DEP_1)
	v_pk_add_f32 v[0:1], v[0:1], v[6:7] neg_lo:[0,1] neg_hi:[0,1]
	v_add_f32_e32 v1, v4, v1
	s_delay_alu instid0(VALU_DEP_1) | instskip(NEXT) | instid1(VALU_DEP_1)
	v_add_f32_e32 v9, v0, v1
	v_add_f32_e32 v1, v5, v9
	s_delay_alu instid0(VALU_DEP_1) | instskip(NEXT) | instid1(VALU_DEP_1)
	v_mul_f32_e32 v13, v10, v1
	v_mul_f32_e32 v6, v3, v13
	s_delay_alu instid0(VALU_DEP_1) | instskip(NEXT) | instid1(VALU_DEP_1)
	v_fma_f32 v4, v13, v3, -v6
	v_fmac_f32_e32 v4, v13, v12
	s_delay_alu instid0(VALU_DEP_1) | instskip(NEXT) | instid1(VALU_DEP_1)
	v_dual_add_f32 v0, v6, v4 :: v_dual_sub_f32 v3, v5, v1
	v_dual_sub_f32 v7, v1, v0 :: v_dual_mov_b32 v5, v0
	s_delay_alu instid0(VALU_DEP_2) | instskip(NEXT) | instid1(VALU_DEP_2)
	v_add_f32_e32 v3, v9, v3
	v_pk_add_f32 v[0:1], v[0:1], v[6:7] neg_lo:[0,1] neg_hi:[0,1]
	s_delay_alu instid0(VALU_DEP_1) | instskip(SKIP_1) | instid1(VALU_DEP_2)
	v_pk_add_f32 v[0:1], v[0:1], v[4:5] neg_lo:[0,1] neg_hi:[0,1]
	v_cvt_f32_i32_e32 v4, v8
	v_add_f32_e32 v1, v3, v1
	s_delay_alu instid0(VALU_DEP_1) | instskip(NEXT) | instid1(VALU_DEP_1)
	v_add_f32_e32 v0, v0, v1
	v_add_f32_e32 v0, v7, v0
	s_delay_alu instid0(VALU_DEP_1) | instskip(NEXT) | instid1(VALU_DEP_1)
	v_dual_mul_f32 v0, v10, v0 :: v_dual_add_f32 v3, v11, v13
	v_sub_f32_e32 v1, v3, v11
	s_delay_alu instid0(VALU_DEP_1) | instskip(NEXT) | instid1(VALU_DEP_1)
	v_sub_f32_e32 v1, v13, v1
	v_dual_add_f32 v9, v1, v0 :: v_dual_mov_b32 v0, 0x3f317218
	s_delay_alu instid0(VALU_DEP_1) | instskip(NEXT) | instid1(VALU_DEP_1)
	v_add_f32_e32 v6, v3, v9
	v_dual_mul_f32 v1, v6, v6 :: v_dual_sub_f32 v3, v6, v3
	s_delay_alu instid0(VALU_DEP_1) | instskip(SKIP_1) | instid1(VALU_DEP_1)
	v_mul_f32_e32 v5, v6, v1
	v_fmaak_f32 v7, s3, v1, 0x3ecc95a3
	v_fmaak_f32 v1, v1, v7, 0x3f2aaada
	s_delay_alu instid0(VALU_DEP_1) | instskip(SKIP_1) | instid1(VALU_DEP_2)
	v_pk_mul_f32 v[0:1], v[4:5], v[0:1]
	v_ldexp_f32 v5, v6, 1
	v_fma_f32 v7, 0x3f317218, v4, -v0
	v_mov_b32_e32 v8, v0
	s_delay_alu instid0(VALU_DEP_2) | instskip(NEXT) | instid1(VALU_DEP_1)
	v_fmamk_f32 v4, v4, 0xb102e308, v7
	v_pk_add_f32 v[6:7], v[0:1], v[4:5]
	s_delay_alu instid0(VALU_DEP_1) | instskip(NEXT) | instid1(VALU_DEP_1)
	v_dual_sub_f32 v3, v9, v3 :: v_dual_sub_f32 v5, v7, v5
	v_ldexp_f32 v3, v3, 1
	s_delay_alu instid0(VALU_DEP_2) | instskip(NEXT) | instid1(VALU_DEP_4)
	v_dual_mov_b32 v16, v7 :: v_dual_sub_f32 v5, v1, v5
	v_pk_add_f32 v[0:1], v[6:7], v[0:1] neg_lo:[0,1] neg_hi:[0,1]
	s_delay_alu instid0(VALU_DEP_2) | instskip(NEXT) | instid1(VALU_DEP_1)
	v_dual_add_f32 v9, v3, v5 :: v_dual_mov_b32 v5, v6
	v_pk_add_f32 v[10:11], v[6:7], v[8:9]
	s_delay_alu instid0(VALU_DEP_1) | instskip(NEXT) | instid1(VALU_DEP_1)
	v_mov_b32_e32 v1, v11
	v_pk_add_f32 v[12:13], v[4:5], v[0:1]
	v_mov_b32_e32 v12, v11
	v_pk_add_f32 v[0:1], v[4:5], v[0:1] neg_lo:[0,1] neg_hi:[0,1]
	s_delay_alu instid0(VALU_DEP_3) | instskip(NEXT) | instid1(VALU_DEP_1)
	v_dual_mov_b32 v8, v13 :: v_dual_mov_b32 v1, v13
	v_pk_add_f32 v[14:15], v[8:9], v[6:7] neg_lo:[0,1] neg_hi:[0,1]
	v_dual_mov_b32 v7, v6 :: v_dual_mov_b32 v6, v9
	s_delay_alu instid0(VALU_DEP_2) | instskip(NEXT) | instid1(VALU_DEP_1)
	v_dual_mov_b32 v3, v14 :: v_dual_mov_b32 v17, v14
	v_pk_add_f32 v[10:11], v[10:11], v[2:3] neg_lo:[0,1] neg_hi:[0,1]
	s_delay_alu instid0(VALU_DEP_2) | instskip(SKIP_1) | instid1(VALU_DEP_2)
	v_pk_add_f32 v[4:5], v[12:13], v[16:17] neg_lo:[0,1] neg_hi:[0,1]
	v_mov_b32_e32 v10, v0
	v_pk_add_f32 v[4:5], v[6:7], v[4:5] neg_lo:[0,1] neg_hi:[0,1]
	s_delay_alu instid0(VALU_DEP_1) | instskip(NEXT) | instid1(VALU_DEP_1)
	v_pk_add_f32 v[6:7], v[10:11], v[4:5]
	v_mov_b32_e32 v10, v7
	s_delay_alu instid0(VALU_DEP_1) | instskip(NEXT) | instid1(VALU_DEP_1)
	v_pk_add_f32 v[10:11], v[6:7], v[10:11]
	v_pk_add_f32 v[8:9], v[8:9], v[10:11]
	s_delay_alu instid0(VALU_DEP_1) | instskip(NEXT) | instid1(VALU_DEP_1)
	v_mov_b32_e32 v7, v8
	v_pk_add_f32 v[12:13], v[6:7], v[0:1] neg_lo:[0,1] neg_hi:[0,1]
	s_delay_alu instid0(VALU_DEP_1) | instskip(NEXT) | instid1(VALU_DEP_1)
	v_sub_f32_e32 v1, v6, v12
	v_dual_mov_b32 v5, v10 :: v_dual_sub_f32 v0, v0, v1
	s_delay_alu instid0(VALU_DEP_1) | instskip(NEXT) | instid1(VALU_DEP_1)
	v_pk_add_f32 v[4:5], v[4:5], v[12:13] neg_lo:[0,1] neg_hi:[0,1]
	v_add_f32_e32 v0, v4, v0
	s_delay_alu instid0(VALU_DEP_1) | instskip(NEXT) | instid1(VALU_DEP_1)
	v_add_f32_e32 v0, v0, v5
	v_add_f32_e32 v0, v8, v0
	s_delay_alu instid0(VALU_DEP_1) | instskip(SKIP_1) | instid1(VALU_DEP_2)
	v_cndmask_b32_e32 v0, 0x7f800000, v0, vcc_lo
	v_cmp_gt_f32_e64 vcc_lo, 0x33800000, |v18|
	v_cndmask_b32_e32 v0, v0, v18, vcc_lo
	s_delay_alu instid0(VALU_DEP_1) | instskip(NEXT) | instid1(VALU_DEP_1)
	v_div_scale_f32 v1, null, s14, s14, v0
	v_rcp_f32_e32 v3, v1
	v_nop
	s_delay_alu instid0(TRANS32_DEP_1) | instskip(NEXT) | instid1(VALU_DEP_1)
	v_fma_f32 v4, -v1, v3, 1.0
	v_fmac_f32_e32 v3, v4, v3
	v_div_scale_f32 v4, vcc_lo, v0, s14, v0
	s_delay_alu instid0(VALU_DEP_1) | instskip(NEXT) | instid1(VALU_DEP_1)
	v_mul_f32_e32 v5, v4, v3
	v_fma_f32 v6, -v1, v5, v4
	s_delay_alu instid0(VALU_DEP_1) | instskip(NEXT) | instid1(VALU_DEP_1)
	v_fmac_f32_e32 v5, v6, v3
	v_fma_f32 v1, -v1, v5, v4
	s_delay_alu instid0(VALU_DEP_1) | instskip(NEXT) | instid1(VALU_DEP_1)
	v_div_fmas_f32 v1, v1, v3, v5
	v_div_fixup_f32 v1, v1, s14, v0
.LBB13_140:
	s_or_b32 exec_lo, exec_lo, s2
	global_store_b32 v2, v1, s[0:1]
	s_wait_xcnt 0x0
	s_or_b32 exec_lo, exec_lo, s5
                                        ; implicit-def: $vgpr8
                                        ; implicit-def: $vgpr0
	s_and_not1_saveexec_b32 s0, s34
	s_cbranch_execz .LBB13_113
	s_branch .LBB13_8
	.section	.rodata,"a",@progbits
	.p2align	6, 0x0
	.amdhsa_kernel _ZN2at6native32elementwise_kernel_manual_unrollILi128ELi4EZNS0_22gpu_kernel_impl_nocastIZZZNS0_12_GLOBAL__N_115softplus_kernelERNS_18TensorIteratorBaseERKN3c106ScalarES9_ENKUlvE_clEvENKUlvE0_clEvEUlfE_EEvS5_RKT_EUlibE_EEviT1_
		.amdhsa_group_segment_fixed_size 0
		.amdhsa_private_segment_fixed_size 0
		.amdhsa_kernarg_size 360
		.amdhsa_user_sgpr_count 2
		.amdhsa_user_sgpr_dispatch_ptr 0
		.amdhsa_user_sgpr_queue_ptr 0
		.amdhsa_user_sgpr_kernarg_segment_ptr 1
		.amdhsa_user_sgpr_dispatch_id 0
		.amdhsa_user_sgpr_kernarg_preload_length 0
		.amdhsa_user_sgpr_kernarg_preload_offset 0
		.amdhsa_user_sgpr_private_segment_size 0
		.amdhsa_wavefront_size32 1
		.amdhsa_uses_dynamic_stack 0
		.amdhsa_enable_private_segment 0
		.amdhsa_system_sgpr_workgroup_id_x 1
		.amdhsa_system_sgpr_workgroup_id_y 0
		.amdhsa_system_sgpr_workgroup_id_z 0
		.amdhsa_system_sgpr_workgroup_info 0
		.amdhsa_system_vgpr_workitem_id 0
		.amdhsa_next_free_vgpr 25
		.amdhsa_next_free_sgpr 60
		.amdhsa_named_barrier_count 0
		.amdhsa_reserve_vcc 1
		.amdhsa_float_round_mode_32 0
		.amdhsa_float_round_mode_16_64 0
		.amdhsa_float_denorm_mode_32 3
		.amdhsa_float_denorm_mode_16_64 3
		.amdhsa_fp16_overflow 0
		.amdhsa_memory_ordered 1
		.amdhsa_forward_progress 1
		.amdhsa_inst_pref_size 114
		.amdhsa_round_robin_scheduling 0
		.amdhsa_exception_fp_ieee_invalid_op 0
		.amdhsa_exception_fp_denorm_src 0
		.amdhsa_exception_fp_ieee_div_zero 0
		.amdhsa_exception_fp_ieee_overflow 0
		.amdhsa_exception_fp_ieee_underflow 0
		.amdhsa_exception_fp_ieee_inexact 0
		.amdhsa_exception_int_div_zero 0
	.end_amdhsa_kernel
	.section	.text._ZN2at6native32elementwise_kernel_manual_unrollILi128ELi4EZNS0_22gpu_kernel_impl_nocastIZZZNS0_12_GLOBAL__N_115softplus_kernelERNS_18TensorIteratorBaseERKN3c106ScalarES9_ENKUlvE_clEvENKUlvE0_clEvEUlfE_EEvS5_RKT_EUlibE_EEviT1_,"axG",@progbits,_ZN2at6native32elementwise_kernel_manual_unrollILi128ELi4EZNS0_22gpu_kernel_impl_nocastIZZZNS0_12_GLOBAL__N_115softplus_kernelERNS_18TensorIteratorBaseERKN3c106ScalarES9_ENKUlvE_clEvENKUlvE0_clEvEUlfE_EEvS5_RKT_EUlibE_EEviT1_,comdat
.Lfunc_end13:
	.size	_ZN2at6native32elementwise_kernel_manual_unrollILi128ELi4EZNS0_22gpu_kernel_impl_nocastIZZZNS0_12_GLOBAL__N_115softplus_kernelERNS_18TensorIteratorBaseERKN3c106ScalarES9_ENKUlvE_clEvENKUlvE0_clEvEUlfE_EEvS5_RKT_EUlibE_EEviT1_, .Lfunc_end13-_ZN2at6native32elementwise_kernel_manual_unrollILi128ELi4EZNS0_22gpu_kernel_impl_nocastIZZZNS0_12_GLOBAL__N_115softplus_kernelERNS_18TensorIteratorBaseERKN3c106ScalarES9_ENKUlvE_clEvENKUlvE0_clEvEUlfE_EEvS5_RKT_EUlibE_EEviT1_
                                        ; -- End function
	.set _ZN2at6native32elementwise_kernel_manual_unrollILi128ELi4EZNS0_22gpu_kernel_impl_nocastIZZZNS0_12_GLOBAL__N_115softplus_kernelERNS_18TensorIteratorBaseERKN3c106ScalarES9_ENKUlvE_clEvENKUlvE0_clEvEUlfE_EEvS5_RKT_EUlibE_EEviT1_.num_vgpr, 25
	.set _ZN2at6native32elementwise_kernel_manual_unrollILi128ELi4EZNS0_22gpu_kernel_impl_nocastIZZZNS0_12_GLOBAL__N_115softplus_kernelERNS_18TensorIteratorBaseERKN3c106ScalarES9_ENKUlvE_clEvENKUlvE0_clEvEUlfE_EEvS5_RKT_EUlibE_EEviT1_.num_agpr, 0
	.set _ZN2at6native32elementwise_kernel_manual_unrollILi128ELi4EZNS0_22gpu_kernel_impl_nocastIZZZNS0_12_GLOBAL__N_115softplus_kernelERNS_18TensorIteratorBaseERKN3c106ScalarES9_ENKUlvE_clEvENKUlvE0_clEvEUlfE_EEvS5_RKT_EUlibE_EEviT1_.numbered_sgpr, 60
	.set _ZN2at6native32elementwise_kernel_manual_unrollILi128ELi4EZNS0_22gpu_kernel_impl_nocastIZZZNS0_12_GLOBAL__N_115softplus_kernelERNS_18TensorIteratorBaseERKN3c106ScalarES9_ENKUlvE_clEvENKUlvE0_clEvEUlfE_EEvS5_RKT_EUlibE_EEviT1_.num_named_barrier, 0
	.set _ZN2at6native32elementwise_kernel_manual_unrollILi128ELi4EZNS0_22gpu_kernel_impl_nocastIZZZNS0_12_GLOBAL__N_115softplus_kernelERNS_18TensorIteratorBaseERKN3c106ScalarES9_ENKUlvE_clEvENKUlvE0_clEvEUlfE_EEvS5_RKT_EUlibE_EEviT1_.private_seg_size, 0
	.set _ZN2at6native32elementwise_kernel_manual_unrollILi128ELi4EZNS0_22gpu_kernel_impl_nocastIZZZNS0_12_GLOBAL__N_115softplus_kernelERNS_18TensorIteratorBaseERKN3c106ScalarES9_ENKUlvE_clEvENKUlvE0_clEvEUlfE_EEvS5_RKT_EUlibE_EEviT1_.uses_vcc, 1
	.set _ZN2at6native32elementwise_kernel_manual_unrollILi128ELi4EZNS0_22gpu_kernel_impl_nocastIZZZNS0_12_GLOBAL__N_115softplus_kernelERNS_18TensorIteratorBaseERKN3c106ScalarES9_ENKUlvE_clEvENKUlvE0_clEvEUlfE_EEvS5_RKT_EUlibE_EEviT1_.uses_flat_scratch, 0
	.set _ZN2at6native32elementwise_kernel_manual_unrollILi128ELi4EZNS0_22gpu_kernel_impl_nocastIZZZNS0_12_GLOBAL__N_115softplus_kernelERNS_18TensorIteratorBaseERKN3c106ScalarES9_ENKUlvE_clEvENKUlvE0_clEvEUlfE_EEvS5_RKT_EUlibE_EEviT1_.has_dyn_sized_stack, 0
	.set _ZN2at6native32elementwise_kernel_manual_unrollILi128ELi4EZNS0_22gpu_kernel_impl_nocastIZZZNS0_12_GLOBAL__N_115softplus_kernelERNS_18TensorIteratorBaseERKN3c106ScalarES9_ENKUlvE_clEvENKUlvE0_clEvEUlfE_EEvS5_RKT_EUlibE_EEviT1_.has_recursion, 0
	.set _ZN2at6native32elementwise_kernel_manual_unrollILi128ELi4EZNS0_22gpu_kernel_impl_nocastIZZZNS0_12_GLOBAL__N_115softplus_kernelERNS_18TensorIteratorBaseERKN3c106ScalarES9_ENKUlvE_clEvENKUlvE0_clEvEUlfE_EEvS5_RKT_EUlibE_EEviT1_.has_indirect_call, 0
	.section	.AMDGPU.csdata,"",@progbits
; Kernel info:
; codeLenInByte = 14504
; TotalNumSgprs: 62
; NumVgprs: 25
; ScratchSize: 0
; MemoryBound: 0
; FloatMode: 240
; IeeeMode: 1
; LDSByteSize: 0 bytes/workgroup (compile time only)
; SGPRBlocks: 0
; VGPRBlocks: 1
; NumSGPRsForWavesPerEU: 62
; NumVGPRsForWavesPerEU: 25
; NamedBarCnt: 0
; Occupancy: 16
; WaveLimiterHint : 1
; COMPUTE_PGM_RSRC2:SCRATCH_EN: 0
; COMPUTE_PGM_RSRC2:USER_SGPR: 2
; COMPUTE_PGM_RSRC2:TRAP_HANDLER: 0
; COMPUTE_PGM_RSRC2:TGID_X_EN: 1
; COMPUTE_PGM_RSRC2:TGID_Y_EN: 0
; COMPUTE_PGM_RSRC2:TGID_Z_EN: 0
; COMPUTE_PGM_RSRC2:TIDIG_COMP_CNT: 0
	.section	.text._ZN2at6native32elementwise_kernel_manual_unrollILi128ELi4EZNS0_15gpu_kernel_implIZZZNS0_12_GLOBAL__N_115softplus_kernelERNS_18TensorIteratorBaseERKN3c106ScalarES9_ENKUlvE_clEvENKUlvE0_clEvEUlfE_EEvS5_RKT_EUlibE_EEviT1_,"axG",@progbits,_ZN2at6native32elementwise_kernel_manual_unrollILi128ELi4EZNS0_15gpu_kernel_implIZZZNS0_12_GLOBAL__N_115softplus_kernelERNS_18TensorIteratorBaseERKN3c106ScalarES9_ENKUlvE_clEvENKUlvE0_clEvEUlfE_EEvS5_RKT_EUlibE_EEviT1_,comdat
	.globl	_ZN2at6native32elementwise_kernel_manual_unrollILi128ELi4EZNS0_15gpu_kernel_implIZZZNS0_12_GLOBAL__N_115softplus_kernelERNS_18TensorIteratorBaseERKN3c106ScalarES9_ENKUlvE_clEvENKUlvE0_clEvEUlfE_EEvS5_RKT_EUlibE_EEviT1_ ; -- Begin function _ZN2at6native32elementwise_kernel_manual_unrollILi128ELi4EZNS0_15gpu_kernel_implIZZZNS0_12_GLOBAL__N_115softplus_kernelERNS_18TensorIteratorBaseERKN3c106ScalarES9_ENKUlvE_clEvENKUlvE0_clEvEUlfE_EEvS5_RKT_EUlibE_EEviT1_
	.p2align	8
	.type	_ZN2at6native32elementwise_kernel_manual_unrollILi128ELi4EZNS0_15gpu_kernel_implIZZZNS0_12_GLOBAL__N_115softplus_kernelERNS_18TensorIteratorBaseERKN3c106ScalarES9_ENKUlvE_clEvENKUlvE0_clEvEUlfE_EEvS5_RKT_EUlibE_EEviT1_,@function
_ZN2at6native32elementwise_kernel_manual_unrollILi128ELi4EZNS0_15gpu_kernel_implIZZZNS0_12_GLOBAL__N_115softplus_kernelERNS_18TensorIteratorBaseERKN3c106ScalarES9_ENKUlvE_clEvENKUlvE0_clEvEUlfE_EEvS5_RKT_EUlibE_EEviT1_: ; @_ZN2at6native32elementwise_kernel_manual_unrollILi128ELi4EZNS0_15gpu_kernel_implIZZZNS0_12_GLOBAL__N_115softplus_kernelERNS_18TensorIteratorBaseERKN3c106ScalarES9_ENKUlvE_clEvENKUlvE0_clEvEUlfE_EEvS5_RKT_EUlibE_EEviT1_
; %bb.0:
	s_load_b32 s2, s[0:1], 0x28
	s_bfe_u32 s3, ttmp6, 0x4000c
	s_clause 0x1
	s_load_b32 s14, s[0:1], 0x0
	s_load_b256 s[4:11], s[0:1], 0x8
	s_add_co_i32 s3, s3, 1
	s_and_b32 s12, ttmp6, 15
	s_wait_xcnt 0x0
	s_mul_i32 s0, ttmp9, s3
	s_getreg_b32 s13, hwreg(HW_REG_IB_STS2, 6, 4)
	s_add_co_i32 s12, s12, s0
	s_mov_b32 s1, 0
	s_wait_kmcnt 0x0
	s_bfe_u32 s3, s2, 0x80008
	s_cmp_eq_u32 s13, 0
	s_mov_b32 s13, 0
	s_cselect_b32 s0, ttmp9, s12
	s_delay_alu instid0(SALU_CYCLE_1) | instskip(SKIP_1) | instid1(VALU_DEP_1)
	v_lshl_or_b32 v10, s0, 9, v0
	s_mov_b32 s0, exec_lo
	v_or_b32_e32 v0, 0x180, v10
	s_delay_alu instid0(VALU_DEP_1)
	v_cmpx_le_i32_e64 s14, v0
	s_xor_b32 s12, exec_lo, s0
	s_cbranch_execz .LBB14_1039
; %bb.1:
	s_mov_b32 s19, -1
	s_mov_b32 s17, 0
	s_mov_b32 s15, 0
	s_mov_b32 s16, exec_lo
	v_cmpx_gt_i32_e64 s14, v10
	s_cbranch_execz .LBB14_254
; %bb.2:
	v_mul_lo_u32 v0, v10, s9
	s_and_b32 s0, 0xffff, s3
	s_delay_alu instid0(SALU_CYCLE_1) | instskip(NEXT) | instid1(VALU_DEP_1)
	s_cmp_lt_i32 s0, 11
	v_ashrrev_i32_e32 v1, 31, v0
	s_delay_alu instid0(VALU_DEP_1)
	v_add_nc_u64_e32 v[2:3], s[6:7], v[0:1]
	s_cbranch_scc1 .LBB14_9
; %bb.3:
	s_cmp_gt_i32 s0, 25
	s_cbranch_scc0 .LBB14_20
; %bb.4:
	s_cmp_gt_i32 s0, 28
	s_cbranch_scc0 .LBB14_23
	;; [unrolled: 3-line block ×4, first 2 shown]
; %bb.7:
	s_cmp_eq_u32 s0, 46
	s_mov_b32 s18, 0
	s_cbranch_scc0 .LBB14_29
; %bb.8:
	global_load_b32 v0, v[2:3], off
	s_mov_b32 s13, -1
	s_wait_loadcnt 0x0
	v_lshlrev_b32_e32 v0, 16, v0
	s_branch .LBB14_31
.LBB14_9:
                                        ; implicit-def: $vgpr0
	s_cbranch_execnz .LBB14_204
.LBB14_10:
	s_and_not1_b32 vcc_lo, exec_lo, s13
	s_cbranch_vccnz .LBB14_251
.LBB14_11:
	s_wait_loadcnt 0x0
	s_delay_alu instid0(VALU_DEP_1) | instskip(SKIP_1) | instid1(VALU_DEP_1)
	v_mul_f32_e32 v1, s10, v0
	s_mov_b32 s0, exec_lo
	v_cmpx_nlt_f32_e32 s11, v1
	s_cbranch_execz .LBB14_13
; %bb.12:
	v_mul_f32_e32 v0, 0x3fb8aa3b, v1
	v_cmp_ngt_f32_e32 vcc_lo, 0xc2ce8ed0, v1
	s_mov_b32 s13, 0x3e9b6dac
	s_delay_alu instid0(VALU_DEP_2) | instskip(SKIP_1) | instid1(VALU_DEP_1)
	v_rndne_f32_e32 v2, v0
	v_fma_f32 v3, 0x3fb8aa3b, v1, -v0
	v_dual_sub_f32 v0, v0, v2 :: v_dual_fmamk_f32 v3, v1, 0x32a5705f, v3
	v_cvt_i32_f32_e32 v2, v2
	s_delay_alu instid0(VALU_DEP_2) | instskip(NEXT) | instid1(VALU_DEP_1)
	v_add_f32_e32 v0, v0, v3
	v_exp_f32_e32 v0, v0
	v_nop
	s_delay_alu instid0(TRANS32_DEP_1) | instskip(NEXT) | instid1(VALU_DEP_1)
	v_ldexp_f32 v0, v0, v2
	v_cndmask_b32_e32 v0, 0, v0, vcc_lo
	v_cmp_nlt_f32_e32 vcc_lo, 0x42b17218, v1
	s_delay_alu instid0(VALU_DEP_2) | instskip(NEXT) | instid1(VALU_DEP_1)
	v_cndmask_b32_e32 v11, 0x7f800000, v0, vcc_lo
	v_add_f32_e32 v2, 1.0, v11
	s_delay_alu instid0(VALU_DEP_1) | instskip(NEXT) | instid1(VALU_DEP_1)
	v_cvt_f64_f32_e32 v[0:1], v2
	v_frexp_exp_i32_f64_e32 v0, v[0:1]
	v_frexp_mant_f32_e32 v1, v2
	s_delay_alu instid0(VALU_DEP_1) | instskip(NEXT) | instid1(VALU_DEP_3)
	v_cmp_gt_f32_e32 vcc_lo, 0x3f2aaaab, v1
	v_subrev_co_ci_u32_e64 v6, null, 0, v0, vcc_lo
	v_add_f32_e32 v0, -1.0, v2
	v_cmp_neq_f32_e32 vcc_lo, 0x7f800000, v11
	s_delay_alu instid0(VALU_DEP_3) | instskip(NEXT) | instid1(VALU_DEP_3)
	v_sub_nc_u32_e32 v1, 0, v6
	v_dual_sub_f32 v3, v0, v2 :: v_dual_sub_f32 v0, v11, v0
	s_delay_alu instid0(VALU_DEP_2) | instskip(NEXT) | instid1(VALU_DEP_1)
	v_ldexp_f32 v2, v2, v1
	v_dual_add_f32 v3, 1.0, v3 :: v_dual_add_f32 v4, 1.0, v2
	s_delay_alu instid0(VALU_DEP_1) | instskip(NEXT) | instid1(VALU_DEP_2)
	v_dual_add_f32 v5, -1.0, v2 :: v_dual_add_f32 v0, v0, v3
	v_add_f32_e32 v3, -1.0, v4
	s_delay_alu instid0(VALU_DEP_2) | instskip(NEXT) | instid1(VALU_DEP_2)
	v_ldexp_f32 v0, v0, v1
	v_dual_sub_f32 v1, v2, v3 :: v_dual_add_f32 v3, 1.0, v5
	s_delay_alu instid0(VALU_DEP_1) | instskip(NEXT) | instid1(VALU_DEP_1)
	v_dual_add_f32 v7, v0, v1 :: v_dual_sub_f32 v1, v2, v3
	v_add_f32_e32 v9, v0, v1
	s_delay_alu instid0(VALU_DEP_1) | instskip(NEXT) | instid1(VALU_DEP_1)
	v_dual_add_f32 v8, v4, v7 :: v_dual_add_f32 v1, v5, v9
	v_rcp_f32_e32 v12, v8
	s_delay_alu instid0(VALU_DEP_1) | instskip(NEXT) | instid1(TRANS32_DEP_1)
	v_sub_f32_e32 v14, v5, v1
	v_mul_f32_e32 v13, v1, v12
	s_delay_alu instid0(VALU_DEP_1) | instskip(NEXT) | instid1(VALU_DEP_1)
	v_mul_f32_e32 v2, v8, v13
	v_dual_sub_f32 v0, v4, v8 :: v_dual_fma_f32 v4, v13, v8, -v2
	s_delay_alu instid0(VALU_DEP_1) | instskip(NEXT) | instid1(VALU_DEP_1)
	v_add_f32_e32 v7, v7, v0
	v_fmac_f32_e32 v4, v13, v7
	s_delay_alu instid0(VALU_DEP_1) | instskip(NEXT) | instid1(VALU_DEP_1)
	v_add_f32_e32 v0, v2, v4
	v_dual_sub_f32 v3, v1, v0 :: v_dual_mov_b32 v5, v0
	s_delay_alu instid0(VALU_DEP_1) | instskip(NEXT) | instid1(VALU_DEP_1)
	v_pk_add_f32 v[0:1], v[0:1], v[2:3] neg_lo:[0,1] neg_hi:[0,1]
	v_pk_add_f32 v[0:1], v[0:1], v[4:5] neg_lo:[0,1] neg_hi:[0,1]
	v_add_f32_e32 v2, v9, v14
	s_delay_alu instid0(VALU_DEP_1) | instskip(NEXT) | instid1(VALU_DEP_1)
	v_add_f32_e32 v1, v2, v1
	v_add_f32_e32 v9, v0, v1
	s_delay_alu instid0(VALU_DEP_1) | instskip(NEXT) | instid1(VALU_DEP_1)
	v_add_f32_e32 v1, v3, v9
	v_mul_f32_e32 v14, v12, v1
	s_delay_alu instid0(VALU_DEP_1) | instskip(NEXT) | instid1(VALU_DEP_1)
	v_mul_f32_e32 v4, v8, v14
	v_fma_f32 v2, v14, v8, -v4
	s_delay_alu instid0(VALU_DEP_1) | instskip(NEXT) | instid1(VALU_DEP_1)
	v_dual_fmac_f32 v2, v14, v7 :: v_dual_sub_f32 v7, v3, v1
	v_add_f32_e32 v0, v4, v2
	s_delay_alu instid0(VALU_DEP_1) | instskip(NEXT) | instid1(VALU_DEP_1)
	v_dual_sub_f32 v5, v1, v0 :: v_dual_mov_b32 v3, v0
	v_pk_add_f32 v[0:1], v[0:1], v[4:5] neg_lo:[0,1] neg_hi:[0,1]
	s_delay_alu instid0(VALU_DEP_4) | instskip(NEXT) | instid1(VALU_DEP_2)
	v_add_f32_e32 v4, v9, v7
	v_pk_add_f32 v[0:1], v[0:1], v[2:3] neg_lo:[0,1] neg_hi:[0,1]
	v_cvt_f32_i32_e32 v2, v6
	s_delay_alu instid0(VALU_DEP_2) | instskip(NEXT) | instid1(VALU_DEP_1)
	v_dual_add_f32 v1, v4, v1 :: v_dual_add_f32 v4, v13, v14
	v_add_f32_e32 v0, v0, v1
	s_delay_alu instid0(VALU_DEP_2) | instskip(NEXT) | instid1(VALU_DEP_1)
	v_sub_f32_e32 v1, v4, v13
	v_dual_sub_f32 v1, v14, v1 :: v_dual_add_f32 v0, v5, v0
	s_delay_alu instid0(VALU_DEP_1) | instskip(NEXT) | instid1(VALU_DEP_1)
	v_mul_f32_e32 v0, v12, v0
	v_dual_add_f32 v7, v1, v0 :: v_dual_mov_b32 v0, 0x3f317218
	s_delay_alu instid0(VALU_DEP_1) | instskip(NEXT) | instid1(VALU_DEP_1)
	v_add_f32_e32 v5, v4, v7
	v_mul_f32_e32 v1, v5, v5
	s_delay_alu instid0(VALU_DEP_1) | instskip(NEXT) | instid1(VALU_DEP_1)
	v_dual_fmaak_f32 v8, s13, v1, 0x3ecc95a3 :: v_dual_mul_f32 v3, v5, v1
	v_fmaak_f32 v1, v1, v8, 0x3f2aaada
	s_delay_alu instid0(VALU_DEP_1) | instskip(SKIP_1) | instid1(VALU_DEP_2)
	v_pk_mul_f32 v[0:1], v[2:3], v[0:1]
	v_ldexp_f32 v3, v5, 1
	v_fma_f32 v6, 0x3f317218, v2, -v0
	s_delay_alu instid0(VALU_DEP_1) | instskip(SKIP_1) | instid1(VALU_DEP_2)
	v_fmamk_f32 v2, v2, 0xb102e308, v6
	v_sub_f32_e32 v6, v5, v4
	v_pk_add_f32 v[4:5], v[0:1], v[2:3]
	s_delay_alu instid0(VALU_DEP_1) | instskip(NEXT) | instid1(VALU_DEP_1)
	v_dual_sub_f32 v3, v5, v3 :: v_dual_sub_f32 v6, v7, v6
	v_sub_f32_e32 v3, v1, v3
	s_delay_alu instid0(VALU_DEP_2) | instskip(SKIP_2) | instid1(VALU_DEP_3)
	v_ldexp_f32 v7, v6, 1
	v_mov_b32_e32 v6, v0
	v_pk_add_f32 v[0:1], v[4:5], v[0:1] neg_lo:[0,1] neg_hi:[0,1]
	v_dual_add_f32 v7, v7, v3 :: v_dual_mov_b32 v3, v4
	s_delay_alu instid0(VALU_DEP_1) | instskip(NEXT) | instid1(VALU_DEP_1)
	v_pk_add_f32 v[8:9], v[4:5], v[6:7]
	v_dual_mov_b32 v16, v5 :: v_dual_mov_b32 v1, v9
	s_delay_alu instid0(VALU_DEP_1) | instskip(NEXT) | instid1(VALU_DEP_1)
	v_pk_add_f32 v[12:13], v[2:3], v[0:1]
	v_dual_mov_b32 v12, v9 :: v_dual_mov_b32 v6, v13
	v_pk_add_f32 v[0:1], v[2:3], v[0:1] neg_lo:[0,1] neg_hi:[0,1]
	v_mov_b32_e32 v1, v13
	s_delay_alu instid0(VALU_DEP_3) | instskip(SKIP_1) | instid1(VALU_DEP_2)
	v_pk_add_f32 v[14:15], v[6:7], v[4:5] neg_lo:[0,1] neg_hi:[0,1]
	v_dual_mov_b32 v5, v4 :: v_dual_mov_b32 v4, v7
	v_dual_mov_b32 v7, v14 :: v_dual_mov_b32 v17, v14
	s_delay_alu instid0(VALU_DEP_1) | instskip(NEXT) | instid1(VALU_DEP_2)
	v_pk_add_f32 v[8:9], v[8:9], v[6:7] neg_lo:[0,1] neg_hi:[0,1]
	v_pk_add_f32 v[2:3], v[12:13], v[16:17] neg_lo:[0,1] neg_hi:[0,1]
	v_mov_b32_e32 v8, v0
	s_delay_alu instid0(VALU_DEP_2) | instskip(NEXT) | instid1(VALU_DEP_1)
	v_pk_add_f32 v[2:3], v[4:5], v[2:3] neg_lo:[0,1] neg_hi:[0,1]
	v_pk_add_f32 v[4:5], v[8:9], v[2:3]
	s_delay_alu instid0(VALU_DEP_1) | instskip(NEXT) | instid1(VALU_DEP_1)
	v_mov_b32_e32 v8, v5
	v_pk_add_f32 v[8:9], v[4:5], v[8:9]
	s_delay_alu instid0(VALU_DEP_1) | instskip(NEXT) | instid1(VALU_DEP_1)
	v_pk_add_f32 v[6:7], v[6:7], v[8:9]
	v_mov_b32_e32 v5, v6
	s_delay_alu instid0(VALU_DEP_1) | instskip(NEXT) | instid1(VALU_DEP_1)
	v_pk_add_f32 v[12:13], v[4:5], v[0:1] neg_lo:[0,1] neg_hi:[0,1]
	v_sub_f32_e32 v1, v4, v12
	s_delay_alu instid0(VALU_DEP_1) | instskip(SKIP_1) | instid1(VALU_DEP_1)
	v_sub_f32_e32 v0, v0, v1
	v_mov_b32_e32 v3, v8
	v_pk_add_f32 v[2:3], v[2:3], v[12:13] neg_lo:[0,1] neg_hi:[0,1]
	s_delay_alu instid0(VALU_DEP_1) | instskip(NEXT) | instid1(VALU_DEP_1)
	v_add_f32_e32 v0, v2, v0
	v_add_f32_e32 v0, v0, v3
	s_delay_alu instid0(VALU_DEP_1) | instskip(NEXT) | instid1(VALU_DEP_1)
	v_add_f32_e32 v0, v6, v0
	v_cndmask_b32_e32 v0, 0x7f800000, v0, vcc_lo
	v_cmp_gt_f32_e64 vcc_lo, 0x33800000, |v11|
	s_delay_alu instid0(VALU_DEP_2) | instskip(NEXT) | instid1(VALU_DEP_1)
	v_cndmask_b32_e32 v0, v0, v11, vcc_lo
	v_div_scale_f32 v1, null, s10, s10, v0
	s_delay_alu instid0(VALU_DEP_1) | instskip(SKIP_1) | instid1(TRANS32_DEP_1)
	v_rcp_f32_e32 v2, v1
	v_nop
	v_fma_f32 v3, -v1, v2, 1.0
	s_delay_alu instid0(VALU_DEP_1) | instskip(SKIP_1) | instid1(VALU_DEP_1)
	v_fmac_f32_e32 v2, v3, v2
	v_div_scale_f32 v3, vcc_lo, v0, s10, v0
	v_mul_f32_e32 v4, v3, v2
	s_delay_alu instid0(VALU_DEP_1) | instskip(NEXT) | instid1(VALU_DEP_1)
	v_fma_f32 v5, -v1, v4, v3
	v_fmac_f32_e32 v4, v5, v2
	s_delay_alu instid0(VALU_DEP_1) | instskip(NEXT) | instid1(VALU_DEP_1)
	v_fma_f32 v1, -v1, v4, v3
	v_div_fmas_f32 v1, v1, v2, v4
	s_delay_alu instid0(VALU_DEP_1)
	v_div_fixup_f32 v0, v1, s10, v0
.LBB14_13:
	s_or_b32 exec_lo, exec_lo, s0
	v_mul_lo_u32 v2, v10, s8
	s_and_b32 s13, s2, 0xff
	s_delay_alu instid0(SALU_CYCLE_1) | instskip(NEXT) | instid1(VALU_DEP_1)
	s_cmp_lt_i32 s13, 11
	v_ashrrev_i32_e32 v3, 31, v2
	s_delay_alu instid0(VALU_DEP_1)
	v_add_nc_u64_e32 v[2:3], s[4:5], v[2:3]
	s_cbranch_scc1 .LBB14_21
; %bb.14:
	s_and_b32 s18, 0xffff, s13
	s_delay_alu instid0(SALU_CYCLE_1)
	s_cmp_gt_i32 s18, 25
	s_cbranch_scc0 .LBB14_24
; %bb.15:
	s_cmp_gt_i32 s18, 28
	s_cbranch_scc0 .LBB14_26
; %bb.16:
	;; [unrolled: 3-line block ×4, first 2 shown]
	s_mov_b32 s20, 0
	s_mov_b32 s0, -1
	s_cmp_eq_u32 s18, 46
	s_mov_b32 s19, 0
	s_cbranch_scc0 .LBB14_35
; %bb.19:
	v_bfe_u32 v1, v0, 16, 1
	v_cmp_o_f32_e32 vcc_lo, v0, v0
	s_mov_b32 s19, -1
	s_mov_b32 s0, 0
	s_delay_alu instid0(VALU_DEP_2) | instskip(NEXT) | instid1(VALU_DEP_1)
	v_add3_u32 v1, v0, v1, 0x7fff
	v_lshrrev_b32_e32 v1, 16, v1
	s_delay_alu instid0(VALU_DEP_1)
	v_cndmask_b32_e32 v1, 0x7fc0, v1, vcc_lo
	global_store_b32 v[2:3], v1, off
	s_branch .LBB14_35
.LBB14_20:
                                        ; implicit-def: $vgpr0
	s_cbranch_execnz .LBB14_169
	s_branch .LBB14_203
.LBB14_21:
	s_mov_b32 s0, 0
	s_mov_b32 s19, 0
	s_cbranch_execnz .LBB14_104
.LBB14_22:
	s_and_not1_b32 vcc_lo, exec_lo, s19
	s_cbranch_vccnz .LBB14_252
	s_branch .LBB14_142
.LBB14_23:
	s_mov_b32 s18, -1
                                        ; implicit-def: $vgpr0
	s_branch .LBB14_150
.LBB14_24:
	s_mov_b32 s20, -1
	s_mov_b32 s0, 0
	s_mov_b32 s19, 0
	s_branch .LBB14_62
.LBB14_25:
	s_mov_b32 s18, -1
                                        ; implicit-def: $vgpr0
	s_branch .LBB14_145
.LBB14_26:
	s_mov_b32 s20, -1
	s_mov_b32 s0, 0
	s_mov_b32 s19, 0
	s_branch .LBB14_45
.LBB14_27:
	s_mov_b32 s18, -1
	s_branch .LBB14_30
.LBB14_28:
	s_mov_b32 s20, -1
	s_mov_b32 s0, 0
	s_mov_b32 s19, 0
	s_branch .LBB14_41
.LBB14_29:
	s_mov_b32 s15, -1
.LBB14_30:
                                        ; implicit-def: $vgpr0
.LBB14_31:
	s_and_b32 vcc_lo, exec_lo, s18
	s_cbranch_vccz .LBB14_144
; %bb.32:
	s_cmp_eq_u32 s0, 44
	s_cbranch_scc0 .LBB14_143
; %bb.33:
	global_load_u8 v0, v[2:3], off
	s_mov_b32 s15, 0
	s_mov_b32 s13, -1
	s_wait_loadcnt 0x0
	v_lshlrev_b32_e32 v1, 23, v0
	v_cmp_ne_u32_e32 vcc_lo, 0xff, v0
	s_delay_alu instid0(VALU_DEP_2) | instskip(SKIP_1) | instid1(VALU_DEP_2)
	v_cndmask_b32_e32 v1, 0x7f800001, v1, vcc_lo
	v_cmp_ne_u32_e32 vcc_lo, 0, v0
	v_cndmask_b32_e32 v0, 0x400000, v1, vcc_lo
	s_branch .LBB14_144
.LBB14_34:
	s_mov_b32 s20, -1
	s_mov_b32 s0, 0
	s_mov_b32 s19, 0
.LBB14_35:
	s_and_b32 vcc_lo, exec_lo, s20
	s_cbranch_vccz .LBB14_40
; %bb.36:
	s_cmp_eq_u32 s18, 44
	s_mov_b32 s0, -1
	s_cbranch_scc0 .LBB14_40
; %bb.37:
	v_bfe_u32 v4, v0, 23, 8
	s_wait_xcnt 0x0
	v_mov_b32_e32 v1, 0xff
	s_mov_b32 s19, exec_lo
	s_delay_alu instid0(VALU_DEP_2)
	v_cmpx_ne_u32_e32 0xff, v4
	s_cbranch_execz .LBB14_39
; %bb.38:
	v_and_b32_e32 v1, 0x400000, v0
	v_and_or_b32 v4, 0x3fffff, v0, v4
	s_delay_alu instid0(VALU_DEP_2) | instskip(NEXT) | instid1(VALU_DEP_2)
	v_cmp_ne_u32_e32 vcc_lo, 0, v1
	v_cmp_ne_u32_e64 s0, 0, v4
	v_lshrrev_b32_e32 v1, 23, v0
	s_and_b32 s0, vcc_lo, s0
	s_delay_alu instid0(SALU_CYCLE_1) | instskip(NEXT) | instid1(VALU_DEP_1)
	v_cndmask_b32_e64 v4, 0, 1, s0
	v_add_nc_u32_e32 v1, v1, v4
.LBB14_39:
	s_or_b32 exec_lo, exec_lo, s19
	s_mov_b32 s19, -1
	s_mov_b32 s0, 0
	global_store_b8 v[2:3], v1, off
.LBB14_40:
	s_mov_b32 s20, 0
.LBB14_41:
	s_delay_alu instid0(SALU_CYCLE_1)
	s_and_b32 vcc_lo, exec_lo, s20
	s_cbranch_vccz .LBB14_44
; %bb.42:
	s_cmp_eq_u32 s18, 29
	s_mov_b32 s0, -1
	s_cbranch_scc0 .LBB14_44
; %bb.43:
	s_wait_xcnt 0x0
	v_trunc_f32_e32 v1, v0
	s_mov_b32 s19, -1
	s_mov_b32 s0, 0
	s_mov_b32 s20, 0
	s_delay_alu instid0(VALU_DEP_1) | instskip(NEXT) | instid1(VALU_DEP_1)
	v_mul_f32_e32 v4, 0x2f800000, v1
	v_floor_f32_e32 v4, v4
	s_delay_alu instid0(VALU_DEP_1) | instskip(SKIP_1) | instid1(VALU_DEP_2)
	v_fmamk_f32 v1, v4, 0xcf800000, v1
	v_cvt_u32_f32_e32 v5, v4
	v_cvt_u32_f32_e32 v4, v1
	global_store_b64 v[2:3], v[4:5], off
	s_branch .LBB14_45
.LBB14_44:
	s_mov_b32 s20, 0
.LBB14_45:
	s_delay_alu instid0(SALU_CYCLE_1)
	s_and_b32 vcc_lo, exec_lo, s20
	s_cbranch_vccz .LBB14_61
; %bb.46:
	s_cmp_lt_i32 s18, 27
	s_mov_b32 s19, -1
	s_cbranch_scc1 .LBB14_52
; %bb.47:
	s_wait_xcnt 0x0
	v_cvt_u32_f32_e32 v1, v0
	s_cmp_gt_i32 s18, 27
	s_cbranch_scc0 .LBB14_49
; %bb.48:
	s_mov_b32 s19, 0
	global_store_b32 v[2:3], v1, off
.LBB14_49:
	s_and_not1_b32 vcc_lo, exec_lo, s19
	s_cbranch_vccnz .LBB14_51
; %bb.50:
	global_store_b16 v[2:3], v1, off
.LBB14_51:
	s_mov_b32 s19, 0
.LBB14_52:
	s_delay_alu instid0(SALU_CYCLE_1)
	s_and_not1_b32 vcc_lo, exec_lo, s19
	s_cbranch_vccnz .LBB14_60
; %bb.53:
	s_wait_xcnt 0x0
	v_and_b32_e32 v1, 0x7fffffff, v0
	v_mov_b32_e32 v4, 0x80
	s_mov_b32 s19, exec_lo
	s_delay_alu instid0(VALU_DEP_2)
	v_cmpx_gt_u32_e32 0x43800000, v1
	s_cbranch_execz .LBB14_59
; %bb.54:
	v_cmp_lt_u32_e32 vcc_lo, 0x3bffffff, v1
	s_mov_b32 s20, 0
                                        ; implicit-def: $vgpr1
	s_and_saveexec_b32 s21, vcc_lo
	s_delay_alu instid0(SALU_CYCLE_1)
	s_xor_b32 s21, exec_lo, s21
	s_cbranch_execz .LBB14_283
; %bb.55:
	v_bfe_u32 v1, v0, 20, 1
	s_mov_b32 s20, exec_lo
	s_delay_alu instid0(VALU_DEP_1) | instskip(NEXT) | instid1(VALU_DEP_1)
	v_add3_u32 v1, v0, v1, 0x487ffff
	v_lshrrev_b32_e32 v1, 20, v1
	s_and_not1_saveexec_b32 s21, s21
	s_cbranch_execnz .LBB14_284
.LBB14_56:
	s_or_b32 exec_lo, exec_lo, s21
	v_mov_b32_e32 v4, 0
	s_and_saveexec_b32 s21, s20
.LBB14_57:
	v_lshrrev_b32_e32 v4, 24, v0
	s_delay_alu instid0(VALU_DEP_1)
	v_and_or_b32 v4, 0x80, v4, v1
.LBB14_58:
	s_or_b32 exec_lo, exec_lo, s21
.LBB14_59:
	s_delay_alu instid0(SALU_CYCLE_1)
	s_or_b32 exec_lo, exec_lo, s19
	global_store_b8 v[2:3], v4, off
.LBB14_60:
	s_mov_b32 s19, -1
.LBB14_61:
	s_mov_b32 s20, 0
.LBB14_62:
	s_delay_alu instid0(SALU_CYCLE_1)
	s_and_b32 vcc_lo, exec_lo, s20
	s_cbranch_vccz .LBB14_103
; %bb.63:
	s_cmp_gt_i32 s18, 22
	s_mov_b32 s20, -1
	s_cbranch_scc0 .LBB14_95
; %bb.64:
	s_cmp_lt_i32 s18, 24
	s_mov_b32 s19, -1
	s_cbranch_scc1 .LBB14_84
; %bb.65:
	s_cmp_gt_i32 s18, 24
	s_cbranch_scc0 .LBB14_73
; %bb.66:
	s_wait_xcnt 0x0
	v_and_b32_e32 v1, 0x7fffffff, v0
	v_mov_b32_e32 v4, 0x80
	s_mov_b32 s19, exec_lo
	s_delay_alu instid0(VALU_DEP_2)
	v_cmpx_gt_u32_e32 0x47800000, v1
	s_cbranch_execz .LBB14_72
; %bb.67:
	v_cmp_lt_u32_e32 vcc_lo, 0x37ffffff, v1
	s_mov_b32 s20, 0
                                        ; implicit-def: $vgpr1
	s_and_saveexec_b32 s21, vcc_lo
	s_delay_alu instid0(SALU_CYCLE_1)
	s_xor_b32 s21, exec_lo, s21
	s_cbranch_execz .LBB14_287
; %bb.68:
	v_bfe_u32 v1, v0, 21, 1
	s_mov_b32 s20, exec_lo
	s_delay_alu instid0(VALU_DEP_1) | instskip(NEXT) | instid1(VALU_DEP_1)
	v_add3_u32 v1, v0, v1, 0x88fffff
	v_lshrrev_b32_e32 v1, 21, v1
	s_and_not1_saveexec_b32 s21, s21
	s_cbranch_execnz .LBB14_288
.LBB14_69:
	s_or_b32 exec_lo, exec_lo, s21
	v_mov_b32_e32 v4, 0
	s_and_saveexec_b32 s21, s20
.LBB14_70:
	v_lshrrev_b32_e32 v4, 24, v0
	s_delay_alu instid0(VALU_DEP_1)
	v_and_or_b32 v4, 0x80, v4, v1
.LBB14_71:
	s_or_b32 exec_lo, exec_lo, s21
.LBB14_72:
	s_delay_alu instid0(SALU_CYCLE_1)
	s_or_b32 exec_lo, exec_lo, s19
	s_mov_b32 s19, 0
	global_store_b8 v[2:3], v4, off
.LBB14_73:
	s_and_b32 vcc_lo, exec_lo, s19
	s_cbranch_vccz .LBB14_83
; %bb.74:
	s_wait_xcnt 0x0
	v_and_b32_e32 v4, 0x7fffffff, v0
	s_mov_b32 s19, exec_lo
                                        ; implicit-def: $vgpr1
	s_delay_alu instid0(VALU_DEP_1)
	v_cmpx_gt_u32_e32 0x43f00000, v4
	s_xor_b32 s19, exec_lo, s19
	s_cbranch_execz .LBB14_80
; %bb.75:
	s_mov_b32 s20, exec_lo
                                        ; implicit-def: $vgpr1
	v_cmpx_lt_u32_e32 0x3c7fffff, v4
	s_xor_b32 s20, exec_lo, s20
; %bb.76:
	v_bfe_u32 v1, v0, 20, 1
	s_delay_alu instid0(VALU_DEP_1) | instskip(NEXT) | instid1(VALU_DEP_1)
	v_add3_u32 v1, v0, v1, 0x407ffff
	v_and_b32_e32 v4, 0xff00000, v1
	v_lshrrev_b32_e32 v1, 20, v1
	s_delay_alu instid0(VALU_DEP_2) | instskip(NEXT) | instid1(VALU_DEP_2)
	v_cmp_ne_u32_e32 vcc_lo, 0x7f00000, v4
	v_cndmask_b32_e32 v1, 0x7e, v1, vcc_lo
; %bb.77:
	s_and_not1_saveexec_b32 s20, s20
; %bb.78:
	v_add_f32_e64 v1, 0x46800000, |v0|
; %bb.79:
	s_or_b32 exec_lo, exec_lo, s20
                                        ; implicit-def: $vgpr4
.LBB14_80:
	s_and_not1_saveexec_b32 s19, s19
; %bb.81:
	v_mov_b32_e32 v1, 0x7f
	v_cmp_lt_u32_e32 vcc_lo, 0x7f800000, v4
	s_delay_alu instid0(VALU_DEP_2)
	v_cndmask_b32_e32 v1, 0x7e, v1, vcc_lo
; %bb.82:
	s_or_b32 exec_lo, exec_lo, s19
	v_lshrrev_b32_e32 v4, 24, v0
	s_delay_alu instid0(VALU_DEP_1)
	v_and_or_b32 v1, 0x80, v4, v1
	global_store_b8 v[2:3], v1, off
.LBB14_83:
	s_mov_b32 s19, 0
.LBB14_84:
	s_delay_alu instid0(SALU_CYCLE_1)
	s_and_not1_b32 vcc_lo, exec_lo, s19
	s_cbranch_vccnz .LBB14_94
; %bb.85:
	s_wait_xcnt 0x0
	v_and_b32_e32 v4, 0x7fffffff, v0
	s_mov_b32 s19, exec_lo
                                        ; implicit-def: $vgpr1
	s_delay_alu instid0(VALU_DEP_1)
	v_cmpx_gt_u32_e32 0x47800000, v4
	s_xor_b32 s19, exec_lo, s19
	s_cbranch_execz .LBB14_91
; %bb.86:
	s_mov_b32 s20, exec_lo
                                        ; implicit-def: $vgpr1
	v_cmpx_lt_u32_e32 0x387fffff, v4
	s_xor_b32 s20, exec_lo, s20
; %bb.87:
	v_bfe_u32 v1, v0, 21, 1
	s_delay_alu instid0(VALU_DEP_1) | instskip(NEXT) | instid1(VALU_DEP_1)
	v_add3_u32 v1, v0, v1, 0x80fffff
	v_lshrrev_b32_e32 v1, 21, v1
; %bb.88:
	s_and_not1_saveexec_b32 s20, s20
; %bb.89:
	v_add_f32_e64 v1, 0x43000000, |v0|
; %bb.90:
	s_or_b32 exec_lo, exec_lo, s20
                                        ; implicit-def: $vgpr4
.LBB14_91:
	s_and_not1_saveexec_b32 s19, s19
; %bb.92:
	v_mov_b32_e32 v1, 0x7f
	v_cmp_lt_u32_e32 vcc_lo, 0x7f800000, v4
	s_delay_alu instid0(VALU_DEP_2)
	v_cndmask_b32_e32 v1, 0x7c, v1, vcc_lo
; %bb.93:
	s_or_b32 exec_lo, exec_lo, s19
	v_lshrrev_b32_e32 v4, 24, v0
	s_delay_alu instid0(VALU_DEP_1)
	v_and_or_b32 v1, 0x80, v4, v1
	global_store_b8 v[2:3], v1, off
.LBB14_94:
	s_mov_b32 s20, 0
	s_mov_b32 s19, -1
.LBB14_95:
	s_and_not1_b32 vcc_lo, exec_lo, s20
	s_cbranch_vccnz .LBB14_103
; %bb.96:
	s_cmp_gt_i32 s18, 14
	s_mov_b32 s20, -1
	s_cbranch_scc0 .LBB14_100
; %bb.97:
	s_cmp_eq_u32 s18, 15
	s_mov_b32 s0, -1
	s_cbranch_scc0 .LBB14_99
; %bb.98:
	s_wait_xcnt 0x0
	v_bfe_u32 v1, v0, 16, 1
	v_cmp_o_f32_e32 vcc_lo, v0, v0
	s_mov_b32 s19, -1
	s_mov_b32 s0, 0
	s_delay_alu instid0(VALU_DEP_2) | instskip(NEXT) | instid1(VALU_DEP_1)
	v_add3_u32 v1, v0, v1, 0x7fff
	v_lshrrev_b32_e32 v1, 16, v1
	s_delay_alu instid0(VALU_DEP_1)
	v_cndmask_b32_e32 v1, 0x7fc0, v1, vcc_lo
	global_store_b16 v[2:3], v1, off
.LBB14_99:
	s_mov_b32 s20, 0
.LBB14_100:
	s_delay_alu instid0(SALU_CYCLE_1)
	s_and_b32 vcc_lo, exec_lo, s20
	s_cbranch_vccz .LBB14_103
; %bb.101:
	s_cmp_eq_u32 s18, 11
	s_mov_b32 s0, -1
	s_cbranch_scc0 .LBB14_103
; %bb.102:
	v_cmp_neq_f32_e32 vcc_lo, 0, v0
	s_mov_b32 s0, 0
	s_mov_b32 s19, -1
	s_wait_xcnt 0x0
	v_cndmask_b32_e64 v1, 0, 1, vcc_lo
	global_store_b8 v[2:3], v1, off
.LBB14_103:
	s_branch .LBB14_22
.LBB14_104:
	s_and_b32 s13, 0xffff, s13
	s_mov_b32 s18, -1
	s_cmp_lt_i32 s13, 5
	s_cbranch_scc1 .LBB14_125
; %bb.105:
	s_cmp_lt_i32 s13, 8
	s_cbranch_scc1 .LBB14_115
; %bb.106:
	;; [unrolled: 3-line block ×3, first 2 shown]
	s_cmp_gt_i32 s13, 9
	s_cbranch_scc0 .LBB14_109
; %bb.108:
	s_wait_xcnt 0x0
	v_cvt_f64_f32_e32 v[4:5], v0
	v_mov_b32_e32 v6, 0
	s_mov_b32 s18, 0
	s_delay_alu instid0(VALU_DEP_1)
	v_mov_b32_e32 v7, v6
	global_store_b128 v[2:3], v[4:7], off
.LBB14_109:
	s_and_not1_b32 vcc_lo, exec_lo, s18
	s_cbranch_vccnz .LBB14_111
; %bb.110:
	s_wait_xcnt 0x0
	v_mov_b32_e32 v1, 0
	global_store_b64 v[2:3], v[0:1], off
.LBB14_111:
	s_mov_b32 s18, 0
.LBB14_112:
	s_delay_alu instid0(SALU_CYCLE_1)
	s_and_not1_b32 vcc_lo, exec_lo, s18
	s_cbranch_vccnz .LBB14_114
; %bb.113:
	s_wait_xcnt 0x0
	v_cvt_f16_f32_e32 v1, v0
	s_delay_alu instid0(VALU_DEP_1)
	v_and_b32_e32 v1, 0xffff, v1
	global_store_b32 v[2:3], v1, off
.LBB14_114:
	s_mov_b32 s18, 0
.LBB14_115:
	s_delay_alu instid0(SALU_CYCLE_1)
	s_and_not1_b32 vcc_lo, exec_lo, s18
	s_cbranch_vccnz .LBB14_124
; %bb.116:
	s_cmp_lt_i32 s13, 6
	s_mov_b32 s18, -1
	s_cbranch_scc1 .LBB14_122
; %bb.117:
	s_cmp_gt_i32 s13, 6
	s_cbranch_scc0 .LBB14_119
; %bb.118:
	s_wait_xcnt 0x0
	v_cvt_f64_f32_e32 v[4:5], v0
	s_mov_b32 s18, 0
	global_store_b64 v[2:3], v[4:5], off
.LBB14_119:
	s_and_not1_b32 vcc_lo, exec_lo, s18
	s_cbranch_vccnz .LBB14_121
; %bb.120:
	global_store_b32 v[2:3], v0, off
.LBB14_121:
	s_mov_b32 s18, 0
.LBB14_122:
	s_delay_alu instid0(SALU_CYCLE_1)
	s_and_not1_b32 vcc_lo, exec_lo, s18
	s_cbranch_vccnz .LBB14_124
; %bb.123:
	s_wait_xcnt 0x0
	v_cvt_f16_f32_e32 v1, v0
	global_store_b16 v[2:3], v1, off
.LBB14_124:
	s_mov_b32 s18, 0
.LBB14_125:
	s_delay_alu instid0(SALU_CYCLE_1)
	s_and_not1_b32 vcc_lo, exec_lo, s18
	s_cbranch_vccnz .LBB14_141
; %bb.126:
	s_cmp_lt_i32 s13, 2
	s_mov_b32 s18, -1
	s_cbranch_scc1 .LBB14_136
; %bb.127:
	s_cmp_lt_i32 s13, 3
	s_cbranch_scc1 .LBB14_133
; %bb.128:
	s_cmp_gt_i32 s13, 3
	s_cbranch_scc0 .LBB14_130
; %bb.129:
	s_wait_xcnt 0x0
	v_trunc_f32_e32 v1, v0
	s_mov_b32 s18, 0
	s_delay_alu instid0(VALU_DEP_1) | instskip(NEXT) | instid1(VALU_DEP_1)
	v_mul_f32_e64 v4, 0x2f800000, |v1|
	v_floor_f32_e32 v5, v4
	v_ashrrev_i32_e32 v4, 31, v1
	s_delay_alu instid0(VALU_DEP_2) | instskip(SKIP_1) | instid1(VALU_DEP_3)
	v_fma_f32 v6, 0xcf800000, v5, |v1|
	v_cvt_u32_f32_e32 v1, v5
	v_mov_b32_e32 v5, v4
	s_delay_alu instid0(VALU_DEP_3) | instskip(NEXT) | instid1(VALU_DEP_3)
	v_cvt_u32_f32_e32 v6, v6
	v_xor_b32_e32 v7, v1, v4
	s_delay_alu instid0(VALU_DEP_2) | instskip(NEXT) | instid1(VALU_DEP_1)
	v_xor_b32_e32 v6, v6, v4
	v_sub_nc_u64_e32 v[4:5], v[6:7], v[4:5]
	global_store_b64 v[2:3], v[4:5], off
.LBB14_130:
	s_and_not1_b32 vcc_lo, exec_lo, s18
	s_cbranch_vccnz .LBB14_132
; %bb.131:
	s_wait_xcnt 0x0
	v_cvt_i32_f32_e32 v1, v0
	global_store_b32 v[2:3], v1, off
.LBB14_132:
	s_mov_b32 s18, 0
.LBB14_133:
	s_delay_alu instid0(SALU_CYCLE_1)
	s_and_not1_b32 vcc_lo, exec_lo, s18
	s_cbranch_vccnz .LBB14_135
; %bb.134:
	s_wait_xcnt 0x0
	v_cvt_i32_f32_e32 v1, v0
	global_store_b16 v[2:3], v1, off
.LBB14_135:
	s_mov_b32 s18, 0
.LBB14_136:
	s_delay_alu instid0(SALU_CYCLE_1)
	s_and_not1_b32 vcc_lo, exec_lo, s18
	s_cbranch_vccnz .LBB14_141
; %bb.137:
	s_cmp_gt_i32 s13, 0
	s_mov_b32 s13, -1
	s_cbranch_scc0 .LBB14_139
; %bb.138:
	s_wait_xcnt 0x0
	v_cvt_i32_f32_e32 v1, v0
	s_mov_b32 s13, 0
	global_store_b8 v[2:3], v1, off
.LBB14_139:
	s_and_not1_b32 vcc_lo, exec_lo, s13
	s_cbranch_vccnz .LBB14_141
; %bb.140:
	s_wait_xcnt 0x0
	v_trunc_f32_e32 v0, v0
	s_delay_alu instid0(VALU_DEP_1) | instskip(NEXT) | instid1(VALU_DEP_1)
	v_mul_f32_e64 v1, 0x2f800000, |v0|
	v_floor_f32_e32 v1, v1
	s_delay_alu instid0(VALU_DEP_1) | instskip(SKIP_1) | instid1(VALU_DEP_2)
	v_fma_f32 v1, 0xcf800000, v1, |v0|
	v_ashrrev_i32_e32 v0, 31, v0
	v_cvt_u32_f32_e32 v1, v1
	s_delay_alu instid0(VALU_DEP_1) | instskip(NEXT) | instid1(VALU_DEP_1)
	v_xor_b32_e32 v1, v1, v0
	v_sub_nc_u32_e32 v0, v1, v0
	global_store_b8 v[2:3], v0, off
.LBB14_141:
.LBB14_142:
	v_add_nc_u32_e32 v10, 0x80, v10
	s_mov_b32 s18, -1
	s_branch .LBB14_253
.LBB14_143:
	s_mov_b32 s15, -1
                                        ; implicit-def: $vgpr0
.LBB14_144:
	s_mov_b32 s18, 0
.LBB14_145:
	s_delay_alu instid0(SALU_CYCLE_1)
	s_and_b32 vcc_lo, exec_lo, s18
	s_cbranch_vccz .LBB14_149
; %bb.146:
	s_cmp_eq_u32 s0, 29
	s_cbranch_scc0 .LBB14_148
; %bb.147:
	global_load_b64 v[0:1], v[2:3], off
	s_mov_b32 s13, -1
	s_mov_b32 s15, 0
	s_mov_b32 s18, 0
	s_wait_loadcnt 0x0
	v_clz_i32_u32_e32 v4, v1
	s_delay_alu instid0(VALU_DEP_1) | instskip(NEXT) | instid1(VALU_DEP_1)
	v_min_u32_e32 v4, 32, v4
	v_lshlrev_b64_e32 v[0:1], v4, v[0:1]
	s_delay_alu instid0(VALU_DEP_1) | instskip(NEXT) | instid1(VALU_DEP_1)
	v_min_u32_e32 v0, 1, v0
	v_or_b32_e32 v0, v1, v0
	v_sub_nc_u32_e32 v1, 32, v4
	s_delay_alu instid0(VALU_DEP_2) | instskip(NEXT) | instid1(VALU_DEP_1)
	v_cvt_f32_u32_e32 v0, v0
	v_ldexp_f32 v0, v0, v1
	s_branch .LBB14_150
.LBB14_148:
	s_mov_b32 s15, -1
                                        ; implicit-def: $vgpr0
.LBB14_149:
	s_mov_b32 s18, 0
.LBB14_150:
	s_delay_alu instid0(SALU_CYCLE_1)
	s_and_b32 vcc_lo, exec_lo, s18
	s_cbranch_vccz .LBB14_168
; %bb.151:
	s_cmp_lt_i32 s0, 27
	s_cbranch_scc1 .LBB14_154
; %bb.152:
	s_cmp_gt_i32 s0, 27
	s_cbranch_scc0 .LBB14_155
; %bb.153:
	global_load_b32 v0, v[2:3], off
	s_mov_b32 s13, 0
	s_wait_loadcnt 0x0
	v_cvt_f32_u32_e32 v0, v0
	s_branch .LBB14_156
.LBB14_154:
	s_mov_b32 s13, -1
                                        ; implicit-def: $vgpr0
	s_branch .LBB14_159
.LBB14_155:
	s_mov_b32 s13, -1
                                        ; implicit-def: $vgpr0
.LBB14_156:
	s_delay_alu instid0(SALU_CYCLE_1)
	s_and_not1_b32 vcc_lo, exec_lo, s13
	s_cbranch_vccnz .LBB14_158
; %bb.157:
	global_load_u16 v0, v[2:3], off
	s_wait_loadcnt 0x0
	v_cvt_f32_u32_e32 v0, v0
.LBB14_158:
	s_mov_b32 s13, 0
.LBB14_159:
	s_delay_alu instid0(SALU_CYCLE_1)
	s_and_not1_b32 vcc_lo, exec_lo, s13
	s_cbranch_vccnz .LBB14_167
; %bb.160:
	global_load_u8 v1, v[2:3], off
	s_mov_b32 s13, 0
	s_mov_b32 s18, exec_lo
	s_wait_loadcnt 0x0
	v_cmpx_lt_i16_e32 0x7f, v1
	s_xor_b32 s18, exec_lo, s18
	s_cbranch_execz .LBB14_180
; %bb.161:
	s_mov_b32 s13, -1
	s_mov_b32 s19, exec_lo
	v_cmpx_eq_u16_e32 0x80, v1
; %bb.162:
	s_xor_b32 s13, exec_lo, -1
; %bb.163:
	s_or_b32 exec_lo, exec_lo, s19
	s_delay_alu instid0(SALU_CYCLE_1)
	s_and_b32 s13, s13, exec_lo
	s_or_saveexec_b32 s18, s18
	v_mov_b32_e32 v0, 0x7f800001
	s_xor_b32 exec_lo, exec_lo, s18
	s_cbranch_execnz .LBB14_181
.LBB14_164:
	s_or_b32 exec_lo, exec_lo, s18
	s_and_saveexec_b32 s18, s13
	s_cbranch_execz .LBB14_166
.LBB14_165:
	v_and_b32_e32 v0, 0xffff, v1
	s_delay_alu instid0(VALU_DEP_1) | instskip(SKIP_1) | instid1(VALU_DEP_2)
	v_and_b32_e32 v4, 7, v0
	v_bfe_u32 v7, v0, 3, 4
	v_clz_i32_u32_e32 v5, v4
	s_delay_alu instid0(VALU_DEP_2) | instskip(NEXT) | instid1(VALU_DEP_2)
	v_cmp_eq_u32_e32 vcc_lo, 0, v7
	v_min_u32_e32 v5, 32, v5
	s_delay_alu instid0(VALU_DEP_1) | instskip(NEXT) | instid1(VALU_DEP_1)
	v_subrev_nc_u32_e32 v6, 28, v5
	v_dual_lshlrev_b32 v0, v6, v0 :: v_dual_sub_nc_u32 v5, 29, v5
	s_delay_alu instid0(VALU_DEP_1) | instskip(NEXT) | instid1(VALU_DEP_1)
	v_dual_lshlrev_b32 v1, 24, v1 :: v_dual_bitop2_b32 v0, 7, v0 bitop3:0x40
	v_dual_cndmask_b32 v0, v4, v0 :: v_dual_cndmask_b32 v5, v7, v5
	s_delay_alu instid0(VALU_DEP_2) | instskip(NEXT) | instid1(VALU_DEP_2)
	v_and_b32_e32 v1, 0x80000000, v1
	v_lshlrev_b32_e32 v0, 20, v0
	s_delay_alu instid0(VALU_DEP_3) | instskip(NEXT) | instid1(VALU_DEP_1)
	v_lshl_add_u32 v4, v5, 23, 0x3b800000
	v_or3_b32 v0, v1, v4, v0
.LBB14_166:
	s_or_b32 exec_lo, exec_lo, s18
.LBB14_167:
	s_mov_b32 s13, -1
.LBB14_168:
	s_branch .LBB14_203
.LBB14_169:
	s_cmp_gt_i32 s0, 22
	s_cbranch_scc0 .LBB14_179
; %bb.170:
	s_cmp_lt_i32 s0, 24
	s_cbranch_scc1 .LBB14_182
; %bb.171:
	s_cmp_gt_i32 s0, 24
	s_cbranch_scc0 .LBB14_183
; %bb.172:
	global_load_u8 v1, v[2:3], off
	s_mov_b32 s13, 0
	s_mov_b32 s18, exec_lo
	s_wait_loadcnt 0x0
	v_cmpx_lt_i16_e32 0x7f, v1
	s_xor_b32 s18, exec_lo, s18
	s_cbranch_execz .LBB14_195
; %bb.173:
	s_mov_b32 s13, -1
	s_mov_b32 s19, exec_lo
	v_cmpx_eq_u16_e32 0x80, v1
; %bb.174:
	s_xor_b32 s13, exec_lo, -1
; %bb.175:
	s_or_b32 exec_lo, exec_lo, s19
	s_delay_alu instid0(SALU_CYCLE_1)
	s_and_b32 s13, s13, exec_lo
	s_or_saveexec_b32 s18, s18
	v_mov_b32_e32 v0, 0x7f800001
	s_xor_b32 exec_lo, exec_lo, s18
	s_cbranch_execnz .LBB14_196
.LBB14_176:
	s_or_b32 exec_lo, exec_lo, s18
	s_and_saveexec_b32 s18, s13
	s_cbranch_execz .LBB14_178
.LBB14_177:
	v_and_b32_e32 v0, 0xffff, v1
	s_delay_alu instid0(VALU_DEP_1) | instskip(SKIP_1) | instid1(VALU_DEP_2)
	v_and_b32_e32 v4, 3, v0
	v_bfe_u32 v7, v0, 2, 5
	v_clz_i32_u32_e32 v5, v4
	s_delay_alu instid0(VALU_DEP_2) | instskip(NEXT) | instid1(VALU_DEP_2)
	v_cmp_eq_u32_e32 vcc_lo, 0, v7
	v_min_u32_e32 v5, 32, v5
	s_delay_alu instid0(VALU_DEP_1) | instskip(NEXT) | instid1(VALU_DEP_1)
	v_subrev_nc_u32_e32 v6, 29, v5
	v_dual_lshlrev_b32 v0, v6, v0 :: v_dual_sub_nc_u32 v5, 30, v5
	s_delay_alu instid0(VALU_DEP_1) | instskip(NEXT) | instid1(VALU_DEP_1)
	v_dual_lshlrev_b32 v1, 24, v1 :: v_dual_bitop2_b32 v0, 3, v0 bitop3:0x40
	v_dual_cndmask_b32 v0, v4, v0 :: v_dual_cndmask_b32 v5, v7, v5
	s_delay_alu instid0(VALU_DEP_2) | instskip(NEXT) | instid1(VALU_DEP_2)
	v_and_b32_e32 v1, 0x80000000, v1
	v_lshlrev_b32_e32 v0, 21, v0
	s_delay_alu instid0(VALU_DEP_3) | instskip(NEXT) | instid1(VALU_DEP_1)
	v_lshl_add_u32 v4, v5, 23, 0x37800000
	v_or3_b32 v0, v1, v4, v0
.LBB14_178:
	s_or_b32 exec_lo, exec_lo, s18
	s_mov_b32 s13, 0
	s_branch .LBB14_184
.LBB14_179:
	s_mov_b32 s18, -1
                                        ; implicit-def: $vgpr0
	s_branch .LBB14_190
.LBB14_180:
	s_or_saveexec_b32 s18, s18
	v_mov_b32_e32 v0, 0x7f800001
	s_xor_b32 exec_lo, exec_lo, s18
	s_cbranch_execz .LBB14_164
.LBB14_181:
	v_cmp_ne_u16_e32 vcc_lo, 0, v1
	v_mov_b32_e32 v0, 0
	s_and_not1_b32 s13, s13, exec_lo
	s_and_b32 s19, vcc_lo, exec_lo
	s_delay_alu instid0(SALU_CYCLE_1)
	s_or_b32 s13, s13, s19
	s_or_b32 exec_lo, exec_lo, s18
	s_and_saveexec_b32 s18, s13
	s_cbranch_execnz .LBB14_165
	s_branch .LBB14_166
.LBB14_182:
	s_mov_b32 s13, -1
                                        ; implicit-def: $vgpr0
	s_branch .LBB14_187
.LBB14_183:
	s_mov_b32 s13, -1
                                        ; implicit-def: $vgpr0
.LBB14_184:
	s_delay_alu instid0(SALU_CYCLE_1)
	s_and_b32 vcc_lo, exec_lo, s13
	s_cbranch_vccz .LBB14_186
; %bb.185:
	global_load_u8 v0, v[2:3], off
	s_wait_loadcnt 0x0
	v_lshlrev_b32_e32 v0, 24, v0
	s_delay_alu instid0(VALU_DEP_1) | instskip(NEXT) | instid1(VALU_DEP_1)
	v_and_b32_e32 v1, 0x7f000000, v0
	v_clz_i32_u32_e32 v4, v1
	v_cmp_ne_u32_e32 vcc_lo, 0, v1
	v_add_nc_u32_e32 v6, 0x1000000, v1
	s_delay_alu instid0(VALU_DEP_3) | instskip(NEXT) | instid1(VALU_DEP_1)
	v_min_u32_e32 v4, 32, v4
	v_sub_nc_u32_e64 v4, v4, 4 clamp
	s_delay_alu instid0(VALU_DEP_1) | instskip(NEXT) | instid1(VALU_DEP_1)
	v_dual_lshlrev_b32 v5, v4, v1 :: v_dual_lshlrev_b32 v4, 23, v4
	v_lshrrev_b32_e32 v5, 4, v5
	s_delay_alu instid0(VALU_DEP_1) | instskip(NEXT) | instid1(VALU_DEP_1)
	v_dual_sub_nc_u32 v4, v5, v4 :: v_dual_ashrrev_i32 v5, 8, v6
	v_add_nc_u32_e32 v4, 0x3c000000, v4
	s_delay_alu instid0(VALU_DEP_1) | instskip(NEXT) | instid1(VALU_DEP_1)
	v_and_or_b32 v4, 0x7f800000, v5, v4
	v_cndmask_b32_e32 v1, 0, v4, vcc_lo
	s_delay_alu instid0(VALU_DEP_1)
	v_and_or_b32 v0, 0x80000000, v0, v1
.LBB14_186:
	s_mov_b32 s13, 0
.LBB14_187:
	s_delay_alu instid0(SALU_CYCLE_1)
	s_and_not1_b32 vcc_lo, exec_lo, s13
	s_cbranch_vccnz .LBB14_189
; %bb.188:
	global_load_u8 v0, v[2:3], off
	s_wait_loadcnt 0x0
	v_lshlrev_b32_e32 v1, 25, v0
	v_lshlrev_b16 v0, 8, v0
	s_delay_alu instid0(VALU_DEP_1) | instskip(SKIP_1) | instid1(VALU_DEP_2)
	v_and_or_b32 v5, 0x7f00, v0, 0.5
	v_bfe_i32 v0, v0, 0, 16
	v_add_f32_e32 v5, -0.5, v5
	v_lshrrev_b32_e32 v4, 4, v1
	v_cmp_gt_u32_e32 vcc_lo, 0x8000000, v1
	s_delay_alu instid0(VALU_DEP_2) | instskip(NEXT) | instid1(VALU_DEP_1)
	v_or_b32_e32 v4, 0x70000000, v4
	v_mul_f32_e32 v4, 0x7800000, v4
	s_delay_alu instid0(VALU_DEP_1) | instskip(NEXT) | instid1(VALU_DEP_1)
	v_cndmask_b32_e32 v1, v4, v5, vcc_lo
	v_and_or_b32 v0, 0x80000000, v0, v1
.LBB14_189:
	s_mov_b32 s18, 0
	s_mov_b32 s13, -1
.LBB14_190:
	s_and_not1_b32 vcc_lo, exec_lo, s18
	s_cbranch_vccnz .LBB14_203
; %bb.191:
	s_cmp_gt_i32 s0, 14
	s_cbranch_scc0 .LBB14_194
; %bb.192:
	s_cmp_eq_u32 s0, 15
	s_cbranch_scc0 .LBB14_197
; %bb.193:
	global_load_u16 v0, v[2:3], off
	s_mov_b32 s13, -1
	s_mov_b32 s15, 0
	s_wait_loadcnt 0x0
	v_lshlrev_b32_e32 v0, 16, v0
	s_branch .LBB14_198
.LBB14_194:
	s_mov_b32 s18, -1
                                        ; implicit-def: $vgpr0
	s_branch .LBB14_199
.LBB14_195:
	s_or_saveexec_b32 s18, s18
	v_mov_b32_e32 v0, 0x7f800001
	s_xor_b32 exec_lo, exec_lo, s18
	s_cbranch_execz .LBB14_176
.LBB14_196:
	v_cmp_ne_u16_e32 vcc_lo, 0, v1
	v_mov_b32_e32 v0, 0
	s_and_not1_b32 s13, s13, exec_lo
	s_and_b32 s19, vcc_lo, exec_lo
	s_delay_alu instid0(SALU_CYCLE_1)
	s_or_b32 s13, s13, s19
	s_or_b32 exec_lo, exec_lo, s18
	s_and_saveexec_b32 s18, s13
	s_cbranch_execnz .LBB14_177
	s_branch .LBB14_178
.LBB14_197:
	s_mov_b32 s15, -1
                                        ; implicit-def: $vgpr0
.LBB14_198:
	s_mov_b32 s18, 0
.LBB14_199:
	s_delay_alu instid0(SALU_CYCLE_1)
	s_and_b32 vcc_lo, exec_lo, s18
	s_cbranch_vccz .LBB14_203
; %bb.200:
	s_cmp_eq_u32 s0, 11
	s_cbranch_scc0 .LBB14_202
; %bb.201:
	global_load_u8 v0, v[2:3], off
	s_mov_b32 s15, 0
	s_mov_b32 s13, -1
	s_wait_loadcnt 0x0
	v_cmp_ne_u16_e32 vcc_lo, 0, v0
	v_cndmask_b32_e64 v0, 0, 1.0, vcc_lo
	s_branch .LBB14_203
.LBB14_202:
	s_mov_b32 s15, -1
                                        ; implicit-def: $vgpr0
.LBB14_203:
	s_branch .LBB14_10
.LBB14_204:
	s_cmp_lt_i32 s0, 5
	s_cbranch_scc1 .LBB14_209
; %bb.205:
	s_cmp_lt_i32 s0, 8
	s_cbranch_scc1 .LBB14_210
; %bb.206:
	;; [unrolled: 3-line block ×3, first 2 shown]
	s_cmp_gt_i32 s0, 9
	s_cbranch_scc0 .LBB14_212
; %bb.208:
	global_load_b64 v[0:1], v[2:3], off
	s_mov_b32 s13, 0
	s_wait_loadcnt 0x0
	v_cvt_f32_f64_e32 v0, v[0:1]
	s_branch .LBB14_213
.LBB14_209:
                                        ; implicit-def: $vgpr0
	s_branch .LBB14_231
.LBB14_210:
	s_mov_b32 s13, -1
                                        ; implicit-def: $vgpr0
	s_branch .LBB14_219
.LBB14_211:
	s_mov_b32 s13, -1
                                        ; implicit-def: $vgpr0
	s_branch .LBB14_216
.LBB14_212:
	s_mov_b32 s13, -1
                                        ; implicit-def: $vgpr0
.LBB14_213:
	s_delay_alu instid0(SALU_CYCLE_1)
	s_and_not1_b32 vcc_lo, exec_lo, s13
	s_cbranch_vccnz .LBB14_215
; %bb.214:
	global_load_b32 v0, v[2:3], off
.LBB14_215:
	s_mov_b32 s13, 0
.LBB14_216:
	s_delay_alu instid0(SALU_CYCLE_1)
	s_and_not1_b32 vcc_lo, exec_lo, s13
	s_cbranch_vccnz .LBB14_218
; %bb.217:
	s_wait_loadcnt 0x0
	global_load_b32 v0, v[2:3], off
	s_wait_loadcnt 0x0
	v_cvt_f32_f16_e32 v0, v0
.LBB14_218:
	s_mov_b32 s13, 0
.LBB14_219:
	s_delay_alu instid0(SALU_CYCLE_1)
	s_and_not1_b32 vcc_lo, exec_lo, s13
	s_cbranch_vccnz .LBB14_230
; %bb.220:
	s_cmp_lt_i32 s0, 6
	s_cbranch_scc1 .LBB14_223
; %bb.221:
	s_cmp_gt_i32 s0, 6
	s_cbranch_scc0 .LBB14_224
; %bb.222:
	s_wait_loadcnt 0x0
	global_load_b64 v[0:1], v[2:3], off
	s_mov_b32 s13, 0
	s_wait_loadcnt 0x0
	v_cvt_f32_f64_e32 v0, v[0:1]
	s_branch .LBB14_225
.LBB14_223:
	s_mov_b32 s13, -1
                                        ; implicit-def: $vgpr0
	s_branch .LBB14_228
.LBB14_224:
	s_mov_b32 s13, -1
                                        ; implicit-def: $vgpr0
.LBB14_225:
	s_delay_alu instid0(SALU_CYCLE_1)
	s_and_not1_b32 vcc_lo, exec_lo, s13
	s_cbranch_vccnz .LBB14_227
; %bb.226:
	s_wait_loadcnt 0x0
	global_load_b32 v0, v[2:3], off
.LBB14_227:
	s_mov_b32 s13, 0
.LBB14_228:
	s_delay_alu instid0(SALU_CYCLE_1)
	s_and_not1_b32 vcc_lo, exec_lo, s13
	s_cbranch_vccnz .LBB14_230
; %bb.229:
	s_wait_loadcnt 0x0
	global_load_u16 v0, v[2:3], off
	s_wait_loadcnt 0x0
	v_cvt_f32_f16_e32 v0, v0
.LBB14_230:
	s_cbranch_execnz .LBB14_250
.LBB14_231:
	s_cmp_lt_i32 s0, 2
	s_cbranch_scc1 .LBB14_235
; %bb.232:
	s_cmp_lt_i32 s0, 3
	s_cbranch_scc1 .LBB14_236
; %bb.233:
	s_cmp_gt_i32 s0, 3
	s_cbranch_scc0 .LBB14_237
; %bb.234:
	s_wait_loadcnt 0x0
	global_load_b64 v[0:1], v[2:3], off
	s_mov_b32 s13, 0
	s_wait_loadcnt 0x0
	v_xor_b32_e32 v4, v0, v1
	v_cls_i32_e32 v5, v1
	s_delay_alu instid0(VALU_DEP_2) | instskip(NEXT) | instid1(VALU_DEP_1)
	v_ashrrev_i32_e32 v4, 31, v4
	v_add_nc_u32_e32 v4, 32, v4
	s_delay_alu instid0(VALU_DEP_1) | instskip(NEXT) | instid1(VALU_DEP_1)
	v_add_min_u32_e64 v4, v5, -1, v4
	v_lshlrev_b64_e32 v[0:1], v4, v[0:1]
	s_delay_alu instid0(VALU_DEP_1) | instskip(NEXT) | instid1(VALU_DEP_1)
	v_min_u32_e32 v0, 1, v0
	v_or_b32_e32 v0, v1, v0
	v_sub_nc_u32_e32 v1, 32, v4
	s_delay_alu instid0(VALU_DEP_2) | instskip(NEXT) | instid1(VALU_DEP_1)
	v_cvt_f32_i32_e32 v0, v0
	v_ldexp_f32 v0, v0, v1
	s_branch .LBB14_238
.LBB14_235:
	s_mov_b32 s13, -1
                                        ; implicit-def: $vgpr0
	s_branch .LBB14_244
.LBB14_236:
	s_mov_b32 s13, -1
                                        ; implicit-def: $vgpr0
	s_branch .LBB14_241
.LBB14_237:
	s_mov_b32 s13, -1
                                        ; implicit-def: $vgpr0
.LBB14_238:
	s_delay_alu instid0(SALU_CYCLE_1)
	s_and_not1_b32 vcc_lo, exec_lo, s13
	s_cbranch_vccnz .LBB14_240
; %bb.239:
	s_wait_loadcnt 0x0
	global_load_b32 v0, v[2:3], off
	s_wait_loadcnt 0x0
	v_cvt_f32_i32_e32 v0, v0
.LBB14_240:
	s_mov_b32 s13, 0
.LBB14_241:
	s_delay_alu instid0(SALU_CYCLE_1)
	s_and_not1_b32 vcc_lo, exec_lo, s13
	s_cbranch_vccnz .LBB14_243
; %bb.242:
	s_wait_loadcnt 0x0
	global_load_i16 v0, v[2:3], off
	s_wait_loadcnt 0x0
	v_cvt_f32_i32_e32 v0, v0
.LBB14_243:
	s_mov_b32 s13, 0
.LBB14_244:
	s_delay_alu instid0(SALU_CYCLE_1)
	s_and_not1_b32 vcc_lo, exec_lo, s13
	s_cbranch_vccnz .LBB14_250
; %bb.245:
	s_cmp_gt_i32 s0, 0
	s_mov_b32 s0, 0
	s_cbranch_scc0 .LBB14_247
; %bb.246:
	s_wait_loadcnt 0x0
	global_load_i8 v0, v[2:3], off
	s_wait_loadcnt 0x0
	v_cvt_f32_i32_e32 v0, v0
	s_branch .LBB14_248
.LBB14_247:
	s_mov_b32 s0, -1
                                        ; implicit-def: $vgpr0
.LBB14_248:
	s_delay_alu instid0(SALU_CYCLE_1)
	s_and_not1_b32 vcc_lo, exec_lo, s0
	s_cbranch_vccnz .LBB14_250
; %bb.249:
	s_wait_loadcnt 0x0
	global_load_u8 v0, v[2:3], off
	s_wait_loadcnt 0x0
	v_cvt_f32_ubyte0_e32 v0, v0
.LBB14_250:
	s_branch .LBB14_11
.LBB14_251:
	s_mov_b32 s0, 0
.LBB14_252:
	s_mov_b32 s18, 0
                                        ; implicit-def: $vgpr10
.LBB14_253:
	s_and_b32 s13, s0, exec_lo
	s_and_b32 s15, s15, exec_lo
	s_or_not1_b32 s19, s18, exec_lo
.LBB14_254:
	s_wait_xcnt 0x0
	s_or_b32 exec_lo, exec_lo, s16
	s_mov_b32 s18, 0
	s_mov_b32 s0, 0
                                        ; implicit-def: $vgpr2_vgpr3
                                        ; implicit-def: $vgpr0
	s_and_saveexec_b32 s16, s19
	s_cbranch_execz .LBB14_263
; %bb.255:
	s_mov_b32 s0, -1
	s_mov_b32 s17, s15
	s_mov_b32 s18, s13
	s_mov_b32 s19, exec_lo
	v_cmpx_gt_i32_e64 s14, v10
	s_cbranch_execz .LBB14_519
; %bb.256:
	s_wait_loadcnt 0x0
	v_mul_lo_u32 v0, v10, s9
	s_and_b32 s0, 0xffff, s3
	s_delay_alu instid0(SALU_CYCLE_1) | instskip(NEXT) | instid1(VALU_DEP_1)
	s_cmp_lt_i32 s0, 11
	v_ashrrev_i32_e32 v1, 31, v0
	s_delay_alu instid0(VALU_DEP_1)
	v_add_nc_u64_e32 v[2:3], s[6:7], v[0:1]
	s_cbranch_scc1 .LBB14_266
; %bb.257:
	s_cmp_gt_i32 s0, 25
	s_cbranch_scc0 .LBB14_277
; %bb.258:
	s_cmp_gt_i32 s0, 28
	s_cbranch_scc0 .LBB14_279
	;; [unrolled: 3-line block ×4, first 2 shown]
; %bb.261:
	s_cmp_eq_u32 s0, 46
	s_mov_b32 s20, 0
	s_cbranch_scc0 .LBB14_289
; %bb.262:
	global_load_b32 v0, v[2:3], off
	s_mov_b32 s18, -1
	s_mov_b32 s17, 0
	s_wait_loadcnt 0x0
	v_lshlrev_b32_e32 v0, 16, v0
	s_branch .LBB14_291
.LBB14_263:
	s_or_b32 exec_lo, exec_lo, s16
	s_mov_b32 s14, 0
	s_and_saveexec_b32 s16, s15
	s_cbranch_execnz .LBB14_869
.LBB14_264:
	s_or_b32 exec_lo, exec_lo, s16
	s_and_saveexec_b32 s15, s17
	s_delay_alu instid0(SALU_CYCLE_1)
	s_xor_b32 s15, exec_lo, s15
	s_cbranch_execz .LBB14_870
.LBB14_265:
	s_wait_loadcnt 0x0
	global_load_u8 v0, v[2:3], off
	s_or_b32 s0, s0, exec_lo
	s_wait_loadcnt 0x0
	v_cmp_ne_u16_e32 vcc_lo, 0, v0
	v_cndmask_b32_e64 v0, 0, 1.0, vcc_lo
	s_wait_xcnt 0x0
	s_or_b32 exec_lo, exec_lo, s15
	s_and_saveexec_b32 s15, s18
	s_cbranch_execz .LBB14_916
	s_branch .LBB14_871
.LBB14_266:
	s_mov_b32 s18, 0
	s_mov_b32 s17, s15
                                        ; implicit-def: $vgpr0
	s_cbranch_execnz .LBB14_468
.LBB14_267:
	s_and_not1_b32 vcc_lo, exec_lo, s18
	s_cbranch_vccnz .LBB14_516
.LBB14_268:
	s_wait_loadcnt 0x0
	s_delay_alu instid0(VALU_DEP_1) | instskip(SKIP_2) | instid1(VALU_DEP_1)
	v_mul_f32_e32 v1, s10, v0
	s_mov_b32 s0, exec_lo
	s_wait_xcnt 0x0
	v_cmpx_nlt_f32_e32 s11, v1
	s_cbranch_execz .LBB14_270
; %bb.269:
	v_mul_f32_e32 v0, 0x3fb8aa3b, v1
	v_cmp_ngt_f32_e32 vcc_lo, 0xc2ce8ed0, v1
	s_mov_b32 s18, 0x3e9b6dac
	s_delay_alu instid0(VALU_DEP_2) | instskip(SKIP_1) | instid1(VALU_DEP_1)
	v_rndne_f32_e32 v2, v0
	v_fma_f32 v3, 0x3fb8aa3b, v1, -v0
	v_dual_sub_f32 v0, v0, v2 :: v_dual_fmamk_f32 v3, v1, 0x32a5705f, v3
	v_cvt_i32_f32_e32 v2, v2
	s_delay_alu instid0(VALU_DEP_2) | instskip(NEXT) | instid1(VALU_DEP_1)
	v_add_f32_e32 v0, v0, v3
	v_exp_f32_e32 v0, v0
	v_nop
	s_delay_alu instid0(TRANS32_DEP_1) | instskip(NEXT) | instid1(VALU_DEP_1)
	v_ldexp_f32 v0, v0, v2
	v_cndmask_b32_e32 v0, 0, v0, vcc_lo
	v_cmp_nlt_f32_e32 vcc_lo, 0x42b17218, v1
	s_delay_alu instid0(VALU_DEP_2) | instskip(NEXT) | instid1(VALU_DEP_1)
	v_cndmask_b32_e32 v11, 0x7f800000, v0, vcc_lo
	v_add_f32_e32 v2, 1.0, v11
	s_delay_alu instid0(VALU_DEP_1) | instskip(NEXT) | instid1(VALU_DEP_1)
	v_cvt_f64_f32_e32 v[0:1], v2
	v_frexp_exp_i32_f64_e32 v0, v[0:1]
	v_frexp_mant_f32_e32 v1, v2
	s_delay_alu instid0(VALU_DEP_1) | instskip(NEXT) | instid1(VALU_DEP_3)
	v_cmp_gt_f32_e32 vcc_lo, 0x3f2aaaab, v1
	v_subrev_co_ci_u32_e64 v6, null, 0, v0, vcc_lo
	v_add_f32_e32 v0, -1.0, v2
	v_cmp_neq_f32_e32 vcc_lo, 0x7f800000, v11
	s_delay_alu instid0(VALU_DEP_3) | instskip(NEXT) | instid1(VALU_DEP_3)
	v_sub_nc_u32_e32 v1, 0, v6
	v_dual_sub_f32 v3, v0, v2 :: v_dual_sub_f32 v0, v11, v0
	s_delay_alu instid0(VALU_DEP_2) | instskip(NEXT) | instid1(VALU_DEP_1)
	v_ldexp_f32 v2, v2, v1
	v_dual_add_f32 v3, 1.0, v3 :: v_dual_add_f32 v4, 1.0, v2
	s_delay_alu instid0(VALU_DEP_1) | instskip(NEXT) | instid1(VALU_DEP_2)
	v_dual_add_f32 v5, -1.0, v2 :: v_dual_add_f32 v0, v0, v3
	v_add_f32_e32 v3, -1.0, v4
	s_delay_alu instid0(VALU_DEP_2) | instskip(NEXT) | instid1(VALU_DEP_2)
	v_ldexp_f32 v0, v0, v1
	v_dual_sub_f32 v1, v2, v3 :: v_dual_add_f32 v3, 1.0, v5
	s_delay_alu instid0(VALU_DEP_1) | instskip(NEXT) | instid1(VALU_DEP_1)
	v_dual_add_f32 v7, v0, v1 :: v_dual_sub_f32 v1, v2, v3
	v_add_f32_e32 v9, v0, v1
	s_delay_alu instid0(VALU_DEP_1) | instskip(NEXT) | instid1(VALU_DEP_1)
	v_dual_add_f32 v8, v4, v7 :: v_dual_add_f32 v1, v5, v9
	v_rcp_f32_e32 v12, v8
	s_delay_alu instid0(VALU_DEP_1) | instskip(NEXT) | instid1(TRANS32_DEP_1)
	v_sub_f32_e32 v14, v5, v1
	v_mul_f32_e32 v13, v1, v12
	s_delay_alu instid0(VALU_DEP_1) | instskip(NEXT) | instid1(VALU_DEP_1)
	v_mul_f32_e32 v2, v8, v13
	v_dual_sub_f32 v0, v4, v8 :: v_dual_fma_f32 v4, v13, v8, -v2
	s_delay_alu instid0(VALU_DEP_1) | instskip(NEXT) | instid1(VALU_DEP_1)
	v_add_f32_e32 v7, v7, v0
	v_fmac_f32_e32 v4, v13, v7
	s_delay_alu instid0(VALU_DEP_1) | instskip(NEXT) | instid1(VALU_DEP_1)
	v_add_f32_e32 v0, v2, v4
	v_dual_sub_f32 v3, v1, v0 :: v_dual_mov_b32 v5, v0
	s_delay_alu instid0(VALU_DEP_1) | instskip(NEXT) | instid1(VALU_DEP_1)
	v_pk_add_f32 v[0:1], v[0:1], v[2:3] neg_lo:[0,1] neg_hi:[0,1]
	v_pk_add_f32 v[0:1], v[0:1], v[4:5] neg_lo:[0,1] neg_hi:[0,1]
	v_add_f32_e32 v2, v9, v14
	s_delay_alu instid0(VALU_DEP_1) | instskip(NEXT) | instid1(VALU_DEP_1)
	v_add_f32_e32 v1, v2, v1
	v_add_f32_e32 v9, v0, v1
	s_delay_alu instid0(VALU_DEP_1) | instskip(NEXT) | instid1(VALU_DEP_1)
	v_add_f32_e32 v1, v3, v9
	v_mul_f32_e32 v14, v12, v1
	s_delay_alu instid0(VALU_DEP_1) | instskip(NEXT) | instid1(VALU_DEP_1)
	v_mul_f32_e32 v4, v8, v14
	v_fma_f32 v2, v14, v8, -v4
	s_delay_alu instid0(VALU_DEP_1) | instskip(NEXT) | instid1(VALU_DEP_1)
	v_dual_fmac_f32 v2, v14, v7 :: v_dual_sub_f32 v7, v3, v1
	v_add_f32_e32 v0, v4, v2
	s_delay_alu instid0(VALU_DEP_1) | instskip(NEXT) | instid1(VALU_DEP_1)
	v_dual_sub_f32 v5, v1, v0 :: v_dual_mov_b32 v3, v0
	v_pk_add_f32 v[0:1], v[0:1], v[4:5] neg_lo:[0,1] neg_hi:[0,1]
	s_delay_alu instid0(VALU_DEP_4) | instskip(NEXT) | instid1(VALU_DEP_2)
	v_add_f32_e32 v4, v9, v7
	v_pk_add_f32 v[0:1], v[0:1], v[2:3] neg_lo:[0,1] neg_hi:[0,1]
	v_cvt_f32_i32_e32 v2, v6
	s_delay_alu instid0(VALU_DEP_2) | instskip(NEXT) | instid1(VALU_DEP_1)
	v_dual_add_f32 v1, v4, v1 :: v_dual_add_f32 v4, v13, v14
	v_add_f32_e32 v0, v0, v1
	s_delay_alu instid0(VALU_DEP_2) | instskip(NEXT) | instid1(VALU_DEP_1)
	v_sub_f32_e32 v1, v4, v13
	v_dual_sub_f32 v1, v14, v1 :: v_dual_add_f32 v0, v5, v0
	s_delay_alu instid0(VALU_DEP_1) | instskip(NEXT) | instid1(VALU_DEP_1)
	v_mul_f32_e32 v0, v12, v0
	v_dual_add_f32 v7, v1, v0 :: v_dual_mov_b32 v0, 0x3f317218
	s_delay_alu instid0(VALU_DEP_1) | instskip(NEXT) | instid1(VALU_DEP_1)
	v_add_f32_e32 v5, v4, v7
	v_mul_f32_e32 v1, v5, v5
	s_delay_alu instid0(VALU_DEP_1) | instskip(NEXT) | instid1(VALU_DEP_1)
	v_dual_fmaak_f32 v8, s18, v1, 0x3ecc95a3 :: v_dual_mul_f32 v3, v5, v1
	v_fmaak_f32 v1, v1, v8, 0x3f2aaada
	s_delay_alu instid0(VALU_DEP_1) | instskip(SKIP_1) | instid1(VALU_DEP_2)
	v_pk_mul_f32 v[0:1], v[2:3], v[0:1]
	v_ldexp_f32 v3, v5, 1
	v_fma_f32 v6, 0x3f317218, v2, -v0
	s_delay_alu instid0(VALU_DEP_1) | instskip(SKIP_1) | instid1(VALU_DEP_2)
	v_fmamk_f32 v2, v2, 0xb102e308, v6
	v_sub_f32_e32 v6, v5, v4
	v_pk_add_f32 v[4:5], v[0:1], v[2:3]
	s_delay_alu instid0(VALU_DEP_1) | instskip(NEXT) | instid1(VALU_DEP_1)
	v_dual_sub_f32 v3, v5, v3 :: v_dual_sub_f32 v6, v7, v6
	v_sub_f32_e32 v3, v1, v3
	s_delay_alu instid0(VALU_DEP_2) | instskip(SKIP_2) | instid1(VALU_DEP_3)
	v_ldexp_f32 v7, v6, 1
	v_mov_b32_e32 v6, v0
	v_pk_add_f32 v[0:1], v[4:5], v[0:1] neg_lo:[0,1] neg_hi:[0,1]
	v_dual_add_f32 v7, v7, v3 :: v_dual_mov_b32 v3, v4
	s_delay_alu instid0(VALU_DEP_1) | instskip(NEXT) | instid1(VALU_DEP_1)
	v_pk_add_f32 v[8:9], v[4:5], v[6:7]
	v_dual_mov_b32 v16, v5 :: v_dual_mov_b32 v1, v9
	s_delay_alu instid0(VALU_DEP_1) | instskip(NEXT) | instid1(VALU_DEP_1)
	v_pk_add_f32 v[12:13], v[2:3], v[0:1]
	v_dual_mov_b32 v12, v9 :: v_dual_mov_b32 v6, v13
	v_pk_add_f32 v[0:1], v[2:3], v[0:1] neg_lo:[0,1] neg_hi:[0,1]
	v_mov_b32_e32 v1, v13
	s_delay_alu instid0(VALU_DEP_3) | instskip(SKIP_1) | instid1(VALU_DEP_2)
	v_pk_add_f32 v[14:15], v[6:7], v[4:5] neg_lo:[0,1] neg_hi:[0,1]
	v_dual_mov_b32 v5, v4 :: v_dual_mov_b32 v4, v7
	v_dual_mov_b32 v7, v14 :: v_dual_mov_b32 v17, v14
	s_delay_alu instid0(VALU_DEP_1) | instskip(NEXT) | instid1(VALU_DEP_2)
	v_pk_add_f32 v[8:9], v[8:9], v[6:7] neg_lo:[0,1] neg_hi:[0,1]
	v_pk_add_f32 v[2:3], v[12:13], v[16:17] neg_lo:[0,1] neg_hi:[0,1]
	v_mov_b32_e32 v8, v0
	s_delay_alu instid0(VALU_DEP_2) | instskip(NEXT) | instid1(VALU_DEP_1)
	v_pk_add_f32 v[2:3], v[4:5], v[2:3] neg_lo:[0,1] neg_hi:[0,1]
	v_pk_add_f32 v[4:5], v[8:9], v[2:3]
	s_delay_alu instid0(VALU_DEP_1) | instskip(NEXT) | instid1(VALU_DEP_1)
	v_mov_b32_e32 v8, v5
	v_pk_add_f32 v[8:9], v[4:5], v[8:9]
	s_delay_alu instid0(VALU_DEP_1) | instskip(NEXT) | instid1(VALU_DEP_1)
	v_pk_add_f32 v[6:7], v[6:7], v[8:9]
	v_mov_b32_e32 v5, v6
	s_delay_alu instid0(VALU_DEP_1) | instskip(NEXT) | instid1(VALU_DEP_1)
	v_pk_add_f32 v[12:13], v[4:5], v[0:1] neg_lo:[0,1] neg_hi:[0,1]
	v_sub_f32_e32 v1, v4, v12
	s_delay_alu instid0(VALU_DEP_1) | instskip(SKIP_1) | instid1(VALU_DEP_1)
	v_sub_f32_e32 v0, v0, v1
	v_mov_b32_e32 v3, v8
	v_pk_add_f32 v[2:3], v[2:3], v[12:13] neg_lo:[0,1] neg_hi:[0,1]
	s_delay_alu instid0(VALU_DEP_1) | instskip(NEXT) | instid1(VALU_DEP_1)
	v_add_f32_e32 v0, v2, v0
	v_add_f32_e32 v0, v0, v3
	s_delay_alu instid0(VALU_DEP_1) | instskip(NEXT) | instid1(VALU_DEP_1)
	v_add_f32_e32 v0, v6, v0
	v_cndmask_b32_e32 v0, 0x7f800000, v0, vcc_lo
	v_cmp_gt_f32_e64 vcc_lo, 0x33800000, |v11|
	s_delay_alu instid0(VALU_DEP_2) | instskip(NEXT) | instid1(VALU_DEP_1)
	v_cndmask_b32_e32 v0, v0, v11, vcc_lo
	v_div_scale_f32 v1, null, s10, s10, v0
	s_delay_alu instid0(VALU_DEP_1) | instskip(SKIP_1) | instid1(TRANS32_DEP_1)
	v_rcp_f32_e32 v2, v1
	v_nop
	v_fma_f32 v3, -v1, v2, 1.0
	s_delay_alu instid0(VALU_DEP_1) | instskip(SKIP_1) | instid1(VALU_DEP_1)
	v_fmac_f32_e32 v2, v3, v2
	v_div_scale_f32 v3, vcc_lo, v0, s10, v0
	v_mul_f32_e32 v4, v3, v2
	s_delay_alu instid0(VALU_DEP_1) | instskip(NEXT) | instid1(VALU_DEP_1)
	v_fma_f32 v5, -v1, v4, v3
	v_fmac_f32_e32 v4, v5, v2
	s_delay_alu instid0(VALU_DEP_1) | instskip(NEXT) | instid1(VALU_DEP_1)
	v_fma_f32 v1, -v1, v4, v3
	v_div_fmas_f32 v1, v1, v2, v4
	s_delay_alu instid0(VALU_DEP_1)
	v_div_fixup_f32 v0, v1, s10, v0
.LBB14_270:
	s_or_b32 exec_lo, exec_lo, s0
	v_mul_lo_u32 v2, v10, s8
	s_and_b32 s18, s2, 0xff
	s_delay_alu instid0(SALU_CYCLE_1) | instskip(NEXT) | instid1(VALU_DEP_1)
	s_cmp_lt_i32 s18, 11
	v_ashrrev_i32_e32 v3, 31, v2
	s_delay_alu instid0(VALU_DEP_1)
	v_add_nc_u64_e32 v[2:3], s[4:5], v[2:3]
	s_cbranch_scc1 .LBB14_278
; %bb.271:
	s_and_b32 s20, 0xffff, s18
	s_delay_alu instid0(SALU_CYCLE_1)
	s_cmp_gt_i32 s20, 25
	s_cbranch_scc0 .LBB14_280
; %bb.272:
	s_cmp_gt_i32 s20, 28
	s_cbranch_scc0 .LBB14_282
; %bb.273:
	;; [unrolled: 3-line block ×4, first 2 shown]
	s_mov_b32 s22, 0
	s_mov_b32 s0, -1
	s_cmp_eq_u32 s20, 46
	s_mov_b32 s21, 0
	s_cbranch_scc0 .LBB14_295
; %bb.276:
	v_bfe_u32 v1, v0, 16, 1
	v_cmp_o_f32_e32 vcc_lo, v0, v0
	s_mov_b32 s21, -1
	s_mov_b32 s0, 0
	s_delay_alu instid0(VALU_DEP_2) | instskip(NEXT) | instid1(VALU_DEP_1)
	v_add3_u32 v1, v0, v1, 0x7fff
	v_lshrrev_b32_e32 v1, 16, v1
	s_delay_alu instid0(VALU_DEP_1)
	v_cndmask_b32_e32 v1, 0x7fc0, v1, vcc_lo
	global_store_b32 v[2:3], v1, off
	s_branch .LBB14_295
.LBB14_277:
	s_mov_b32 s20, -1
	s_mov_b32 s18, 0
	s_mov_b32 s17, s15
                                        ; implicit-def: $vgpr0
	s_branch .LBB14_432
.LBB14_278:
	s_mov_b32 s20, -1
	s_mov_b32 s21, 0
	s_mov_b32 s0, s13
	s_branch .LBB14_364
.LBB14_279:
	s_mov_b32 s20, -1
	s_mov_b32 s18, 0
	s_mov_b32 s17, s15
                                        ; implicit-def: $vgpr0
	s_branch .LBB14_413
.LBB14_280:
	s_mov_b32 s22, -1
	s_mov_b32 s21, 0
	s_mov_b32 s0, s13
	s_branch .LBB14_322
.LBB14_281:
	s_mov_b32 s20, -1
	s_mov_b32 s18, 0
	s_mov_b32 s17, s15
                                        ; implicit-def: $vgpr0
	s_branch .LBB14_408
.LBB14_282:
	s_mov_b32 s22, -1
	s_mov_b32 s21, 0
	s_mov_b32 s0, s13
	s_branch .LBB14_305
.LBB14_283:
	s_and_not1_saveexec_b32 s21, s21
	s_cbranch_execz .LBB14_56
.LBB14_284:
	v_add_f32_e64 v1, 0x46000000, |v0|
	s_and_not1_b32 s20, s20, exec_lo
	s_delay_alu instid0(VALU_DEP_1) | instskip(NEXT) | instid1(VALU_DEP_1)
	v_and_b32_e32 v1, 0xff, v1
	v_cmp_ne_u32_e32 vcc_lo, 0, v1
	s_and_b32 s22, vcc_lo, exec_lo
	s_delay_alu instid0(SALU_CYCLE_1)
	s_or_b32 s20, s20, s22
	s_or_b32 exec_lo, exec_lo, s21
	v_mov_b32_e32 v4, 0
	s_and_saveexec_b32 s21, s20
	s_cbranch_execnz .LBB14_57
	s_branch .LBB14_58
.LBB14_285:
	s_mov_b32 s20, -1
	s_mov_b32 s18, 0
	s_mov_b32 s17, s15
	s_branch .LBB14_290
.LBB14_286:
	s_mov_b32 s22, -1
	s_mov_b32 s21, 0
	s_mov_b32 s0, s13
	s_branch .LBB14_301
.LBB14_287:
	s_and_not1_saveexec_b32 s21, s21
	s_cbranch_execz .LBB14_69
.LBB14_288:
	v_add_f32_e64 v1, 0x42800000, |v0|
	s_and_not1_b32 s20, s20, exec_lo
	s_delay_alu instid0(VALU_DEP_1) | instskip(NEXT) | instid1(VALU_DEP_1)
	v_and_b32_e32 v1, 0xff, v1
	v_cmp_ne_u32_e32 vcc_lo, 0, v1
	s_and_b32 s22, vcc_lo, exec_lo
	s_delay_alu instid0(SALU_CYCLE_1)
	s_or_b32 s20, s20, s22
	s_or_b32 exec_lo, exec_lo, s21
	v_mov_b32_e32 v4, 0
	s_and_saveexec_b32 s21, s20
	s_cbranch_execnz .LBB14_70
	s_branch .LBB14_71
.LBB14_289:
	s_mov_b32 s17, -1
	s_mov_b32 s18, 0
.LBB14_290:
                                        ; implicit-def: $vgpr0
.LBB14_291:
	s_and_b32 vcc_lo, exec_lo, s20
	s_cbranch_vccz .LBB14_407
; %bb.292:
	s_cmp_eq_u32 s0, 44
	s_cbranch_scc0 .LBB14_406
; %bb.293:
	global_load_u8 v0, v[2:3], off
	s_mov_b32 s17, 0
	s_mov_b32 s18, -1
	s_wait_loadcnt 0x0
	v_lshlrev_b32_e32 v1, 23, v0
	v_cmp_ne_u32_e32 vcc_lo, 0xff, v0
	s_delay_alu instid0(VALU_DEP_2) | instskip(SKIP_1) | instid1(VALU_DEP_2)
	v_cndmask_b32_e32 v1, 0x7f800001, v1, vcc_lo
	v_cmp_ne_u32_e32 vcc_lo, 0, v0
	v_cndmask_b32_e32 v0, 0x400000, v1, vcc_lo
	s_branch .LBB14_407
.LBB14_294:
	s_mov_b32 s22, -1
	s_mov_b32 s21, 0
	s_mov_b32 s0, s13
.LBB14_295:
	s_and_b32 vcc_lo, exec_lo, s22
	s_cbranch_vccz .LBB14_300
; %bb.296:
	s_cmp_eq_u32 s20, 44
	s_mov_b32 s0, -1
	s_cbranch_scc0 .LBB14_300
; %bb.297:
	v_bfe_u32 v4, v0, 23, 8
	s_wait_xcnt 0x0
	v_mov_b32_e32 v1, 0xff
	s_mov_b32 s21, exec_lo
	s_delay_alu instid0(VALU_DEP_2)
	v_cmpx_ne_u32_e32 0xff, v4
	s_cbranch_execz .LBB14_299
; %bb.298:
	v_and_b32_e32 v1, 0x400000, v0
	v_and_or_b32 v4, 0x3fffff, v0, v4
	s_delay_alu instid0(VALU_DEP_2) | instskip(NEXT) | instid1(VALU_DEP_2)
	v_cmp_ne_u32_e32 vcc_lo, 0, v1
	v_cmp_ne_u32_e64 s0, 0, v4
	v_lshrrev_b32_e32 v1, 23, v0
	s_and_b32 s0, vcc_lo, s0
	s_delay_alu instid0(SALU_CYCLE_1) | instskip(NEXT) | instid1(VALU_DEP_1)
	v_cndmask_b32_e64 v4, 0, 1, s0
	v_add_nc_u32_e32 v1, v1, v4
.LBB14_299:
	s_or_b32 exec_lo, exec_lo, s21
	s_mov_b32 s21, -1
	s_mov_b32 s0, 0
	global_store_b8 v[2:3], v1, off
.LBB14_300:
	s_mov_b32 s22, 0
.LBB14_301:
	s_delay_alu instid0(SALU_CYCLE_1)
	s_and_b32 vcc_lo, exec_lo, s22
	s_cbranch_vccz .LBB14_304
; %bb.302:
	s_cmp_eq_u32 s20, 29
	s_mov_b32 s0, -1
	s_cbranch_scc0 .LBB14_304
; %bb.303:
	s_wait_xcnt 0x0
	v_trunc_f32_e32 v1, v0
	s_mov_b32 s21, -1
	s_mov_b32 s0, 0
	s_mov_b32 s22, 0
	s_delay_alu instid0(VALU_DEP_1) | instskip(NEXT) | instid1(VALU_DEP_1)
	v_mul_f32_e32 v4, 0x2f800000, v1
	v_floor_f32_e32 v4, v4
	s_delay_alu instid0(VALU_DEP_1) | instskip(SKIP_1) | instid1(VALU_DEP_2)
	v_fmamk_f32 v1, v4, 0xcf800000, v1
	v_cvt_u32_f32_e32 v5, v4
	v_cvt_u32_f32_e32 v4, v1
	global_store_b64 v[2:3], v[4:5], off
	s_branch .LBB14_305
.LBB14_304:
	s_mov_b32 s22, 0
.LBB14_305:
	s_delay_alu instid0(SALU_CYCLE_1)
	s_and_b32 vcc_lo, exec_lo, s22
	s_cbranch_vccz .LBB14_321
; %bb.306:
	s_cmp_lt_i32 s20, 27
	s_mov_b32 s21, -1
	s_cbranch_scc1 .LBB14_312
; %bb.307:
	s_wait_xcnt 0x0
	v_cvt_u32_f32_e32 v1, v0
	s_cmp_gt_i32 s20, 27
	s_cbranch_scc0 .LBB14_309
; %bb.308:
	s_mov_b32 s21, 0
	global_store_b32 v[2:3], v1, off
.LBB14_309:
	s_and_not1_b32 vcc_lo, exec_lo, s21
	s_cbranch_vccnz .LBB14_311
; %bb.310:
	global_store_b16 v[2:3], v1, off
.LBB14_311:
	s_mov_b32 s21, 0
.LBB14_312:
	s_delay_alu instid0(SALU_CYCLE_1)
	s_and_not1_b32 vcc_lo, exec_lo, s21
	s_cbranch_vccnz .LBB14_320
; %bb.313:
	s_wait_xcnt 0x0
	v_and_b32_e32 v1, 0x7fffffff, v0
	v_mov_b32_e32 v4, 0x80
	s_mov_b32 s21, exec_lo
	s_delay_alu instid0(VALU_DEP_2)
	v_cmpx_gt_u32_e32 0x43800000, v1
	s_cbranch_execz .LBB14_319
; %bb.314:
	v_cmp_lt_u32_e32 vcc_lo, 0x3bffffff, v1
	s_mov_b32 s22, 0
                                        ; implicit-def: $vgpr1
	s_and_saveexec_b32 s23, vcc_lo
	s_delay_alu instid0(SALU_CYCLE_1)
	s_xor_b32 s23, exec_lo, s23
	s_cbranch_execz .LBB14_532
; %bb.315:
	v_bfe_u32 v1, v0, 20, 1
	s_mov_b32 s22, exec_lo
	s_delay_alu instid0(VALU_DEP_1) | instskip(NEXT) | instid1(VALU_DEP_1)
	v_add3_u32 v1, v0, v1, 0x487ffff
	v_lshrrev_b32_e32 v1, 20, v1
	s_and_not1_saveexec_b32 s23, s23
	s_cbranch_execnz .LBB14_533
.LBB14_316:
	s_or_b32 exec_lo, exec_lo, s23
	v_mov_b32_e32 v4, 0
	s_and_saveexec_b32 s23, s22
.LBB14_317:
	v_lshrrev_b32_e32 v4, 24, v0
	s_delay_alu instid0(VALU_DEP_1)
	v_and_or_b32 v4, 0x80, v4, v1
.LBB14_318:
	s_or_b32 exec_lo, exec_lo, s23
.LBB14_319:
	s_delay_alu instid0(SALU_CYCLE_1)
	s_or_b32 exec_lo, exec_lo, s21
	global_store_b8 v[2:3], v4, off
.LBB14_320:
	s_mov_b32 s21, -1
.LBB14_321:
	s_mov_b32 s22, 0
.LBB14_322:
	s_delay_alu instid0(SALU_CYCLE_1)
	s_and_b32 vcc_lo, exec_lo, s22
	s_cbranch_vccz .LBB14_363
; %bb.323:
	s_cmp_gt_i32 s20, 22
	s_mov_b32 s22, -1
	s_cbranch_scc0 .LBB14_355
; %bb.324:
	s_cmp_lt_i32 s20, 24
	s_mov_b32 s21, -1
	s_cbranch_scc1 .LBB14_344
; %bb.325:
	s_cmp_gt_i32 s20, 24
	s_cbranch_scc0 .LBB14_333
; %bb.326:
	s_wait_xcnt 0x0
	v_and_b32_e32 v1, 0x7fffffff, v0
	v_mov_b32_e32 v4, 0x80
	s_mov_b32 s21, exec_lo
	s_delay_alu instid0(VALU_DEP_2)
	v_cmpx_gt_u32_e32 0x47800000, v1
	s_cbranch_execz .LBB14_332
; %bb.327:
	v_cmp_lt_u32_e32 vcc_lo, 0x37ffffff, v1
	s_mov_b32 s22, 0
                                        ; implicit-def: $vgpr1
	s_and_saveexec_b32 s23, vcc_lo
	s_delay_alu instid0(SALU_CYCLE_1)
	s_xor_b32 s23, exec_lo, s23
	s_cbranch_execz .LBB14_535
; %bb.328:
	v_bfe_u32 v1, v0, 21, 1
	s_mov_b32 s22, exec_lo
	s_delay_alu instid0(VALU_DEP_1) | instskip(NEXT) | instid1(VALU_DEP_1)
	v_add3_u32 v1, v0, v1, 0x88fffff
	v_lshrrev_b32_e32 v1, 21, v1
	s_and_not1_saveexec_b32 s23, s23
	s_cbranch_execnz .LBB14_536
.LBB14_329:
	s_or_b32 exec_lo, exec_lo, s23
	v_mov_b32_e32 v4, 0
	s_and_saveexec_b32 s23, s22
.LBB14_330:
	v_lshrrev_b32_e32 v4, 24, v0
	s_delay_alu instid0(VALU_DEP_1)
	v_and_or_b32 v4, 0x80, v4, v1
.LBB14_331:
	s_or_b32 exec_lo, exec_lo, s23
.LBB14_332:
	s_delay_alu instid0(SALU_CYCLE_1)
	s_or_b32 exec_lo, exec_lo, s21
	s_mov_b32 s21, 0
	global_store_b8 v[2:3], v4, off
.LBB14_333:
	s_and_b32 vcc_lo, exec_lo, s21
	s_cbranch_vccz .LBB14_343
; %bb.334:
	s_wait_xcnt 0x0
	v_and_b32_e32 v4, 0x7fffffff, v0
	s_mov_b32 s21, exec_lo
                                        ; implicit-def: $vgpr1
	s_delay_alu instid0(VALU_DEP_1)
	v_cmpx_gt_u32_e32 0x43f00000, v4
	s_xor_b32 s21, exec_lo, s21
	s_cbranch_execz .LBB14_340
; %bb.335:
	s_mov_b32 s22, exec_lo
                                        ; implicit-def: $vgpr1
	v_cmpx_lt_u32_e32 0x3c7fffff, v4
	s_xor_b32 s22, exec_lo, s22
; %bb.336:
	v_bfe_u32 v1, v0, 20, 1
	s_delay_alu instid0(VALU_DEP_1) | instskip(NEXT) | instid1(VALU_DEP_1)
	v_add3_u32 v1, v0, v1, 0x407ffff
	v_and_b32_e32 v4, 0xff00000, v1
	v_lshrrev_b32_e32 v1, 20, v1
	s_delay_alu instid0(VALU_DEP_2) | instskip(NEXT) | instid1(VALU_DEP_2)
	v_cmp_ne_u32_e32 vcc_lo, 0x7f00000, v4
	v_cndmask_b32_e32 v1, 0x7e, v1, vcc_lo
; %bb.337:
	s_and_not1_saveexec_b32 s22, s22
; %bb.338:
	v_add_f32_e64 v1, 0x46800000, |v0|
; %bb.339:
	s_or_b32 exec_lo, exec_lo, s22
                                        ; implicit-def: $vgpr4
.LBB14_340:
	s_and_not1_saveexec_b32 s21, s21
; %bb.341:
	v_mov_b32_e32 v1, 0x7f
	v_cmp_lt_u32_e32 vcc_lo, 0x7f800000, v4
	s_delay_alu instid0(VALU_DEP_2)
	v_cndmask_b32_e32 v1, 0x7e, v1, vcc_lo
; %bb.342:
	s_or_b32 exec_lo, exec_lo, s21
	v_lshrrev_b32_e32 v4, 24, v0
	s_delay_alu instid0(VALU_DEP_1)
	v_and_or_b32 v1, 0x80, v4, v1
	global_store_b8 v[2:3], v1, off
.LBB14_343:
	s_mov_b32 s21, 0
.LBB14_344:
	s_delay_alu instid0(SALU_CYCLE_1)
	s_and_not1_b32 vcc_lo, exec_lo, s21
	s_cbranch_vccnz .LBB14_354
; %bb.345:
	s_wait_xcnt 0x0
	v_and_b32_e32 v4, 0x7fffffff, v0
	s_mov_b32 s21, exec_lo
                                        ; implicit-def: $vgpr1
	s_delay_alu instid0(VALU_DEP_1)
	v_cmpx_gt_u32_e32 0x47800000, v4
	s_xor_b32 s21, exec_lo, s21
	s_cbranch_execz .LBB14_351
; %bb.346:
	s_mov_b32 s22, exec_lo
                                        ; implicit-def: $vgpr1
	v_cmpx_lt_u32_e32 0x387fffff, v4
	s_xor_b32 s22, exec_lo, s22
; %bb.347:
	v_bfe_u32 v1, v0, 21, 1
	s_delay_alu instid0(VALU_DEP_1) | instskip(NEXT) | instid1(VALU_DEP_1)
	v_add3_u32 v1, v0, v1, 0x80fffff
	v_lshrrev_b32_e32 v1, 21, v1
; %bb.348:
	s_and_not1_saveexec_b32 s22, s22
; %bb.349:
	v_add_f32_e64 v1, 0x43000000, |v0|
; %bb.350:
	s_or_b32 exec_lo, exec_lo, s22
                                        ; implicit-def: $vgpr4
.LBB14_351:
	s_and_not1_saveexec_b32 s21, s21
; %bb.352:
	v_mov_b32_e32 v1, 0x7f
	v_cmp_lt_u32_e32 vcc_lo, 0x7f800000, v4
	s_delay_alu instid0(VALU_DEP_2)
	v_cndmask_b32_e32 v1, 0x7c, v1, vcc_lo
; %bb.353:
	s_or_b32 exec_lo, exec_lo, s21
	v_lshrrev_b32_e32 v4, 24, v0
	s_delay_alu instid0(VALU_DEP_1)
	v_and_or_b32 v1, 0x80, v4, v1
	global_store_b8 v[2:3], v1, off
.LBB14_354:
	s_mov_b32 s22, 0
	s_mov_b32 s21, -1
.LBB14_355:
	s_and_not1_b32 vcc_lo, exec_lo, s22
	s_cbranch_vccnz .LBB14_363
; %bb.356:
	s_cmp_gt_i32 s20, 14
	s_mov_b32 s22, -1
	s_cbranch_scc0 .LBB14_360
; %bb.357:
	s_cmp_eq_u32 s20, 15
	s_mov_b32 s0, -1
	s_cbranch_scc0 .LBB14_359
; %bb.358:
	s_wait_xcnt 0x0
	v_bfe_u32 v1, v0, 16, 1
	v_cmp_o_f32_e32 vcc_lo, v0, v0
	s_mov_b32 s21, -1
	s_mov_b32 s0, 0
	s_delay_alu instid0(VALU_DEP_2) | instskip(NEXT) | instid1(VALU_DEP_1)
	v_add3_u32 v1, v0, v1, 0x7fff
	v_lshrrev_b32_e32 v1, 16, v1
	s_delay_alu instid0(VALU_DEP_1)
	v_cndmask_b32_e32 v1, 0x7fc0, v1, vcc_lo
	global_store_b16 v[2:3], v1, off
.LBB14_359:
	s_mov_b32 s22, 0
.LBB14_360:
	s_delay_alu instid0(SALU_CYCLE_1)
	s_and_b32 vcc_lo, exec_lo, s22
	s_cbranch_vccz .LBB14_363
; %bb.361:
	s_cmp_eq_u32 s20, 11
	s_mov_b32 s0, -1
	s_cbranch_scc0 .LBB14_363
; %bb.362:
	v_cmp_neq_f32_e32 vcc_lo, 0, v0
	s_mov_b32 s0, 0
	s_mov_b32 s21, -1
	s_wait_xcnt 0x0
	v_cndmask_b32_e64 v1, 0, 1, vcc_lo
	global_store_b8 v[2:3], v1, off
.LBB14_363:
	s_mov_b32 s20, 0
.LBB14_364:
	s_delay_alu instid0(SALU_CYCLE_1)
	s_and_b32 vcc_lo, exec_lo, s20
	s_cbranch_vccz .LBB14_403
; %bb.365:
	s_and_b32 s18, 0xffff, s18
	s_mov_b32 s20, -1
	s_cmp_lt_i32 s18, 5
	s_cbranch_scc1 .LBB14_386
; %bb.366:
	s_cmp_lt_i32 s18, 8
	s_cbranch_scc1 .LBB14_376
; %bb.367:
	;; [unrolled: 3-line block ×3, first 2 shown]
	s_cmp_gt_i32 s18, 9
	s_cbranch_scc0 .LBB14_370
; %bb.369:
	s_wait_xcnt 0x0
	v_cvt_f64_f32_e32 v[4:5], v0
	v_mov_b32_e32 v6, 0
	s_mov_b32 s20, 0
	s_delay_alu instid0(VALU_DEP_1)
	v_mov_b32_e32 v7, v6
	global_store_b128 v[2:3], v[4:7], off
.LBB14_370:
	s_and_not1_b32 vcc_lo, exec_lo, s20
	s_cbranch_vccnz .LBB14_372
; %bb.371:
	s_wait_xcnt 0x0
	v_mov_b32_e32 v1, 0
	global_store_b64 v[2:3], v[0:1], off
.LBB14_372:
	s_mov_b32 s20, 0
.LBB14_373:
	s_delay_alu instid0(SALU_CYCLE_1)
	s_and_not1_b32 vcc_lo, exec_lo, s20
	s_cbranch_vccnz .LBB14_375
; %bb.374:
	s_wait_xcnt 0x0
	v_cvt_f16_f32_e32 v1, v0
	s_delay_alu instid0(VALU_DEP_1)
	v_and_b32_e32 v1, 0xffff, v1
	global_store_b32 v[2:3], v1, off
.LBB14_375:
	s_mov_b32 s20, 0
.LBB14_376:
	s_delay_alu instid0(SALU_CYCLE_1)
	s_and_not1_b32 vcc_lo, exec_lo, s20
	s_cbranch_vccnz .LBB14_385
; %bb.377:
	s_cmp_lt_i32 s18, 6
	s_mov_b32 s20, -1
	s_cbranch_scc1 .LBB14_383
; %bb.378:
	s_cmp_gt_i32 s18, 6
	s_cbranch_scc0 .LBB14_380
; %bb.379:
	s_wait_xcnt 0x0
	v_cvt_f64_f32_e32 v[4:5], v0
	s_mov_b32 s20, 0
	global_store_b64 v[2:3], v[4:5], off
.LBB14_380:
	s_and_not1_b32 vcc_lo, exec_lo, s20
	s_cbranch_vccnz .LBB14_382
; %bb.381:
	global_store_b32 v[2:3], v0, off
.LBB14_382:
	s_mov_b32 s20, 0
.LBB14_383:
	s_delay_alu instid0(SALU_CYCLE_1)
	s_and_not1_b32 vcc_lo, exec_lo, s20
	s_cbranch_vccnz .LBB14_385
; %bb.384:
	s_wait_xcnt 0x0
	v_cvt_f16_f32_e32 v1, v0
	global_store_b16 v[2:3], v1, off
.LBB14_385:
	s_mov_b32 s20, 0
.LBB14_386:
	s_delay_alu instid0(SALU_CYCLE_1)
	s_and_not1_b32 vcc_lo, exec_lo, s20
	s_cbranch_vccnz .LBB14_402
; %bb.387:
	s_cmp_lt_i32 s18, 2
	s_mov_b32 s20, -1
	s_cbranch_scc1 .LBB14_397
; %bb.388:
	s_cmp_lt_i32 s18, 3
	s_cbranch_scc1 .LBB14_394
; %bb.389:
	s_cmp_gt_i32 s18, 3
	s_cbranch_scc0 .LBB14_391
; %bb.390:
	s_wait_xcnt 0x0
	v_trunc_f32_e32 v1, v0
	s_mov_b32 s20, 0
	s_delay_alu instid0(VALU_DEP_1) | instskip(NEXT) | instid1(VALU_DEP_1)
	v_mul_f32_e64 v4, 0x2f800000, |v1|
	v_floor_f32_e32 v5, v4
	v_ashrrev_i32_e32 v4, 31, v1
	s_delay_alu instid0(VALU_DEP_2) | instskip(SKIP_1) | instid1(VALU_DEP_3)
	v_fma_f32 v6, 0xcf800000, v5, |v1|
	v_cvt_u32_f32_e32 v1, v5
	v_mov_b32_e32 v5, v4
	s_delay_alu instid0(VALU_DEP_3) | instskip(NEXT) | instid1(VALU_DEP_3)
	v_cvt_u32_f32_e32 v6, v6
	v_xor_b32_e32 v7, v1, v4
	s_delay_alu instid0(VALU_DEP_2) | instskip(NEXT) | instid1(VALU_DEP_1)
	v_xor_b32_e32 v6, v6, v4
	v_sub_nc_u64_e32 v[4:5], v[6:7], v[4:5]
	global_store_b64 v[2:3], v[4:5], off
.LBB14_391:
	s_and_not1_b32 vcc_lo, exec_lo, s20
	s_cbranch_vccnz .LBB14_393
; %bb.392:
	s_wait_xcnt 0x0
	v_cvt_i32_f32_e32 v1, v0
	global_store_b32 v[2:3], v1, off
.LBB14_393:
	s_mov_b32 s20, 0
.LBB14_394:
	s_delay_alu instid0(SALU_CYCLE_1)
	s_and_not1_b32 vcc_lo, exec_lo, s20
	s_cbranch_vccnz .LBB14_396
; %bb.395:
	s_wait_xcnt 0x0
	v_cvt_i32_f32_e32 v1, v0
	global_store_b16 v[2:3], v1, off
.LBB14_396:
	s_mov_b32 s20, 0
.LBB14_397:
	s_delay_alu instid0(SALU_CYCLE_1)
	s_and_not1_b32 vcc_lo, exec_lo, s20
	s_cbranch_vccnz .LBB14_402
; %bb.398:
	s_cmp_gt_i32 s18, 0
	s_mov_b32 s18, -1
	s_cbranch_scc0 .LBB14_400
; %bb.399:
	s_wait_xcnt 0x0
	v_cvt_i32_f32_e32 v1, v0
	s_mov_b32 s18, 0
	global_store_b8 v[2:3], v1, off
.LBB14_400:
	s_and_not1_b32 vcc_lo, exec_lo, s18
	s_cbranch_vccnz .LBB14_402
; %bb.401:
	s_wait_xcnt 0x0
	v_trunc_f32_e32 v0, v0
	s_delay_alu instid0(VALU_DEP_1) | instskip(NEXT) | instid1(VALU_DEP_1)
	v_mul_f32_e64 v1, 0x2f800000, |v0|
	v_floor_f32_e32 v1, v1
	s_delay_alu instid0(VALU_DEP_1) | instskip(SKIP_1) | instid1(VALU_DEP_2)
	v_fma_f32 v1, 0xcf800000, v1, |v0|
	v_ashrrev_i32_e32 v0, 31, v0
	v_cvt_u32_f32_e32 v1, v1
	s_delay_alu instid0(VALU_DEP_1) | instskip(NEXT) | instid1(VALU_DEP_1)
	v_xor_b32_e32 v1, v1, v0
	v_sub_nc_u32_e32 v0, v1, v0
	global_store_b8 v[2:3], v0, off
.LBB14_402:
	s_mov_b32 s21, -1
.LBB14_403:
	s_delay_alu instid0(SALU_CYCLE_1)
	s_and_not1_b32 vcc_lo, exec_lo, s21
	s_cbranch_vccnz .LBB14_405
; %bb.404:
	v_add_nc_u32_e32 v10, 0x80, v10
	s_mov_b32 s20, -1
	s_branch .LBB14_518
.LBB14_405:
	s_mov_b32 s20, 0
	s_branch .LBB14_517
.LBB14_406:
	s_mov_b32 s17, -1
                                        ; implicit-def: $vgpr0
.LBB14_407:
	s_mov_b32 s20, 0
.LBB14_408:
	s_delay_alu instid0(SALU_CYCLE_1)
	s_and_b32 vcc_lo, exec_lo, s20
	s_cbranch_vccz .LBB14_412
; %bb.409:
	s_cmp_eq_u32 s0, 29
	s_cbranch_scc0 .LBB14_411
; %bb.410:
	global_load_b64 v[0:1], v[2:3], off
	s_mov_b32 s18, -1
	s_mov_b32 s17, 0
	s_mov_b32 s20, 0
	s_wait_loadcnt 0x0
	v_clz_i32_u32_e32 v4, v1
	s_delay_alu instid0(VALU_DEP_1) | instskip(NEXT) | instid1(VALU_DEP_1)
	v_min_u32_e32 v4, 32, v4
	v_lshlrev_b64_e32 v[0:1], v4, v[0:1]
	s_delay_alu instid0(VALU_DEP_1) | instskip(NEXT) | instid1(VALU_DEP_1)
	v_min_u32_e32 v0, 1, v0
	v_or_b32_e32 v0, v1, v0
	v_sub_nc_u32_e32 v1, 32, v4
	s_delay_alu instid0(VALU_DEP_2) | instskip(NEXT) | instid1(VALU_DEP_1)
	v_cvt_f32_u32_e32 v0, v0
	v_ldexp_f32 v0, v0, v1
	s_branch .LBB14_413
.LBB14_411:
	s_mov_b32 s17, -1
                                        ; implicit-def: $vgpr0
.LBB14_412:
	s_mov_b32 s20, 0
.LBB14_413:
	s_delay_alu instid0(SALU_CYCLE_1)
	s_and_b32 vcc_lo, exec_lo, s20
	s_cbranch_vccz .LBB14_431
; %bb.414:
	s_cmp_lt_i32 s0, 27
	s_cbranch_scc1 .LBB14_417
; %bb.415:
	s_cmp_gt_i32 s0, 27
	s_cbranch_scc0 .LBB14_418
; %bb.416:
	global_load_b32 v0, v[2:3], off
	s_mov_b32 s18, 0
	s_wait_loadcnt 0x0
	v_cvt_f32_u32_e32 v0, v0
	s_branch .LBB14_419
.LBB14_417:
	s_mov_b32 s18, -1
                                        ; implicit-def: $vgpr0
	s_branch .LBB14_422
.LBB14_418:
	s_mov_b32 s18, -1
                                        ; implicit-def: $vgpr0
.LBB14_419:
	s_delay_alu instid0(SALU_CYCLE_1)
	s_and_not1_b32 vcc_lo, exec_lo, s18
	s_cbranch_vccnz .LBB14_421
; %bb.420:
	global_load_u16 v0, v[2:3], off
	s_wait_loadcnt 0x0
	v_cvt_f32_u32_e32 v0, v0
.LBB14_421:
	s_mov_b32 s18, 0
.LBB14_422:
	s_delay_alu instid0(SALU_CYCLE_1)
	s_and_not1_b32 vcc_lo, exec_lo, s18
	s_cbranch_vccnz .LBB14_430
; %bb.423:
	global_load_u8 v1, v[2:3], off
	s_mov_b32 s18, 0
	s_mov_b32 s20, exec_lo
	s_wait_loadcnt 0x0
	v_cmpx_lt_i16_e32 0x7f, v1
	s_xor_b32 s20, exec_lo, s20
	s_cbranch_execz .LBB14_444
; %bb.424:
	s_mov_b32 s18, -1
	s_mov_b32 s21, exec_lo
	v_cmpx_eq_u16_e32 0x80, v1
; %bb.425:
	s_xor_b32 s18, exec_lo, -1
; %bb.426:
	s_or_b32 exec_lo, exec_lo, s21
	s_delay_alu instid0(SALU_CYCLE_1)
	s_and_b32 s18, s18, exec_lo
	s_or_saveexec_b32 s20, s20
	v_mov_b32_e32 v0, 0x7f800001
	s_xor_b32 exec_lo, exec_lo, s20
	s_cbranch_execnz .LBB14_445
.LBB14_427:
	s_or_b32 exec_lo, exec_lo, s20
	s_and_saveexec_b32 s20, s18
	s_cbranch_execz .LBB14_429
.LBB14_428:
	v_and_b32_e32 v0, 0xffff, v1
	s_delay_alu instid0(VALU_DEP_1) | instskip(SKIP_1) | instid1(VALU_DEP_2)
	v_and_b32_e32 v4, 7, v0
	v_bfe_u32 v7, v0, 3, 4
	v_clz_i32_u32_e32 v5, v4
	s_delay_alu instid0(VALU_DEP_2) | instskip(NEXT) | instid1(VALU_DEP_2)
	v_cmp_eq_u32_e32 vcc_lo, 0, v7
	v_min_u32_e32 v5, 32, v5
	s_delay_alu instid0(VALU_DEP_1) | instskip(NEXT) | instid1(VALU_DEP_1)
	v_subrev_nc_u32_e32 v6, 28, v5
	v_dual_lshlrev_b32 v0, v6, v0 :: v_dual_sub_nc_u32 v5, 29, v5
	s_delay_alu instid0(VALU_DEP_1) | instskip(NEXT) | instid1(VALU_DEP_1)
	v_dual_lshlrev_b32 v1, 24, v1 :: v_dual_bitop2_b32 v0, 7, v0 bitop3:0x40
	v_dual_cndmask_b32 v0, v4, v0 :: v_dual_cndmask_b32 v5, v7, v5
	s_delay_alu instid0(VALU_DEP_2) | instskip(NEXT) | instid1(VALU_DEP_2)
	v_and_b32_e32 v1, 0x80000000, v1
	v_lshlrev_b32_e32 v0, 20, v0
	s_delay_alu instid0(VALU_DEP_3) | instskip(NEXT) | instid1(VALU_DEP_1)
	v_lshl_add_u32 v4, v5, 23, 0x3b800000
	v_or3_b32 v0, v1, v4, v0
.LBB14_429:
	s_or_b32 exec_lo, exec_lo, s20
.LBB14_430:
	s_mov_b32 s18, -1
.LBB14_431:
	s_mov_b32 s20, 0
.LBB14_432:
	s_delay_alu instid0(SALU_CYCLE_1)
	s_and_b32 vcc_lo, exec_lo, s20
	s_cbranch_vccz .LBB14_467
; %bb.433:
	s_cmp_gt_i32 s0, 22
	s_cbranch_scc0 .LBB14_443
; %bb.434:
	s_cmp_lt_i32 s0, 24
	s_cbranch_scc1 .LBB14_446
; %bb.435:
	s_cmp_gt_i32 s0, 24
	s_cbranch_scc0 .LBB14_447
; %bb.436:
	global_load_u8 v1, v[2:3], off
	s_mov_b32 s18, 0
	s_mov_b32 s20, exec_lo
	s_wait_loadcnt 0x0
	v_cmpx_lt_i16_e32 0x7f, v1
	s_xor_b32 s20, exec_lo, s20
	s_cbranch_execz .LBB14_459
; %bb.437:
	s_mov_b32 s18, -1
	s_mov_b32 s21, exec_lo
	v_cmpx_eq_u16_e32 0x80, v1
; %bb.438:
	s_xor_b32 s18, exec_lo, -1
; %bb.439:
	s_or_b32 exec_lo, exec_lo, s21
	s_delay_alu instid0(SALU_CYCLE_1)
	s_and_b32 s18, s18, exec_lo
	s_or_saveexec_b32 s20, s20
	v_mov_b32_e32 v0, 0x7f800001
	s_xor_b32 exec_lo, exec_lo, s20
	s_cbranch_execnz .LBB14_460
.LBB14_440:
	s_or_b32 exec_lo, exec_lo, s20
	s_and_saveexec_b32 s20, s18
	s_cbranch_execz .LBB14_442
.LBB14_441:
	v_and_b32_e32 v0, 0xffff, v1
	s_delay_alu instid0(VALU_DEP_1) | instskip(SKIP_1) | instid1(VALU_DEP_2)
	v_and_b32_e32 v4, 3, v0
	v_bfe_u32 v7, v0, 2, 5
	v_clz_i32_u32_e32 v5, v4
	s_delay_alu instid0(VALU_DEP_2) | instskip(NEXT) | instid1(VALU_DEP_2)
	v_cmp_eq_u32_e32 vcc_lo, 0, v7
	v_min_u32_e32 v5, 32, v5
	s_delay_alu instid0(VALU_DEP_1) | instskip(NEXT) | instid1(VALU_DEP_1)
	v_subrev_nc_u32_e32 v6, 29, v5
	v_dual_lshlrev_b32 v0, v6, v0 :: v_dual_sub_nc_u32 v5, 30, v5
	s_delay_alu instid0(VALU_DEP_1) | instskip(NEXT) | instid1(VALU_DEP_1)
	v_dual_lshlrev_b32 v1, 24, v1 :: v_dual_bitop2_b32 v0, 3, v0 bitop3:0x40
	v_dual_cndmask_b32 v0, v4, v0 :: v_dual_cndmask_b32 v5, v7, v5
	s_delay_alu instid0(VALU_DEP_2) | instskip(NEXT) | instid1(VALU_DEP_2)
	v_and_b32_e32 v1, 0x80000000, v1
	v_lshlrev_b32_e32 v0, 21, v0
	s_delay_alu instid0(VALU_DEP_3) | instskip(NEXT) | instid1(VALU_DEP_1)
	v_lshl_add_u32 v4, v5, 23, 0x37800000
	v_or3_b32 v0, v1, v4, v0
.LBB14_442:
	s_or_b32 exec_lo, exec_lo, s20
	s_mov_b32 s18, 0
	s_branch .LBB14_448
.LBB14_443:
	s_mov_b32 s20, -1
                                        ; implicit-def: $vgpr0
	s_branch .LBB14_454
.LBB14_444:
	s_or_saveexec_b32 s20, s20
	v_mov_b32_e32 v0, 0x7f800001
	s_xor_b32 exec_lo, exec_lo, s20
	s_cbranch_execz .LBB14_427
.LBB14_445:
	v_cmp_ne_u16_e32 vcc_lo, 0, v1
	v_mov_b32_e32 v0, 0
	s_and_not1_b32 s18, s18, exec_lo
	s_and_b32 s21, vcc_lo, exec_lo
	s_delay_alu instid0(SALU_CYCLE_1)
	s_or_b32 s18, s18, s21
	s_or_b32 exec_lo, exec_lo, s20
	s_and_saveexec_b32 s20, s18
	s_cbranch_execnz .LBB14_428
	s_branch .LBB14_429
.LBB14_446:
	s_mov_b32 s18, -1
                                        ; implicit-def: $vgpr0
	s_branch .LBB14_451
.LBB14_447:
	s_mov_b32 s18, -1
                                        ; implicit-def: $vgpr0
.LBB14_448:
	s_delay_alu instid0(SALU_CYCLE_1)
	s_and_b32 vcc_lo, exec_lo, s18
	s_cbranch_vccz .LBB14_450
; %bb.449:
	global_load_u8 v0, v[2:3], off
	s_wait_loadcnt 0x0
	v_lshlrev_b32_e32 v0, 24, v0
	s_delay_alu instid0(VALU_DEP_1) | instskip(NEXT) | instid1(VALU_DEP_1)
	v_and_b32_e32 v1, 0x7f000000, v0
	v_clz_i32_u32_e32 v4, v1
	v_cmp_ne_u32_e32 vcc_lo, 0, v1
	v_add_nc_u32_e32 v6, 0x1000000, v1
	s_delay_alu instid0(VALU_DEP_3) | instskip(NEXT) | instid1(VALU_DEP_1)
	v_min_u32_e32 v4, 32, v4
	v_sub_nc_u32_e64 v4, v4, 4 clamp
	s_delay_alu instid0(VALU_DEP_1) | instskip(NEXT) | instid1(VALU_DEP_1)
	v_dual_lshlrev_b32 v5, v4, v1 :: v_dual_lshlrev_b32 v4, 23, v4
	v_lshrrev_b32_e32 v5, 4, v5
	s_delay_alu instid0(VALU_DEP_1) | instskip(NEXT) | instid1(VALU_DEP_1)
	v_dual_sub_nc_u32 v4, v5, v4 :: v_dual_ashrrev_i32 v5, 8, v6
	v_add_nc_u32_e32 v4, 0x3c000000, v4
	s_delay_alu instid0(VALU_DEP_1) | instskip(NEXT) | instid1(VALU_DEP_1)
	v_and_or_b32 v4, 0x7f800000, v5, v4
	v_cndmask_b32_e32 v1, 0, v4, vcc_lo
	s_delay_alu instid0(VALU_DEP_1)
	v_and_or_b32 v0, 0x80000000, v0, v1
.LBB14_450:
	s_mov_b32 s18, 0
.LBB14_451:
	s_delay_alu instid0(SALU_CYCLE_1)
	s_and_not1_b32 vcc_lo, exec_lo, s18
	s_cbranch_vccnz .LBB14_453
; %bb.452:
	global_load_u8 v0, v[2:3], off
	s_wait_loadcnt 0x0
	v_lshlrev_b32_e32 v1, 25, v0
	v_lshlrev_b16 v0, 8, v0
	s_delay_alu instid0(VALU_DEP_1) | instskip(SKIP_1) | instid1(VALU_DEP_2)
	v_and_or_b32 v5, 0x7f00, v0, 0.5
	v_bfe_i32 v0, v0, 0, 16
	v_add_f32_e32 v5, -0.5, v5
	v_lshrrev_b32_e32 v4, 4, v1
	v_cmp_gt_u32_e32 vcc_lo, 0x8000000, v1
	s_delay_alu instid0(VALU_DEP_2) | instskip(NEXT) | instid1(VALU_DEP_1)
	v_or_b32_e32 v4, 0x70000000, v4
	v_mul_f32_e32 v4, 0x7800000, v4
	s_delay_alu instid0(VALU_DEP_1) | instskip(NEXT) | instid1(VALU_DEP_1)
	v_cndmask_b32_e32 v1, v4, v5, vcc_lo
	v_and_or_b32 v0, 0x80000000, v0, v1
.LBB14_453:
	s_mov_b32 s20, 0
	s_mov_b32 s18, -1
.LBB14_454:
	s_and_not1_b32 vcc_lo, exec_lo, s20
	s_cbranch_vccnz .LBB14_467
; %bb.455:
	s_cmp_gt_i32 s0, 14
	s_cbranch_scc0 .LBB14_458
; %bb.456:
	s_cmp_eq_u32 s0, 15
	s_cbranch_scc0 .LBB14_461
; %bb.457:
	global_load_u16 v0, v[2:3], off
	s_mov_b32 s18, -1
	s_mov_b32 s17, 0
	s_wait_loadcnt 0x0
	v_lshlrev_b32_e32 v0, 16, v0
	s_branch .LBB14_462
.LBB14_458:
	s_mov_b32 s20, -1
                                        ; implicit-def: $vgpr0
	s_branch .LBB14_463
.LBB14_459:
	s_or_saveexec_b32 s20, s20
	v_mov_b32_e32 v0, 0x7f800001
	s_xor_b32 exec_lo, exec_lo, s20
	s_cbranch_execz .LBB14_440
.LBB14_460:
	v_cmp_ne_u16_e32 vcc_lo, 0, v1
	v_mov_b32_e32 v0, 0
	s_and_not1_b32 s18, s18, exec_lo
	s_and_b32 s21, vcc_lo, exec_lo
	s_delay_alu instid0(SALU_CYCLE_1)
	s_or_b32 s18, s18, s21
	s_or_b32 exec_lo, exec_lo, s20
	s_and_saveexec_b32 s20, s18
	s_cbranch_execnz .LBB14_441
	s_branch .LBB14_442
.LBB14_461:
	s_mov_b32 s17, -1
                                        ; implicit-def: $vgpr0
.LBB14_462:
	s_mov_b32 s20, 0
.LBB14_463:
	s_delay_alu instid0(SALU_CYCLE_1)
	s_and_b32 vcc_lo, exec_lo, s20
	s_cbranch_vccz .LBB14_467
; %bb.464:
	s_cmp_eq_u32 s0, 11
	s_cbranch_scc0 .LBB14_466
; %bb.465:
	global_load_u8 v0, v[2:3], off
	s_mov_b32 s17, 0
	s_mov_b32 s18, -1
	s_wait_loadcnt 0x0
	v_cmp_ne_u16_e32 vcc_lo, 0, v0
	v_cndmask_b32_e64 v0, 0, 1.0, vcc_lo
	s_branch .LBB14_467
.LBB14_466:
	s_mov_b32 s17, -1
                                        ; implicit-def: $vgpr0
.LBB14_467:
	s_branch .LBB14_267
.LBB14_468:
	s_cmp_lt_i32 s0, 5
	s_cbranch_scc1 .LBB14_473
; %bb.469:
	s_cmp_lt_i32 s0, 8
	s_cbranch_scc1 .LBB14_474
; %bb.470:
	;; [unrolled: 3-line block ×3, first 2 shown]
	s_cmp_gt_i32 s0, 9
	s_cbranch_scc0 .LBB14_476
; %bb.472:
	global_load_b64 v[0:1], v[2:3], off
	s_mov_b32 s18, 0
	s_wait_loadcnt 0x0
	v_cvt_f32_f64_e32 v0, v[0:1]
	s_branch .LBB14_477
.LBB14_473:
	s_mov_b32 s18, -1
                                        ; implicit-def: $vgpr0
	s_branch .LBB14_495
.LBB14_474:
	s_mov_b32 s18, -1
                                        ; implicit-def: $vgpr0
	s_branch .LBB14_483
.LBB14_475:
	s_mov_b32 s18, -1
                                        ; implicit-def: $vgpr0
	s_branch .LBB14_480
.LBB14_476:
	s_mov_b32 s18, -1
                                        ; implicit-def: $vgpr0
.LBB14_477:
	s_delay_alu instid0(SALU_CYCLE_1)
	s_and_not1_b32 vcc_lo, exec_lo, s18
	s_cbranch_vccnz .LBB14_479
; %bb.478:
	global_load_b32 v0, v[2:3], off
.LBB14_479:
	s_mov_b32 s18, 0
.LBB14_480:
	s_delay_alu instid0(SALU_CYCLE_1)
	s_and_not1_b32 vcc_lo, exec_lo, s18
	s_cbranch_vccnz .LBB14_482
; %bb.481:
	s_wait_loadcnt 0x0
	global_load_b32 v0, v[2:3], off
	s_wait_loadcnt 0x0
	v_cvt_f32_f16_e32 v0, v0
.LBB14_482:
	s_mov_b32 s18, 0
.LBB14_483:
	s_delay_alu instid0(SALU_CYCLE_1)
	s_and_not1_b32 vcc_lo, exec_lo, s18
	s_cbranch_vccnz .LBB14_494
; %bb.484:
	s_cmp_lt_i32 s0, 6
	s_cbranch_scc1 .LBB14_487
; %bb.485:
	s_cmp_gt_i32 s0, 6
	s_cbranch_scc0 .LBB14_488
; %bb.486:
	s_wait_loadcnt 0x0
	global_load_b64 v[0:1], v[2:3], off
	s_mov_b32 s18, 0
	s_wait_loadcnt 0x0
	v_cvt_f32_f64_e32 v0, v[0:1]
	s_branch .LBB14_489
.LBB14_487:
	s_mov_b32 s18, -1
                                        ; implicit-def: $vgpr0
	s_branch .LBB14_492
.LBB14_488:
	s_mov_b32 s18, -1
                                        ; implicit-def: $vgpr0
.LBB14_489:
	s_delay_alu instid0(SALU_CYCLE_1)
	s_and_not1_b32 vcc_lo, exec_lo, s18
	s_cbranch_vccnz .LBB14_491
; %bb.490:
	s_wait_loadcnt 0x0
	global_load_b32 v0, v[2:3], off
.LBB14_491:
	s_mov_b32 s18, 0
.LBB14_492:
	s_delay_alu instid0(SALU_CYCLE_1)
	s_and_not1_b32 vcc_lo, exec_lo, s18
	s_cbranch_vccnz .LBB14_494
; %bb.493:
	s_wait_loadcnt 0x0
	global_load_u16 v0, v[2:3], off
	s_wait_loadcnt 0x0
	v_cvt_f32_f16_e32 v0, v0
.LBB14_494:
	s_mov_b32 s18, 0
.LBB14_495:
	s_delay_alu instid0(SALU_CYCLE_1)
	s_and_not1_b32 vcc_lo, exec_lo, s18
	s_cbranch_vccnz .LBB14_515
; %bb.496:
	s_cmp_lt_i32 s0, 2
	s_cbranch_scc1 .LBB14_500
; %bb.497:
	s_cmp_lt_i32 s0, 3
	s_cbranch_scc1 .LBB14_501
; %bb.498:
	s_cmp_gt_i32 s0, 3
	s_cbranch_scc0 .LBB14_502
; %bb.499:
	s_wait_loadcnt 0x0
	global_load_b64 v[0:1], v[2:3], off
	s_mov_b32 s18, 0
	s_wait_loadcnt 0x0
	v_xor_b32_e32 v4, v0, v1
	v_cls_i32_e32 v5, v1
	s_delay_alu instid0(VALU_DEP_2) | instskip(NEXT) | instid1(VALU_DEP_1)
	v_ashrrev_i32_e32 v4, 31, v4
	v_add_nc_u32_e32 v4, 32, v4
	s_delay_alu instid0(VALU_DEP_1) | instskip(NEXT) | instid1(VALU_DEP_1)
	v_add_min_u32_e64 v4, v5, -1, v4
	v_lshlrev_b64_e32 v[0:1], v4, v[0:1]
	s_delay_alu instid0(VALU_DEP_1) | instskip(NEXT) | instid1(VALU_DEP_1)
	v_min_u32_e32 v0, 1, v0
	v_or_b32_e32 v0, v1, v0
	v_sub_nc_u32_e32 v1, 32, v4
	s_delay_alu instid0(VALU_DEP_2) | instskip(NEXT) | instid1(VALU_DEP_1)
	v_cvt_f32_i32_e32 v0, v0
	v_ldexp_f32 v0, v0, v1
	s_branch .LBB14_503
.LBB14_500:
	s_mov_b32 s18, -1
                                        ; implicit-def: $vgpr0
	s_branch .LBB14_509
.LBB14_501:
	s_mov_b32 s18, -1
                                        ; implicit-def: $vgpr0
	s_branch .LBB14_506
.LBB14_502:
	s_mov_b32 s18, -1
                                        ; implicit-def: $vgpr0
.LBB14_503:
	s_delay_alu instid0(SALU_CYCLE_1)
	s_and_not1_b32 vcc_lo, exec_lo, s18
	s_cbranch_vccnz .LBB14_505
; %bb.504:
	s_wait_loadcnt 0x0
	global_load_b32 v0, v[2:3], off
	s_wait_loadcnt 0x0
	v_cvt_f32_i32_e32 v0, v0
.LBB14_505:
	s_mov_b32 s18, 0
.LBB14_506:
	s_delay_alu instid0(SALU_CYCLE_1)
	s_and_not1_b32 vcc_lo, exec_lo, s18
	s_cbranch_vccnz .LBB14_508
; %bb.507:
	s_wait_loadcnt 0x0
	global_load_i16 v0, v[2:3], off
	s_wait_loadcnt 0x0
	v_cvt_f32_i32_e32 v0, v0
.LBB14_508:
	s_mov_b32 s18, 0
.LBB14_509:
	s_delay_alu instid0(SALU_CYCLE_1)
	s_and_not1_b32 vcc_lo, exec_lo, s18
	s_cbranch_vccnz .LBB14_515
; %bb.510:
	s_cmp_gt_i32 s0, 0
	s_mov_b32 s0, 0
	s_cbranch_scc0 .LBB14_512
; %bb.511:
	s_wait_loadcnt 0x0
	global_load_i8 v0, v[2:3], off
	s_wait_loadcnt 0x0
	v_cvt_f32_i32_e32 v0, v0
	s_branch .LBB14_513
.LBB14_512:
	s_mov_b32 s0, -1
                                        ; implicit-def: $vgpr0
.LBB14_513:
	s_delay_alu instid0(SALU_CYCLE_1)
	s_and_not1_b32 vcc_lo, exec_lo, s0
	s_cbranch_vccnz .LBB14_515
; %bb.514:
	s_wait_loadcnt 0x0
	global_load_u8 v0, v[2:3], off
	s_wait_loadcnt 0x0
	v_cvt_f32_ubyte0_e32 v0, v0
.LBB14_515:
	s_branch .LBB14_268
.LBB14_516:
	s_mov_b32 s20, 0
	s_mov_b32 s0, s13
.LBB14_517:
                                        ; implicit-def: $vgpr10
.LBB14_518:
	s_and_not1_b32 s18, s13, exec_lo
	s_and_b32 s0, s0, exec_lo
	s_and_not1_b32 s21, s15, exec_lo
	s_and_b32 s17, s17, exec_lo
	s_or_b32 s18, s18, s0
	s_or_b32 s17, s21, s17
	s_or_not1_b32 s0, s20, exec_lo
.LBB14_519:
	s_wait_xcnt 0x0
	s_or_b32 exec_lo, exec_lo, s19
	s_mov_b32 s20, 0
	s_mov_b32 s21, 0
	;; [unrolled: 1-line block ×3, first 2 shown]
                                        ; implicit-def: $vgpr2_vgpr3
                                        ; implicit-def: $vgpr0
	s_and_saveexec_b32 s19, s0
	s_cbranch_execz .LBB14_868
; %bb.520:
	s_mov_b32 s22, -1
	s_mov_b32 s0, s17
	s_mov_b32 s21, s18
	s_mov_b32 s20, exec_lo
	v_cmpx_gt_i32_e64 s14, v10
	s_cbranch_execz .LBB14_782
; %bb.521:
	s_wait_loadcnt 0x0
	v_mul_lo_u32 v0, v10, s9
	s_and_b32 s0, 0xffff, s3
	s_delay_alu instid0(SALU_CYCLE_1) | instskip(NEXT) | instid1(VALU_DEP_1)
	s_cmp_lt_i32 s0, 11
	v_ashrrev_i32_e32 v1, 31, v0
	s_delay_alu instid0(VALU_DEP_1)
	v_add_nc_u64_e32 v[2:3], s[6:7], v[0:1]
	s_cbranch_scc1 .LBB14_528
; %bb.522:
	s_cmp_gt_i32 s0, 25
	s_cbranch_scc0 .LBB14_529
; %bb.523:
	s_cmp_gt_i32 s0, 28
	s_cbranch_scc0 .LBB14_530
	;; [unrolled: 3-line block ×4, first 2 shown]
; %bb.526:
	s_cmp_eq_u32 s0, 46
	s_mov_b32 s23, 0
	s_cbranch_scc0 .LBB14_537
; %bb.527:
	global_load_b32 v0, v[2:3], off
	s_mov_b32 s21, 0
	s_wait_loadcnt 0x0
	v_lshlrev_b32_e32 v0, 16, v0
	s_branch .LBB14_539
.LBB14_528:
	s_mov_b32 s23, -1
	s_mov_b32 s22, 0
	s_mov_b32 s21, s17
                                        ; implicit-def: $vgpr0
	s_branch .LBB14_604
.LBB14_529:
	s_mov_b32 s23, -1
	s_mov_b32 s22, 0
	s_mov_b32 s21, s17
                                        ; implicit-def: $vgpr0
	s_branch .LBB14_568
.LBB14_530:
	s_mov_b32 s23, -1
	s_mov_b32 s22, 0
	s_mov_b32 s21, s17
                                        ; implicit-def: $vgpr0
	s_branch .LBB14_549
.LBB14_531:
	s_mov_b32 s23, -1
	s_mov_b32 s22, 0
	s_mov_b32 s21, s17
                                        ; implicit-def: $vgpr0
	s_branch .LBB14_544
.LBB14_532:
	s_and_not1_saveexec_b32 s23, s23
	s_cbranch_execz .LBB14_316
.LBB14_533:
	v_add_f32_e64 v1, 0x46000000, |v0|
	s_and_not1_b32 s22, s22, exec_lo
	s_delay_alu instid0(VALU_DEP_1) | instskip(NEXT) | instid1(VALU_DEP_1)
	v_and_b32_e32 v1, 0xff, v1
	v_cmp_ne_u32_e32 vcc_lo, 0, v1
	s_and_b32 s24, vcc_lo, exec_lo
	s_delay_alu instid0(SALU_CYCLE_1)
	s_or_b32 s22, s22, s24
	s_or_b32 exec_lo, exec_lo, s23
	v_mov_b32_e32 v4, 0
	s_and_saveexec_b32 s23, s22
	s_cbranch_execnz .LBB14_317
	s_branch .LBB14_318
.LBB14_534:
	s_mov_b32 s23, -1
	s_mov_b32 s22, 0
	s_mov_b32 s21, s17
	s_branch .LBB14_538
.LBB14_535:
	s_and_not1_saveexec_b32 s23, s23
	s_cbranch_execz .LBB14_329
.LBB14_536:
	v_add_f32_e64 v1, 0x42800000, |v0|
	s_and_not1_b32 s22, s22, exec_lo
	s_delay_alu instid0(VALU_DEP_1) | instskip(NEXT) | instid1(VALU_DEP_1)
	v_and_b32_e32 v1, 0xff, v1
	v_cmp_ne_u32_e32 vcc_lo, 0, v1
	s_and_b32 s24, vcc_lo, exec_lo
	s_delay_alu instid0(SALU_CYCLE_1)
	s_or_b32 s22, s22, s24
	s_or_b32 exec_lo, exec_lo, s23
	v_mov_b32_e32 v4, 0
	s_and_saveexec_b32 s23, s22
	s_cbranch_execnz .LBB14_330
	s_branch .LBB14_331
.LBB14_537:
	s_mov_b32 s21, -1
	s_mov_b32 s22, 0
.LBB14_538:
                                        ; implicit-def: $vgpr0
.LBB14_539:
	s_and_b32 vcc_lo, exec_lo, s23
	s_cbranch_vccz .LBB14_543
; %bb.540:
	s_cmp_eq_u32 s0, 44
	s_cbranch_scc0 .LBB14_542
; %bb.541:
	global_load_u8 v0, v[2:3], off
	s_mov_b32 s21, 0
	s_mov_b32 s22, -1
	s_wait_loadcnt 0x0
	v_lshlrev_b32_e32 v1, 23, v0
	v_cmp_ne_u32_e32 vcc_lo, 0xff, v0
	s_delay_alu instid0(VALU_DEP_2) | instskip(SKIP_1) | instid1(VALU_DEP_2)
	v_cndmask_b32_e32 v1, 0x7f800001, v1, vcc_lo
	v_cmp_ne_u32_e32 vcc_lo, 0, v0
	v_cndmask_b32_e32 v0, 0x400000, v1, vcc_lo
	s_branch .LBB14_543
.LBB14_542:
	s_mov_b32 s21, -1
                                        ; implicit-def: $vgpr0
.LBB14_543:
	s_mov_b32 s23, 0
.LBB14_544:
	s_delay_alu instid0(SALU_CYCLE_1)
	s_and_b32 vcc_lo, exec_lo, s23
	s_cbranch_vccz .LBB14_548
; %bb.545:
	s_cmp_eq_u32 s0, 29
	s_cbranch_scc0 .LBB14_547
; %bb.546:
	global_load_b64 v[0:1], v[2:3], off
	s_mov_b32 s22, -1
	s_mov_b32 s21, 0
	s_mov_b32 s23, 0
	s_wait_loadcnt 0x0
	v_clz_i32_u32_e32 v4, v1
	s_delay_alu instid0(VALU_DEP_1) | instskip(NEXT) | instid1(VALU_DEP_1)
	v_min_u32_e32 v4, 32, v4
	v_lshlrev_b64_e32 v[0:1], v4, v[0:1]
	s_delay_alu instid0(VALU_DEP_1) | instskip(NEXT) | instid1(VALU_DEP_1)
	v_min_u32_e32 v0, 1, v0
	v_or_b32_e32 v0, v1, v0
	v_sub_nc_u32_e32 v1, 32, v4
	s_delay_alu instid0(VALU_DEP_2) | instskip(NEXT) | instid1(VALU_DEP_1)
	v_cvt_f32_u32_e32 v0, v0
	v_ldexp_f32 v0, v0, v1
	s_branch .LBB14_549
.LBB14_547:
	s_mov_b32 s21, -1
                                        ; implicit-def: $vgpr0
.LBB14_548:
	s_mov_b32 s23, 0
.LBB14_549:
	s_delay_alu instid0(SALU_CYCLE_1)
	s_and_b32 vcc_lo, exec_lo, s23
	s_cbranch_vccz .LBB14_567
; %bb.550:
	s_cmp_lt_i32 s0, 27
	s_cbranch_scc1 .LBB14_553
; %bb.551:
	s_cmp_gt_i32 s0, 27
	s_cbranch_scc0 .LBB14_554
; %bb.552:
	global_load_b32 v0, v[2:3], off
	s_mov_b32 s22, 0
	s_wait_loadcnt 0x0
	v_cvt_f32_u32_e32 v0, v0
	s_branch .LBB14_555
.LBB14_553:
	s_mov_b32 s22, -1
                                        ; implicit-def: $vgpr0
	s_branch .LBB14_558
.LBB14_554:
	s_mov_b32 s22, -1
                                        ; implicit-def: $vgpr0
.LBB14_555:
	s_delay_alu instid0(SALU_CYCLE_1)
	s_and_not1_b32 vcc_lo, exec_lo, s22
	s_cbranch_vccnz .LBB14_557
; %bb.556:
	global_load_u16 v0, v[2:3], off
	s_wait_loadcnt 0x0
	v_cvt_f32_u32_e32 v0, v0
.LBB14_557:
	s_mov_b32 s22, 0
.LBB14_558:
	s_delay_alu instid0(SALU_CYCLE_1)
	s_and_not1_b32 vcc_lo, exec_lo, s22
	s_cbranch_vccnz .LBB14_566
; %bb.559:
	global_load_u8 v1, v[2:3], off
	s_mov_b32 s22, 0
	s_mov_b32 s23, exec_lo
	s_wait_loadcnt 0x0
	v_cmpx_lt_i16_e32 0x7f, v1
	s_xor_b32 s23, exec_lo, s23
	s_cbranch_execz .LBB14_580
; %bb.560:
	s_mov_b32 s22, -1
	s_mov_b32 s24, exec_lo
	v_cmpx_eq_u16_e32 0x80, v1
; %bb.561:
	s_xor_b32 s22, exec_lo, -1
; %bb.562:
	s_or_b32 exec_lo, exec_lo, s24
	s_delay_alu instid0(SALU_CYCLE_1)
	s_and_b32 s22, s22, exec_lo
	s_or_saveexec_b32 s23, s23
	v_mov_b32_e32 v0, 0x7f800001
	s_xor_b32 exec_lo, exec_lo, s23
	s_cbranch_execnz .LBB14_581
.LBB14_563:
	s_or_b32 exec_lo, exec_lo, s23
	s_and_saveexec_b32 s23, s22
	s_cbranch_execz .LBB14_565
.LBB14_564:
	v_and_b32_e32 v0, 0xffff, v1
	s_delay_alu instid0(VALU_DEP_1) | instskip(SKIP_1) | instid1(VALU_DEP_2)
	v_and_b32_e32 v4, 7, v0
	v_bfe_u32 v7, v0, 3, 4
	v_clz_i32_u32_e32 v5, v4
	s_delay_alu instid0(VALU_DEP_2) | instskip(NEXT) | instid1(VALU_DEP_2)
	v_cmp_eq_u32_e32 vcc_lo, 0, v7
	v_min_u32_e32 v5, 32, v5
	s_delay_alu instid0(VALU_DEP_1) | instskip(NEXT) | instid1(VALU_DEP_1)
	v_subrev_nc_u32_e32 v6, 28, v5
	v_dual_lshlrev_b32 v0, v6, v0 :: v_dual_sub_nc_u32 v5, 29, v5
	s_delay_alu instid0(VALU_DEP_1) | instskip(NEXT) | instid1(VALU_DEP_1)
	v_dual_lshlrev_b32 v1, 24, v1 :: v_dual_bitop2_b32 v0, 7, v0 bitop3:0x40
	v_dual_cndmask_b32 v0, v4, v0 :: v_dual_cndmask_b32 v5, v7, v5
	s_delay_alu instid0(VALU_DEP_2) | instskip(NEXT) | instid1(VALU_DEP_2)
	v_and_b32_e32 v1, 0x80000000, v1
	v_lshlrev_b32_e32 v0, 20, v0
	s_delay_alu instid0(VALU_DEP_3) | instskip(NEXT) | instid1(VALU_DEP_1)
	v_lshl_add_u32 v4, v5, 23, 0x3b800000
	v_or3_b32 v0, v1, v4, v0
.LBB14_565:
	s_or_b32 exec_lo, exec_lo, s23
.LBB14_566:
	s_mov_b32 s22, -1
.LBB14_567:
	s_mov_b32 s23, 0
.LBB14_568:
	s_delay_alu instid0(SALU_CYCLE_1)
	s_and_b32 vcc_lo, exec_lo, s23
	s_cbranch_vccz .LBB14_603
; %bb.569:
	s_cmp_gt_i32 s0, 22
	s_cbranch_scc0 .LBB14_579
; %bb.570:
	s_cmp_lt_i32 s0, 24
	s_cbranch_scc1 .LBB14_582
; %bb.571:
	s_cmp_gt_i32 s0, 24
	s_cbranch_scc0 .LBB14_583
; %bb.572:
	global_load_u8 v1, v[2:3], off
	s_mov_b32 s22, 0
	s_mov_b32 s23, exec_lo
	s_wait_loadcnt 0x0
	v_cmpx_lt_i16_e32 0x7f, v1
	s_xor_b32 s23, exec_lo, s23
	s_cbranch_execz .LBB14_595
; %bb.573:
	s_mov_b32 s22, -1
	s_mov_b32 s24, exec_lo
	v_cmpx_eq_u16_e32 0x80, v1
; %bb.574:
	s_xor_b32 s22, exec_lo, -1
; %bb.575:
	s_or_b32 exec_lo, exec_lo, s24
	s_delay_alu instid0(SALU_CYCLE_1)
	s_and_b32 s22, s22, exec_lo
	s_or_saveexec_b32 s23, s23
	v_mov_b32_e32 v0, 0x7f800001
	s_xor_b32 exec_lo, exec_lo, s23
	s_cbranch_execnz .LBB14_596
.LBB14_576:
	s_or_b32 exec_lo, exec_lo, s23
	s_and_saveexec_b32 s23, s22
	s_cbranch_execz .LBB14_578
.LBB14_577:
	v_and_b32_e32 v0, 0xffff, v1
	s_delay_alu instid0(VALU_DEP_1) | instskip(SKIP_1) | instid1(VALU_DEP_2)
	v_and_b32_e32 v4, 3, v0
	v_bfe_u32 v7, v0, 2, 5
	v_clz_i32_u32_e32 v5, v4
	s_delay_alu instid0(VALU_DEP_2) | instskip(NEXT) | instid1(VALU_DEP_2)
	v_cmp_eq_u32_e32 vcc_lo, 0, v7
	v_min_u32_e32 v5, 32, v5
	s_delay_alu instid0(VALU_DEP_1) | instskip(NEXT) | instid1(VALU_DEP_1)
	v_subrev_nc_u32_e32 v6, 29, v5
	v_dual_lshlrev_b32 v0, v6, v0 :: v_dual_sub_nc_u32 v5, 30, v5
	s_delay_alu instid0(VALU_DEP_1) | instskip(NEXT) | instid1(VALU_DEP_1)
	v_dual_lshlrev_b32 v1, 24, v1 :: v_dual_bitop2_b32 v0, 3, v0 bitop3:0x40
	v_dual_cndmask_b32 v0, v4, v0 :: v_dual_cndmask_b32 v5, v7, v5
	s_delay_alu instid0(VALU_DEP_2) | instskip(NEXT) | instid1(VALU_DEP_2)
	v_and_b32_e32 v1, 0x80000000, v1
	v_lshlrev_b32_e32 v0, 21, v0
	s_delay_alu instid0(VALU_DEP_3) | instskip(NEXT) | instid1(VALU_DEP_1)
	v_lshl_add_u32 v4, v5, 23, 0x37800000
	v_or3_b32 v0, v1, v4, v0
.LBB14_578:
	s_or_b32 exec_lo, exec_lo, s23
	s_mov_b32 s22, 0
	s_branch .LBB14_584
.LBB14_579:
	s_mov_b32 s23, -1
                                        ; implicit-def: $vgpr0
	s_branch .LBB14_590
.LBB14_580:
	s_or_saveexec_b32 s23, s23
	v_mov_b32_e32 v0, 0x7f800001
	s_xor_b32 exec_lo, exec_lo, s23
	s_cbranch_execz .LBB14_563
.LBB14_581:
	v_cmp_ne_u16_e32 vcc_lo, 0, v1
	v_mov_b32_e32 v0, 0
	s_and_not1_b32 s22, s22, exec_lo
	s_and_b32 s24, vcc_lo, exec_lo
	s_delay_alu instid0(SALU_CYCLE_1)
	s_or_b32 s22, s22, s24
	s_or_b32 exec_lo, exec_lo, s23
	s_and_saveexec_b32 s23, s22
	s_cbranch_execnz .LBB14_564
	s_branch .LBB14_565
.LBB14_582:
	s_mov_b32 s22, -1
                                        ; implicit-def: $vgpr0
	s_branch .LBB14_587
.LBB14_583:
	s_mov_b32 s22, -1
                                        ; implicit-def: $vgpr0
.LBB14_584:
	s_delay_alu instid0(SALU_CYCLE_1)
	s_and_b32 vcc_lo, exec_lo, s22
	s_cbranch_vccz .LBB14_586
; %bb.585:
	global_load_u8 v0, v[2:3], off
	s_wait_loadcnt 0x0
	v_lshlrev_b32_e32 v0, 24, v0
	s_delay_alu instid0(VALU_DEP_1) | instskip(NEXT) | instid1(VALU_DEP_1)
	v_and_b32_e32 v1, 0x7f000000, v0
	v_clz_i32_u32_e32 v4, v1
	v_cmp_ne_u32_e32 vcc_lo, 0, v1
	v_add_nc_u32_e32 v6, 0x1000000, v1
	s_delay_alu instid0(VALU_DEP_3) | instskip(NEXT) | instid1(VALU_DEP_1)
	v_min_u32_e32 v4, 32, v4
	v_sub_nc_u32_e64 v4, v4, 4 clamp
	s_delay_alu instid0(VALU_DEP_1) | instskip(NEXT) | instid1(VALU_DEP_1)
	v_dual_lshlrev_b32 v5, v4, v1 :: v_dual_lshlrev_b32 v4, 23, v4
	v_lshrrev_b32_e32 v5, 4, v5
	s_delay_alu instid0(VALU_DEP_1) | instskip(NEXT) | instid1(VALU_DEP_1)
	v_dual_sub_nc_u32 v4, v5, v4 :: v_dual_ashrrev_i32 v5, 8, v6
	v_add_nc_u32_e32 v4, 0x3c000000, v4
	s_delay_alu instid0(VALU_DEP_1) | instskip(NEXT) | instid1(VALU_DEP_1)
	v_and_or_b32 v4, 0x7f800000, v5, v4
	v_cndmask_b32_e32 v1, 0, v4, vcc_lo
	s_delay_alu instid0(VALU_DEP_1)
	v_and_or_b32 v0, 0x80000000, v0, v1
.LBB14_586:
	s_mov_b32 s22, 0
.LBB14_587:
	s_delay_alu instid0(SALU_CYCLE_1)
	s_and_not1_b32 vcc_lo, exec_lo, s22
	s_cbranch_vccnz .LBB14_589
; %bb.588:
	global_load_u8 v0, v[2:3], off
	s_wait_loadcnt 0x0
	v_lshlrev_b32_e32 v1, 25, v0
	v_lshlrev_b16 v0, 8, v0
	s_delay_alu instid0(VALU_DEP_1) | instskip(SKIP_1) | instid1(VALU_DEP_2)
	v_and_or_b32 v5, 0x7f00, v0, 0.5
	v_bfe_i32 v0, v0, 0, 16
	v_add_f32_e32 v5, -0.5, v5
	v_lshrrev_b32_e32 v4, 4, v1
	v_cmp_gt_u32_e32 vcc_lo, 0x8000000, v1
	s_delay_alu instid0(VALU_DEP_2) | instskip(NEXT) | instid1(VALU_DEP_1)
	v_or_b32_e32 v4, 0x70000000, v4
	v_mul_f32_e32 v4, 0x7800000, v4
	s_delay_alu instid0(VALU_DEP_1) | instskip(NEXT) | instid1(VALU_DEP_1)
	v_cndmask_b32_e32 v1, v4, v5, vcc_lo
	v_and_or_b32 v0, 0x80000000, v0, v1
.LBB14_589:
	s_mov_b32 s23, 0
	s_mov_b32 s22, -1
.LBB14_590:
	s_and_not1_b32 vcc_lo, exec_lo, s23
	s_cbranch_vccnz .LBB14_603
; %bb.591:
	s_cmp_gt_i32 s0, 14
	s_cbranch_scc0 .LBB14_594
; %bb.592:
	s_cmp_eq_u32 s0, 15
	s_cbranch_scc0 .LBB14_597
; %bb.593:
	global_load_u16 v0, v[2:3], off
	s_mov_b32 s22, -1
	s_mov_b32 s21, 0
	s_wait_loadcnt 0x0
	v_lshlrev_b32_e32 v0, 16, v0
	s_branch .LBB14_598
.LBB14_594:
	s_mov_b32 s23, -1
                                        ; implicit-def: $vgpr0
	s_branch .LBB14_599
.LBB14_595:
	s_or_saveexec_b32 s23, s23
	v_mov_b32_e32 v0, 0x7f800001
	s_xor_b32 exec_lo, exec_lo, s23
	s_cbranch_execz .LBB14_576
.LBB14_596:
	v_cmp_ne_u16_e32 vcc_lo, 0, v1
	v_mov_b32_e32 v0, 0
	s_and_not1_b32 s22, s22, exec_lo
	s_and_b32 s24, vcc_lo, exec_lo
	s_delay_alu instid0(SALU_CYCLE_1)
	s_or_b32 s22, s22, s24
	s_or_b32 exec_lo, exec_lo, s23
	s_and_saveexec_b32 s23, s22
	s_cbranch_execnz .LBB14_577
	s_branch .LBB14_578
.LBB14_597:
	s_mov_b32 s21, -1
                                        ; implicit-def: $vgpr0
.LBB14_598:
	s_mov_b32 s23, 0
.LBB14_599:
	s_delay_alu instid0(SALU_CYCLE_1)
	s_and_b32 vcc_lo, exec_lo, s23
	s_cbranch_vccz .LBB14_603
; %bb.600:
	s_cmp_eq_u32 s0, 11
	s_cbranch_scc0 .LBB14_602
; %bb.601:
	global_load_u8 v0, v[2:3], off
	s_mov_b32 s21, 0
	s_mov_b32 s22, -1
	s_wait_loadcnt 0x0
	v_cmp_ne_u16_e32 vcc_lo, 0, v0
	v_cndmask_b32_e64 v0, 0, 1.0, vcc_lo
	s_branch .LBB14_603
.LBB14_602:
	s_mov_b32 s21, -1
                                        ; implicit-def: $vgpr0
.LBB14_603:
	s_mov_b32 s23, 0
.LBB14_604:
	s_delay_alu instid0(SALU_CYCLE_1)
	s_and_b32 vcc_lo, exec_lo, s23
	s_cbranch_vccz .LBB14_653
; %bb.605:
	s_cmp_lt_i32 s0, 5
	s_cbranch_scc1 .LBB14_610
; %bb.606:
	s_cmp_lt_i32 s0, 8
	s_cbranch_scc1 .LBB14_611
	;; [unrolled: 3-line block ×3, first 2 shown]
; %bb.608:
	s_cmp_gt_i32 s0, 9
	s_cbranch_scc0 .LBB14_613
; %bb.609:
	global_load_b64 v[0:1], v[2:3], off
	s_mov_b32 s22, 0
	s_wait_loadcnt 0x0
	v_cvt_f32_f64_e32 v0, v[0:1]
	s_branch .LBB14_614
.LBB14_610:
	s_mov_b32 s22, -1
                                        ; implicit-def: $vgpr0
	s_branch .LBB14_632
.LBB14_611:
	s_mov_b32 s22, -1
                                        ; implicit-def: $vgpr0
	s_branch .LBB14_620
.LBB14_612:
	s_mov_b32 s22, -1
                                        ; implicit-def: $vgpr0
	s_branch .LBB14_617
.LBB14_613:
	s_mov_b32 s22, -1
                                        ; implicit-def: $vgpr0
.LBB14_614:
	s_delay_alu instid0(SALU_CYCLE_1)
	s_and_not1_b32 vcc_lo, exec_lo, s22
	s_cbranch_vccnz .LBB14_616
; %bb.615:
	global_load_b32 v0, v[2:3], off
.LBB14_616:
	s_mov_b32 s22, 0
.LBB14_617:
	s_delay_alu instid0(SALU_CYCLE_1)
	s_and_not1_b32 vcc_lo, exec_lo, s22
	s_cbranch_vccnz .LBB14_619
; %bb.618:
	s_wait_loadcnt 0x0
	global_load_b32 v0, v[2:3], off
	s_wait_loadcnt 0x0
	v_cvt_f32_f16_e32 v0, v0
.LBB14_619:
	s_mov_b32 s22, 0
.LBB14_620:
	s_delay_alu instid0(SALU_CYCLE_1)
	s_and_not1_b32 vcc_lo, exec_lo, s22
	s_cbranch_vccnz .LBB14_631
; %bb.621:
	s_cmp_lt_i32 s0, 6
	s_cbranch_scc1 .LBB14_624
; %bb.622:
	s_cmp_gt_i32 s0, 6
	s_cbranch_scc0 .LBB14_625
; %bb.623:
	s_wait_loadcnt 0x0
	global_load_b64 v[0:1], v[2:3], off
	s_mov_b32 s22, 0
	s_wait_loadcnt 0x0
	v_cvt_f32_f64_e32 v0, v[0:1]
	s_branch .LBB14_626
.LBB14_624:
	s_mov_b32 s22, -1
                                        ; implicit-def: $vgpr0
	s_branch .LBB14_629
.LBB14_625:
	s_mov_b32 s22, -1
                                        ; implicit-def: $vgpr0
.LBB14_626:
	s_delay_alu instid0(SALU_CYCLE_1)
	s_and_not1_b32 vcc_lo, exec_lo, s22
	s_cbranch_vccnz .LBB14_628
; %bb.627:
	s_wait_loadcnt 0x0
	global_load_b32 v0, v[2:3], off
.LBB14_628:
	s_mov_b32 s22, 0
.LBB14_629:
	s_delay_alu instid0(SALU_CYCLE_1)
	s_and_not1_b32 vcc_lo, exec_lo, s22
	s_cbranch_vccnz .LBB14_631
; %bb.630:
	s_wait_loadcnt 0x0
	global_load_u16 v0, v[2:3], off
	s_wait_loadcnt 0x0
	v_cvt_f32_f16_e32 v0, v0
.LBB14_631:
	s_mov_b32 s22, 0
.LBB14_632:
	s_delay_alu instid0(SALU_CYCLE_1)
	s_and_not1_b32 vcc_lo, exec_lo, s22
	s_cbranch_vccnz .LBB14_652
; %bb.633:
	s_cmp_lt_i32 s0, 2
	s_cbranch_scc1 .LBB14_637
; %bb.634:
	s_cmp_lt_i32 s0, 3
	s_cbranch_scc1 .LBB14_638
; %bb.635:
	s_cmp_gt_i32 s0, 3
	s_cbranch_scc0 .LBB14_639
; %bb.636:
	s_wait_loadcnt 0x0
	global_load_b64 v[0:1], v[2:3], off
	s_mov_b32 s22, 0
	s_wait_loadcnt 0x0
	v_xor_b32_e32 v4, v0, v1
	v_cls_i32_e32 v5, v1
	s_delay_alu instid0(VALU_DEP_2) | instskip(NEXT) | instid1(VALU_DEP_1)
	v_ashrrev_i32_e32 v4, 31, v4
	v_add_nc_u32_e32 v4, 32, v4
	s_delay_alu instid0(VALU_DEP_1) | instskip(NEXT) | instid1(VALU_DEP_1)
	v_add_min_u32_e64 v4, v5, -1, v4
	v_lshlrev_b64_e32 v[0:1], v4, v[0:1]
	s_delay_alu instid0(VALU_DEP_1) | instskip(NEXT) | instid1(VALU_DEP_1)
	v_min_u32_e32 v0, 1, v0
	v_or_b32_e32 v0, v1, v0
	v_sub_nc_u32_e32 v1, 32, v4
	s_delay_alu instid0(VALU_DEP_2) | instskip(NEXT) | instid1(VALU_DEP_1)
	v_cvt_f32_i32_e32 v0, v0
	v_ldexp_f32 v0, v0, v1
	s_branch .LBB14_640
.LBB14_637:
	s_mov_b32 s22, -1
                                        ; implicit-def: $vgpr0
	s_branch .LBB14_646
.LBB14_638:
	s_mov_b32 s22, -1
                                        ; implicit-def: $vgpr0
	s_branch .LBB14_643
.LBB14_639:
	s_mov_b32 s22, -1
                                        ; implicit-def: $vgpr0
.LBB14_640:
	s_delay_alu instid0(SALU_CYCLE_1)
	s_and_not1_b32 vcc_lo, exec_lo, s22
	s_cbranch_vccnz .LBB14_642
; %bb.641:
	s_wait_loadcnt 0x0
	global_load_b32 v0, v[2:3], off
	s_wait_loadcnt 0x0
	v_cvt_f32_i32_e32 v0, v0
.LBB14_642:
	s_mov_b32 s22, 0
.LBB14_643:
	s_delay_alu instid0(SALU_CYCLE_1)
	s_and_not1_b32 vcc_lo, exec_lo, s22
	s_cbranch_vccnz .LBB14_645
; %bb.644:
	s_wait_loadcnt 0x0
	global_load_i16 v0, v[2:3], off
	s_wait_loadcnt 0x0
	v_cvt_f32_i32_e32 v0, v0
.LBB14_645:
	s_mov_b32 s22, 0
.LBB14_646:
	s_delay_alu instid0(SALU_CYCLE_1)
	s_and_not1_b32 vcc_lo, exec_lo, s22
	s_cbranch_vccnz .LBB14_652
; %bb.647:
	s_cmp_gt_i32 s0, 0
	s_mov_b32 s0, 0
	s_cbranch_scc0 .LBB14_649
; %bb.648:
	s_wait_loadcnt 0x0
	global_load_i8 v0, v[2:3], off
	s_wait_loadcnt 0x0
	v_cvt_f32_i32_e32 v0, v0
	s_branch .LBB14_650
.LBB14_649:
	s_mov_b32 s0, -1
                                        ; implicit-def: $vgpr0
.LBB14_650:
	s_delay_alu instid0(SALU_CYCLE_1)
	s_and_not1_b32 vcc_lo, exec_lo, s0
	s_cbranch_vccnz .LBB14_652
; %bb.651:
	s_wait_loadcnt 0x0
	global_load_u8 v0, v[2:3], off
	s_wait_loadcnt 0x0
	v_cvt_f32_ubyte0_e32 v0, v0
.LBB14_652:
	s_mov_b32 s22, -1
.LBB14_653:
	s_delay_alu instid0(SALU_CYCLE_1)
	s_and_not1_b32 vcc_lo, exec_lo, s22
	s_cbranch_vccnz .LBB14_663
; %bb.654:
	s_wait_loadcnt 0x0
	s_delay_alu instid0(VALU_DEP_1) | instskip(SKIP_2) | instid1(VALU_DEP_1)
	v_mul_f32_e32 v1, s10, v0
	s_mov_b32 s0, exec_lo
	s_wait_xcnt 0x0
	v_cmpx_nlt_f32_e32 s11, v1
	s_cbranch_execz .LBB14_656
; %bb.655:
	v_mul_f32_e32 v0, 0x3fb8aa3b, v1
	v_cmp_ngt_f32_e32 vcc_lo, 0xc2ce8ed0, v1
	s_mov_b32 s22, 0x3e9b6dac
	s_delay_alu instid0(VALU_DEP_2) | instskip(SKIP_1) | instid1(VALU_DEP_1)
	v_rndne_f32_e32 v2, v0
	v_fma_f32 v3, 0x3fb8aa3b, v1, -v0
	v_dual_sub_f32 v0, v0, v2 :: v_dual_fmamk_f32 v3, v1, 0x32a5705f, v3
	v_cvt_i32_f32_e32 v2, v2
	s_delay_alu instid0(VALU_DEP_2) | instskip(NEXT) | instid1(VALU_DEP_1)
	v_add_f32_e32 v0, v0, v3
	v_exp_f32_e32 v0, v0
	v_nop
	s_delay_alu instid0(TRANS32_DEP_1) | instskip(NEXT) | instid1(VALU_DEP_1)
	v_ldexp_f32 v0, v0, v2
	v_cndmask_b32_e32 v0, 0, v0, vcc_lo
	v_cmp_nlt_f32_e32 vcc_lo, 0x42b17218, v1
	s_delay_alu instid0(VALU_DEP_2) | instskip(NEXT) | instid1(VALU_DEP_1)
	v_cndmask_b32_e32 v11, 0x7f800000, v0, vcc_lo
	v_add_f32_e32 v2, 1.0, v11
	s_delay_alu instid0(VALU_DEP_1) | instskip(NEXT) | instid1(VALU_DEP_1)
	v_cvt_f64_f32_e32 v[0:1], v2
	v_frexp_exp_i32_f64_e32 v0, v[0:1]
	v_frexp_mant_f32_e32 v1, v2
	s_delay_alu instid0(VALU_DEP_1) | instskip(NEXT) | instid1(VALU_DEP_3)
	v_cmp_gt_f32_e32 vcc_lo, 0x3f2aaaab, v1
	v_subrev_co_ci_u32_e64 v6, null, 0, v0, vcc_lo
	v_add_f32_e32 v0, -1.0, v2
	v_cmp_neq_f32_e32 vcc_lo, 0x7f800000, v11
	s_delay_alu instid0(VALU_DEP_3) | instskip(NEXT) | instid1(VALU_DEP_3)
	v_sub_nc_u32_e32 v1, 0, v6
	v_dual_sub_f32 v3, v0, v2 :: v_dual_sub_f32 v0, v11, v0
	s_delay_alu instid0(VALU_DEP_2) | instskip(NEXT) | instid1(VALU_DEP_1)
	v_ldexp_f32 v2, v2, v1
	v_dual_add_f32 v3, 1.0, v3 :: v_dual_add_f32 v4, 1.0, v2
	s_delay_alu instid0(VALU_DEP_1) | instskip(NEXT) | instid1(VALU_DEP_2)
	v_dual_add_f32 v5, -1.0, v2 :: v_dual_add_f32 v0, v0, v3
	v_add_f32_e32 v3, -1.0, v4
	s_delay_alu instid0(VALU_DEP_2) | instskip(NEXT) | instid1(VALU_DEP_2)
	v_ldexp_f32 v0, v0, v1
	v_dual_sub_f32 v1, v2, v3 :: v_dual_add_f32 v3, 1.0, v5
	s_delay_alu instid0(VALU_DEP_1) | instskip(NEXT) | instid1(VALU_DEP_1)
	v_dual_add_f32 v7, v0, v1 :: v_dual_sub_f32 v1, v2, v3
	v_add_f32_e32 v9, v0, v1
	s_delay_alu instid0(VALU_DEP_1) | instskip(NEXT) | instid1(VALU_DEP_1)
	v_dual_add_f32 v8, v4, v7 :: v_dual_add_f32 v1, v5, v9
	v_rcp_f32_e32 v12, v8
	s_delay_alu instid0(VALU_DEP_1) | instskip(NEXT) | instid1(TRANS32_DEP_1)
	v_sub_f32_e32 v14, v5, v1
	v_mul_f32_e32 v13, v1, v12
	s_delay_alu instid0(VALU_DEP_1) | instskip(NEXT) | instid1(VALU_DEP_1)
	v_mul_f32_e32 v2, v8, v13
	v_dual_sub_f32 v0, v4, v8 :: v_dual_fma_f32 v4, v13, v8, -v2
	s_delay_alu instid0(VALU_DEP_1) | instskip(NEXT) | instid1(VALU_DEP_1)
	v_add_f32_e32 v7, v7, v0
	v_fmac_f32_e32 v4, v13, v7
	s_delay_alu instid0(VALU_DEP_1) | instskip(NEXT) | instid1(VALU_DEP_1)
	v_add_f32_e32 v0, v2, v4
	v_dual_sub_f32 v3, v1, v0 :: v_dual_mov_b32 v5, v0
	s_delay_alu instid0(VALU_DEP_1) | instskip(NEXT) | instid1(VALU_DEP_1)
	v_pk_add_f32 v[0:1], v[0:1], v[2:3] neg_lo:[0,1] neg_hi:[0,1]
	v_pk_add_f32 v[0:1], v[0:1], v[4:5] neg_lo:[0,1] neg_hi:[0,1]
	v_add_f32_e32 v2, v9, v14
	s_delay_alu instid0(VALU_DEP_1) | instskip(NEXT) | instid1(VALU_DEP_1)
	v_add_f32_e32 v1, v2, v1
	v_add_f32_e32 v9, v0, v1
	s_delay_alu instid0(VALU_DEP_1) | instskip(NEXT) | instid1(VALU_DEP_1)
	v_add_f32_e32 v1, v3, v9
	v_mul_f32_e32 v14, v12, v1
	s_delay_alu instid0(VALU_DEP_1) | instskip(NEXT) | instid1(VALU_DEP_1)
	v_mul_f32_e32 v4, v8, v14
	v_fma_f32 v2, v14, v8, -v4
	s_delay_alu instid0(VALU_DEP_1) | instskip(NEXT) | instid1(VALU_DEP_1)
	v_dual_fmac_f32 v2, v14, v7 :: v_dual_sub_f32 v7, v3, v1
	v_add_f32_e32 v0, v4, v2
	s_delay_alu instid0(VALU_DEP_1) | instskip(NEXT) | instid1(VALU_DEP_1)
	v_dual_sub_f32 v5, v1, v0 :: v_dual_mov_b32 v3, v0
	v_pk_add_f32 v[0:1], v[0:1], v[4:5] neg_lo:[0,1] neg_hi:[0,1]
	s_delay_alu instid0(VALU_DEP_4) | instskip(NEXT) | instid1(VALU_DEP_2)
	v_add_f32_e32 v4, v9, v7
	v_pk_add_f32 v[0:1], v[0:1], v[2:3] neg_lo:[0,1] neg_hi:[0,1]
	v_cvt_f32_i32_e32 v2, v6
	s_delay_alu instid0(VALU_DEP_2) | instskip(NEXT) | instid1(VALU_DEP_1)
	v_dual_add_f32 v1, v4, v1 :: v_dual_add_f32 v4, v13, v14
	v_add_f32_e32 v0, v0, v1
	s_delay_alu instid0(VALU_DEP_2) | instskip(NEXT) | instid1(VALU_DEP_1)
	v_sub_f32_e32 v1, v4, v13
	v_dual_sub_f32 v1, v14, v1 :: v_dual_add_f32 v0, v5, v0
	s_delay_alu instid0(VALU_DEP_1) | instskip(NEXT) | instid1(VALU_DEP_1)
	v_mul_f32_e32 v0, v12, v0
	v_dual_add_f32 v7, v1, v0 :: v_dual_mov_b32 v0, 0x3f317218
	s_delay_alu instid0(VALU_DEP_1) | instskip(NEXT) | instid1(VALU_DEP_1)
	v_add_f32_e32 v5, v4, v7
	v_mul_f32_e32 v1, v5, v5
	s_delay_alu instid0(VALU_DEP_1) | instskip(NEXT) | instid1(VALU_DEP_1)
	v_dual_fmaak_f32 v8, s22, v1, 0x3ecc95a3 :: v_dual_mul_f32 v3, v5, v1
	v_fmaak_f32 v1, v1, v8, 0x3f2aaada
	s_delay_alu instid0(VALU_DEP_1) | instskip(SKIP_1) | instid1(VALU_DEP_2)
	v_pk_mul_f32 v[0:1], v[2:3], v[0:1]
	v_ldexp_f32 v3, v5, 1
	v_fma_f32 v6, 0x3f317218, v2, -v0
	s_delay_alu instid0(VALU_DEP_1) | instskip(SKIP_1) | instid1(VALU_DEP_2)
	v_fmamk_f32 v2, v2, 0xb102e308, v6
	v_sub_f32_e32 v6, v5, v4
	v_pk_add_f32 v[4:5], v[0:1], v[2:3]
	s_delay_alu instid0(VALU_DEP_1) | instskip(NEXT) | instid1(VALU_DEP_1)
	v_dual_sub_f32 v3, v5, v3 :: v_dual_sub_f32 v6, v7, v6
	v_sub_f32_e32 v3, v1, v3
	s_delay_alu instid0(VALU_DEP_2) | instskip(SKIP_2) | instid1(VALU_DEP_3)
	v_ldexp_f32 v7, v6, 1
	v_mov_b32_e32 v6, v0
	v_pk_add_f32 v[0:1], v[4:5], v[0:1] neg_lo:[0,1] neg_hi:[0,1]
	v_dual_add_f32 v7, v7, v3 :: v_dual_mov_b32 v3, v4
	s_delay_alu instid0(VALU_DEP_1) | instskip(NEXT) | instid1(VALU_DEP_1)
	v_pk_add_f32 v[8:9], v[4:5], v[6:7]
	v_dual_mov_b32 v16, v5 :: v_dual_mov_b32 v1, v9
	s_delay_alu instid0(VALU_DEP_1) | instskip(NEXT) | instid1(VALU_DEP_1)
	v_pk_add_f32 v[12:13], v[2:3], v[0:1]
	v_dual_mov_b32 v12, v9 :: v_dual_mov_b32 v6, v13
	v_pk_add_f32 v[0:1], v[2:3], v[0:1] neg_lo:[0,1] neg_hi:[0,1]
	v_mov_b32_e32 v1, v13
	s_delay_alu instid0(VALU_DEP_3) | instskip(SKIP_1) | instid1(VALU_DEP_2)
	v_pk_add_f32 v[14:15], v[6:7], v[4:5] neg_lo:[0,1] neg_hi:[0,1]
	v_dual_mov_b32 v5, v4 :: v_dual_mov_b32 v4, v7
	v_dual_mov_b32 v7, v14 :: v_dual_mov_b32 v17, v14
	s_delay_alu instid0(VALU_DEP_1) | instskip(NEXT) | instid1(VALU_DEP_2)
	v_pk_add_f32 v[8:9], v[8:9], v[6:7] neg_lo:[0,1] neg_hi:[0,1]
	v_pk_add_f32 v[2:3], v[12:13], v[16:17] neg_lo:[0,1] neg_hi:[0,1]
	v_mov_b32_e32 v8, v0
	s_delay_alu instid0(VALU_DEP_2) | instskip(NEXT) | instid1(VALU_DEP_1)
	v_pk_add_f32 v[2:3], v[4:5], v[2:3] neg_lo:[0,1] neg_hi:[0,1]
	v_pk_add_f32 v[4:5], v[8:9], v[2:3]
	s_delay_alu instid0(VALU_DEP_1) | instskip(NEXT) | instid1(VALU_DEP_1)
	v_mov_b32_e32 v8, v5
	v_pk_add_f32 v[8:9], v[4:5], v[8:9]
	s_delay_alu instid0(VALU_DEP_1) | instskip(NEXT) | instid1(VALU_DEP_1)
	v_pk_add_f32 v[6:7], v[6:7], v[8:9]
	v_mov_b32_e32 v5, v6
	s_delay_alu instid0(VALU_DEP_1) | instskip(NEXT) | instid1(VALU_DEP_1)
	v_pk_add_f32 v[12:13], v[4:5], v[0:1] neg_lo:[0,1] neg_hi:[0,1]
	v_sub_f32_e32 v1, v4, v12
	s_delay_alu instid0(VALU_DEP_1) | instskip(SKIP_1) | instid1(VALU_DEP_1)
	v_sub_f32_e32 v0, v0, v1
	v_mov_b32_e32 v3, v8
	v_pk_add_f32 v[2:3], v[2:3], v[12:13] neg_lo:[0,1] neg_hi:[0,1]
	s_delay_alu instid0(VALU_DEP_1) | instskip(NEXT) | instid1(VALU_DEP_1)
	v_add_f32_e32 v0, v2, v0
	v_add_f32_e32 v0, v0, v3
	s_delay_alu instid0(VALU_DEP_1) | instskip(NEXT) | instid1(VALU_DEP_1)
	v_add_f32_e32 v0, v6, v0
	v_cndmask_b32_e32 v0, 0x7f800000, v0, vcc_lo
	v_cmp_gt_f32_e64 vcc_lo, 0x33800000, |v11|
	s_delay_alu instid0(VALU_DEP_2) | instskip(NEXT) | instid1(VALU_DEP_1)
	v_cndmask_b32_e32 v0, v0, v11, vcc_lo
	v_div_scale_f32 v1, null, s10, s10, v0
	s_delay_alu instid0(VALU_DEP_1) | instskip(SKIP_1) | instid1(TRANS32_DEP_1)
	v_rcp_f32_e32 v2, v1
	v_nop
	v_fma_f32 v3, -v1, v2, 1.0
	s_delay_alu instid0(VALU_DEP_1) | instskip(SKIP_1) | instid1(VALU_DEP_1)
	v_fmac_f32_e32 v2, v3, v2
	v_div_scale_f32 v3, vcc_lo, v0, s10, v0
	v_mul_f32_e32 v4, v3, v2
	s_delay_alu instid0(VALU_DEP_1) | instskip(NEXT) | instid1(VALU_DEP_1)
	v_fma_f32 v5, -v1, v4, v3
	v_fmac_f32_e32 v4, v5, v2
	s_delay_alu instid0(VALU_DEP_1) | instskip(NEXT) | instid1(VALU_DEP_1)
	v_fma_f32 v1, -v1, v4, v3
	v_div_fmas_f32 v1, v1, v2, v4
	s_delay_alu instid0(VALU_DEP_1)
	v_div_fixup_f32 v0, v1, s10, v0
.LBB14_656:
	s_or_b32 exec_lo, exec_lo, s0
	v_mul_lo_u32 v2, v10, s8
	s_and_b32 s22, s2, 0xff
	s_delay_alu instid0(SALU_CYCLE_1) | instskip(NEXT) | instid1(VALU_DEP_1)
	s_cmp_lt_i32 s22, 11
	v_ashrrev_i32_e32 v3, 31, v2
	s_delay_alu instid0(VALU_DEP_1)
	v_add_nc_u64_e32 v[2:3], s[4:5], v[2:3]
	s_cbranch_scc1 .LBB14_664
; %bb.657:
	s_and_b32 s23, 0xffff, s22
	s_delay_alu instid0(SALU_CYCLE_1)
	s_cmp_gt_i32 s23, 25
	s_cbranch_scc0 .LBB14_665
; %bb.658:
	s_cmp_gt_i32 s23, 28
	s_cbranch_scc0 .LBB14_666
; %bb.659:
	;; [unrolled: 3-line block ×4, first 2 shown]
	s_mov_b32 s25, 0
	s_mov_b32 s0, -1
	s_cmp_eq_u32 s23, 46
	s_mov_b32 s24, 0
	s_cbranch_scc0 .LBB14_669
; %bb.662:
	v_bfe_u32 v1, v0, 16, 1
	v_cmp_o_f32_e32 vcc_lo, v0, v0
	s_mov_b32 s24, -1
	s_mov_b32 s0, 0
	s_delay_alu instid0(VALU_DEP_2) | instskip(NEXT) | instid1(VALU_DEP_1)
	v_add3_u32 v1, v0, v1, 0x7fff
	v_lshrrev_b32_e32 v1, 16, v1
	s_delay_alu instid0(VALU_DEP_1)
	v_cndmask_b32_e32 v1, 0x7fc0, v1, vcc_lo
	global_store_b32 v[2:3], v1, off
	s_branch .LBB14_669
.LBB14_663:
	s_mov_b32 s22, 0
	s_mov_b32 s0, s18
	s_branch .LBB14_780
.LBB14_664:
	s_mov_b32 s23, -1
	s_mov_b32 s24, 0
	s_mov_b32 s0, s18
	s_branch .LBB14_738
.LBB14_665:
	s_mov_b32 s25, -1
	s_mov_b32 s24, 0
	s_mov_b32 s0, s18
	s_branch .LBB14_696
.LBB14_666:
	s_mov_b32 s25, -1
	s_mov_b32 s24, 0
	s_mov_b32 s0, s18
	s_branch .LBB14_679
.LBB14_667:
	s_mov_b32 s25, -1
	s_mov_b32 s24, 0
	s_mov_b32 s0, s18
	s_branch .LBB14_675
.LBB14_668:
	s_mov_b32 s25, -1
	s_mov_b32 s24, 0
	s_mov_b32 s0, s18
.LBB14_669:
	s_and_b32 vcc_lo, exec_lo, s25
	s_cbranch_vccz .LBB14_674
; %bb.670:
	s_cmp_eq_u32 s23, 44
	s_mov_b32 s0, -1
	s_cbranch_scc0 .LBB14_674
; %bb.671:
	v_bfe_u32 v4, v0, 23, 8
	s_wait_xcnt 0x0
	v_mov_b32_e32 v1, 0xff
	s_mov_b32 s24, exec_lo
	s_delay_alu instid0(VALU_DEP_2)
	v_cmpx_ne_u32_e32 0xff, v4
	s_cbranch_execz .LBB14_673
; %bb.672:
	v_and_b32_e32 v1, 0x400000, v0
	v_and_or_b32 v4, 0x3fffff, v0, v4
	s_delay_alu instid0(VALU_DEP_2) | instskip(NEXT) | instid1(VALU_DEP_2)
	v_cmp_ne_u32_e32 vcc_lo, 0, v1
	v_cmp_ne_u32_e64 s0, 0, v4
	v_lshrrev_b32_e32 v1, 23, v0
	s_and_b32 s0, vcc_lo, s0
	s_delay_alu instid0(SALU_CYCLE_1) | instskip(NEXT) | instid1(VALU_DEP_1)
	v_cndmask_b32_e64 v4, 0, 1, s0
	v_add_nc_u32_e32 v1, v1, v4
.LBB14_673:
	s_or_b32 exec_lo, exec_lo, s24
	s_mov_b32 s24, -1
	s_mov_b32 s0, 0
	global_store_b8 v[2:3], v1, off
.LBB14_674:
	s_mov_b32 s25, 0
.LBB14_675:
	s_delay_alu instid0(SALU_CYCLE_1)
	s_and_b32 vcc_lo, exec_lo, s25
	s_cbranch_vccz .LBB14_678
; %bb.676:
	s_cmp_eq_u32 s23, 29
	s_mov_b32 s0, -1
	s_cbranch_scc0 .LBB14_678
; %bb.677:
	s_wait_xcnt 0x0
	v_trunc_f32_e32 v1, v0
	s_mov_b32 s24, -1
	s_mov_b32 s0, 0
	s_mov_b32 s25, 0
	s_delay_alu instid0(VALU_DEP_1) | instskip(NEXT) | instid1(VALU_DEP_1)
	v_mul_f32_e32 v4, 0x2f800000, v1
	v_floor_f32_e32 v4, v4
	s_delay_alu instid0(VALU_DEP_1) | instskip(SKIP_1) | instid1(VALU_DEP_2)
	v_fmamk_f32 v1, v4, 0xcf800000, v1
	v_cvt_u32_f32_e32 v5, v4
	v_cvt_u32_f32_e32 v4, v1
	global_store_b64 v[2:3], v[4:5], off
	s_branch .LBB14_679
.LBB14_678:
	s_mov_b32 s25, 0
.LBB14_679:
	s_delay_alu instid0(SALU_CYCLE_1)
	s_and_b32 vcc_lo, exec_lo, s25
	s_cbranch_vccz .LBB14_695
; %bb.680:
	s_cmp_lt_i32 s23, 27
	s_mov_b32 s24, -1
	s_cbranch_scc1 .LBB14_686
; %bb.681:
	s_wait_xcnt 0x0
	v_cvt_u32_f32_e32 v1, v0
	s_cmp_gt_i32 s23, 27
	s_cbranch_scc0 .LBB14_683
; %bb.682:
	s_mov_b32 s24, 0
	global_store_b32 v[2:3], v1, off
.LBB14_683:
	s_and_not1_b32 vcc_lo, exec_lo, s24
	s_cbranch_vccnz .LBB14_685
; %bb.684:
	global_store_b16 v[2:3], v1, off
.LBB14_685:
	s_mov_b32 s24, 0
.LBB14_686:
	s_delay_alu instid0(SALU_CYCLE_1)
	s_and_not1_b32 vcc_lo, exec_lo, s24
	s_cbranch_vccnz .LBB14_694
; %bb.687:
	s_wait_xcnt 0x0
	v_and_b32_e32 v1, 0x7fffffff, v0
	v_mov_b32_e32 v4, 0x80
	s_mov_b32 s24, exec_lo
	s_delay_alu instid0(VALU_DEP_2)
	v_cmpx_gt_u32_e32 0x43800000, v1
	s_cbranch_execz .LBB14_693
; %bb.688:
	v_cmp_lt_u32_e32 vcc_lo, 0x3bffffff, v1
	s_mov_b32 s25, 0
                                        ; implicit-def: $vgpr1
	s_and_saveexec_b32 s26, vcc_lo
	s_delay_alu instid0(SALU_CYCLE_1)
	s_xor_b32 s26, exec_lo, s26
	s_cbranch_execz .LBB14_795
; %bb.689:
	v_bfe_u32 v1, v0, 20, 1
	s_mov_b32 s25, exec_lo
	s_delay_alu instid0(VALU_DEP_1) | instskip(NEXT) | instid1(VALU_DEP_1)
	v_add3_u32 v1, v0, v1, 0x487ffff
	v_lshrrev_b32_e32 v1, 20, v1
	s_and_not1_saveexec_b32 s26, s26
	s_cbranch_execnz .LBB14_796
.LBB14_690:
	s_or_b32 exec_lo, exec_lo, s26
	v_mov_b32_e32 v4, 0
	s_and_saveexec_b32 s26, s25
.LBB14_691:
	v_lshrrev_b32_e32 v4, 24, v0
	s_delay_alu instid0(VALU_DEP_1)
	v_and_or_b32 v4, 0x80, v4, v1
.LBB14_692:
	s_or_b32 exec_lo, exec_lo, s26
.LBB14_693:
	s_delay_alu instid0(SALU_CYCLE_1)
	s_or_b32 exec_lo, exec_lo, s24
	global_store_b8 v[2:3], v4, off
.LBB14_694:
	s_mov_b32 s24, -1
.LBB14_695:
	s_mov_b32 s25, 0
.LBB14_696:
	s_delay_alu instid0(SALU_CYCLE_1)
	s_and_b32 vcc_lo, exec_lo, s25
	s_cbranch_vccz .LBB14_737
; %bb.697:
	s_cmp_gt_i32 s23, 22
	s_mov_b32 s25, -1
	s_cbranch_scc0 .LBB14_729
; %bb.698:
	s_cmp_lt_i32 s23, 24
	s_mov_b32 s24, -1
	s_cbranch_scc1 .LBB14_718
; %bb.699:
	s_cmp_gt_i32 s23, 24
	s_cbranch_scc0 .LBB14_707
; %bb.700:
	s_wait_xcnt 0x0
	v_and_b32_e32 v1, 0x7fffffff, v0
	v_mov_b32_e32 v4, 0x80
	s_mov_b32 s24, exec_lo
	s_delay_alu instid0(VALU_DEP_2)
	v_cmpx_gt_u32_e32 0x47800000, v1
	s_cbranch_execz .LBB14_706
; %bb.701:
	v_cmp_lt_u32_e32 vcc_lo, 0x37ffffff, v1
	s_mov_b32 s25, 0
                                        ; implicit-def: $vgpr1
	s_and_saveexec_b32 s26, vcc_lo
	s_delay_alu instid0(SALU_CYCLE_1)
	s_xor_b32 s26, exec_lo, s26
	s_cbranch_execz .LBB14_798
; %bb.702:
	v_bfe_u32 v1, v0, 21, 1
	s_mov_b32 s25, exec_lo
	s_delay_alu instid0(VALU_DEP_1) | instskip(NEXT) | instid1(VALU_DEP_1)
	v_add3_u32 v1, v0, v1, 0x88fffff
	v_lshrrev_b32_e32 v1, 21, v1
	s_and_not1_saveexec_b32 s26, s26
	s_cbranch_execnz .LBB14_799
.LBB14_703:
	s_or_b32 exec_lo, exec_lo, s26
	v_mov_b32_e32 v4, 0
	s_and_saveexec_b32 s26, s25
.LBB14_704:
	v_lshrrev_b32_e32 v4, 24, v0
	s_delay_alu instid0(VALU_DEP_1)
	v_and_or_b32 v4, 0x80, v4, v1
.LBB14_705:
	s_or_b32 exec_lo, exec_lo, s26
.LBB14_706:
	s_delay_alu instid0(SALU_CYCLE_1)
	s_or_b32 exec_lo, exec_lo, s24
	s_mov_b32 s24, 0
	global_store_b8 v[2:3], v4, off
.LBB14_707:
	s_and_b32 vcc_lo, exec_lo, s24
	s_cbranch_vccz .LBB14_717
; %bb.708:
	s_wait_xcnt 0x0
	v_and_b32_e32 v4, 0x7fffffff, v0
	s_mov_b32 s24, exec_lo
                                        ; implicit-def: $vgpr1
	s_delay_alu instid0(VALU_DEP_1)
	v_cmpx_gt_u32_e32 0x43f00000, v4
	s_xor_b32 s24, exec_lo, s24
	s_cbranch_execz .LBB14_714
; %bb.709:
	s_mov_b32 s25, exec_lo
                                        ; implicit-def: $vgpr1
	v_cmpx_lt_u32_e32 0x3c7fffff, v4
	s_xor_b32 s25, exec_lo, s25
; %bb.710:
	v_bfe_u32 v1, v0, 20, 1
	s_delay_alu instid0(VALU_DEP_1) | instskip(NEXT) | instid1(VALU_DEP_1)
	v_add3_u32 v1, v0, v1, 0x407ffff
	v_and_b32_e32 v4, 0xff00000, v1
	v_lshrrev_b32_e32 v1, 20, v1
	s_delay_alu instid0(VALU_DEP_2) | instskip(NEXT) | instid1(VALU_DEP_2)
	v_cmp_ne_u32_e32 vcc_lo, 0x7f00000, v4
	v_cndmask_b32_e32 v1, 0x7e, v1, vcc_lo
; %bb.711:
	s_and_not1_saveexec_b32 s25, s25
; %bb.712:
	v_add_f32_e64 v1, 0x46800000, |v0|
; %bb.713:
	s_or_b32 exec_lo, exec_lo, s25
                                        ; implicit-def: $vgpr4
.LBB14_714:
	s_and_not1_saveexec_b32 s24, s24
; %bb.715:
	v_mov_b32_e32 v1, 0x7f
	v_cmp_lt_u32_e32 vcc_lo, 0x7f800000, v4
	s_delay_alu instid0(VALU_DEP_2)
	v_cndmask_b32_e32 v1, 0x7e, v1, vcc_lo
; %bb.716:
	s_or_b32 exec_lo, exec_lo, s24
	v_lshrrev_b32_e32 v4, 24, v0
	s_delay_alu instid0(VALU_DEP_1)
	v_and_or_b32 v1, 0x80, v4, v1
	global_store_b8 v[2:3], v1, off
.LBB14_717:
	s_mov_b32 s24, 0
.LBB14_718:
	s_delay_alu instid0(SALU_CYCLE_1)
	s_and_not1_b32 vcc_lo, exec_lo, s24
	s_cbranch_vccnz .LBB14_728
; %bb.719:
	s_wait_xcnt 0x0
	v_and_b32_e32 v4, 0x7fffffff, v0
	s_mov_b32 s24, exec_lo
                                        ; implicit-def: $vgpr1
	s_delay_alu instid0(VALU_DEP_1)
	v_cmpx_gt_u32_e32 0x47800000, v4
	s_xor_b32 s24, exec_lo, s24
	s_cbranch_execz .LBB14_725
; %bb.720:
	s_mov_b32 s25, exec_lo
                                        ; implicit-def: $vgpr1
	v_cmpx_lt_u32_e32 0x387fffff, v4
	s_xor_b32 s25, exec_lo, s25
; %bb.721:
	v_bfe_u32 v1, v0, 21, 1
	s_delay_alu instid0(VALU_DEP_1) | instskip(NEXT) | instid1(VALU_DEP_1)
	v_add3_u32 v1, v0, v1, 0x80fffff
	v_lshrrev_b32_e32 v1, 21, v1
; %bb.722:
	s_and_not1_saveexec_b32 s25, s25
; %bb.723:
	v_add_f32_e64 v1, 0x43000000, |v0|
; %bb.724:
	s_or_b32 exec_lo, exec_lo, s25
                                        ; implicit-def: $vgpr4
.LBB14_725:
	s_and_not1_saveexec_b32 s24, s24
; %bb.726:
	v_mov_b32_e32 v1, 0x7f
	v_cmp_lt_u32_e32 vcc_lo, 0x7f800000, v4
	s_delay_alu instid0(VALU_DEP_2)
	v_cndmask_b32_e32 v1, 0x7c, v1, vcc_lo
; %bb.727:
	s_or_b32 exec_lo, exec_lo, s24
	v_lshrrev_b32_e32 v4, 24, v0
	s_delay_alu instid0(VALU_DEP_1)
	v_and_or_b32 v1, 0x80, v4, v1
	global_store_b8 v[2:3], v1, off
.LBB14_728:
	s_mov_b32 s25, 0
	s_mov_b32 s24, -1
.LBB14_729:
	s_and_not1_b32 vcc_lo, exec_lo, s25
	s_cbranch_vccnz .LBB14_737
; %bb.730:
	s_cmp_gt_i32 s23, 14
	s_mov_b32 s25, -1
	s_cbranch_scc0 .LBB14_734
; %bb.731:
	s_cmp_eq_u32 s23, 15
	s_mov_b32 s0, -1
	s_cbranch_scc0 .LBB14_733
; %bb.732:
	s_wait_xcnt 0x0
	v_bfe_u32 v1, v0, 16, 1
	v_cmp_o_f32_e32 vcc_lo, v0, v0
	s_mov_b32 s24, -1
	s_mov_b32 s0, 0
	s_delay_alu instid0(VALU_DEP_2) | instskip(NEXT) | instid1(VALU_DEP_1)
	v_add3_u32 v1, v0, v1, 0x7fff
	v_lshrrev_b32_e32 v1, 16, v1
	s_delay_alu instid0(VALU_DEP_1)
	v_cndmask_b32_e32 v1, 0x7fc0, v1, vcc_lo
	global_store_b16 v[2:3], v1, off
.LBB14_733:
	s_mov_b32 s25, 0
.LBB14_734:
	s_delay_alu instid0(SALU_CYCLE_1)
	s_and_b32 vcc_lo, exec_lo, s25
	s_cbranch_vccz .LBB14_737
; %bb.735:
	s_cmp_eq_u32 s23, 11
	s_mov_b32 s0, -1
	s_cbranch_scc0 .LBB14_737
; %bb.736:
	v_cmp_neq_f32_e32 vcc_lo, 0, v0
	s_mov_b32 s0, 0
	s_mov_b32 s24, -1
	s_wait_xcnt 0x0
	v_cndmask_b32_e64 v1, 0, 1, vcc_lo
	global_store_b8 v[2:3], v1, off
.LBB14_737:
	s_mov_b32 s23, 0
.LBB14_738:
	s_delay_alu instid0(SALU_CYCLE_1)
	s_and_b32 vcc_lo, exec_lo, s23
	s_cbranch_vccz .LBB14_777
; %bb.739:
	s_and_b32 s22, 0xffff, s22
	s_mov_b32 s23, -1
	s_cmp_lt_i32 s22, 5
	s_cbranch_scc1 .LBB14_760
; %bb.740:
	s_cmp_lt_i32 s22, 8
	s_cbranch_scc1 .LBB14_750
; %bb.741:
	;; [unrolled: 3-line block ×3, first 2 shown]
	s_cmp_gt_i32 s22, 9
	s_cbranch_scc0 .LBB14_744
; %bb.743:
	s_wait_xcnt 0x0
	v_cvt_f64_f32_e32 v[4:5], v0
	v_mov_b32_e32 v6, 0
	s_mov_b32 s23, 0
	s_delay_alu instid0(VALU_DEP_1)
	v_mov_b32_e32 v7, v6
	global_store_b128 v[2:3], v[4:7], off
.LBB14_744:
	s_and_not1_b32 vcc_lo, exec_lo, s23
	s_cbranch_vccnz .LBB14_746
; %bb.745:
	s_wait_xcnt 0x0
	v_mov_b32_e32 v1, 0
	global_store_b64 v[2:3], v[0:1], off
.LBB14_746:
	s_mov_b32 s23, 0
.LBB14_747:
	s_delay_alu instid0(SALU_CYCLE_1)
	s_and_not1_b32 vcc_lo, exec_lo, s23
	s_cbranch_vccnz .LBB14_749
; %bb.748:
	s_wait_xcnt 0x0
	v_cvt_f16_f32_e32 v1, v0
	s_delay_alu instid0(VALU_DEP_1)
	v_and_b32_e32 v1, 0xffff, v1
	global_store_b32 v[2:3], v1, off
.LBB14_749:
	s_mov_b32 s23, 0
.LBB14_750:
	s_delay_alu instid0(SALU_CYCLE_1)
	s_and_not1_b32 vcc_lo, exec_lo, s23
	s_cbranch_vccnz .LBB14_759
; %bb.751:
	s_cmp_lt_i32 s22, 6
	s_mov_b32 s23, -1
	s_cbranch_scc1 .LBB14_757
; %bb.752:
	s_cmp_gt_i32 s22, 6
	s_cbranch_scc0 .LBB14_754
; %bb.753:
	s_wait_xcnt 0x0
	v_cvt_f64_f32_e32 v[4:5], v0
	s_mov_b32 s23, 0
	global_store_b64 v[2:3], v[4:5], off
.LBB14_754:
	s_and_not1_b32 vcc_lo, exec_lo, s23
	s_cbranch_vccnz .LBB14_756
; %bb.755:
	global_store_b32 v[2:3], v0, off
.LBB14_756:
	s_mov_b32 s23, 0
.LBB14_757:
	s_delay_alu instid0(SALU_CYCLE_1)
	s_and_not1_b32 vcc_lo, exec_lo, s23
	s_cbranch_vccnz .LBB14_759
; %bb.758:
	s_wait_xcnt 0x0
	v_cvt_f16_f32_e32 v1, v0
	global_store_b16 v[2:3], v1, off
.LBB14_759:
	s_mov_b32 s23, 0
.LBB14_760:
	s_delay_alu instid0(SALU_CYCLE_1)
	s_and_not1_b32 vcc_lo, exec_lo, s23
	s_cbranch_vccnz .LBB14_776
; %bb.761:
	s_cmp_lt_i32 s22, 2
	s_mov_b32 s23, -1
	s_cbranch_scc1 .LBB14_771
; %bb.762:
	s_cmp_lt_i32 s22, 3
	s_cbranch_scc1 .LBB14_768
; %bb.763:
	s_cmp_gt_i32 s22, 3
	s_cbranch_scc0 .LBB14_765
; %bb.764:
	s_wait_xcnt 0x0
	v_trunc_f32_e32 v1, v0
	s_mov_b32 s23, 0
	s_delay_alu instid0(VALU_DEP_1) | instskip(NEXT) | instid1(VALU_DEP_1)
	v_mul_f32_e64 v4, 0x2f800000, |v1|
	v_floor_f32_e32 v5, v4
	v_ashrrev_i32_e32 v4, 31, v1
	s_delay_alu instid0(VALU_DEP_2) | instskip(SKIP_1) | instid1(VALU_DEP_3)
	v_fma_f32 v6, 0xcf800000, v5, |v1|
	v_cvt_u32_f32_e32 v1, v5
	v_mov_b32_e32 v5, v4
	s_delay_alu instid0(VALU_DEP_3) | instskip(NEXT) | instid1(VALU_DEP_3)
	v_cvt_u32_f32_e32 v6, v6
	v_xor_b32_e32 v7, v1, v4
	s_delay_alu instid0(VALU_DEP_2) | instskip(NEXT) | instid1(VALU_DEP_1)
	v_xor_b32_e32 v6, v6, v4
	v_sub_nc_u64_e32 v[4:5], v[6:7], v[4:5]
	global_store_b64 v[2:3], v[4:5], off
.LBB14_765:
	s_and_not1_b32 vcc_lo, exec_lo, s23
	s_cbranch_vccnz .LBB14_767
; %bb.766:
	s_wait_xcnt 0x0
	v_cvt_i32_f32_e32 v1, v0
	global_store_b32 v[2:3], v1, off
.LBB14_767:
	s_mov_b32 s23, 0
.LBB14_768:
	s_delay_alu instid0(SALU_CYCLE_1)
	s_and_not1_b32 vcc_lo, exec_lo, s23
	s_cbranch_vccnz .LBB14_770
; %bb.769:
	s_wait_xcnt 0x0
	v_cvt_i32_f32_e32 v1, v0
	global_store_b16 v[2:3], v1, off
.LBB14_770:
	s_mov_b32 s23, 0
.LBB14_771:
	s_delay_alu instid0(SALU_CYCLE_1)
	s_and_not1_b32 vcc_lo, exec_lo, s23
	s_cbranch_vccnz .LBB14_776
; %bb.772:
	s_cmp_gt_i32 s22, 0
	s_mov_b32 s22, -1
	s_cbranch_scc0 .LBB14_774
; %bb.773:
	s_wait_xcnt 0x0
	v_cvt_i32_f32_e32 v1, v0
	s_mov_b32 s22, 0
	global_store_b8 v[2:3], v1, off
.LBB14_774:
	s_and_not1_b32 vcc_lo, exec_lo, s22
	s_cbranch_vccnz .LBB14_776
; %bb.775:
	s_wait_xcnt 0x0
	v_trunc_f32_e32 v0, v0
	s_delay_alu instid0(VALU_DEP_1) | instskip(NEXT) | instid1(VALU_DEP_1)
	v_mul_f32_e64 v1, 0x2f800000, |v0|
	v_floor_f32_e32 v1, v1
	s_delay_alu instid0(VALU_DEP_1) | instskip(SKIP_1) | instid1(VALU_DEP_2)
	v_fma_f32 v1, 0xcf800000, v1, |v0|
	v_ashrrev_i32_e32 v0, 31, v0
	v_cvt_u32_f32_e32 v1, v1
	s_delay_alu instid0(VALU_DEP_1) | instskip(NEXT) | instid1(VALU_DEP_1)
	v_xor_b32_e32 v1, v1, v0
	v_sub_nc_u32_e32 v0, v1, v0
	global_store_b8 v[2:3], v0, off
.LBB14_776:
	s_mov_b32 s24, -1
.LBB14_777:
	s_delay_alu instid0(SALU_CYCLE_1)
	s_and_not1_b32 vcc_lo, exec_lo, s24
	s_cbranch_vccnz .LBB14_779
; %bb.778:
	v_add_nc_u32_e32 v10, 0x80, v10
	s_mov_b32 s22, -1
	s_branch .LBB14_781
.LBB14_779:
	s_mov_b32 s22, 0
.LBB14_780:
                                        ; implicit-def: $vgpr10
.LBB14_781:
	s_and_not1_b32 s23, s18, exec_lo
	s_and_b32 s0, s0, exec_lo
	s_and_not1_b32 s24, s17, exec_lo
	s_and_b32 s25, s21, exec_lo
	s_or_b32 s21, s23, s0
	s_or_b32 s0, s24, s25
	s_or_not1_b32 s22, s22, exec_lo
.LBB14_782:
	s_wait_xcnt 0x0
	s_or_b32 exec_lo, exec_lo, s20
	s_mov_b32 s23, 0
	s_mov_b32 s24, 0
	;; [unrolled: 1-line block ×3, first 2 shown]
                                        ; implicit-def: $vgpr2_vgpr3
                                        ; implicit-def: $vgpr0
	s_and_saveexec_b32 s20, s22
	s_cbranch_execz .LBB14_867
; %bb.783:
	v_cmp_gt_i32_e32 vcc_lo, s14, v10
	s_mov_b32 s22, 0
	s_mov_b32 s23, s0
	;; [unrolled: 1-line block ×3, first 2 shown]
                                        ; implicit-def: $vgpr2_vgpr3
                                        ; implicit-def: $vgpr0
	s_and_saveexec_b32 s14, vcc_lo
	s_cbranch_execz .LBB14_866
; %bb.784:
	s_wait_loadcnt 0x0
	v_mul_lo_u32 v0, v10, s9
	s_and_b32 s22, 0xffff, s3
	s_delay_alu instid0(SALU_CYCLE_1) | instskip(NEXT) | instid1(VALU_DEP_1)
	s_cmp_lt_i32 s22, 11
	v_ashrrev_i32_e32 v1, 31, v0
	s_delay_alu instid0(VALU_DEP_1)
	v_add_nc_u64_e32 v[2:3], s[6:7], v[0:1]
	s_cbranch_scc1 .LBB14_791
; %bb.785:
	s_cmp_gt_i32 s22, 25
	s_cbranch_scc0 .LBB14_792
; %bb.786:
	s_cmp_gt_i32 s22, 28
	s_cbranch_scc0 .LBB14_793
	;; [unrolled: 3-line block ×4, first 2 shown]
; %bb.789:
	s_cmp_eq_u32 s22, 46
	s_cbranch_scc0 .LBB14_800
; %bb.790:
	global_load_b32 v0, v[2:3], off
	s_mov_b32 s23, 0
	s_mov_b32 s25, -1
	s_wait_loadcnt 0x0
	v_lshlrev_b32_e32 v0, 16, v0
	s_branch .LBB14_802
.LBB14_791:
	s_mov_b32 s22, -1
	s_mov_b32 s23, s0
                                        ; implicit-def: $vgpr0
	s_branch .LBB14_865
.LBB14_792:
	s_mov_b32 s26, -1
	s_mov_b32 s23, s0
                                        ; implicit-def: $vgpr0
	s_branch .LBB14_831
.LBB14_793:
	s_mov_b32 s26, -1
	s_mov_b32 s23, s0
                                        ; implicit-def: $vgpr0
	s_branch .LBB14_812
.LBB14_794:
	s_mov_b32 s26, -1
	s_mov_b32 s23, s0
                                        ; implicit-def: $vgpr0
	s_branch .LBB14_807
.LBB14_795:
	s_and_not1_saveexec_b32 s26, s26
	s_cbranch_execz .LBB14_690
.LBB14_796:
	v_add_f32_e64 v1, 0x46000000, |v0|
	s_and_not1_b32 s25, s25, exec_lo
	s_delay_alu instid0(VALU_DEP_1) | instskip(NEXT) | instid1(VALU_DEP_1)
	v_and_b32_e32 v1, 0xff, v1
	v_cmp_ne_u32_e32 vcc_lo, 0, v1
	s_and_b32 s27, vcc_lo, exec_lo
	s_delay_alu instid0(SALU_CYCLE_1)
	s_or_b32 s25, s25, s27
	s_or_b32 exec_lo, exec_lo, s26
	v_mov_b32_e32 v4, 0
	s_and_saveexec_b32 s26, s25
	s_cbranch_execnz .LBB14_691
	s_branch .LBB14_692
.LBB14_797:
	s_mov_b32 s26, -1
	s_mov_b32 s23, s0
	s_branch .LBB14_801
.LBB14_798:
	s_and_not1_saveexec_b32 s26, s26
	s_cbranch_execz .LBB14_703
.LBB14_799:
	v_add_f32_e64 v1, 0x42800000, |v0|
	s_and_not1_b32 s25, s25, exec_lo
	s_delay_alu instid0(VALU_DEP_1) | instskip(NEXT) | instid1(VALU_DEP_1)
	v_and_b32_e32 v1, 0xff, v1
	v_cmp_ne_u32_e32 vcc_lo, 0, v1
	s_and_b32 s27, vcc_lo, exec_lo
	s_delay_alu instid0(SALU_CYCLE_1)
	s_or_b32 s25, s25, s27
	s_or_b32 exec_lo, exec_lo, s26
	v_mov_b32_e32 v4, 0
	s_and_saveexec_b32 s26, s25
	s_cbranch_execnz .LBB14_704
	s_branch .LBB14_705
.LBB14_800:
	s_mov_b32 s23, -1
.LBB14_801:
                                        ; implicit-def: $vgpr0
.LBB14_802:
	s_and_b32 vcc_lo, exec_lo, s26
	s_cbranch_vccz .LBB14_806
; %bb.803:
	s_cmp_eq_u32 s22, 44
	s_cbranch_scc0 .LBB14_805
; %bb.804:
	global_load_u8 v0, v[2:3], off
	s_mov_b32 s23, 0
	s_mov_b32 s25, -1
	s_wait_loadcnt 0x0
	v_lshlrev_b32_e32 v1, 23, v0
	v_cmp_ne_u32_e32 vcc_lo, 0xff, v0
	s_delay_alu instid0(VALU_DEP_2) | instskip(SKIP_1) | instid1(VALU_DEP_2)
	v_cndmask_b32_e32 v1, 0x7f800001, v1, vcc_lo
	v_cmp_ne_u32_e32 vcc_lo, 0, v0
	v_cndmask_b32_e32 v0, 0x400000, v1, vcc_lo
	s_branch .LBB14_806
.LBB14_805:
	s_mov_b32 s23, -1
                                        ; implicit-def: $vgpr0
.LBB14_806:
	s_mov_b32 s26, 0
.LBB14_807:
	s_delay_alu instid0(SALU_CYCLE_1)
	s_and_b32 vcc_lo, exec_lo, s26
	s_cbranch_vccz .LBB14_811
; %bb.808:
	s_cmp_eq_u32 s22, 29
	s_cbranch_scc0 .LBB14_810
; %bb.809:
	global_load_b64 v[0:1], v[2:3], off
	s_mov_b32 s23, 0
	s_mov_b32 s25, -1
	s_mov_b32 s26, 0
	s_wait_loadcnt 0x0
	v_clz_i32_u32_e32 v4, v1
	s_delay_alu instid0(VALU_DEP_1) | instskip(NEXT) | instid1(VALU_DEP_1)
	v_min_u32_e32 v4, 32, v4
	v_lshlrev_b64_e32 v[0:1], v4, v[0:1]
	s_delay_alu instid0(VALU_DEP_1) | instskip(NEXT) | instid1(VALU_DEP_1)
	v_min_u32_e32 v0, 1, v0
	v_or_b32_e32 v0, v1, v0
	v_sub_nc_u32_e32 v1, 32, v4
	s_delay_alu instid0(VALU_DEP_2) | instskip(NEXT) | instid1(VALU_DEP_1)
	v_cvt_f32_u32_e32 v0, v0
	v_ldexp_f32 v0, v0, v1
	s_branch .LBB14_812
.LBB14_810:
	s_mov_b32 s23, -1
                                        ; implicit-def: $vgpr0
.LBB14_811:
	s_mov_b32 s26, 0
.LBB14_812:
	s_delay_alu instid0(SALU_CYCLE_1)
	s_and_b32 vcc_lo, exec_lo, s26
	s_cbranch_vccz .LBB14_830
; %bb.813:
	s_cmp_lt_i32 s22, 27
	s_cbranch_scc1 .LBB14_816
; %bb.814:
	s_cmp_gt_i32 s22, 27
	s_cbranch_scc0 .LBB14_817
; %bb.815:
	global_load_b32 v0, v[2:3], off
	s_mov_b32 s25, 0
	s_wait_loadcnt 0x0
	v_cvt_f32_u32_e32 v0, v0
	s_branch .LBB14_818
.LBB14_816:
	s_mov_b32 s25, -1
                                        ; implicit-def: $vgpr0
	s_branch .LBB14_821
.LBB14_817:
	s_mov_b32 s25, -1
                                        ; implicit-def: $vgpr0
.LBB14_818:
	s_delay_alu instid0(SALU_CYCLE_1)
	s_and_not1_b32 vcc_lo, exec_lo, s25
	s_cbranch_vccnz .LBB14_820
; %bb.819:
	global_load_u16 v0, v[2:3], off
	s_wait_loadcnt 0x0
	v_cvt_f32_u32_e32 v0, v0
.LBB14_820:
	s_mov_b32 s25, 0
.LBB14_821:
	s_delay_alu instid0(SALU_CYCLE_1)
	s_and_not1_b32 vcc_lo, exec_lo, s25
	s_cbranch_vccnz .LBB14_829
; %bb.822:
	global_load_u8 v1, v[2:3], off
	s_mov_b32 s25, 0
	s_mov_b32 s26, exec_lo
	s_wait_loadcnt 0x0
	v_cmpx_lt_i16_e32 0x7f, v1
	s_xor_b32 s26, exec_lo, s26
	s_cbranch_execz .LBB14_843
; %bb.823:
	s_mov_b32 s25, -1
	s_mov_b32 s27, exec_lo
	v_cmpx_eq_u16_e32 0x80, v1
; %bb.824:
	s_xor_b32 s25, exec_lo, -1
; %bb.825:
	s_or_b32 exec_lo, exec_lo, s27
	s_delay_alu instid0(SALU_CYCLE_1)
	s_and_b32 s25, s25, exec_lo
	s_or_saveexec_b32 s26, s26
	v_mov_b32_e32 v0, 0x7f800001
	s_xor_b32 exec_lo, exec_lo, s26
	s_cbranch_execnz .LBB14_844
.LBB14_826:
	s_or_b32 exec_lo, exec_lo, s26
	s_and_saveexec_b32 s26, s25
	s_cbranch_execz .LBB14_828
.LBB14_827:
	v_and_b32_e32 v0, 0xffff, v1
	s_delay_alu instid0(VALU_DEP_1) | instskip(SKIP_1) | instid1(VALU_DEP_2)
	v_and_b32_e32 v4, 7, v0
	v_bfe_u32 v7, v0, 3, 4
	v_clz_i32_u32_e32 v5, v4
	s_delay_alu instid0(VALU_DEP_2) | instskip(NEXT) | instid1(VALU_DEP_2)
	v_cmp_eq_u32_e32 vcc_lo, 0, v7
	v_min_u32_e32 v5, 32, v5
	s_delay_alu instid0(VALU_DEP_1) | instskip(NEXT) | instid1(VALU_DEP_1)
	v_subrev_nc_u32_e32 v6, 28, v5
	v_dual_lshlrev_b32 v0, v6, v0 :: v_dual_sub_nc_u32 v5, 29, v5
	s_delay_alu instid0(VALU_DEP_1) | instskip(NEXT) | instid1(VALU_DEP_1)
	v_dual_lshlrev_b32 v1, 24, v1 :: v_dual_bitop2_b32 v0, 7, v0 bitop3:0x40
	v_dual_cndmask_b32 v0, v4, v0 :: v_dual_cndmask_b32 v5, v7, v5
	s_delay_alu instid0(VALU_DEP_2) | instskip(NEXT) | instid1(VALU_DEP_2)
	v_and_b32_e32 v1, 0x80000000, v1
	v_lshlrev_b32_e32 v0, 20, v0
	s_delay_alu instid0(VALU_DEP_3) | instskip(NEXT) | instid1(VALU_DEP_1)
	v_lshl_add_u32 v4, v5, 23, 0x3b800000
	v_or3_b32 v0, v1, v4, v0
.LBB14_828:
	s_or_b32 exec_lo, exec_lo, s26
.LBB14_829:
	s_mov_b32 s25, -1
.LBB14_830:
	s_mov_b32 s26, 0
.LBB14_831:
	s_delay_alu instid0(SALU_CYCLE_1)
	s_and_b32 vcc_lo, exec_lo, s26
	s_cbranch_vccz .LBB14_864
; %bb.832:
	s_cmp_gt_i32 s22, 22
	s_cbranch_scc0 .LBB14_842
; %bb.833:
	s_cmp_lt_i32 s22, 24
	s_cbranch_scc1 .LBB14_845
; %bb.834:
	s_cmp_gt_i32 s22, 24
	s_cbranch_scc0 .LBB14_846
; %bb.835:
	global_load_u8 v1, v[2:3], off
	s_mov_b32 s25, exec_lo
	s_wait_loadcnt 0x0
	v_cmpx_lt_i16_e32 0x7f, v1
	s_xor_b32 s25, exec_lo, s25
	s_cbranch_execz .LBB14_858
; %bb.836:
	s_mov_b32 s24, -1
	s_mov_b32 s26, exec_lo
	v_cmpx_eq_u16_e32 0x80, v1
; %bb.837:
	s_xor_b32 s24, exec_lo, -1
; %bb.838:
	s_or_b32 exec_lo, exec_lo, s26
	s_delay_alu instid0(SALU_CYCLE_1)
	s_and_b32 s24, s24, exec_lo
	s_or_saveexec_b32 s25, s25
	v_mov_b32_e32 v0, 0x7f800001
	s_xor_b32 exec_lo, exec_lo, s25
	s_cbranch_execnz .LBB14_859
.LBB14_839:
	s_or_b32 exec_lo, exec_lo, s25
	s_and_saveexec_b32 s25, s24
	s_cbranch_execz .LBB14_841
.LBB14_840:
	v_and_b32_e32 v0, 0xffff, v1
	s_delay_alu instid0(VALU_DEP_1) | instskip(SKIP_1) | instid1(VALU_DEP_2)
	v_and_b32_e32 v4, 3, v0
	v_bfe_u32 v7, v0, 2, 5
	v_clz_i32_u32_e32 v5, v4
	s_delay_alu instid0(VALU_DEP_2) | instskip(NEXT) | instid1(VALU_DEP_2)
	v_cmp_eq_u32_e32 vcc_lo, 0, v7
	v_min_u32_e32 v5, 32, v5
	s_delay_alu instid0(VALU_DEP_1) | instskip(NEXT) | instid1(VALU_DEP_1)
	v_subrev_nc_u32_e32 v6, 29, v5
	v_dual_lshlrev_b32 v0, v6, v0 :: v_dual_sub_nc_u32 v5, 30, v5
	s_delay_alu instid0(VALU_DEP_1) | instskip(NEXT) | instid1(VALU_DEP_1)
	v_dual_lshlrev_b32 v1, 24, v1 :: v_dual_bitop2_b32 v0, 3, v0 bitop3:0x40
	v_dual_cndmask_b32 v0, v4, v0 :: v_dual_cndmask_b32 v5, v7, v5
	s_delay_alu instid0(VALU_DEP_2) | instskip(NEXT) | instid1(VALU_DEP_2)
	v_and_b32_e32 v1, 0x80000000, v1
	v_lshlrev_b32_e32 v0, 21, v0
	s_delay_alu instid0(VALU_DEP_3) | instskip(NEXT) | instid1(VALU_DEP_1)
	v_lshl_add_u32 v4, v5, 23, 0x37800000
	v_or3_b32 v0, v1, v4, v0
.LBB14_841:
	s_or_b32 exec_lo, exec_lo, s25
	s_mov_b32 s24, 0
	s_branch .LBB14_847
.LBB14_842:
	s_mov_b32 s24, -1
                                        ; implicit-def: $vgpr0
	s_branch .LBB14_853
.LBB14_843:
	s_or_saveexec_b32 s26, s26
	v_mov_b32_e32 v0, 0x7f800001
	s_xor_b32 exec_lo, exec_lo, s26
	s_cbranch_execz .LBB14_826
.LBB14_844:
	v_cmp_ne_u16_e32 vcc_lo, 0, v1
	v_mov_b32_e32 v0, 0
	s_and_not1_b32 s25, s25, exec_lo
	s_and_b32 s27, vcc_lo, exec_lo
	s_delay_alu instid0(SALU_CYCLE_1)
	s_or_b32 s25, s25, s27
	s_or_b32 exec_lo, exec_lo, s26
	s_and_saveexec_b32 s26, s25
	s_cbranch_execnz .LBB14_827
	s_branch .LBB14_828
.LBB14_845:
	s_mov_b32 s24, -1
                                        ; implicit-def: $vgpr0
	s_branch .LBB14_850
.LBB14_846:
	s_mov_b32 s24, -1
                                        ; implicit-def: $vgpr0
.LBB14_847:
	s_delay_alu instid0(SALU_CYCLE_1)
	s_and_b32 vcc_lo, exec_lo, s24
	s_cbranch_vccz .LBB14_849
; %bb.848:
	global_load_u8 v0, v[2:3], off
	s_wait_loadcnt 0x0
	v_lshlrev_b32_e32 v0, 24, v0
	s_delay_alu instid0(VALU_DEP_1) | instskip(NEXT) | instid1(VALU_DEP_1)
	v_and_b32_e32 v1, 0x7f000000, v0
	v_clz_i32_u32_e32 v4, v1
	v_cmp_ne_u32_e32 vcc_lo, 0, v1
	v_add_nc_u32_e32 v6, 0x1000000, v1
	s_delay_alu instid0(VALU_DEP_3) | instskip(NEXT) | instid1(VALU_DEP_1)
	v_min_u32_e32 v4, 32, v4
	v_sub_nc_u32_e64 v4, v4, 4 clamp
	s_delay_alu instid0(VALU_DEP_1) | instskip(NEXT) | instid1(VALU_DEP_1)
	v_dual_lshlrev_b32 v5, v4, v1 :: v_dual_lshlrev_b32 v4, 23, v4
	v_lshrrev_b32_e32 v5, 4, v5
	s_delay_alu instid0(VALU_DEP_1) | instskip(NEXT) | instid1(VALU_DEP_1)
	v_dual_sub_nc_u32 v4, v5, v4 :: v_dual_ashrrev_i32 v5, 8, v6
	v_add_nc_u32_e32 v4, 0x3c000000, v4
	s_delay_alu instid0(VALU_DEP_1) | instskip(NEXT) | instid1(VALU_DEP_1)
	v_and_or_b32 v4, 0x7f800000, v5, v4
	v_cndmask_b32_e32 v1, 0, v4, vcc_lo
	s_delay_alu instid0(VALU_DEP_1)
	v_and_or_b32 v0, 0x80000000, v0, v1
.LBB14_849:
	s_mov_b32 s24, 0
.LBB14_850:
	s_delay_alu instid0(SALU_CYCLE_1)
	s_and_not1_b32 vcc_lo, exec_lo, s24
	s_cbranch_vccnz .LBB14_852
; %bb.851:
	global_load_u8 v0, v[2:3], off
	s_wait_loadcnt 0x0
	v_lshlrev_b32_e32 v1, 25, v0
	v_lshlrev_b16 v0, 8, v0
	s_delay_alu instid0(VALU_DEP_1) | instskip(SKIP_1) | instid1(VALU_DEP_2)
	v_and_or_b32 v5, 0x7f00, v0, 0.5
	v_bfe_i32 v0, v0, 0, 16
	v_add_f32_e32 v5, -0.5, v5
	v_lshrrev_b32_e32 v4, 4, v1
	v_cmp_gt_u32_e32 vcc_lo, 0x8000000, v1
	s_delay_alu instid0(VALU_DEP_2) | instskip(NEXT) | instid1(VALU_DEP_1)
	v_or_b32_e32 v4, 0x70000000, v4
	v_mul_f32_e32 v4, 0x7800000, v4
	s_delay_alu instid0(VALU_DEP_1) | instskip(NEXT) | instid1(VALU_DEP_1)
	v_cndmask_b32_e32 v1, v4, v5, vcc_lo
	v_and_or_b32 v0, 0x80000000, v0, v1
.LBB14_852:
	s_mov_b32 s24, 0
	s_mov_b32 s25, -1
.LBB14_853:
	s_and_not1_b32 vcc_lo, exec_lo, s24
	s_mov_b32 s24, 0
	s_cbranch_vccnz .LBB14_864
; %bb.854:
	s_cmp_gt_i32 s22, 14
	s_cbranch_scc0 .LBB14_857
; %bb.855:
	s_cmp_eq_u32 s22, 15
	s_cbranch_scc0 .LBB14_860
; %bb.856:
	global_load_u16 v0, v[2:3], off
	s_mov_b32 s23, 0
	s_mov_b32 s25, -1
	s_wait_loadcnt 0x0
	v_lshlrev_b32_e32 v0, 16, v0
	s_branch .LBB14_862
.LBB14_857:
	s_mov_b32 s24, -1
	s_branch .LBB14_861
.LBB14_858:
	s_or_saveexec_b32 s25, s25
	v_mov_b32_e32 v0, 0x7f800001
	s_xor_b32 exec_lo, exec_lo, s25
	s_cbranch_execz .LBB14_839
.LBB14_859:
	v_cmp_ne_u16_e32 vcc_lo, 0, v1
	v_mov_b32_e32 v0, 0
	s_and_not1_b32 s24, s24, exec_lo
	s_and_b32 s26, vcc_lo, exec_lo
	s_delay_alu instid0(SALU_CYCLE_1)
	s_or_b32 s24, s24, s26
	s_or_b32 exec_lo, exec_lo, s25
	s_and_saveexec_b32 s25, s24
	s_cbranch_execnz .LBB14_840
	s_branch .LBB14_841
.LBB14_860:
	s_mov_b32 s23, -1
.LBB14_861:
                                        ; implicit-def: $vgpr0
.LBB14_862:
	s_and_b32 vcc_lo, exec_lo, s24
	s_mov_b32 s24, 0
	s_cbranch_vccz .LBB14_864
; %bb.863:
	s_cmp_lg_u32 s22, 11
	s_mov_b32 s24, -1
	s_cselect_b32 s22, -1, 0
	s_and_not1_b32 s23, s23, exec_lo
	s_and_b32 s22, s22, exec_lo
	s_delay_alu instid0(SALU_CYCLE_1)
	s_or_b32 s23, s23, s22
.LBB14_864:
	s_mov_b32 s22, 0
.LBB14_865:
	s_and_not1_b32 s27, s0, exec_lo
	s_and_b32 s23, s23, exec_lo
	s_and_b32 s25, s25, exec_lo
	;; [unrolled: 1-line block ×4, first 2 shown]
	s_or_b32 s23, s27, s23
.LBB14_866:
	s_wait_xcnt 0x0
	s_or_b32 exec_lo, exec_lo, s14
	s_delay_alu instid0(SALU_CYCLE_1)
	s_and_not1_b32 s0, s0, exec_lo
	s_and_b32 s14, s23, exec_lo
	s_and_b32 s25, s25, exec_lo
	;; [unrolled: 1-line block ×4, first 2 shown]
	s_or_b32 s0, s0, s14
.LBB14_867:
	s_or_b32 exec_lo, exec_lo, s20
	s_delay_alu instid0(SALU_CYCLE_1)
	s_and_not1_b32 s14, s18, exec_lo
	s_and_b32 s18, s21, exec_lo
	s_and_b32 s0, s0, exec_lo
	s_or_b32 s18, s14, s18
	s_and_not1_b32 s14, s17, exec_lo
	s_and_b32 s22, s25, exec_lo
	s_and_b32 s21, s24, exec_lo
	;; [unrolled: 1-line block ×3, first 2 shown]
	s_or_b32 s17, s14, s0
.LBB14_868:
	s_or_b32 exec_lo, exec_lo, s19
	s_delay_alu instid0(SALU_CYCLE_1)
	s_and_not1_b32 s0, s13, exec_lo
	s_and_b32 s13, s18, exec_lo
	s_and_not1_b32 s14, s15, exec_lo
	s_and_b32 s15, s17, exec_lo
	s_or_b32 s13, s0, s13
	s_and_b32 s0, s22, exec_lo
	s_and_b32 s18, s21, exec_lo
	s_and_b32 s17, s20, exec_lo
	s_or_b32 s15, s14, s15
	s_or_b32 exec_lo, exec_lo, s16
	s_mov_b32 s14, 0
	s_and_saveexec_b32 s16, s15
	s_cbranch_execz .LBB14_264
.LBB14_869:
	s_mov_b32 s14, exec_lo
	s_and_not1_b32 s17, s17, exec_lo
	s_trap 2
	s_or_b32 exec_lo, exec_lo, s16
	s_and_saveexec_b32 s15, s17
	s_delay_alu instid0(SALU_CYCLE_1)
	s_xor_b32 s15, exec_lo, s15
	s_cbranch_execnz .LBB14_265
.LBB14_870:
	s_or_b32 exec_lo, exec_lo, s15
	s_and_saveexec_b32 s15, s18
	s_cbranch_execz .LBB14_916
.LBB14_871:
	s_sext_i32_i16 s16, s3
	s_delay_alu instid0(SALU_CYCLE_1)
	s_cmp_lt_i32 s16, 5
	s_cbranch_scc1 .LBB14_876
; %bb.872:
	s_cmp_lt_i32 s16, 8
	s_cbranch_scc1 .LBB14_877
; %bb.873:
	;; [unrolled: 3-line block ×3, first 2 shown]
	s_cmp_gt_i32 s16, 9
	s_cbranch_scc0 .LBB14_879
; %bb.875:
	s_wait_loadcnt 0x0
	global_load_b64 v[0:1], v[2:3], off
	s_mov_b32 s16, 0
	s_wait_loadcnt 0x0
	v_cvt_f32_f64_e32 v0, v[0:1]
	s_branch .LBB14_880
.LBB14_876:
                                        ; implicit-def: $vgpr0
	s_branch .LBB14_897
.LBB14_877:
                                        ; implicit-def: $vgpr0
	s_branch .LBB14_886
.LBB14_878:
	s_mov_b32 s16, -1
                                        ; implicit-def: $vgpr0
	s_branch .LBB14_883
.LBB14_879:
	s_mov_b32 s16, -1
                                        ; implicit-def: $vgpr0
.LBB14_880:
	s_delay_alu instid0(SALU_CYCLE_1)
	s_and_not1_b32 vcc_lo, exec_lo, s16
	s_cbranch_vccnz .LBB14_882
; %bb.881:
	s_wait_loadcnt 0x0
	global_load_b32 v0, v[2:3], off
.LBB14_882:
	s_mov_b32 s16, 0
.LBB14_883:
	s_delay_alu instid0(SALU_CYCLE_1)
	s_and_not1_b32 vcc_lo, exec_lo, s16
	s_cbranch_vccnz .LBB14_885
; %bb.884:
	s_wait_loadcnt 0x0
	global_load_b32 v0, v[2:3], off
	s_wait_loadcnt 0x0
	v_cvt_f32_f16_e32 v0, v0
.LBB14_885:
	s_cbranch_execnz .LBB14_896
.LBB14_886:
	s_sext_i32_i16 s16, s3
	s_delay_alu instid0(SALU_CYCLE_1)
	s_cmp_lt_i32 s16, 6
	s_cbranch_scc1 .LBB14_889
; %bb.887:
	s_cmp_gt_i32 s16, 6
	s_cbranch_scc0 .LBB14_890
; %bb.888:
	s_wait_loadcnt 0x0
	global_load_b64 v[0:1], v[2:3], off
	s_mov_b32 s16, 0
	s_wait_loadcnt 0x0
	v_cvt_f32_f64_e32 v0, v[0:1]
	s_branch .LBB14_891
.LBB14_889:
	s_mov_b32 s16, -1
                                        ; implicit-def: $vgpr0
	s_branch .LBB14_894
.LBB14_890:
	s_mov_b32 s16, -1
                                        ; implicit-def: $vgpr0
.LBB14_891:
	s_delay_alu instid0(SALU_CYCLE_1)
	s_and_not1_b32 vcc_lo, exec_lo, s16
	s_cbranch_vccnz .LBB14_893
; %bb.892:
	s_wait_loadcnt 0x0
	global_load_b32 v0, v[2:3], off
.LBB14_893:
	s_mov_b32 s16, 0
.LBB14_894:
	s_delay_alu instid0(SALU_CYCLE_1)
	s_and_not1_b32 vcc_lo, exec_lo, s16
	s_cbranch_vccnz .LBB14_896
; %bb.895:
	s_wait_loadcnt 0x0
	global_load_u16 v0, v[2:3], off
	s_wait_loadcnt 0x0
	v_cvt_f32_f16_e32 v0, v0
.LBB14_896:
	s_cbranch_execnz .LBB14_915
.LBB14_897:
	s_sext_i32_i16 s16, s3
	s_delay_alu instid0(SALU_CYCLE_1)
	s_cmp_lt_i32 s16, 2
	s_cbranch_scc1 .LBB14_901
; %bb.898:
	s_cmp_lt_i32 s16, 3
	s_cbranch_scc1 .LBB14_902
; %bb.899:
	s_cmp_gt_i32 s16, 3
	s_cbranch_scc0 .LBB14_903
; %bb.900:
	s_wait_loadcnt 0x0
	global_load_b64 v[0:1], v[2:3], off
	s_mov_b32 s16, 0
	s_wait_loadcnt 0x0
	v_xor_b32_e32 v4, v0, v1
	v_cls_i32_e32 v5, v1
	s_delay_alu instid0(VALU_DEP_2) | instskip(NEXT) | instid1(VALU_DEP_1)
	v_ashrrev_i32_e32 v4, 31, v4
	v_add_nc_u32_e32 v4, 32, v4
	s_delay_alu instid0(VALU_DEP_1) | instskip(NEXT) | instid1(VALU_DEP_1)
	v_add_min_u32_e64 v4, v5, -1, v4
	v_lshlrev_b64_e32 v[0:1], v4, v[0:1]
	s_delay_alu instid0(VALU_DEP_1) | instskip(NEXT) | instid1(VALU_DEP_1)
	v_min_u32_e32 v0, 1, v0
	v_or_b32_e32 v0, v1, v0
	v_sub_nc_u32_e32 v1, 32, v4
	s_delay_alu instid0(VALU_DEP_2) | instskip(NEXT) | instid1(VALU_DEP_1)
	v_cvt_f32_i32_e32 v0, v0
	v_ldexp_f32 v0, v0, v1
	s_branch .LBB14_904
.LBB14_901:
                                        ; implicit-def: $vgpr0
	s_branch .LBB14_910
.LBB14_902:
	s_mov_b32 s16, -1
                                        ; implicit-def: $vgpr0
	s_branch .LBB14_907
.LBB14_903:
	s_mov_b32 s16, -1
                                        ; implicit-def: $vgpr0
.LBB14_904:
	s_delay_alu instid0(SALU_CYCLE_1)
	s_and_not1_b32 vcc_lo, exec_lo, s16
	s_cbranch_vccnz .LBB14_906
; %bb.905:
	s_wait_loadcnt 0x0
	global_load_b32 v0, v[2:3], off
	s_wait_loadcnt 0x0
	v_cvt_f32_i32_e32 v0, v0
.LBB14_906:
	s_mov_b32 s16, 0
.LBB14_907:
	s_delay_alu instid0(SALU_CYCLE_1)
	s_and_not1_b32 vcc_lo, exec_lo, s16
	s_cbranch_vccnz .LBB14_909
; %bb.908:
	s_wait_loadcnt 0x0
	global_load_i16 v0, v[2:3], off
	s_wait_loadcnt 0x0
	v_cvt_f32_i32_e32 v0, v0
.LBB14_909:
	s_cbranch_execnz .LBB14_915
.LBB14_910:
	s_sext_i32_i16 s16, s3
	s_delay_alu instid0(SALU_CYCLE_1)
	s_cmp_gt_i32 s16, 0
	s_mov_b32 s16, 0
	s_cbranch_scc0 .LBB14_912
; %bb.911:
	s_wait_loadcnt 0x0
	global_load_i8 v0, v[2:3], off
	s_wait_loadcnt 0x0
	v_cvt_f32_i32_e32 v0, v0
	s_branch .LBB14_913
.LBB14_912:
	s_mov_b32 s16, -1
                                        ; implicit-def: $vgpr0
.LBB14_913:
	s_delay_alu instid0(SALU_CYCLE_1)
	s_and_not1_b32 vcc_lo, exec_lo, s16
	s_cbranch_vccnz .LBB14_915
; %bb.914:
	s_wait_loadcnt 0x0
	global_load_u8 v0, v[2:3], off
	s_wait_loadcnt 0x0
	v_cvt_f32_ubyte0_e32 v0, v0
.LBB14_915:
	s_or_b32 s0, s0, exec_lo
.LBB14_916:
	s_wait_xcnt 0x0
	s_or_b32 exec_lo, exec_lo, s15
	s_mov_b32 s18, 0
	s_mov_b32 s17, 0
                                        ; implicit-def: $sgpr15
                                        ; implicit-def: $vgpr2_vgpr3
	s_and_saveexec_b32 s16, s0
	s_cbranch_execz .LBB14_926
; %bb.917:
	s_wait_loadcnt 0x0
	s_delay_alu instid0(VALU_DEP_1) | instskip(SKIP_1) | instid1(VALU_DEP_1)
	v_mul_f32_e32 v1, s10, v0
	s_mov_b32 s0, exec_lo
	v_cmpx_nlt_f32_e32 s11, v1
	s_cbranch_execz .LBB14_919
; %bb.918:
	v_mul_f32_e32 v0, 0x3fb8aa3b, v1
	v_cmp_ngt_f32_e32 vcc_lo, 0xc2ce8ed0, v1
	s_mov_b32 s15, 0x3e9b6dac
	s_delay_alu instid0(VALU_DEP_2) | instskip(SKIP_1) | instid1(VALU_DEP_1)
	v_rndne_f32_e32 v2, v0
	v_fma_f32 v3, 0x3fb8aa3b, v1, -v0
	v_dual_sub_f32 v0, v0, v2 :: v_dual_fmamk_f32 v3, v1, 0x32a5705f, v3
	v_cvt_i32_f32_e32 v2, v2
	s_delay_alu instid0(VALU_DEP_2) | instskip(NEXT) | instid1(VALU_DEP_1)
	v_add_f32_e32 v0, v0, v3
	v_exp_f32_e32 v0, v0
	v_nop
	s_delay_alu instid0(TRANS32_DEP_1) | instskip(NEXT) | instid1(VALU_DEP_1)
	v_ldexp_f32 v0, v0, v2
	v_cndmask_b32_e32 v0, 0, v0, vcc_lo
	v_cmp_nlt_f32_e32 vcc_lo, 0x42b17218, v1
	s_delay_alu instid0(VALU_DEP_2) | instskip(NEXT) | instid1(VALU_DEP_1)
	v_cndmask_b32_e32 v11, 0x7f800000, v0, vcc_lo
	v_add_f32_e32 v2, 1.0, v11
	s_delay_alu instid0(VALU_DEP_1) | instskip(NEXT) | instid1(VALU_DEP_1)
	v_cvt_f64_f32_e32 v[0:1], v2
	v_frexp_exp_i32_f64_e32 v0, v[0:1]
	v_frexp_mant_f32_e32 v1, v2
	s_delay_alu instid0(VALU_DEP_1) | instskip(NEXT) | instid1(VALU_DEP_3)
	v_cmp_gt_f32_e32 vcc_lo, 0x3f2aaaab, v1
	v_subrev_co_ci_u32_e64 v6, null, 0, v0, vcc_lo
	v_add_f32_e32 v0, -1.0, v2
	v_cmp_neq_f32_e32 vcc_lo, 0x7f800000, v11
	s_delay_alu instid0(VALU_DEP_3) | instskip(NEXT) | instid1(VALU_DEP_3)
	v_sub_nc_u32_e32 v1, 0, v6
	v_dual_sub_f32 v3, v0, v2 :: v_dual_sub_f32 v0, v11, v0
	s_delay_alu instid0(VALU_DEP_2) | instskip(NEXT) | instid1(VALU_DEP_1)
	v_ldexp_f32 v2, v2, v1
	v_dual_add_f32 v3, 1.0, v3 :: v_dual_add_f32 v4, 1.0, v2
	s_delay_alu instid0(VALU_DEP_1) | instskip(NEXT) | instid1(VALU_DEP_2)
	v_dual_add_f32 v5, -1.0, v2 :: v_dual_add_f32 v0, v0, v3
	v_add_f32_e32 v3, -1.0, v4
	s_delay_alu instid0(VALU_DEP_2) | instskip(NEXT) | instid1(VALU_DEP_2)
	v_ldexp_f32 v0, v0, v1
	v_dual_sub_f32 v1, v2, v3 :: v_dual_add_f32 v3, 1.0, v5
	s_delay_alu instid0(VALU_DEP_1) | instskip(NEXT) | instid1(VALU_DEP_1)
	v_dual_add_f32 v7, v0, v1 :: v_dual_sub_f32 v1, v2, v3
	v_add_f32_e32 v9, v0, v1
	s_delay_alu instid0(VALU_DEP_1) | instskip(NEXT) | instid1(VALU_DEP_1)
	v_dual_add_f32 v8, v4, v7 :: v_dual_add_f32 v1, v5, v9
	v_rcp_f32_e32 v12, v8
	s_delay_alu instid0(VALU_DEP_1) | instskip(NEXT) | instid1(TRANS32_DEP_1)
	v_sub_f32_e32 v14, v5, v1
	v_mul_f32_e32 v13, v1, v12
	s_delay_alu instid0(VALU_DEP_1) | instskip(NEXT) | instid1(VALU_DEP_1)
	v_mul_f32_e32 v2, v8, v13
	v_dual_sub_f32 v0, v4, v8 :: v_dual_fma_f32 v4, v13, v8, -v2
	s_delay_alu instid0(VALU_DEP_1) | instskip(NEXT) | instid1(VALU_DEP_1)
	v_add_f32_e32 v7, v7, v0
	v_fmac_f32_e32 v4, v13, v7
	s_delay_alu instid0(VALU_DEP_1) | instskip(NEXT) | instid1(VALU_DEP_1)
	v_add_f32_e32 v0, v2, v4
	v_dual_sub_f32 v3, v1, v0 :: v_dual_mov_b32 v5, v0
	s_delay_alu instid0(VALU_DEP_1) | instskip(NEXT) | instid1(VALU_DEP_1)
	v_pk_add_f32 v[0:1], v[0:1], v[2:3] neg_lo:[0,1] neg_hi:[0,1]
	v_pk_add_f32 v[0:1], v[0:1], v[4:5] neg_lo:[0,1] neg_hi:[0,1]
	v_add_f32_e32 v2, v9, v14
	s_delay_alu instid0(VALU_DEP_1) | instskip(NEXT) | instid1(VALU_DEP_1)
	v_add_f32_e32 v1, v2, v1
	v_add_f32_e32 v9, v0, v1
	s_delay_alu instid0(VALU_DEP_1) | instskip(NEXT) | instid1(VALU_DEP_1)
	v_add_f32_e32 v1, v3, v9
	v_mul_f32_e32 v14, v12, v1
	s_delay_alu instid0(VALU_DEP_1) | instskip(NEXT) | instid1(VALU_DEP_1)
	v_mul_f32_e32 v4, v8, v14
	v_fma_f32 v2, v14, v8, -v4
	s_delay_alu instid0(VALU_DEP_1) | instskip(NEXT) | instid1(VALU_DEP_1)
	v_dual_fmac_f32 v2, v14, v7 :: v_dual_sub_f32 v7, v3, v1
	v_add_f32_e32 v0, v4, v2
	s_delay_alu instid0(VALU_DEP_1) | instskip(NEXT) | instid1(VALU_DEP_1)
	v_dual_sub_f32 v5, v1, v0 :: v_dual_mov_b32 v3, v0
	v_pk_add_f32 v[0:1], v[0:1], v[4:5] neg_lo:[0,1] neg_hi:[0,1]
	s_delay_alu instid0(VALU_DEP_4) | instskip(NEXT) | instid1(VALU_DEP_2)
	v_add_f32_e32 v4, v9, v7
	v_pk_add_f32 v[0:1], v[0:1], v[2:3] neg_lo:[0,1] neg_hi:[0,1]
	v_cvt_f32_i32_e32 v2, v6
	s_delay_alu instid0(VALU_DEP_2) | instskip(NEXT) | instid1(VALU_DEP_1)
	v_dual_add_f32 v1, v4, v1 :: v_dual_add_f32 v4, v13, v14
	v_add_f32_e32 v0, v0, v1
	s_delay_alu instid0(VALU_DEP_2) | instskip(NEXT) | instid1(VALU_DEP_1)
	v_sub_f32_e32 v1, v4, v13
	v_dual_sub_f32 v1, v14, v1 :: v_dual_add_f32 v0, v5, v0
	s_delay_alu instid0(VALU_DEP_1) | instskip(NEXT) | instid1(VALU_DEP_1)
	v_mul_f32_e32 v0, v12, v0
	v_dual_add_f32 v7, v1, v0 :: v_dual_mov_b32 v0, 0x3f317218
	s_delay_alu instid0(VALU_DEP_1) | instskip(NEXT) | instid1(VALU_DEP_1)
	v_add_f32_e32 v5, v4, v7
	v_mul_f32_e32 v1, v5, v5
	s_delay_alu instid0(VALU_DEP_1) | instskip(NEXT) | instid1(VALU_DEP_1)
	v_dual_fmaak_f32 v8, s15, v1, 0x3ecc95a3 :: v_dual_mul_f32 v3, v5, v1
	v_fmaak_f32 v1, v1, v8, 0x3f2aaada
	s_delay_alu instid0(VALU_DEP_1) | instskip(SKIP_1) | instid1(VALU_DEP_2)
	v_pk_mul_f32 v[0:1], v[2:3], v[0:1]
	v_ldexp_f32 v3, v5, 1
	v_fma_f32 v6, 0x3f317218, v2, -v0
	s_delay_alu instid0(VALU_DEP_1) | instskip(SKIP_1) | instid1(VALU_DEP_2)
	v_fmamk_f32 v2, v2, 0xb102e308, v6
	v_sub_f32_e32 v6, v5, v4
	v_pk_add_f32 v[4:5], v[0:1], v[2:3]
	s_delay_alu instid0(VALU_DEP_1) | instskip(NEXT) | instid1(VALU_DEP_1)
	v_dual_sub_f32 v3, v5, v3 :: v_dual_sub_f32 v6, v7, v6
	v_sub_f32_e32 v3, v1, v3
	s_delay_alu instid0(VALU_DEP_2) | instskip(SKIP_2) | instid1(VALU_DEP_3)
	v_ldexp_f32 v7, v6, 1
	v_mov_b32_e32 v6, v0
	v_pk_add_f32 v[0:1], v[4:5], v[0:1] neg_lo:[0,1] neg_hi:[0,1]
	v_dual_add_f32 v7, v7, v3 :: v_dual_mov_b32 v3, v4
	s_delay_alu instid0(VALU_DEP_1) | instskip(NEXT) | instid1(VALU_DEP_1)
	v_pk_add_f32 v[8:9], v[4:5], v[6:7]
	v_dual_mov_b32 v16, v5 :: v_dual_mov_b32 v1, v9
	s_delay_alu instid0(VALU_DEP_1) | instskip(NEXT) | instid1(VALU_DEP_1)
	v_pk_add_f32 v[12:13], v[2:3], v[0:1]
	v_dual_mov_b32 v12, v9 :: v_dual_mov_b32 v6, v13
	v_pk_add_f32 v[0:1], v[2:3], v[0:1] neg_lo:[0,1] neg_hi:[0,1]
	v_mov_b32_e32 v1, v13
	s_delay_alu instid0(VALU_DEP_3) | instskip(SKIP_1) | instid1(VALU_DEP_2)
	v_pk_add_f32 v[14:15], v[6:7], v[4:5] neg_lo:[0,1] neg_hi:[0,1]
	v_dual_mov_b32 v5, v4 :: v_dual_mov_b32 v4, v7
	v_dual_mov_b32 v7, v14 :: v_dual_mov_b32 v17, v14
	s_delay_alu instid0(VALU_DEP_1) | instskip(NEXT) | instid1(VALU_DEP_2)
	v_pk_add_f32 v[8:9], v[8:9], v[6:7] neg_lo:[0,1] neg_hi:[0,1]
	v_pk_add_f32 v[2:3], v[12:13], v[16:17] neg_lo:[0,1] neg_hi:[0,1]
	v_mov_b32_e32 v8, v0
	s_delay_alu instid0(VALU_DEP_2) | instskip(NEXT) | instid1(VALU_DEP_1)
	v_pk_add_f32 v[2:3], v[4:5], v[2:3] neg_lo:[0,1] neg_hi:[0,1]
	v_pk_add_f32 v[4:5], v[8:9], v[2:3]
	s_delay_alu instid0(VALU_DEP_1) | instskip(NEXT) | instid1(VALU_DEP_1)
	v_mov_b32_e32 v8, v5
	v_pk_add_f32 v[8:9], v[4:5], v[8:9]
	s_delay_alu instid0(VALU_DEP_1) | instskip(NEXT) | instid1(VALU_DEP_1)
	v_pk_add_f32 v[6:7], v[6:7], v[8:9]
	v_mov_b32_e32 v5, v6
	s_delay_alu instid0(VALU_DEP_1) | instskip(NEXT) | instid1(VALU_DEP_1)
	v_pk_add_f32 v[12:13], v[4:5], v[0:1] neg_lo:[0,1] neg_hi:[0,1]
	v_sub_f32_e32 v1, v4, v12
	s_delay_alu instid0(VALU_DEP_1) | instskip(SKIP_1) | instid1(VALU_DEP_1)
	v_sub_f32_e32 v0, v0, v1
	v_mov_b32_e32 v3, v8
	v_pk_add_f32 v[2:3], v[2:3], v[12:13] neg_lo:[0,1] neg_hi:[0,1]
	s_delay_alu instid0(VALU_DEP_1) | instskip(NEXT) | instid1(VALU_DEP_1)
	v_add_f32_e32 v0, v2, v0
	v_add_f32_e32 v0, v0, v3
	s_delay_alu instid0(VALU_DEP_1) | instskip(NEXT) | instid1(VALU_DEP_1)
	v_add_f32_e32 v0, v6, v0
	v_cndmask_b32_e32 v0, 0x7f800000, v0, vcc_lo
	v_cmp_gt_f32_e64 vcc_lo, 0x33800000, |v11|
	s_delay_alu instid0(VALU_DEP_2) | instskip(NEXT) | instid1(VALU_DEP_1)
	v_cndmask_b32_e32 v0, v0, v11, vcc_lo
	v_div_scale_f32 v1, null, s10, s10, v0
	s_delay_alu instid0(VALU_DEP_1) | instskip(SKIP_1) | instid1(TRANS32_DEP_1)
	v_rcp_f32_e32 v2, v1
	v_nop
	v_fma_f32 v3, -v1, v2, 1.0
	s_delay_alu instid0(VALU_DEP_1) | instskip(SKIP_1) | instid1(VALU_DEP_1)
	v_fmac_f32_e32 v2, v3, v2
	v_div_scale_f32 v3, vcc_lo, v0, s10, v0
	v_mul_f32_e32 v4, v3, v2
	s_delay_alu instid0(VALU_DEP_1) | instskip(NEXT) | instid1(VALU_DEP_1)
	v_fma_f32 v5, -v1, v4, v3
	v_fmac_f32_e32 v4, v5, v2
	s_delay_alu instid0(VALU_DEP_1) | instskip(NEXT) | instid1(VALU_DEP_1)
	v_fma_f32 v1, -v1, v4, v3
	v_div_fmas_f32 v1, v1, v2, v4
	s_delay_alu instid0(VALU_DEP_1)
	v_div_fixup_f32 v0, v1, s10, v0
.LBB14_919:
	s_or_b32 exec_lo, exec_lo, s0
	v_mul_lo_u32 v2, v10, s8
	s_and_b32 s15, s2, 0xff
	s_delay_alu instid0(SALU_CYCLE_1) | instskip(NEXT) | instid1(VALU_DEP_1)
	s_cmp_lt_i32 s15, 11
	v_ashrrev_i32_e32 v3, 31, v2
	s_delay_alu instid0(VALU_DEP_1)
	v_add_nc_u64_e32 v[2:3], s[4:5], v[2:3]
	s_cbranch_scc1 .LBB14_929
; %bb.920:
	s_and_b32 s17, 0xffff, s15
	s_mov_b32 s18, -1
	s_cmp_gt_i32 s17, 25
	s_mov_b32 s0, s13
	s_cbranch_scc0 .LBB14_957
; %bb.921:
	s_cmp_gt_i32 s17, 28
	s_mov_b32 s0, s13
	s_cbranch_scc0 .LBB14_941
; %bb.922:
	;; [unrolled: 4-line block ×4, first 2 shown]
	s_cmp_eq_u32 s17, 46
	s_mov_b32 s0, -1
	s_cbranch_scc0 .LBB14_930
; %bb.925:
	v_bfe_u32 v1, v0, 16, 1
	v_cmp_o_f32_e32 vcc_lo, v0, v0
	s_mov_b32 s0, 0
	s_mov_b32 s18, 0
	s_delay_alu instid0(VALU_DEP_2) | instskip(NEXT) | instid1(VALU_DEP_1)
	v_add3_u32 v1, v0, v1, 0x7fff
	v_lshrrev_b32_e32 v1, 16, v1
	s_delay_alu instid0(VALU_DEP_1)
	v_cndmask_b32_e32 v1, 0x7fc0, v1, vcc_lo
	global_store_b32 v[2:3], v1, off
	s_branch .LBB14_931
.LBB14_926:
	s_or_b32 exec_lo, exec_lo, s16
	s_and_saveexec_b32 s0, s13
	s_cbranch_execnz .LBB14_999
.LBB14_927:
	s_or_b32 exec_lo, exec_lo, s0
	s_and_saveexec_b32 s0, s18
	s_delay_alu instid0(SALU_CYCLE_1)
	s_xor_b32 s0, exec_lo, s0
	s_cbranch_execz .LBB14_1000
.LBB14_928:
	s_wait_loadcnt 0x0
	s_delay_alu instid0(VALU_DEP_1)
	v_cmp_neq_f32_e32 vcc_lo, 0, v0
	v_cndmask_b32_e64 v1, 0, 1, vcc_lo
	global_store_b8 v[2:3], v1, off
	s_wait_xcnt 0x0
	s_or_b32 exec_lo, exec_lo, s0
	s_and_saveexec_b32 s0, s17
	s_delay_alu instid0(SALU_CYCLE_1)
	s_xor_b32 s0, exec_lo, s0
	s_cbranch_execz .LBB14_1038
	s_branch .LBB14_1001
.LBB14_929:
	s_mov_b32 s19, 0
	s_mov_b32 s18, -1
	s_mov_b32 s0, s13
	s_branch .LBB14_998
.LBB14_930:
	s_mov_b32 s18, 0
.LBB14_931:
	s_delay_alu instid0(SALU_CYCLE_1)
	s_and_b32 vcc_lo, exec_lo, s18
	s_cbranch_vccz .LBB14_936
; %bb.932:
	s_cmp_eq_u32 s17, 44
	s_mov_b32 s0, -1
	s_cbranch_scc0 .LBB14_936
; %bb.933:
	v_bfe_u32 v4, v0, 23, 8
	s_wait_xcnt 0x0
	v_mov_b32_e32 v1, 0xff
	s_mov_b32 s18, exec_lo
	s_delay_alu instid0(VALU_DEP_2)
	v_cmpx_ne_u32_e32 0xff, v4
	s_cbranch_execz .LBB14_935
; %bb.934:
	v_and_b32_e32 v1, 0x400000, v0
	v_and_or_b32 v4, 0x3fffff, v0, v4
	s_delay_alu instid0(VALU_DEP_2) | instskip(NEXT) | instid1(VALU_DEP_2)
	v_cmp_ne_u32_e32 vcc_lo, 0, v1
	v_cmp_ne_u32_e64 s0, 0, v4
	v_lshrrev_b32_e32 v1, 23, v0
	s_and_b32 s0, vcc_lo, s0
	s_delay_alu instid0(SALU_CYCLE_1) | instskip(NEXT) | instid1(VALU_DEP_1)
	v_cndmask_b32_e64 v4, 0, 1, s0
	v_add_nc_u32_e32 v1, v1, v4
.LBB14_935:
	s_or_b32 exec_lo, exec_lo, s18
	s_mov_b32 s0, 0
	global_store_b8 v[2:3], v1, off
.LBB14_936:
	s_mov_b32 s18, 0
.LBB14_937:
	s_delay_alu instid0(SALU_CYCLE_1)
	s_and_b32 vcc_lo, exec_lo, s18
	s_cbranch_vccz .LBB14_940
; %bb.938:
	s_cmp_eq_u32 s17, 29
	s_mov_b32 s0, -1
	s_cbranch_scc0 .LBB14_940
; %bb.939:
	s_wait_xcnt 0x0
	v_trunc_f32_e32 v1, v0
	s_mov_b32 s0, 0
	s_mov_b32 s18, 0
	s_delay_alu instid0(VALU_DEP_1) | instskip(NEXT) | instid1(VALU_DEP_1)
	v_mul_f32_e32 v4, 0x2f800000, v1
	v_floor_f32_e32 v4, v4
	s_delay_alu instid0(VALU_DEP_1) | instskip(SKIP_1) | instid1(VALU_DEP_2)
	v_fmamk_f32 v1, v4, 0xcf800000, v1
	v_cvt_u32_f32_e32 v5, v4
	v_cvt_u32_f32_e32 v4, v1
	global_store_b64 v[2:3], v[4:5], off
	s_branch .LBB14_941
.LBB14_940:
	s_mov_b32 s18, 0
.LBB14_941:
	s_delay_alu instid0(SALU_CYCLE_1)
	s_and_b32 vcc_lo, exec_lo, s18
	s_cbranch_vccz .LBB14_956
; %bb.942:
	s_cmp_lt_i32 s17, 27
	s_mov_b32 s18, -1
	s_cbranch_scc1 .LBB14_948
; %bb.943:
	s_wait_xcnt 0x0
	v_cvt_u32_f32_e32 v1, v0
	s_cmp_gt_i32 s17, 27
	s_cbranch_scc0 .LBB14_945
; %bb.944:
	s_mov_b32 s18, 0
	global_store_b32 v[2:3], v1, off
.LBB14_945:
	s_and_not1_b32 vcc_lo, exec_lo, s18
	s_cbranch_vccnz .LBB14_947
; %bb.946:
	global_store_b16 v[2:3], v1, off
.LBB14_947:
	s_mov_b32 s18, 0
.LBB14_948:
	s_delay_alu instid0(SALU_CYCLE_1)
	s_and_not1_b32 vcc_lo, exec_lo, s18
	s_cbranch_vccnz .LBB14_956
; %bb.949:
	s_wait_xcnt 0x0
	v_and_b32_e32 v1, 0x7fffffff, v0
	v_mov_b32_e32 v4, 0x80
	s_mov_b32 s18, exec_lo
	s_delay_alu instid0(VALU_DEP_2)
	v_cmpx_gt_u32_e32 0x43800000, v1
	s_cbranch_execz .LBB14_955
; %bb.950:
	v_cmp_lt_u32_e32 vcc_lo, 0x3bffffff, v1
	s_mov_b32 s19, 0
                                        ; implicit-def: $vgpr1
	s_and_saveexec_b32 s20, vcc_lo
	s_delay_alu instid0(SALU_CYCLE_1)
	s_xor_b32 s20, exec_lo, s20
	s_cbranch_execz .LBB14_1053
; %bb.951:
	v_bfe_u32 v1, v0, 20, 1
	s_mov_b32 s19, exec_lo
	s_delay_alu instid0(VALU_DEP_1) | instskip(NEXT) | instid1(VALU_DEP_1)
	v_add3_u32 v1, v0, v1, 0x487ffff
	v_lshrrev_b32_e32 v1, 20, v1
	s_and_not1_saveexec_b32 s20, s20
	s_cbranch_execnz .LBB14_1054
.LBB14_952:
	s_or_b32 exec_lo, exec_lo, s20
	v_mov_b32_e32 v4, 0
	s_and_saveexec_b32 s20, s19
.LBB14_953:
	v_lshrrev_b32_e32 v4, 24, v0
	s_delay_alu instid0(VALU_DEP_1)
	v_and_or_b32 v4, 0x80, v4, v1
.LBB14_954:
	s_or_b32 exec_lo, exec_lo, s20
.LBB14_955:
	s_delay_alu instid0(SALU_CYCLE_1)
	s_or_b32 exec_lo, exec_lo, s18
	global_store_b8 v[2:3], v4, off
.LBB14_956:
	s_mov_b32 s18, 0
.LBB14_957:
	s_delay_alu instid0(SALU_CYCLE_1)
	s_and_b32 vcc_lo, exec_lo, s18
	s_mov_b32 s18, 0
	s_cbranch_vccz .LBB14_997
; %bb.958:
	s_cmp_gt_i32 s17, 22
	s_mov_b32 s19, -1
	s_cbranch_scc0 .LBB14_990
; %bb.959:
	s_cmp_lt_i32 s17, 24
	s_cbranch_scc1 .LBB14_979
; %bb.960:
	s_cmp_gt_i32 s17, 24
	s_cbranch_scc0 .LBB14_968
; %bb.961:
	s_wait_xcnt 0x0
	v_and_b32_e32 v1, 0x7fffffff, v0
	v_mov_b32_e32 v4, 0x80
	s_mov_b32 s19, exec_lo
	s_delay_alu instid0(VALU_DEP_2)
	v_cmpx_gt_u32_e32 0x47800000, v1
	s_cbranch_execz .LBB14_967
; %bb.962:
	v_cmp_lt_u32_e32 vcc_lo, 0x37ffffff, v1
	s_mov_b32 s20, 0
                                        ; implicit-def: $vgpr1
	s_and_saveexec_b32 s21, vcc_lo
	s_delay_alu instid0(SALU_CYCLE_1)
	s_xor_b32 s21, exec_lo, s21
	s_cbranch_execz .LBB14_1181
; %bb.963:
	v_bfe_u32 v1, v0, 21, 1
	s_mov_b32 s20, exec_lo
	s_delay_alu instid0(VALU_DEP_1) | instskip(NEXT) | instid1(VALU_DEP_1)
	v_add3_u32 v1, v0, v1, 0x88fffff
	v_lshrrev_b32_e32 v1, 21, v1
	s_and_not1_saveexec_b32 s21, s21
	s_cbranch_execnz .LBB14_1182
.LBB14_964:
	s_or_b32 exec_lo, exec_lo, s21
	v_mov_b32_e32 v4, 0
	s_and_saveexec_b32 s21, s20
.LBB14_965:
	v_lshrrev_b32_e32 v4, 24, v0
	s_delay_alu instid0(VALU_DEP_1)
	v_and_or_b32 v4, 0x80, v4, v1
.LBB14_966:
	s_or_b32 exec_lo, exec_lo, s21
.LBB14_967:
	s_delay_alu instid0(SALU_CYCLE_1)
	s_or_b32 exec_lo, exec_lo, s19
	s_mov_b32 s19, 0
	global_store_b8 v[2:3], v4, off
.LBB14_968:
	s_and_b32 vcc_lo, exec_lo, s19
	s_cbranch_vccz .LBB14_978
; %bb.969:
	s_wait_xcnt 0x0
	v_and_b32_e32 v4, 0x7fffffff, v0
	s_mov_b32 s19, exec_lo
                                        ; implicit-def: $vgpr1
	s_delay_alu instid0(VALU_DEP_1)
	v_cmpx_gt_u32_e32 0x43f00000, v4
	s_xor_b32 s19, exec_lo, s19
	s_cbranch_execz .LBB14_975
; %bb.970:
	s_mov_b32 s20, exec_lo
                                        ; implicit-def: $vgpr1
	v_cmpx_lt_u32_e32 0x3c7fffff, v4
	s_xor_b32 s20, exec_lo, s20
; %bb.971:
	v_bfe_u32 v1, v0, 20, 1
	s_delay_alu instid0(VALU_DEP_1) | instskip(NEXT) | instid1(VALU_DEP_1)
	v_add3_u32 v1, v0, v1, 0x407ffff
	v_and_b32_e32 v4, 0xff00000, v1
	v_lshrrev_b32_e32 v1, 20, v1
	s_delay_alu instid0(VALU_DEP_2) | instskip(NEXT) | instid1(VALU_DEP_2)
	v_cmp_ne_u32_e32 vcc_lo, 0x7f00000, v4
	v_cndmask_b32_e32 v1, 0x7e, v1, vcc_lo
; %bb.972:
	s_and_not1_saveexec_b32 s20, s20
; %bb.973:
	v_add_f32_e64 v1, 0x46800000, |v0|
; %bb.974:
	s_or_b32 exec_lo, exec_lo, s20
                                        ; implicit-def: $vgpr4
.LBB14_975:
	s_and_not1_saveexec_b32 s19, s19
; %bb.976:
	v_mov_b32_e32 v1, 0x7f
	v_cmp_lt_u32_e32 vcc_lo, 0x7f800000, v4
	s_delay_alu instid0(VALU_DEP_2)
	v_cndmask_b32_e32 v1, 0x7e, v1, vcc_lo
; %bb.977:
	s_or_b32 exec_lo, exec_lo, s19
	v_lshrrev_b32_e32 v4, 24, v0
	s_delay_alu instid0(VALU_DEP_1)
	v_and_or_b32 v1, 0x80, v4, v1
	global_store_b8 v[2:3], v1, off
.LBB14_978:
	s_mov_b32 s19, 0
.LBB14_979:
	s_delay_alu instid0(SALU_CYCLE_1)
	s_and_not1_b32 vcc_lo, exec_lo, s19
	s_cbranch_vccnz .LBB14_989
; %bb.980:
	s_wait_xcnt 0x0
	v_and_b32_e32 v4, 0x7fffffff, v0
	s_mov_b32 s19, exec_lo
                                        ; implicit-def: $vgpr1
	s_delay_alu instid0(VALU_DEP_1)
	v_cmpx_gt_u32_e32 0x47800000, v4
	s_xor_b32 s19, exec_lo, s19
	s_cbranch_execz .LBB14_986
; %bb.981:
	s_mov_b32 s20, exec_lo
                                        ; implicit-def: $vgpr1
	v_cmpx_lt_u32_e32 0x387fffff, v4
	s_xor_b32 s20, exec_lo, s20
; %bb.982:
	v_bfe_u32 v1, v0, 21, 1
	s_delay_alu instid0(VALU_DEP_1) | instskip(NEXT) | instid1(VALU_DEP_1)
	v_add3_u32 v1, v0, v1, 0x80fffff
	v_lshrrev_b32_e32 v1, 21, v1
; %bb.983:
	s_and_not1_saveexec_b32 s20, s20
; %bb.984:
	v_add_f32_e64 v1, 0x43000000, |v0|
; %bb.985:
	s_or_b32 exec_lo, exec_lo, s20
                                        ; implicit-def: $vgpr4
.LBB14_986:
	s_and_not1_saveexec_b32 s19, s19
; %bb.987:
	v_mov_b32_e32 v1, 0x7f
	v_cmp_lt_u32_e32 vcc_lo, 0x7f800000, v4
	s_delay_alu instid0(VALU_DEP_2)
	v_cndmask_b32_e32 v1, 0x7c, v1, vcc_lo
; %bb.988:
	s_or_b32 exec_lo, exec_lo, s19
	v_lshrrev_b32_e32 v4, 24, v0
	s_delay_alu instid0(VALU_DEP_1)
	v_and_or_b32 v1, 0x80, v4, v1
	global_store_b8 v[2:3], v1, off
.LBB14_989:
	s_mov_b32 s19, 0
.LBB14_990:
	s_delay_alu instid0(SALU_CYCLE_1)
	s_and_not1_b32 vcc_lo, exec_lo, s19
	s_mov_b32 s19, 0
	s_cbranch_vccnz .LBB14_998
; %bb.991:
	s_cmp_gt_i32 s17, 14
	s_mov_b32 s19, -1
	s_cbranch_scc0 .LBB14_995
; %bb.992:
	s_cmp_eq_u32 s17, 15
	s_mov_b32 s0, -1
	s_cbranch_scc0 .LBB14_994
; %bb.993:
	s_wait_xcnt 0x0
	v_bfe_u32 v1, v0, 16, 1
	v_cmp_o_f32_e32 vcc_lo, v0, v0
	s_mov_b32 s0, 0
	s_delay_alu instid0(VALU_DEP_2) | instskip(NEXT) | instid1(VALU_DEP_1)
	v_add3_u32 v1, v0, v1, 0x7fff
	v_lshrrev_b32_e32 v1, 16, v1
	s_delay_alu instid0(VALU_DEP_1)
	v_cndmask_b32_e32 v1, 0x7fc0, v1, vcc_lo
	global_store_b16 v[2:3], v1, off
.LBB14_994:
	s_mov_b32 s19, 0
.LBB14_995:
	s_delay_alu instid0(SALU_CYCLE_1)
	s_and_b32 vcc_lo, exec_lo, s19
	s_mov_b32 s19, 0
	s_cbranch_vccz .LBB14_998
; %bb.996:
	s_cmp_lg_u32 s17, 11
	s_mov_b32 s19, -1
	s_cselect_b32 s17, -1, 0
	s_and_not1_b32 s0, s0, exec_lo
	s_and_b32 s17, s17, exec_lo
	s_delay_alu instid0(SALU_CYCLE_1)
	s_or_b32 s0, s0, s17
	s_branch .LBB14_998
.LBB14_997:
	s_mov_b32 s19, 0
.LBB14_998:
	s_and_not1_b32 s13, s13, exec_lo
	s_and_b32 s0, s0, exec_lo
	s_and_b32 s17, s18, exec_lo
	;; [unrolled: 1-line block ×3, first 2 shown]
	s_or_b32 s13, s13, s0
	s_wait_xcnt 0x0
	s_or_b32 exec_lo, exec_lo, s16
	s_and_saveexec_b32 s0, s13
	s_cbranch_execz .LBB14_927
.LBB14_999:
	s_or_b32 s14, s14, exec_lo
	s_and_not1_b32 s18, s18, exec_lo
	s_trap 2
	s_or_b32 exec_lo, exec_lo, s0
	s_and_saveexec_b32 s0, s18
	s_delay_alu instid0(SALU_CYCLE_1)
	s_xor_b32 s0, exec_lo, s0
	s_cbranch_execnz .LBB14_928
.LBB14_1000:
	s_or_b32 exec_lo, exec_lo, s0
	s_and_saveexec_b32 s0, s17
	s_delay_alu instid0(SALU_CYCLE_1)
	s_xor_b32 s0, exec_lo, s0
	s_cbranch_execz .LBB14_1038
.LBB14_1001:
	s_sext_i32_i16 s16, s15
	s_mov_b32 s13, -1
	s_cmp_lt_i32 s16, 5
	s_cbranch_scc1 .LBB14_1022
; %bb.1002:
	s_cmp_lt_i32 s16, 8
	s_cbranch_scc1 .LBB14_1012
; %bb.1003:
	;; [unrolled: 3-line block ×3, first 2 shown]
	s_cmp_gt_i32 s16, 9
	s_cbranch_scc0 .LBB14_1006
; %bb.1005:
	s_wait_loadcnt 0x0
	v_cvt_f64_f32_e32 v[4:5], v0
	v_mov_b32_e32 v6, 0
	s_mov_b32 s13, 0
	s_delay_alu instid0(VALU_DEP_1)
	v_mov_b32_e32 v7, v6
	global_store_b128 v[2:3], v[4:7], off
.LBB14_1006:
	s_and_not1_b32 vcc_lo, exec_lo, s13
	s_cbranch_vccnz .LBB14_1008
; %bb.1007:
	v_mov_b32_e32 v1, 0
	s_wait_loadcnt 0x0
	global_store_b64 v[2:3], v[0:1], off
.LBB14_1008:
	s_mov_b32 s13, 0
.LBB14_1009:
	s_delay_alu instid0(SALU_CYCLE_1)
	s_and_not1_b32 vcc_lo, exec_lo, s13
	s_cbranch_vccnz .LBB14_1011
; %bb.1010:
	s_wait_loadcnt 0x0
	v_cvt_f16_f32_e32 v1, v0
	s_delay_alu instid0(VALU_DEP_1)
	v_and_b32_e32 v1, 0xffff, v1
	global_store_b32 v[2:3], v1, off
.LBB14_1011:
	s_mov_b32 s13, 0
.LBB14_1012:
	s_delay_alu instid0(SALU_CYCLE_1)
	s_and_not1_b32 vcc_lo, exec_lo, s13
	s_cbranch_vccnz .LBB14_1021
; %bb.1013:
	s_sext_i32_i16 s16, s15
	s_mov_b32 s13, -1
	s_cmp_lt_i32 s16, 6
	s_cbranch_scc1 .LBB14_1019
; %bb.1014:
	s_cmp_gt_i32 s16, 6
	s_cbranch_scc0 .LBB14_1016
; %bb.1015:
	s_wait_loadcnt 0x0
	v_cvt_f64_f32_e32 v[4:5], v0
	s_mov_b32 s13, 0
	global_store_b64 v[2:3], v[4:5], off
.LBB14_1016:
	s_and_not1_b32 vcc_lo, exec_lo, s13
	s_cbranch_vccnz .LBB14_1018
; %bb.1017:
	s_wait_loadcnt 0x0
	global_store_b32 v[2:3], v0, off
.LBB14_1018:
	s_mov_b32 s13, 0
.LBB14_1019:
	s_delay_alu instid0(SALU_CYCLE_1)
	s_and_not1_b32 vcc_lo, exec_lo, s13
	s_cbranch_vccnz .LBB14_1021
; %bb.1020:
	s_wait_loadcnt 0x0
	v_cvt_f16_f32_e32 v1, v0
	global_store_b16 v[2:3], v1, off
.LBB14_1021:
	s_mov_b32 s13, 0
.LBB14_1022:
	s_delay_alu instid0(SALU_CYCLE_1)
	s_and_not1_b32 vcc_lo, exec_lo, s13
	s_cbranch_vccnz .LBB14_1038
; %bb.1023:
	s_sext_i32_i16 s16, s15
	s_mov_b32 s13, -1
	s_cmp_lt_i32 s16, 2
	s_cbranch_scc1 .LBB14_1033
; %bb.1024:
	s_cmp_lt_i32 s16, 3
	s_cbranch_scc1 .LBB14_1030
; %bb.1025:
	s_cmp_gt_i32 s16, 3
	s_cbranch_scc0 .LBB14_1027
; %bb.1026:
	s_wait_loadcnt 0x0
	v_trunc_f32_e32 v1, v0
	s_mov_b32 s13, 0
	s_delay_alu instid0(VALU_DEP_1) | instskip(NEXT) | instid1(VALU_DEP_1)
	v_mul_f32_e64 v4, 0x2f800000, |v1|
	v_floor_f32_e32 v5, v4
	v_ashrrev_i32_e32 v4, 31, v1
	s_delay_alu instid0(VALU_DEP_2) | instskip(SKIP_1) | instid1(VALU_DEP_3)
	v_fma_f32 v6, 0xcf800000, v5, |v1|
	v_cvt_u32_f32_e32 v1, v5
	v_mov_b32_e32 v5, v4
	s_delay_alu instid0(VALU_DEP_3) | instskip(NEXT) | instid1(VALU_DEP_3)
	v_cvt_u32_f32_e32 v6, v6
	v_xor_b32_e32 v7, v1, v4
	s_delay_alu instid0(VALU_DEP_2) | instskip(NEXT) | instid1(VALU_DEP_1)
	v_xor_b32_e32 v6, v6, v4
	v_sub_nc_u64_e32 v[4:5], v[6:7], v[4:5]
	global_store_b64 v[2:3], v[4:5], off
.LBB14_1027:
	s_and_not1_b32 vcc_lo, exec_lo, s13
	s_cbranch_vccnz .LBB14_1029
; %bb.1028:
	s_wait_loadcnt 0x0
	v_cvt_i32_f32_e32 v1, v0
	global_store_b32 v[2:3], v1, off
.LBB14_1029:
	s_mov_b32 s13, 0
.LBB14_1030:
	s_delay_alu instid0(SALU_CYCLE_1)
	s_and_not1_b32 vcc_lo, exec_lo, s13
	s_cbranch_vccnz .LBB14_1032
; %bb.1031:
	s_wait_loadcnt 0x0
	v_cvt_i32_f32_e32 v1, v0
	global_store_b16 v[2:3], v1, off
.LBB14_1032:
	s_mov_b32 s13, 0
.LBB14_1033:
	s_delay_alu instid0(SALU_CYCLE_1)
	s_and_not1_b32 vcc_lo, exec_lo, s13
	s_cbranch_vccnz .LBB14_1038
; %bb.1034:
	s_sext_i32_i16 s13, s15
	s_delay_alu instid0(SALU_CYCLE_1)
	s_cmp_gt_i32 s13, 0
	s_mov_b32 s13, -1
	s_cbranch_scc0 .LBB14_1036
; %bb.1035:
	s_wait_loadcnt 0x0
	v_cvt_i32_f32_e32 v1, v0
	s_mov_b32 s13, 0
	global_store_b8 v[2:3], v1, off
.LBB14_1036:
	s_and_not1_b32 vcc_lo, exec_lo, s13
	s_cbranch_vccnz .LBB14_1038
; %bb.1037:
	s_wait_loadcnt 0x0
	v_trunc_f32_e32 v0, v0
	s_delay_alu instid0(VALU_DEP_1) | instskip(NEXT) | instid1(VALU_DEP_1)
	v_mul_f32_e64 v1, 0x2f800000, |v0|
	v_floor_f32_e32 v1, v1
	s_delay_alu instid0(VALU_DEP_1) | instskip(SKIP_1) | instid1(VALU_DEP_2)
	v_fma_f32 v1, 0xcf800000, v1, |v0|
	v_ashrrev_i32_e32 v0, 31, v0
	v_cvt_u32_f32_e32 v1, v1
	s_delay_alu instid0(VALU_DEP_1) | instskip(NEXT) | instid1(VALU_DEP_1)
	v_xor_b32_e32 v1, v1, v0
	v_sub_nc_u32_e32 v0, v1, v0
	global_store_b8 v[2:3], v0, off
.LBB14_1038:
	s_wait_xcnt 0x0
	s_or_b32 exec_lo, exec_lo, s0
	s_delay_alu instid0(SALU_CYCLE_1)
	s_and_b32 s13, s14, exec_lo
                                        ; implicit-def: $vgpr10
.LBB14_1039:
	s_or_saveexec_b32 s12, s12
	s_mov_b32 s0, 0
                                        ; implicit-def: $sgpr14
                                        ; implicit-def: $vgpr0_vgpr1
                                        ; implicit-def: $vgpr6
	s_xor_b32 exec_lo, exec_lo, s12
	s_cbranch_execz .LBB14_1644
; %bb.1040:
	v_mul_lo_u32 v2, s9, v10
	s_and_b32 s0, 0xffff, s3
	s_delay_alu instid0(SALU_CYCLE_1) | instskip(NEXT) | instid1(VALU_DEP_1)
	s_cmp_lt_i32 s0, 11
	v_ashrrev_i32_e32 v3, 31, v2
	s_delay_alu instid0(VALU_DEP_1)
	v_add_nc_u64_e32 v[4:5], s[6:7], v[2:3]
	s_cbranch_scc1 .LBB14_1047
; %bb.1041:
	s_cmp_gt_i32 s0, 25
	s_mov_b32 s3, 0
	s_cbranch_scc0 .LBB14_1049
; %bb.1042:
	s_cmp_gt_i32 s0, 28
	s_cbranch_scc0 .LBB14_1050
; %bb.1043:
	s_cmp_gt_i32 s0, 43
	;; [unrolled: 3-line block ×3, first 2 shown]
	s_cbranch_scc0 .LBB14_1052
; %bb.1045:
	s_cmp_eq_u32 s0, 46
	s_mov_b32 s15, 0
	s_cbranch_scc0 .LBB14_1055
; %bb.1046:
	s_wait_loadcnt 0x0
	global_load_b32 v0, v[4:5], off
	s_mov_b32 s14, -1
	s_wait_loadcnt 0x0
	v_lshlrev_b32_e32 v0, 16, v0
	s_branch .LBB14_1057
.LBB14_1047:
	s_mov_b32 s14, 0
	s_mov_b32 s1, s13
                                        ; implicit-def: $vgpr0
	s_cbranch_execnz .LBB14_1120
.LBB14_1048:
	s_and_not1_b32 vcc_lo, exec_lo, s14
	s_cbranch_vccz .LBB14_1165
	s_branch .LBB14_1642
.LBB14_1049:
	s_mov_b32 s14, 0
                                        ; implicit-def: $vgpr0
	s_cbranch_execnz .LBB14_1085
	s_branch .LBB14_1116
.LBB14_1050:
	s_mov_b32 s15, -1
	s_mov_b32 s14, 0
                                        ; implicit-def: $vgpr0
	s_branch .LBB14_1066
.LBB14_1051:
	s_mov_b32 s14, 0
                                        ; implicit-def: $vgpr0
	s_cbranch_execnz .LBB14_1062
	s_branch .LBB14_1065
.LBB14_1052:
	s_mov_b32 s15, -1
	s_branch .LBB14_1056
.LBB14_1053:
	s_and_not1_saveexec_b32 s20, s20
	s_cbranch_execz .LBB14_952
.LBB14_1054:
	v_add_f32_e64 v1, 0x46000000, |v0|
	s_and_not1_b32 s19, s19, exec_lo
	s_delay_alu instid0(VALU_DEP_1) | instskip(NEXT) | instid1(VALU_DEP_1)
	v_and_b32_e32 v1, 0xff, v1
	v_cmp_ne_u32_e32 vcc_lo, 0, v1
	s_and_b32 s21, vcc_lo, exec_lo
	s_delay_alu instid0(SALU_CYCLE_1)
	s_or_b32 s19, s19, s21
	s_or_b32 exec_lo, exec_lo, s20
	v_mov_b32_e32 v4, 0
	s_and_saveexec_b32 s20, s19
	s_cbranch_execnz .LBB14_953
	s_branch .LBB14_954
.LBB14_1055:
	s_mov_b32 s1, -1
.LBB14_1056:
	s_mov_b32 s14, 0
                                        ; implicit-def: $vgpr0
.LBB14_1057:
	s_and_b32 vcc_lo, exec_lo, s15
	s_cbranch_vccz .LBB14_1060
; %bb.1058:
	s_cmp_eq_u32 s0, 44
	s_cbranch_scc0 .LBB14_1061
; %bb.1059:
	s_wait_loadcnt 0x0
	global_load_u8 v0, v[4:5], off
	s_mov_b32 s1, 0
	s_mov_b32 s14, -1
	s_wait_loadcnt 0x0
	v_lshlrev_b32_e32 v1, 23, v0
	v_cmp_ne_u32_e32 vcc_lo, 0xff, v0
	s_delay_alu instid0(VALU_DEP_2) | instskip(SKIP_1) | instid1(VALU_DEP_2)
	v_cndmask_b32_e32 v1, 0x7f800001, v1, vcc_lo
	v_cmp_ne_u32_e32 vcc_lo, 0, v0
	v_cndmask_b32_e32 v0, 0x400000, v1, vcc_lo
.LBB14_1060:
	s_branch .LBB14_1065
.LBB14_1061:
	s_mov_b32 s1, -1
                                        ; implicit-def: $vgpr0
	s_branch .LBB14_1065
.LBB14_1062:
	s_cmp_eq_u32 s0, 29
	s_cbranch_scc0 .LBB14_1064
; %bb.1063:
	s_wait_loadcnt 0x0
	global_load_b64 v[0:1], v[4:5], off
	s_mov_b32 s1, 0
	s_mov_b32 s14, -1
	s_mov_b32 s15, 0
	s_wait_loadcnt 0x0
	v_clz_i32_u32_e32 v3, v1
	s_delay_alu instid0(VALU_DEP_1) | instskip(NEXT) | instid1(VALU_DEP_1)
	v_min_u32_e32 v3, 32, v3
	v_lshlrev_b64_e32 v[0:1], v3, v[0:1]
	s_delay_alu instid0(VALU_DEP_1) | instskip(NEXT) | instid1(VALU_DEP_1)
	v_min_u32_e32 v0, 1, v0
	v_dual_sub_nc_u32 v1, 32, v3 :: v_dual_bitop2_b32 v0, v1, v0 bitop3:0x54
	s_delay_alu instid0(VALU_DEP_1) | instskip(NEXT) | instid1(VALU_DEP_1)
	v_cvt_f32_u32_e32 v0, v0
	v_ldexp_f32 v0, v0, v1
	s_branch .LBB14_1066
.LBB14_1064:
	s_mov_b32 s1, -1
                                        ; implicit-def: $vgpr0
.LBB14_1065:
	s_mov_b32 s15, 0
.LBB14_1066:
	s_delay_alu instid0(SALU_CYCLE_1)
	s_and_b32 vcc_lo, exec_lo, s15
	s_cbranch_vccz .LBB14_1084
; %bb.1067:
	s_cmp_lt_i32 s0, 27
	s_cbranch_scc1 .LBB14_1070
; %bb.1068:
	s_cmp_gt_i32 s0, 27
	s_cbranch_scc0 .LBB14_1071
; %bb.1069:
	s_wait_loadcnt 0x0
	global_load_b32 v0, v[4:5], off
	s_mov_b32 s14, 0
	s_wait_loadcnt 0x0
	v_cvt_f32_u32_e32 v0, v0
	s_branch .LBB14_1072
.LBB14_1070:
	s_mov_b32 s14, -1
                                        ; implicit-def: $vgpr0
	s_branch .LBB14_1075
.LBB14_1071:
	s_mov_b32 s14, -1
                                        ; implicit-def: $vgpr0
.LBB14_1072:
	s_delay_alu instid0(SALU_CYCLE_1)
	s_and_not1_b32 vcc_lo, exec_lo, s14
	s_cbranch_vccnz .LBB14_1074
; %bb.1073:
	s_wait_loadcnt 0x0
	global_load_u16 v0, v[4:5], off
	s_wait_loadcnt 0x0
	v_cvt_f32_u32_e32 v0, v0
.LBB14_1074:
	s_mov_b32 s14, 0
.LBB14_1075:
	s_delay_alu instid0(SALU_CYCLE_1)
	s_and_not1_b32 vcc_lo, exec_lo, s14
	s_cbranch_vccnz .LBB14_1083
; %bb.1076:
	global_load_u8 v1, v[4:5], off
	s_mov_b32 s14, 0
	s_mov_b32 s15, exec_lo
	s_wait_loadcnt 0x0
	v_cmpx_lt_i16_e32 0x7f, v1
	s_xor_b32 s15, exec_lo, s15
	s_cbranch_execz .LBB14_1096
; %bb.1077:
	s_mov_b32 s14, -1
	s_mov_b32 s16, exec_lo
	v_cmpx_eq_u16_e32 0x80, v1
; %bb.1078:
	s_xor_b32 s14, exec_lo, -1
; %bb.1079:
	s_or_b32 exec_lo, exec_lo, s16
	s_delay_alu instid0(SALU_CYCLE_1)
	s_and_b32 s14, s14, exec_lo
	s_or_saveexec_b32 s15, s15
	v_mov_b32_e32 v0, 0x7f800001
	s_xor_b32 exec_lo, exec_lo, s15
	s_cbranch_execnz .LBB14_1097
.LBB14_1080:
	s_or_b32 exec_lo, exec_lo, s15
	s_and_saveexec_b32 s15, s14
	s_cbranch_execz .LBB14_1082
.LBB14_1081:
	v_and_b32_e32 v0, 0xffff, v1
	s_delay_alu instid0(VALU_DEP_1) | instskip(SKIP_1) | instid1(VALU_DEP_2)
	v_and_b32_e32 v3, 7, v0
	v_bfe_u32 v8, v0, 3, 4
	v_clz_i32_u32_e32 v6, v3
	s_delay_alu instid0(VALU_DEP_2) | instskip(NEXT) | instid1(VALU_DEP_2)
	v_cmp_eq_u32_e32 vcc_lo, 0, v8
	v_min_u32_e32 v6, 32, v6
	s_delay_alu instid0(VALU_DEP_1) | instskip(NEXT) | instid1(VALU_DEP_1)
	v_subrev_nc_u32_e32 v7, 28, v6
	v_dual_lshlrev_b32 v0, v7, v0 :: v_dual_sub_nc_u32 v6, 29, v6
	s_delay_alu instid0(VALU_DEP_1) | instskip(NEXT) | instid1(VALU_DEP_1)
	v_dual_lshlrev_b32 v1, 24, v1 :: v_dual_bitop2_b32 v0, 7, v0 bitop3:0x40
	v_dual_cndmask_b32 v6, v8, v6, vcc_lo :: v_dual_cndmask_b32 v0, v3, v0, vcc_lo
	s_delay_alu instid0(VALU_DEP_2) | instskip(NEXT) | instid1(VALU_DEP_2)
	v_and_b32_e32 v1, 0x80000000, v1
	v_lshl_add_u32 v3, v6, 23, 0x3b800000
	s_delay_alu instid0(VALU_DEP_3) | instskip(NEXT) | instid1(VALU_DEP_1)
	v_lshlrev_b32_e32 v0, 20, v0
	v_or3_b32 v0, v1, v3, v0
.LBB14_1082:
	s_or_b32 exec_lo, exec_lo, s15
.LBB14_1083:
	s_mov_b32 s14, -1
.LBB14_1084:
	s_branch .LBB14_1116
.LBB14_1085:
	s_cmp_gt_i32 s0, 22
	s_cbranch_scc0 .LBB14_1095
; %bb.1086:
	s_cmp_lt_i32 s0, 24
	s_cbranch_scc1 .LBB14_1098
; %bb.1087:
	s_cmp_gt_i32 s0, 24
	s_cbranch_scc0 .LBB14_1099
; %bb.1088:
	global_load_u8 v1, v[4:5], off
	s_mov_b32 s14, exec_lo
	s_wait_loadcnt 0x0
	v_cmpx_lt_i16_e32 0x7f, v1
	s_xor_b32 s14, exec_lo, s14
	s_cbranch_execz .LBB14_1110
; %bb.1089:
	s_mov_b32 s3, -1
	s_mov_b32 s15, exec_lo
	v_cmpx_eq_u16_e32 0x80, v1
; %bb.1090:
	s_xor_b32 s3, exec_lo, -1
; %bb.1091:
	s_or_b32 exec_lo, exec_lo, s15
	s_delay_alu instid0(SALU_CYCLE_1)
	s_and_b32 s3, s3, exec_lo
	s_or_saveexec_b32 s14, s14
	v_mov_b32_e32 v0, 0x7f800001
	s_xor_b32 exec_lo, exec_lo, s14
	s_cbranch_execnz .LBB14_1111
.LBB14_1092:
	s_or_b32 exec_lo, exec_lo, s14
	s_and_saveexec_b32 s14, s3
	s_cbranch_execz .LBB14_1094
.LBB14_1093:
	v_and_b32_e32 v0, 0xffff, v1
	s_delay_alu instid0(VALU_DEP_1) | instskip(SKIP_1) | instid1(VALU_DEP_2)
	v_and_b32_e32 v3, 3, v0
	v_bfe_u32 v8, v0, 2, 5
	v_clz_i32_u32_e32 v6, v3
	s_delay_alu instid0(VALU_DEP_2) | instskip(NEXT) | instid1(VALU_DEP_2)
	v_cmp_eq_u32_e32 vcc_lo, 0, v8
	v_min_u32_e32 v6, 32, v6
	s_delay_alu instid0(VALU_DEP_1) | instskip(NEXT) | instid1(VALU_DEP_1)
	v_subrev_nc_u32_e32 v7, 29, v6
	v_dual_lshlrev_b32 v0, v7, v0 :: v_dual_sub_nc_u32 v6, 30, v6
	s_delay_alu instid0(VALU_DEP_1) | instskip(NEXT) | instid1(VALU_DEP_1)
	v_dual_lshlrev_b32 v1, 24, v1 :: v_dual_bitop2_b32 v0, 3, v0 bitop3:0x40
	v_dual_cndmask_b32 v6, v8, v6, vcc_lo :: v_dual_cndmask_b32 v0, v3, v0, vcc_lo
	s_delay_alu instid0(VALU_DEP_2) | instskip(NEXT) | instid1(VALU_DEP_2)
	v_and_b32_e32 v1, 0x80000000, v1
	v_lshl_add_u32 v3, v6, 23, 0x37800000
	s_delay_alu instid0(VALU_DEP_3) | instskip(NEXT) | instid1(VALU_DEP_1)
	v_lshlrev_b32_e32 v0, 21, v0
	v_or3_b32 v0, v1, v3, v0
.LBB14_1094:
	s_or_b32 exec_lo, exec_lo, s14
	s_mov_b32 s3, 0
	s_branch .LBB14_1100
.LBB14_1095:
                                        ; implicit-def: $vgpr0
	s_mov_b32 s3, 0
	s_branch .LBB14_1106
.LBB14_1096:
	s_or_saveexec_b32 s15, s15
	v_mov_b32_e32 v0, 0x7f800001
	s_xor_b32 exec_lo, exec_lo, s15
	s_cbranch_execz .LBB14_1080
.LBB14_1097:
	v_cmp_ne_u16_e32 vcc_lo, 0, v1
	v_mov_b32_e32 v0, 0
	s_and_not1_b32 s14, s14, exec_lo
	s_and_b32 s16, vcc_lo, exec_lo
	s_delay_alu instid0(SALU_CYCLE_1)
	s_or_b32 s14, s14, s16
	s_or_b32 exec_lo, exec_lo, s15
	s_and_saveexec_b32 s15, s14
	s_cbranch_execnz .LBB14_1081
	s_branch .LBB14_1082
.LBB14_1098:
	s_mov_b32 s3, -1
                                        ; implicit-def: $vgpr0
	s_branch .LBB14_1103
.LBB14_1099:
	s_mov_b32 s3, -1
                                        ; implicit-def: $vgpr0
.LBB14_1100:
	s_delay_alu instid0(SALU_CYCLE_1)
	s_and_b32 vcc_lo, exec_lo, s3
	s_cbranch_vccz .LBB14_1102
; %bb.1101:
	s_wait_loadcnt 0x0
	global_load_u8 v0, v[4:5], off
	s_wait_loadcnt 0x0
	v_lshlrev_b32_e32 v0, 24, v0
	s_delay_alu instid0(VALU_DEP_1) | instskip(NEXT) | instid1(VALU_DEP_1)
	v_and_b32_e32 v1, 0x7f000000, v0
	v_clz_i32_u32_e32 v3, v1
	v_add_nc_u32_e32 v7, 0x1000000, v1
	v_cmp_ne_u32_e32 vcc_lo, 0, v1
	s_delay_alu instid0(VALU_DEP_3) | instskip(NEXT) | instid1(VALU_DEP_1)
	v_min_u32_e32 v3, 32, v3
	v_sub_nc_u32_e64 v3, v3, 4 clamp
	s_delay_alu instid0(VALU_DEP_1) | instskip(NEXT) | instid1(VALU_DEP_1)
	v_dual_lshlrev_b32 v6, v3, v1 :: v_dual_lshlrev_b32 v3, 23, v3
	v_lshrrev_b32_e32 v6, 4, v6
	s_delay_alu instid0(VALU_DEP_1) | instskip(SKIP_1) | instid1(VALU_DEP_2)
	v_sub_nc_u32_e32 v3, v6, v3
	v_ashrrev_i32_e32 v6, 8, v7
	v_add_nc_u32_e32 v3, 0x3c000000, v3
	s_delay_alu instid0(VALU_DEP_1) | instskip(NEXT) | instid1(VALU_DEP_1)
	v_and_or_b32 v3, 0x7f800000, v6, v3
	v_cndmask_b32_e32 v1, 0, v3, vcc_lo
	s_delay_alu instid0(VALU_DEP_1)
	v_and_or_b32 v0, 0x80000000, v0, v1
.LBB14_1102:
	s_mov_b32 s3, 0
.LBB14_1103:
	s_delay_alu instid0(SALU_CYCLE_1)
	s_and_not1_b32 vcc_lo, exec_lo, s3
	s_cbranch_vccnz .LBB14_1105
; %bb.1104:
	s_wait_loadcnt 0x0
	global_load_u8 v0, v[4:5], off
	s_wait_loadcnt 0x0
	v_lshlrev_b32_e32 v1, 25, v0
	v_lshlrev_b16 v0, 8, v0
	s_delay_alu instid0(VALU_DEP_1) | instskip(SKIP_1) | instid1(VALU_DEP_2)
	v_and_or_b32 v6, 0x7f00, v0, 0.5
	v_bfe_i32 v0, v0, 0, 16
	v_dual_add_f32 v6, -0.5, v6 :: v_dual_lshrrev_b32 v3, 4, v1
	v_cmp_gt_u32_e32 vcc_lo, 0x8000000, v1
	s_delay_alu instid0(VALU_DEP_2) | instskip(NEXT) | instid1(VALU_DEP_1)
	v_or_b32_e32 v3, 0x70000000, v3
	v_mul_f32_e32 v3, 0x7800000, v3
	s_delay_alu instid0(VALU_DEP_1) | instskip(NEXT) | instid1(VALU_DEP_1)
	v_cndmask_b32_e32 v1, v3, v6, vcc_lo
	v_and_or_b32 v0, 0x80000000, v0, v1
.LBB14_1105:
	s_mov_b32 s14, -1
	s_mov_b32 s3, 0
	s_cbranch_execnz .LBB14_1116
.LBB14_1106:
	s_cmp_gt_i32 s0, 14
	s_cbranch_scc0 .LBB14_1109
; %bb.1107:
	s_cmp_eq_u32 s0, 15
	s_cbranch_scc0 .LBB14_1112
; %bb.1108:
	s_wait_loadcnt 0x0
	global_load_u16 v0, v[4:5], off
	s_mov_b32 s1, 0
	s_mov_b32 s14, -1
	s_wait_loadcnt 0x0
	v_lshlrev_b32_e32 v0, 16, v0
	s_branch .LBB14_1114
.LBB14_1109:
	s_mov_b32 s3, -1
	s_branch .LBB14_1113
.LBB14_1110:
	s_or_saveexec_b32 s14, s14
	v_mov_b32_e32 v0, 0x7f800001
	s_xor_b32 exec_lo, exec_lo, s14
	s_cbranch_execz .LBB14_1092
.LBB14_1111:
	v_cmp_ne_u16_e32 vcc_lo, 0, v1
	v_mov_b32_e32 v0, 0
	s_and_not1_b32 s3, s3, exec_lo
	s_and_b32 s15, vcc_lo, exec_lo
	s_delay_alu instid0(SALU_CYCLE_1)
	s_or_b32 s3, s3, s15
	s_or_b32 exec_lo, exec_lo, s14
	s_and_saveexec_b32 s14, s3
	s_cbranch_execnz .LBB14_1093
	s_branch .LBB14_1094
.LBB14_1112:
	s_mov_b32 s1, -1
.LBB14_1113:
                                        ; implicit-def: $vgpr0
.LBB14_1114:
	s_and_b32 vcc_lo, exec_lo, s3
	s_mov_b32 s3, 0
	s_cbranch_vccz .LBB14_1116
; %bb.1115:
	s_cmp_lg_u32 s0, 11
	s_mov_b32 s3, -1
	s_cselect_b32 s1, -1, 0
.LBB14_1116:
	s_delay_alu instid0(SALU_CYCLE_1)
	s_and_b32 vcc_lo, exec_lo, s1
	s_mov_b32 s1, s13
	s_cbranch_vccnz .LBB14_1179
; %bb.1117:
	s_and_not1_b32 vcc_lo, exec_lo, s3
	s_cbranch_vccnz .LBB14_1119
.LBB14_1118:
	s_wait_loadcnt 0x0
	global_load_u8 v0, v[4:5], off
	s_mov_b32 s14, -1
	s_wait_loadcnt 0x0
	v_cmp_ne_u16_e32 vcc_lo, 0, v0
	v_cndmask_b32_e64 v0, 0, 1.0, vcc_lo
.LBB14_1119:
	s_branch .LBB14_1048
.LBB14_1120:
	s_cmp_lt_i32 s0, 5
	s_cbranch_scc1 .LBB14_1125
; %bb.1121:
	s_cmp_lt_i32 s0, 8
	s_cbranch_scc1 .LBB14_1126
; %bb.1122:
	;; [unrolled: 3-line block ×3, first 2 shown]
	s_cmp_gt_i32 s0, 9
	s_cbranch_scc0 .LBB14_1128
; %bb.1124:
	s_wait_loadcnt 0x0
	global_load_b64 v[0:1], v[4:5], off
	s_mov_b32 s3, 0
	s_wait_loadcnt 0x0
	v_cvt_f32_f64_e32 v0, v[0:1]
	s_branch .LBB14_1129
.LBB14_1125:
                                        ; implicit-def: $vgpr0
	s_branch .LBB14_1146
.LBB14_1126:
                                        ; implicit-def: $vgpr0
	s_branch .LBB14_1135
.LBB14_1127:
	s_mov_b32 s3, -1
                                        ; implicit-def: $vgpr0
	s_branch .LBB14_1132
.LBB14_1128:
	s_mov_b32 s3, -1
                                        ; implicit-def: $vgpr0
.LBB14_1129:
	s_delay_alu instid0(SALU_CYCLE_1)
	s_and_not1_b32 vcc_lo, exec_lo, s3
	s_cbranch_vccnz .LBB14_1131
; %bb.1130:
	s_wait_loadcnt 0x0
	global_load_b32 v0, v[4:5], off
.LBB14_1131:
	s_mov_b32 s3, 0
.LBB14_1132:
	s_delay_alu instid0(SALU_CYCLE_1)
	s_and_not1_b32 vcc_lo, exec_lo, s3
	s_cbranch_vccnz .LBB14_1134
; %bb.1133:
	s_wait_loadcnt 0x0
	global_load_b32 v0, v[4:5], off
	s_wait_loadcnt 0x0
	v_cvt_f32_f16_e32 v0, v0
.LBB14_1134:
	s_cbranch_execnz .LBB14_1145
.LBB14_1135:
	s_cmp_lt_i32 s0, 6
	s_cbranch_scc1 .LBB14_1138
; %bb.1136:
	s_cmp_gt_i32 s0, 6
	s_cbranch_scc0 .LBB14_1139
; %bb.1137:
	s_wait_loadcnt 0x0
	global_load_b64 v[0:1], v[4:5], off
	s_mov_b32 s3, 0
	s_wait_loadcnt 0x0
	v_cvt_f32_f64_e32 v0, v[0:1]
	s_branch .LBB14_1140
.LBB14_1138:
	s_mov_b32 s3, -1
                                        ; implicit-def: $vgpr0
	s_branch .LBB14_1143
.LBB14_1139:
	s_mov_b32 s3, -1
                                        ; implicit-def: $vgpr0
.LBB14_1140:
	s_delay_alu instid0(SALU_CYCLE_1)
	s_and_not1_b32 vcc_lo, exec_lo, s3
	s_cbranch_vccnz .LBB14_1142
; %bb.1141:
	s_wait_loadcnt 0x0
	global_load_b32 v0, v[4:5], off
.LBB14_1142:
	s_mov_b32 s3, 0
.LBB14_1143:
	s_delay_alu instid0(SALU_CYCLE_1)
	s_and_not1_b32 vcc_lo, exec_lo, s3
	s_cbranch_vccnz .LBB14_1145
; %bb.1144:
	s_wait_loadcnt 0x0
	global_load_u16 v0, v[4:5], off
	s_wait_loadcnt 0x0
	v_cvt_f32_f16_e32 v0, v0
.LBB14_1145:
	s_cbranch_execnz .LBB14_1164
.LBB14_1146:
	s_cmp_lt_i32 s0, 2
	s_cbranch_scc1 .LBB14_1150
; %bb.1147:
	s_cmp_lt_i32 s0, 3
	s_cbranch_scc1 .LBB14_1151
; %bb.1148:
	s_cmp_gt_i32 s0, 3
	s_cbranch_scc0 .LBB14_1152
; %bb.1149:
	s_wait_loadcnt 0x0
	global_load_b64 v[0:1], v[4:5], off
	s_mov_b32 s3, 0
	s_wait_loadcnt 0x0
	v_xor_b32_e32 v3, v0, v1
	v_cls_i32_e32 v6, v1
	s_delay_alu instid0(VALU_DEP_2) | instskip(NEXT) | instid1(VALU_DEP_1)
	v_ashrrev_i32_e32 v3, 31, v3
	v_add_nc_u32_e32 v3, 32, v3
	s_delay_alu instid0(VALU_DEP_1) | instskip(NEXT) | instid1(VALU_DEP_1)
	v_add_min_u32_e64 v3, v6, -1, v3
	v_lshlrev_b64_e32 v[0:1], v3, v[0:1]
	s_delay_alu instid0(VALU_DEP_1) | instskip(NEXT) | instid1(VALU_DEP_1)
	v_min_u32_e32 v0, 1, v0
	v_dual_sub_nc_u32 v1, 32, v3 :: v_dual_bitop2_b32 v0, v1, v0 bitop3:0x54
	s_delay_alu instid0(VALU_DEP_1) | instskip(NEXT) | instid1(VALU_DEP_1)
	v_cvt_f32_i32_e32 v0, v0
	v_ldexp_f32 v0, v0, v1
	s_branch .LBB14_1153
.LBB14_1150:
                                        ; implicit-def: $vgpr0
	s_branch .LBB14_1159
.LBB14_1151:
	s_mov_b32 s3, -1
                                        ; implicit-def: $vgpr0
	s_branch .LBB14_1156
.LBB14_1152:
	s_mov_b32 s3, -1
                                        ; implicit-def: $vgpr0
.LBB14_1153:
	s_delay_alu instid0(SALU_CYCLE_1)
	s_and_not1_b32 vcc_lo, exec_lo, s3
	s_cbranch_vccnz .LBB14_1155
; %bb.1154:
	s_wait_loadcnt 0x0
	global_load_b32 v0, v[4:5], off
	s_wait_loadcnt 0x0
	v_cvt_f32_i32_e32 v0, v0
.LBB14_1155:
	s_mov_b32 s3, 0
.LBB14_1156:
	s_delay_alu instid0(SALU_CYCLE_1)
	s_and_not1_b32 vcc_lo, exec_lo, s3
	s_cbranch_vccnz .LBB14_1158
; %bb.1157:
	s_wait_loadcnt 0x0
	global_load_i16 v0, v[4:5], off
	s_wait_loadcnt 0x0
	v_cvt_f32_i32_e32 v0, v0
.LBB14_1158:
	s_cbranch_execnz .LBB14_1164
.LBB14_1159:
	s_cmp_gt_i32 s0, 0
	s_mov_b32 s3, 0
	s_cbranch_scc0 .LBB14_1161
; %bb.1160:
	s_wait_loadcnt 0x0
	global_load_i8 v0, v[4:5], off
	s_wait_loadcnt 0x0
	v_cvt_f32_i32_e32 v0, v0
	s_branch .LBB14_1162
.LBB14_1161:
	s_mov_b32 s3, -1
                                        ; implicit-def: $vgpr0
.LBB14_1162:
	s_delay_alu instid0(SALU_CYCLE_1)
	s_and_not1_b32 vcc_lo, exec_lo, s3
	s_cbranch_vccnz .LBB14_1164
; %bb.1163:
	s_wait_loadcnt 0x0
	global_load_u8 v0, v[4:5], off
	s_wait_loadcnt 0x0
	v_cvt_f32_ubyte0_e32 v0, v0
.LBB14_1164:
.LBB14_1165:
	s_wait_loadcnt 0x0
	s_delay_alu instid0(VALU_DEP_1) | instskip(SKIP_2) | instid1(VALU_DEP_1)
	v_mul_f32_e32 v1, s10, v0
	s_mov_b32 s3, exec_lo
	s_wait_xcnt 0x0
	v_cmpx_nlt_f32_e32 s11, v1
	s_cbranch_execz .LBB14_1167
; %bb.1166:
	v_mul_f32_e32 v0, 0x3fb8aa3b, v1
	v_cmp_ngt_f32_e32 vcc_lo, 0xc2ce8ed0, v1
	s_mov_b32 s14, 0x3e9b6dac
	s_delay_alu instid0(VALU_DEP_2) | instskip(SKIP_1) | instid1(VALU_DEP_2)
	v_rndne_f32_e32 v3, v0
	v_fma_f32 v4, 0x3fb8aa3b, v1, -v0
	v_sub_f32_e32 v0, v0, v3
	s_delay_alu instid0(VALU_DEP_2) | instskip(SKIP_1) | instid1(VALU_DEP_2)
	v_fmamk_f32 v4, v1, 0x32a5705f, v4
	v_cvt_i32_f32_e32 v3, v3
	v_add_f32_e32 v0, v0, v4
	s_delay_alu instid0(VALU_DEP_1) | instskip(SKIP_1) | instid1(TRANS32_DEP_1)
	v_exp_f32_e32 v0, v0
	v_nop
	v_ldexp_f32 v0, v0, v3
	s_delay_alu instid0(VALU_DEP_1) | instskip(SKIP_1) | instid1(VALU_DEP_2)
	v_cndmask_b32_e32 v0, 0, v0, vcc_lo
	v_cmp_nlt_f32_e32 vcc_lo, 0x42b17218, v1
	v_cndmask_b32_e32 v11, 0x7f800000, v0, vcc_lo
	s_delay_alu instid0(VALU_DEP_1) | instskip(NEXT) | instid1(VALU_DEP_1)
	v_add_f32_e32 v3, 1.0, v11
	v_cvt_f64_f32_e32 v[0:1], v3
	s_delay_alu instid0(VALU_DEP_1) | instskip(SKIP_1) | instid1(VALU_DEP_1)
	v_frexp_exp_i32_f64_e32 v0, v[0:1]
	v_frexp_mant_f32_e32 v1, v3
	v_cmp_gt_f32_e32 vcc_lo, 0x3f2aaaab, v1
	s_delay_alu instid0(VALU_DEP_3) | instskip(SKIP_2) | instid1(VALU_DEP_2)
	v_subrev_co_ci_u32_e64 v8, null, 0, v0, vcc_lo
	v_add_f32_e32 v0, -1.0, v3
	v_cmp_neq_f32_e32 vcc_lo, 0x7f800000, v11
	v_dual_sub_f32 v4, v0, v3 :: v_dual_sub_nc_u32 v1, 0, v8
	v_sub_f32_e32 v0, v11, v0
	s_delay_alu instid0(VALU_DEP_2) | instskip(NEXT) | instid1(VALU_DEP_1)
	v_ldexp_f32 v3, v3, v1
	v_dual_add_f32 v4, 1.0, v4 :: v_dual_add_f32 v5, 1.0, v3
	s_delay_alu instid0(VALU_DEP_1) | instskip(NEXT) | instid1(VALU_DEP_2)
	v_dual_add_f32 v7, -1.0, v3 :: v_dual_add_f32 v0, v0, v4
	v_add_f32_e32 v4, -1.0, v5
	s_delay_alu instid0(VALU_DEP_2) | instskip(NEXT) | instid1(VALU_DEP_2)
	v_ldexp_f32 v0, v0, v1
	v_dual_sub_f32 v1, v3, v4 :: v_dual_add_f32 v4, 1.0, v7
	s_delay_alu instid0(VALU_DEP_1) | instskip(NEXT) | instid1(VALU_DEP_1)
	v_dual_add_f32 v6, v0, v1 :: v_dual_sub_f32 v1, v3, v4
	v_dual_add_f32 v3, v5, v6 :: v_dual_add_f32 v9, v0, v1
	s_delay_alu instid0(VALU_DEP_1) | instskip(NEXT) | instid1(VALU_DEP_1)
	v_rcp_f32_e32 v12, v3
	v_dual_add_f32 v1, v7, v9 :: v_dual_sub_f32 v0, v5, v3
	s_delay_alu instid0(TRANS32_DEP_1) | instid1(VALU_DEP_1)
	v_dual_sub_f32 v15, v7, v1 :: v_dual_mul_f32 v13, v1, v12
	s_delay_alu instid0(VALU_DEP_1) | instskip(NEXT) | instid1(VALU_DEP_1)
	v_dual_add_f32 v14, v6, v0 :: v_dual_mul_f32 v4, v3, v13
	v_fma_f32 v6, v13, v3, -v4
	s_delay_alu instid0(VALU_DEP_1) | instskip(NEXT) | instid1(VALU_DEP_1)
	v_fmac_f32_e32 v6, v13, v14
	v_add_f32_e32 v0, v4, v6
	s_delay_alu instid0(VALU_DEP_1) | instskip(NEXT) | instid1(VALU_DEP_1)
	v_dual_sub_f32 v5, v1, v0 :: v_dual_mov_b32 v7, v0
	v_pk_add_f32 v[0:1], v[0:1], v[4:5] neg_lo:[0,1] neg_hi:[0,1]
	s_delay_alu instid0(VALU_DEP_1) | instskip(SKIP_1) | instid1(VALU_DEP_1)
	v_pk_add_f32 v[0:1], v[0:1], v[6:7] neg_lo:[0,1] neg_hi:[0,1]
	v_add_f32_e32 v4, v9, v15
	v_add_f32_e32 v1, v4, v1
	s_delay_alu instid0(VALU_DEP_1) | instskip(NEXT) | instid1(VALU_DEP_1)
	v_add_f32_e32 v9, v0, v1
	v_add_f32_e32 v1, v5, v9
	s_delay_alu instid0(VALU_DEP_1) | instskip(NEXT) | instid1(VALU_DEP_1)
	v_mul_f32_e32 v15, v12, v1
	v_mul_f32_e32 v6, v3, v15
	s_delay_alu instid0(VALU_DEP_1) | instskip(NEXT) | instid1(VALU_DEP_1)
	v_dual_fma_f32 v4, v15, v3, -v6 :: v_dual_sub_f32 v3, v5, v1
	v_dual_fmac_f32 v4, v15, v14 :: v_dual_add_f32 v3, v9, v3
	s_delay_alu instid0(VALU_DEP_1) | instskip(NEXT) | instid1(VALU_DEP_1)
	v_add_f32_e32 v0, v6, v4
	v_dual_sub_f32 v7, v1, v0 :: v_dual_mov_b32 v5, v0
	s_delay_alu instid0(VALU_DEP_1) | instskip(NEXT) | instid1(VALU_DEP_1)
	v_pk_add_f32 v[0:1], v[0:1], v[6:7] neg_lo:[0,1] neg_hi:[0,1]
	v_pk_add_f32 v[0:1], v[0:1], v[4:5] neg_lo:[0,1] neg_hi:[0,1]
	v_cvt_f32_i32_e32 v4, v8
	s_delay_alu instid0(VALU_DEP_2) | instskip(NEXT) | instid1(VALU_DEP_1)
	v_dual_add_f32 v1, v3, v1 :: v_dual_add_f32 v3, v13, v15
	v_add_f32_e32 v0, v0, v1
	s_delay_alu instid0(VALU_DEP_2) | instskip(NEXT) | instid1(VALU_DEP_1)
	v_sub_f32_e32 v1, v3, v13
	v_sub_f32_e32 v1, v15, v1
	s_delay_alu instid0(VALU_DEP_3) | instskip(NEXT) | instid1(VALU_DEP_1)
	v_add_f32_e32 v0, v7, v0
	v_mul_f32_e32 v0, v12, v0
	s_delay_alu instid0(VALU_DEP_1) | instskip(NEXT) | instid1(VALU_DEP_1)
	v_dual_add_f32 v9, v1, v0 :: v_dual_mov_b32 v0, 0x3f317218
	v_add_f32_e32 v6, v3, v9
	s_delay_alu instid0(VALU_DEP_1) | instskip(NEXT) | instid1(VALU_DEP_1)
	v_mul_f32_e32 v1, v6, v6
	v_fmaak_f32 v7, s14, v1, 0x3ecc95a3
	v_mul_f32_e32 v5, v6, v1
	s_delay_alu instid0(VALU_DEP_2) | instskip(NEXT) | instid1(VALU_DEP_1)
	v_fmaak_f32 v1, v1, v7, 0x3f2aaada
	v_pk_mul_f32 v[0:1], v[4:5], v[0:1]
	v_ldexp_f32 v5, v6, 1
	v_sub_f32_e32 v3, v6, v3
	s_delay_alu instid0(VALU_DEP_3) | instskip(SKIP_1) | instid1(VALU_DEP_2)
	v_fma_f32 v7, 0x3f317218, v4, -v0
	v_mov_b32_e32 v8, v0
	v_fmamk_f32 v4, v4, 0xb102e308, v7
	s_delay_alu instid0(VALU_DEP_1) | instskip(NEXT) | instid1(VALU_DEP_1)
	v_pk_add_f32 v[6:7], v[0:1], v[4:5]
	v_dual_sub_f32 v5, v7, v5 :: v_dual_sub_f32 v3, v9, v3
	s_delay_alu instid0(VALU_DEP_1) | instskip(NEXT) | instid1(VALU_DEP_2)
	v_sub_f32_e32 v5, v1, v5
	v_ldexp_f32 v3, v3, 1
	s_delay_alu instid0(VALU_DEP_4) | instskip(NEXT) | instid1(VALU_DEP_2)
	v_pk_add_f32 v[0:1], v[6:7], v[0:1] neg_lo:[0,1] neg_hi:[0,1]
	v_dual_add_f32 v9, v3, v5 :: v_dual_mov_b32 v5, v6
	s_delay_alu instid0(VALU_DEP_1) | instskip(NEXT) | instid1(VALU_DEP_1)
	v_pk_add_f32 v[12:13], v[6:7], v[8:9]
	v_dual_mov_b32 v18, v7 :: v_dual_mov_b32 v1, v13
	s_delay_alu instid0(VALU_DEP_1) | instskip(SKIP_2) | instid1(VALU_DEP_3)
	v_pk_add_f32 v[14:15], v[4:5], v[0:1]
	v_mov_b32_e32 v14, v13
	v_pk_add_f32 v[0:1], v[4:5], v[0:1] neg_lo:[0,1] neg_hi:[0,1]
	v_dual_mov_b32 v8, v15 :: v_dual_mov_b32 v1, v15
	s_delay_alu instid0(VALU_DEP_1) | instskip(SKIP_1) | instid1(VALU_DEP_2)
	v_pk_add_f32 v[16:17], v[8:9], v[6:7] neg_lo:[0,1] neg_hi:[0,1]
	v_dual_mov_b32 v7, v6 :: v_dual_mov_b32 v6, v9
	v_dual_mov_b32 v3, v16 :: v_dual_mov_b32 v19, v16
	s_delay_alu instid0(VALU_DEP_1) | instskip(NEXT) | instid1(VALU_DEP_2)
	v_pk_add_f32 v[12:13], v[12:13], v[2:3] neg_lo:[0,1] neg_hi:[0,1]
	v_pk_add_f32 v[4:5], v[14:15], v[18:19] neg_lo:[0,1] neg_hi:[0,1]
	v_mov_b32_e32 v12, v0
	s_delay_alu instid0(VALU_DEP_2) | instskip(NEXT) | instid1(VALU_DEP_1)
	v_pk_add_f32 v[4:5], v[6:7], v[4:5] neg_lo:[0,1] neg_hi:[0,1]
	v_pk_add_f32 v[6:7], v[12:13], v[4:5]
	s_delay_alu instid0(VALU_DEP_1) | instskip(NEXT) | instid1(VALU_DEP_1)
	v_mov_b32_e32 v12, v7
	v_pk_add_f32 v[12:13], v[6:7], v[12:13]
	s_delay_alu instid0(VALU_DEP_1) | instskip(NEXT) | instid1(VALU_DEP_1)
	v_pk_add_f32 v[8:9], v[8:9], v[12:13]
	v_mov_b32_e32 v7, v8
	s_delay_alu instid0(VALU_DEP_1) | instskip(NEXT) | instid1(VALU_DEP_1)
	v_pk_add_f32 v[14:15], v[6:7], v[0:1] neg_lo:[0,1] neg_hi:[0,1]
	v_dual_mov_b32 v5, v12 :: v_dual_sub_f32 v1, v6, v14
	s_delay_alu instid0(VALU_DEP_1) | instskip(NEXT) | instid1(VALU_DEP_2)
	v_pk_add_f32 v[4:5], v[4:5], v[14:15] neg_lo:[0,1] neg_hi:[0,1]
	v_sub_f32_e32 v0, v0, v1
	s_delay_alu instid0(VALU_DEP_1) | instskip(NEXT) | instid1(VALU_DEP_1)
	v_add_f32_e32 v0, v4, v0
	v_add_f32_e32 v0, v0, v5
	s_delay_alu instid0(VALU_DEP_1) | instskip(NEXT) | instid1(VALU_DEP_1)
	v_add_f32_e32 v0, v8, v0
	v_cndmask_b32_e32 v0, 0x7f800000, v0, vcc_lo
	v_cmp_gt_f32_e64 vcc_lo, 0x33800000, |v11|
	s_delay_alu instid0(VALU_DEP_2) | instskip(NEXT) | instid1(VALU_DEP_1)
	v_cndmask_b32_e32 v0, v0, v11, vcc_lo
	v_div_scale_f32 v1, null, s10, s10, v0
	s_delay_alu instid0(VALU_DEP_1) | instskip(SKIP_1) | instid1(TRANS32_DEP_1)
	v_rcp_f32_e32 v3, v1
	v_nop
	v_fma_f32 v4, -v1, v3, 1.0
	s_delay_alu instid0(VALU_DEP_1) | instskip(SKIP_1) | instid1(VALU_DEP_1)
	v_fmac_f32_e32 v3, v4, v3
	v_div_scale_f32 v4, vcc_lo, v0, s10, v0
	v_mul_f32_e32 v5, v4, v3
	s_delay_alu instid0(VALU_DEP_1) | instskip(NEXT) | instid1(VALU_DEP_1)
	v_fma_f32 v6, -v1, v5, v4
	v_fmac_f32_e32 v5, v6, v3
	s_delay_alu instid0(VALU_DEP_1) | instskip(NEXT) | instid1(VALU_DEP_1)
	v_fma_f32 v1, -v1, v5, v4
	v_div_fmas_f32 v1, v1, v3, v5
	s_delay_alu instid0(VALU_DEP_1)
	v_div_fixup_f32 v0, v1, s10, v0
.LBB14_1167:
	s_or_b32 exec_lo, exec_lo, s3
	s_lshl_b32 s3, s9, 7
	s_cmp_lt_i32 s0, 11
	v_add_nc_u32_e32 v4, s3, v2
	s_delay_alu instid0(VALU_DEP_1) | instskip(NEXT) | instid1(VALU_DEP_1)
	v_ashrrev_i32_e32 v5, 31, v4
	v_add_nc_u64_e32 v[6:7], s[6:7], v[4:5]
	s_cbranch_scc1 .LBB14_1174
; %bb.1168:
	s_cmp_gt_i32 s0, 25
	s_mov_b32 s14, 0
	s_cbranch_scc0 .LBB14_1176
; %bb.1169:
	s_cmp_gt_i32 s0, 28
	s_cbranch_scc0 .LBB14_1177
; %bb.1170:
	s_cmp_gt_i32 s0, 43
	s_cbranch_scc0 .LBB14_1178
; %bb.1171:
	s_cmp_gt_i32 s0, 45
	s_cbranch_scc0 .LBB14_1180
; %bb.1172:
	s_cmp_eq_u32 s0, 46
	s_mov_b32 s16, 0
	s_cbranch_scc0 .LBB14_1183
; %bb.1173:
	global_load_b32 v1, v[6:7], off
	s_mov_b32 s9, 0
	s_mov_b32 s15, -1
	s_wait_loadcnt 0x0
	v_lshlrev_b32_e32 v2, 16, v1
	s_branch .LBB14_1185
.LBB14_1174:
	s_mov_b32 s15, 0
                                        ; implicit-def: $vgpr2
	s_cbranch_execnz .LBB14_1250
.LBB14_1175:
	s_and_not1_b32 vcc_lo, exec_lo, s15
	s_cbranch_vccnz .LBB14_1642
	s_branch .LBB14_1297
.LBB14_1176:
	s_mov_b32 s15, 0
	s_mov_b32 s9, 0
                                        ; implicit-def: $vgpr2
	s_cbranch_execnz .LBB14_1214
	s_branch .LBB14_1246
.LBB14_1177:
	s_mov_b32 s16, -1
	s_mov_b32 s15, 0
	s_mov_b32 s9, 0
                                        ; implicit-def: $vgpr2
	s_branch .LBB14_1195
.LBB14_1178:
	s_mov_b32 s16, -1
	s_mov_b32 s15, 0
	s_mov_b32 s9, 0
                                        ; implicit-def: $vgpr2
	s_branch .LBB14_1190
.LBB14_1179:
	s_or_b32 s1, s13, exec_lo
	s_trap 2
	s_cbranch_execz .LBB14_1118
	s_branch .LBB14_1119
.LBB14_1180:
	s_mov_b32 s16, -1
	s_mov_b32 s15, 0
	s_mov_b32 s9, 0
	s_branch .LBB14_1184
.LBB14_1181:
	s_and_not1_saveexec_b32 s21, s21
	s_cbranch_execz .LBB14_964
.LBB14_1182:
	v_add_f32_e64 v1, 0x42800000, |v0|
	s_and_not1_b32 s20, s20, exec_lo
	s_delay_alu instid0(VALU_DEP_1) | instskip(NEXT) | instid1(VALU_DEP_1)
	v_and_b32_e32 v1, 0xff, v1
	v_cmp_ne_u32_e32 vcc_lo, 0, v1
	s_and_b32 s22, vcc_lo, exec_lo
	s_delay_alu instid0(SALU_CYCLE_1)
	s_or_b32 s20, s20, s22
	s_or_b32 exec_lo, exec_lo, s21
	v_mov_b32_e32 v4, 0
	s_and_saveexec_b32 s21, s20
	s_cbranch_execnz .LBB14_965
	s_branch .LBB14_966
.LBB14_1183:
	s_mov_b32 s9, -1
	s_mov_b32 s15, 0
.LBB14_1184:
                                        ; implicit-def: $vgpr2
.LBB14_1185:
	s_and_b32 vcc_lo, exec_lo, s16
	s_cbranch_vccz .LBB14_1189
; %bb.1186:
	s_cmp_eq_u32 s0, 44
	s_cbranch_scc0 .LBB14_1188
; %bb.1187:
	global_load_u8 v1, v[6:7], off
	s_mov_b32 s9, 0
	s_mov_b32 s15, -1
	s_wait_loadcnt 0x0
	v_lshlrev_b32_e32 v2, 23, v1
	v_cmp_ne_u32_e32 vcc_lo, 0xff, v1
	s_delay_alu instid0(VALU_DEP_2) | instskip(SKIP_1) | instid1(VALU_DEP_2)
	v_cndmask_b32_e32 v2, 0x7f800001, v2, vcc_lo
	v_cmp_ne_u32_e32 vcc_lo, 0, v1
	v_cndmask_b32_e32 v2, 0x400000, v2, vcc_lo
	s_branch .LBB14_1189
.LBB14_1188:
	s_mov_b32 s9, -1
                                        ; implicit-def: $vgpr2
.LBB14_1189:
	s_mov_b32 s16, 0
.LBB14_1190:
	s_delay_alu instid0(SALU_CYCLE_1)
	s_and_b32 vcc_lo, exec_lo, s16
	s_cbranch_vccz .LBB14_1194
; %bb.1191:
	s_cmp_eq_u32 s0, 29
	s_cbranch_scc0 .LBB14_1193
; %bb.1192:
	global_load_b64 v[2:3], v[6:7], off
	s_mov_b32 s9, 0
	s_mov_b32 s15, -1
	s_mov_b32 s16, 0
	s_wait_loadcnt 0x0
	v_clz_i32_u32_e32 v1, v3
	s_delay_alu instid0(VALU_DEP_1) | instskip(NEXT) | instid1(VALU_DEP_1)
	v_min_u32_e32 v1, 32, v1
	v_lshlrev_b64_e32 v[2:3], v1, v[2:3]
	v_sub_nc_u32_e32 v1, 32, v1
	s_delay_alu instid0(VALU_DEP_2) | instskip(NEXT) | instid1(VALU_DEP_1)
	v_min_u32_e32 v2, 1, v2
	v_or_b32_e32 v2, v3, v2
	s_delay_alu instid0(VALU_DEP_1) | instskip(NEXT) | instid1(VALU_DEP_1)
	v_cvt_f32_u32_e32 v2, v2
	v_ldexp_f32 v2, v2, v1
	s_branch .LBB14_1195
.LBB14_1193:
	s_mov_b32 s9, -1
                                        ; implicit-def: $vgpr2
.LBB14_1194:
	s_mov_b32 s16, 0
.LBB14_1195:
	s_delay_alu instid0(SALU_CYCLE_1)
	s_and_b32 vcc_lo, exec_lo, s16
	s_cbranch_vccz .LBB14_1213
; %bb.1196:
	s_cmp_lt_i32 s0, 27
	s_cbranch_scc1 .LBB14_1199
; %bb.1197:
	s_cmp_gt_i32 s0, 27
	s_cbranch_scc0 .LBB14_1200
; %bb.1198:
	global_load_b32 v1, v[6:7], off
	s_mov_b32 s15, 0
	s_wait_loadcnt 0x0
	v_cvt_f32_u32_e32 v2, v1
	s_branch .LBB14_1201
.LBB14_1199:
	s_mov_b32 s15, -1
                                        ; implicit-def: $vgpr2
	s_branch .LBB14_1204
.LBB14_1200:
	s_mov_b32 s15, -1
                                        ; implicit-def: $vgpr2
.LBB14_1201:
	s_delay_alu instid0(SALU_CYCLE_1)
	s_and_not1_b32 vcc_lo, exec_lo, s15
	s_cbranch_vccnz .LBB14_1203
; %bb.1202:
	global_load_u16 v1, v[6:7], off
	s_wait_loadcnt 0x0
	v_cvt_f32_u32_e32 v2, v1
.LBB14_1203:
	s_mov_b32 s15, 0
.LBB14_1204:
	s_delay_alu instid0(SALU_CYCLE_1)
	s_and_not1_b32 vcc_lo, exec_lo, s15
	s_cbranch_vccnz .LBB14_1212
; %bb.1205:
	global_load_u8 v1, v[6:7], off
	s_mov_b32 s15, 0
	s_mov_b32 s16, exec_lo
	s_wait_loadcnt 0x0
	v_cmpx_lt_i16_e32 0x7f, v1
	s_xor_b32 s16, exec_lo, s16
	s_cbranch_execz .LBB14_1225
; %bb.1206:
	s_mov_b32 s15, -1
	s_mov_b32 s17, exec_lo
	v_cmpx_eq_u16_e32 0x80, v1
; %bb.1207:
	s_xor_b32 s15, exec_lo, -1
; %bb.1208:
	s_or_b32 exec_lo, exec_lo, s17
	s_delay_alu instid0(SALU_CYCLE_1)
	s_and_b32 s15, s15, exec_lo
	s_or_saveexec_b32 s16, s16
	v_mov_b32_e32 v2, 0x7f800001
	s_xor_b32 exec_lo, exec_lo, s16
	s_cbranch_execnz .LBB14_1226
.LBB14_1209:
	s_or_b32 exec_lo, exec_lo, s16
	s_and_saveexec_b32 s16, s15
	s_cbranch_execz .LBB14_1211
.LBB14_1210:
	v_and_b32_e32 v2, 0xffff, v1
	s_delay_alu instid0(VALU_DEP_1) | instskip(SKIP_1) | instid1(VALU_DEP_2)
	v_and_b32_e32 v3, 7, v2
	v_bfe_u32 v9, v2, 3, 4
	v_clz_i32_u32_e32 v5, v3
	s_delay_alu instid0(VALU_DEP_2) | instskip(NEXT) | instid1(VALU_DEP_2)
	v_cmp_eq_u32_e32 vcc_lo, 0, v9
	v_min_u32_e32 v5, 32, v5
	s_delay_alu instid0(VALU_DEP_1) | instskip(NEXT) | instid1(VALU_DEP_1)
	v_subrev_nc_u32_e32 v8, 28, v5
	v_dual_lshlrev_b32 v2, v8, v2 :: v_dual_sub_nc_u32 v5, 29, v5
	s_delay_alu instid0(VALU_DEP_1) | instskip(NEXT) | instid1(VALU_DEP_1)
	v_dual_lshlrev_b32 v1, 24, v1 :: v_dual_bitop2_b32 v2, 7, v2 bitop3:0x40
	v_dual_cndmask_b32 v2, v3, v2 :: v_dual_cndmask_b32 v5, v9, v5
	s_delay_alu instid0(VALU_DEP_2) | instskip(NEXT) | instid1(VALU_DEP_2)
	v_and_b32_e32 v1, 0x80000000, v1
	v_lshlrev_b32_e32 v2, 20, v2
	s_delay_alu instid0(VALU_DEP_3) | instskip(NEXT) | instid1(VALU_DEP_1)
	v_lshl_add_u32 v3, v5, 23, 0x3b800000
	v_or3_b32 v2, v1, v3, v2
.LBB14_1211:
	s_or_b32 exec_lo, exec_lo, s16
.LBB14_1212:
	s_mov_b32 s15, -1
.LBB14_1213:
	s_branch .LBB14_1246
.LBB14_1214:
	s_cmp_gt_i32 s0, 22
	s_cbranch_scc0 .LBB14_1224
; %bb.1215:
	s_cmp_lt_i32 s0, 24
	s_cbranch_scc1 .LBB14_1227
; %bb.1216:
	s_cmp_gt_i32 s0, 24
	s_cbranch_scc0 .LBB14_1228
; %bb.1217:
	global_load_u8 v1, v[6:7], off
	s_mov_b32 s15, exec_lo
	s_wait_loadcnt 0x0
	v_cmpx_lt_i16_e32 0x7f, v1
	s_xor_b32 s15, exec_lo, s15
	s_cbranch_execz .LBB14_1240
; %bb.1218:
	s_mov_b32 s14, -1
	s_mov_b32 s16, exec_lo
	v_cmpx_eq_u16_e32 0x80, v1
; %bb.1219:
	s_xor_b32 s14, exec_lo, -1
; %bb.1220:
	s_or_b32 exec_lo, exec_lo, s16
	s_delay_alu instid0(SALU_CYCLE_1)
	s_and_b32 s14, s14, exec_lo
	s_or_saveexec_b32 s15, s15
	v_mov_b32_e32 v2, 0x7f800001
	s_xor_b32 exec_lo, exec_lo, s15
	s_cbranch_execnz .LBB14_1241
.LBB14_1221:
	s_or_b32 exec_lo, exec_lo, s15
	s_and_saveexec_b32 s15, s14
	s_cbranch_execz .LBB14_1223
.LBB14_1222:
	v_and_b32_e32 v2, 0xffff, v1
	s_delay_alu instid0(VALU_DEP_1) | instskip(SKIP_1) | instid1(VALU_DEP_2)
	v_and_b32_e32 v3, 3, v2
	v_bfe_u32 v9, v2, 2, 5
	v_clz_i32_u32_e32 v5, v3
	s_delay_alu instid0(VALU_DEP_2) | instskip(NEXT) | instid1(VALU_DEP_2)
	v_cmp_eq_u32_e32 vcc_lo, 0, v9
	v_min_u32_e32 v5, 32, v5
	s_delay_alu instid0(VALU_DEP_1) | instskip(NEXT) | instid1(VALU_DEP_1)
	v_subrev_nc_u32_e32 v8, 29, v5
	v_dual_lshlrev_b32 v2, v8, v2 :: v_dual_sub_nc_u32 v5, 30, v5
	s_delay_alu instid0(VALU_DEP_1) | instskip(NEXT) | instid1(VALU_DEP_1)
	v_dual_lshlrev_b32 v1, 24, v1 :: v_dual_bitop2_b32 v2, 3, v2 bitop3:0x40
	v_dual_cndmask_b32 v2, v3, v2 :: v_dual_cndmask_b32 v5, v9, v5
	s_delay_alu instid0(VALU_DEP_2) | instskip(NEXT) | instid1(VALU_DEP_2)
	v_and_b32_e32 v1, 0x80000000, v1
	v_lshlrev_b32_e32 v2, 21, v2
	s_delay_alu instid0(VALU_DEP_3) | instskip(NEXT) | instid1(VALU_DEP_1)
	v_lshl_add_u32 v3, v5, 23, 0x37800000
	v_or3_b32 v2, v1, v3, v2
.LBB14_1223:
	s_or_b32 exec_lo, exec_lo, s15
	s_mov_b32 s14, 0
	s_branch .LBB14_1229
.LBB14_1224:
	s_mov_b32 s14, -1
                                        ; implicit-def: $vgpr2
	s_branch .LBB14_1235
.LBB14_1225:
	s_or_saveexec_b32 s16, s16
	v_mov_b32_e32 v2, 0x7f800001
	s_xor_b32 exec_lo, exec_lo, s16
	s_cbranch_execz .LBB14_1209
.LBB14_1226:
	v_cmp_ne_u16_e32 vcc_lo, 0, v1
	v_mov_b32_e32 v2, 0
	s_and_not1_b32 s15, s15, exec_lo
	s_and_b32 s17, vcc_lo, exec_lo
	s_delay_alu instid0(SALU_CYCLE_1)
	s_or_b32 s15, s15, s17
	s_or_b32 exec_lo, exec_lo, s16
	s_and_saveexec_b32 s16, s15
	s_cbranch_execnz .LBB14_1210
	s_branch .LBB14_1211
.LBB14_1227:
	s_mov_b32 s14, -1
                                        ; implicit-def: $vgpr2
	s_branch .LBB14_1232
.LBB14_1228:
	s_mov_b32 s14, -1
                                        ; implicit-def: $vgpr2
.LBB14_1229:
	s_delay_alu instid0(SALU_CYCLE_1)
	s_and_b32 vcc_lo, exec_lo, s14
	s_cbranch_vccz .LBB14_1231
; %bb.1230:
	global_load_u8 v1, v[6:7], off
	s_wait_loadcnt 0x0
	v_lshlrev_b32_e32 v1, 24, v1
	s_delay_alu instid0(VALU_DEP_1) | instskip(NEXT) | instid1(VALU_DEP_1)
	v_and_b32_e32 v2, 0x7f000000, v1
	v_clz_i32_u32_e32 v3, v2
	v_add_nc_u32_e32 v8, 0x1000000, v2
	v_cmp_ne_u32_e32 vcc_lo, 0, v2
	s_delay_alu instid0(VALU_DEP_3) | instskip(NEXT) | instid1(VALU_DEP_1)
	v_min_u32_e32 v3, 32, v3
	v_sub_nc_u32_e64 v3, v3, 4 clamp
	s_delay_alu instid0(VALU_DEP_1) | instskip(NEXT) | instid1(VALU_DEP_1)
	v_dual_lshlrev_b32 v5, v3, v2 :: v_dual_lshlrev_b32 v3, 23, v3
	v_lshrrev_b32_e32 v5, 4, v5
	s_delay_alu instid0(VALU_DEP_1) | instskip(NEXT) | instid1(VALU_DEP_1)
	v_dual_sub_nc_u32 v3, v5, v3 :: v_dual_ashrrev_i32 v5, 8, v8
	v_add_nc_u32_e32 v3, 0x3c000000, v3
	s_delay_alu instid0(VALU_DEP_1) | instskip(NEXT) | instid1(VALU_DEP_1)
	v_and_or_b32 v3, 0x7f800000, v5, v3
	v_cndmask_b32_e32 v2, 0, v3, vcc_lo
	s_delay_alu instid0(VALU_DEP_1)
	v_and_or_b32 v2, 0x80000000, v1, v2
.LBB14_1231:
	s_mov_b32 s14, 0
.LBB14_1232:
	s_delay_alu instid0(SALU_CYCLE_1)
	s_and_not1_b32 vcc_lo, exec_lo, s14
	s_cbranch_vccnz .LBB14_1234
; %bb.1233:
	global_load_u8 v1, v[6:7], off
	s_wait_loadcnt 0x0
	v_lshlrev_b32_e32 v2, 25, v1
	v_lshlrev_b16 v1, 8, v1
	s_delay_alu instid0(VALU_DEP_1) | instskip(NEXT) | instid1(VALU_DEP_3)
	v_and_or_b32 v5, 0x7f00, v1, 0.5
	v_lshrrev_b32_e32 v3, 4, v2
	v_bfe_i32 v1, v1, 0, 16
	s_delay_alu instid0(VALU_DEP_3) | instskip(NEXT) | instid1(VALU_DEP_3)
	v_add_f32_e32 v5, -0.5, v5
	v_or_b32_e32 v3, 0x70000000, v3
	s_delay_alu instid0(VALU_DEP_1) | instskip(SKIP_1) | instid1(VALU_DEP_2)
	v_mul_f32_e32 v3, 0x7800000, v3
	v_cmp_gt_u32_e32 vcc_lo, 0x8000000, v2
	v_cndmask_b32_e32 v2, v3, v5, vcc_lo
	s_delay_alu instid0(VALU_DEP_1)
	v_and_or_b32 v2, 0x80000000, v1, v2
.LBB14_1234:
	s_mov_b32 s14, 0
	s_mov_b32 s15, -1
.LBB14_1235:
	s_and_not1_b32 vcc_lo, exec_lo, s14
	s_mov_b32 s14, 0
	s_cbranch_vccnz .LBB14_1246
; %bb.1236:
	s_cmp_gt_i32 s0, 14
	s_cbranch_scc0 .LBB14_1239
; %bb.1237:
	s_cmp_eq_u32 s0, 15
	s_cbranch_scc0 .LBB14_1242
; %bb.1238:
	global_load_u16 v1, v[6:7], off
	s_mov_b32 s9, 0
	s_mov_b32 s15, -1
	s_wait_loadcnt 0x0
	v_lshlrev_b32_e32 v2, 16, v1
	s_branch .LBB14_1244
.LBB14_1239:
	s_mov_b32 s14, -1
	s_branch .LBB14_1243
.LBB14_1240:
	s_or_saveexec_b32 s15, s15
	v_mov_b32_e32 v2, 0x7f800001
	s_xor_b32 exec_lo, exec_lo, s15
	s_cbranch_execz .LBB14_1221
.LBB14_1241:
	v_cmp_ne_u16_e32 vcc_lo, 0, v1
	v_mov_b32_e32 v2, 0
	s_and_not1_b32 s14, s14, exec_lo
	s_and_b32 s16, vcc_lo, exec_lo
	s_delay_alu instid0(SALU_CYCLE_1)
	s_or_b32 s14, s14, s16
	s_or_b32 exec_lo, exec_lo, s15
	s_and_saveexec_b32 s15, s14
	s_cbranch_execnz .LBB14_1222
	s_branch .LBB14_1223
.LBB14_1242:
	s_mov_b32 s9, -1
.LBB14_1243:
                                        ; implicit-def: $vgpr2
.LBB14_1244:
	s_and_b32 vcc_lo, exec_lo, s14
	s_mov_b32 s14, 0
	s_cbranch_vccz .LBB14_1246
; %bb.1245:
	s_cmp_lg_u32 s0, 11
	s_mov_b32 s14, -1
	s_cselect_b32 s9, -1, 0
.LBB14_1246:
	s_delay_alu instid0(SALU_CYCLE_1)
	s_and_b32 vcc_lo, exec_lo, s9
	s_cbranch_vccnz .LBB14_1311
; %bb.1247:
	s_and_not1_b32 vcc_lo, exec_lo, s14
	s_cbranch_vccnz .LBB14_1249
.LBB14_1248:
	global_load_u8 v1, v[6:7], off
	s_mov_b32 s15, -1
	s_wait_loadcnt 0x0
	v_cmp_ne_u16_e32 vcc_lo, 0, v1
	v_cndmask_b32_e64 v2, 0, 1.0, vcc_lo
.LBB14_1249:
	s_branch .LBB14_1175
.LBB14_1250:
	s_cmp_lt_i32 s0, 5
	s_cbranch_scc1 .LBB14_1255
; %bb.1251:
	s_cmp_lt_i32 s0, 8
	s_cbranch_scc1 .LBB14_1256
; %bb.1252:
	;; [unrolled: 3-line block ×3, first 2 shown]
	s_cmp_gt_i32 s0, 9
	s_cbranch_scc0 .LBB14_1258
; %bb.1254:
	global_load_b64 v[2:3], v[6:7], off
	s_mov_b32 s9, 0
	s_wait_loadcnt 0x0
	v_cvt_f32_f64_e32 v2, v[2:3]
	s_branch .LBB14_1259
.LBB14_1255:
                                        ; implicit-def: $vgpr2
	s_branch .LBB14_1277
.LBB14_1256:
	s_mov_b32 s9, -1
                                        ; implicit-def: $vgpr2
	s_branch .LBB14_1265
.LBB14_1257:
	s_mov_b32 s9, -1
                                        ; implicit-def: $vgpr2
	s_branch .LBB14_1262
.LBB14_1258:
	s_mov_b32 s9, -1
                                        ; implicit-def: $vgpr2
.LBB14_1259:
	s_delay_alu instid0(SALU_CYCLE_1)
	s_and_not1_b32 vcc_lo, exec_lo, s9
	s_cbranch_vccnz .LBB14_1261
; %bb.1260:
	global_load_b32 v2, v[6:7], off
.LBB14_1261:
	s_mov_b32 s9, 0
.LBB14_1262:
	s_delay_alu instid0(SALU_CYCLE_1)
	s_and_not1_b32 vcc_lo, exec_lo, s9
	s_cbranch_vccnz .LBB14_1264
; %bb.1263:
	global_load_b32 v1, v[6:7], off
	s_wait_loadcnt 0x0
	v_cvt_f32_f16_e32 v2, v1
.LBB14_1264:
	s_mov_b32 s9, 0
.LBB14_1265:
	s_delay_alu instid0(SALU_CYCLE_1)
	s_and_not1_b32 vcc_lo, exec_lo, s9
	s_cbranch_vccnz .LBB14_1276
; %bb.1266:
	s_cmp_lt_i32 s0, 6
	s_cbranch_scc1 .LBB14_1269
; %bb.1267:
	s_cmp_gt_i32 s0, 6
	s_cbranch_scc0 .LBB14_1270
; %bb.1268:
	s_wait_loadcnt 0x0
	global_load_b64 v[2:3], v[6:7], off
	s_mov_b32 s9, 0
	s_wait_loadcnt 0x0
	v_cvt_f32_f64_e32 v2, v[2:3]
	s_branch .LBB14_1271
.LBB14_1269:
	s_mov_b32 s9, -1
                                        ; implicit-def: $vgpr2
	s_branch .LBB14_1274
.LBB14_1270:
	s_mov_b32 s9, -1
                                        ; implicit-def: $vgpr2
.LBB14_1271:
	s_delay_alu instid0(SALU_CYCLE_1)
	s_and_not1_b32 vcc_lo, exec_lo, s9
	s_cbranch_vccnz .LBB14_1273
; %bb.1272:
	s_wait_loadcnt 0x0
	global_load_b32 v2, v[6:7], off
.LBB14_1273:
	s_mov_b32 s9, 0
.LBB14_1274:
	s_delay_alu instid0(SALU_CYCLE_1)
	s_and_not1_b32 vcc_lo, exec_lo, s9
	s_cbranch_vccnz .LBB14_1276
; %bb.1275:
	global_load_u16 v1, v[6:7], off
	s_wait_loadcnt 0x0
	v_cvt_f32_f16_e32 v2, v1
.LBB14_1276:
	s_cbranch_execnz .LBB14_1296
.LBB14_1277:
	s_cmp_lt_i32 s0, 2
	s_cbranch_scc1 .LBB14_1281
; %bb.1278:
	s_cmp_lt_i32 s0, 3
	s_cbranch_scc1 .LBB14_1282
; %bb.1279:
	s_cmp_gt_i32 s0, 3
	s_cbranch_scc0 .LBB14_1283
; %bb.1280:
	s_wait_loadcnt 0x0
	global_load_b64 v[2:3], v[6:7], off
	s_mov_b32 s9, 0
	s_wait_loadcnt 0x0
	v_xor_b32_e32 v1, v2, v3
	v_cls_i32_e32 v5, v3
	s_delay_alu instid0(VALU_DEP_2) | instskip(NEXT) | instid1(VALU_DEP_1)
	v_ashrrev_i32_e32 v1, 31, v1
	v_add_nc_u32_e32 v1, 32, v1
	s_delay_alu instid0(VALU_DEP_1) | instskip(NEXT) | instid1(VALU_DEP_1)
	v_add_min_u32_e64 v1, v5, -1, v1
	v_lshlrev_b64_e32 v[2:3], v1, v[2:3]
	v_sub_nc_u32_e32 v1, 32, v1
	s_delay_alu instid0(VALU_DEP_2) | instskip(NEXT) | instid1(VALU_DEP_1)
	v_min_u32_e32 v2, 1, v2
	v_or_b32_e32 v2, v3, v2
	s_delay_alu instid0(VALU_DEP_1) | instskip(NEXT) | instid1(VALU_DEP_1)
	v_cvt_f32_i32_e32 v2, v2
	v_ldexp_f32 v2, v2, v1
	s_branch .LBB14_1284
.LBB14_1281:
	s_mov_b32 s9, -1
                                        ; implicit-def: $vgpr2
	s_branch .LBB14_1290
.LBB14_1282:
	s_mov_b32 s9, -1
                                        ; implicit-def: $vgpr2
	s_branch .LBB14_1287
.LBB14_1283:
	s_mov_b32 s9, -1
                                        ; implicit-def: $vgpr2
.LBB14_1284:
	s_delay_alu instid0(SALU_CYCLE_1)
	s_and_not1_b32 vcc_lo, exec_lo, s9
	s_cbranch_vccnz .LBB14_1286
; %bb.1285:
	global_load_b32 v1, v[6:7], off
	s_wait_loadcnt 0x0
	v_cvt_f32_i32_e32 v2, v1
.LBB14_1286:
	s_mov_b32 s9, 0
.LBB14_1287:
	s_delay_alu instid0(SALU_CYCLE_1)
	s_and_not1_b32 vcc_lo, exec_lo, s9
	s_cbranch_vccnz .LBB14_1289
; %bb.1288:
	global_load_i16 v1, v[6:7], off
	s_wait_loadcnt 0x0
	v_cvt_f32_i32_e32 v2, v1
.LBB14_1289:
	s_mov_b32 s9, 0
.LBB14_1290:
	s_delay_alu instid0(SALU_CYCLE_1)
	s_and_not1_b32 vcc_lo, exec_lo, s9
	s_cbranch_vccnz .LBB14_1296
; %bb.1291:
	s_cmp_gt_i32 s0, 0
	s_mov_b32 s9, 0
	s_cbranch_scc0 .LBB14_1293
; %bb.1292:
	global_load_i8 v1, v[6:7], off
	s_wait_loadcnt 0x0
	v_cvt_f32_i32_e32 v2, v1
	s_branch .LBB14_1294
.LBB14_1293:
	s_mov_b32 s9, -1
                                        ; implicit-def: $vgpr2
.LBB14_1294:
	s_delay_alu instid0(SALU_CYCLE_1)
	s_and_not1_b32 vcc_lo, exec_lo, s9
	s_cbranch_vccnz .LBB14_1296
; %bb.1295:
	global_load_u8 v1, v[6:7], off
	s_wait_loadcnt 0x0
	v_cvt_f32_ubyte0_e32 v2, v1
.LBB14_1296:
.LBB14_1297:
	s_wait_loadcnt 0x0
	s_delay_alu instid0(VALU_DEP_1) | instskip(SKIP_2) | instid1(VALU_DEP_1)
	v_mul_f32_e32 v1, s10, v2
	s_mov_b32 s9, exec_lo
	s_wait_xcnt 0x0
	v_cmpx_nlt_f32_e32 s11, v1
	s_cbranch_execz .LBB14_1299
; %bb.1298:
	v_mul_f32_e32 v2, 0x3fb8aa3b, v1
	v_cmp_ngt_f32_e32 vcc_lo, 0xc2ce8ed0, v1
	s_mov_b32 s14, 0x3e9b6dac
	s_delay_alu instid0(VALU_DEP_2) | instskip(SKIP_1) | instid1(VALU_DEP_1)
	v_rndne_f32_e32 v3, v2
	v_fma_f32 v5, 0x3fb8aa3b, v1, -v2
	v_dual_sub_f32 v2, v2, v3 :: v_dual_fmamk_f32 v5, v1, 0x32a5705f, v5
	v_cvt_i32_f32_e32 v3, v3
	s_delay_alu instid0(VALU_DEP_2) | instskip(NEXT) | instid1(VALU_DEP_1)
	v_add_f32_e32 v2, v2, v5
	v_exp_f32_e32 v2, v2
	v_nop
	s_delay_alu instid0(TRANS32_DEP_1) | instskip(NEXT) | instid1(VALU_DEP_1)
	v_ldexp_f32 v2, v2, v3
	v_cndmask_b32_e32 v2, 0, v2, vcc_lo
	v_cmp_nlt_f32_e32 vcc_lo, 0x42b17218, v1
	s_delay_alu instid0(VALU_DEP_2) | instskip(NEXT) | instid1(VALU_DEP_1)
	v_cndmask_b32_e32 v5, 0x7f800000, v2, vcc_lo
	v_add_f32_e32 v1, 1.0, v5
	s_delay_alu instid0(VALU_DEP_1) | instskip(NEXT) | instid1(VALU_DEP_1)
	v_cvt_f64_f32_e32 v[2:3], v1
	v_frexp_exp_i32_f64_e32 v2, v[2:3]
	v_frexp_mant_f32_e32 v3, v1
	s_delay_alu instid0(VALU_DEP_1) | instskip(NEXT) | instid1(VALU_DEP_3)
	v_cmp_gt_f32_e32 vcc_lo, 0x3f2aaaab, v3
	v_subrev_co_ci_u32_e64 v11, null, 0, v2, vcc_lo
	v_add_f32_e32 v2, -1.0, v1
	v_cmp_neq_f32_e32 vcc_lo, 0x7f800000, v5
	s_delay_alu instid0(VALU_DEP_2) | instskip(SKIP_1) | instid1(VALU_DEP_2)
	v_dual_sub_f32 v6, v2, v1 :: v_dual_sub_nc_u32 v3, 0, v11
	v_sub_f32_e32 v2, v5, v2
	v_ldexp_f32 v1, v1, v3
	s_delay_alu instid0(VALU_DEP_1) | instskip(NEXT) | instid1(VALU_DEP_1)
	v_dual_add_f32 v6, 1.0, v6 :: v_dual_add_f32 v9, -1.0, v1
	v_dual_add_f32 v7, 1.0, v1 :: v_dual_add_f32 v2, v2, v6
	s_delay_alu instid0(VALU_DEP_1) | instskip(NEXT) | instid1(VALU_DEP_2)
	v_add_f32_e32 v6, -1.0, v7
	v_ldexp_f32 v2, v2, v3
	s_delay_alu instid0(VALU_DEP_2) | instskip(NEXT) | instid1(VALU_DEP_1)
	v_dual_sub_f32 v3, v1, v6 :: v_dual_add_f32 v6, 1.0, v9
	v_dual_add_f32 v8, v2, v3 :: v_dual_sub_f32 v1, v1, v6
	s_delay_alu instid0(VALU_DEP_1) | instskip(NEXT) | instid1(VALU_DEP_1)
	v_dual_add_f32 v12, v7, v8 :: v_dual_add_f32 v1, v2, v1
	v_rcp_f32_e32 v13, v12
	s_delay_alu instid0(VALU_DEP_1)
	v_dual_add_f32 v3, v9, v1 :: v_dual_sub_f32 v2, v7, v12
	s_delay_alu instid0(TRANS32_DEP_1) | instid1(VALU_DEP_1)
	v_dual_sub_f32 v16, v9, v3 :: v_dual_mul_f32 v14, v3, v13
	s_delay_alu instid0(VALU_DEP_1) | instskip(NEXT) | instid1(VALU_DEP_2)
	v_dual_add_f32 v15, v8, v2 :: v_dual_add_f32 v1, v1, v16
	v_mul_f32_e32 v6, v12, v14
	s_delay_alu instid0(VALU_DEP_1) | instskip(NEXT) | instid1(VALU_DEP_1)
	v_fma_f32 v8, v14, v12, -v6
	v_fmac_f32_e32 v8, v14, v15
	s_delay_alu instid0(VALU_DEP_1) | instskip(NEXT) | instid1(VALU_DEP_1)
	v_add_f32_e32 v2, v6, v8
	v_dual_sub_f32 v7, v3, v2 :: v_dual_mov_b32 v9, v2
	s_delay_alu instid0(VALU_DEP_1) | instskip(NEXT) | instid1(VALU_DEP_1)
	v_pk_add_f32 v[2:3], v[2:3], v[6:7] neg_lo:[0,1] neg_hi:[0,1]
	v_pk_add_f32 v[2:3], v[2:3], v[8:9] neg_lo:[0,1] neg_hi:[0,1]
	s_delay_alu instid0(VALU_DEP_1) | instskip(NEXT) | instid1(VALU_DEP_1)
	v_add_f32_e32 v1, v1, v3
	v_add_f32_e32 v1, v2, v1
	s_delay_alu instid0(VALU_DEP_1) | instskip(NEXT) | instid1(VALU_DEP_1)
	v_add_f32_e32 v3, v7, v1
	v_mul_f32_e32 v16, v13, v3
	s_delay_alu instid0(VALU_DEP_1) | instskip(NEXT) | instid1(VALU_DEP_1)
	v_mul_f32_e32 v8, v12, v16
	v_dual_fma_f32 v6, v16, v12, -v8 :: v_dual_sub_f32 v12, v7, v3
	s_delay_alu instid0(VALU_DEP_1) | instskip(NEXT) | instid1(VALU_DEP_1)
	v_dual_fmac_f32 v6, v16, v15 :: v_dual_add_f32 v1, v1, v12
	v_add_f32_e32 v2, v8, v6
	s_delay_alu instid0(VALU_DEP_1) | instskip(NEXT) | instid1(VALU_DEP_1)
	v_dual_sub_f32 v9, v3, v2 :: v_dual_mov_b32 v7, v2
	v_pk_add_f32 v[2:3], v[2:3], v[8:9] neg_lo:[0,1] neg_hi:[0,1]
	v_add_f32_e32 v8, v14, v16
	s_delay_alu instid0(VALU_DEP_2) | instskip(SKIP_1) | instid1(VALU_DEP_2)
	v_pk_add_f32 v[2:3], v[2:3], v[6:7] neg_lo:[0,1] neg_hi:[0,1]
	v_cvt_f32_i32_e32 v6, v11
	v_add_f32_e32 v1, v1, v3
	s_delay_alu instid0(VALU_DEP_1) | instskip(NEXT) | instid1(VALU_DEP_1)
	v_dual_add_f32 v1, v2, v1 :: v_dual_sub_f32 v2, v8, v14
	v_dual_add_f32 v1, v9, v1 :: v_dual_sub_f32 v2, v16, v2
	s_delay_alu instid0(VALU_DEP_1) | instskip(NEXT) | instid1(VALU_DEP_1)
	v_mul_f32_e32 v1, v13, v1
	v_dual_add_f32 v1, v2, v1 :: v_dual_mov_b32 v2, 0x3f317218
	s_delay_alu instid0(VALU_DEP_1) | instskip(NEXT) | instid1(VALU_DEP_1)
	v_add_f32_e32 v9, v8, v1
	v_mul_f32_e32 v3, v9, v9
	s_delay_alu instid0(VALU_DEP_1) | instskip(NEXT) | instid1(VALU_DEP_1)
	v_dual_fmaak_f32 v12, s14, v3, 0x3ecc95a3 :: v_dual_mul_f32 v7, v9, v3
	v_fmaak_f32 v3, v3, v12, 0x3f2aaada
	s_delay_alu instid0(VALU_DEP_1) | instskip(NEXT) | instid1(VALU_DEP_1)
	v_pk_mul_f32 v[2:3], v[6:7], v[2:3]
	v_fma_f32 v11, 0x3f317218, v6, -v2
	v_mov_b32_e32 v12, v2
	s_delay_alu instid0(VALU_DEP_2) | instskip(SKIP_2) | instid1(VALU_DEP_2)
	v_fmamk_f32 v6, v6, 0xb102e308, v11
	v_ldexp_f32 v7, v9, 1
	v_sub_f32_e32 v11, v9, v8
	v_pk_add_f32 v[8:9], v[2:3], v[6:7]
	s_delay_alu instid0(VALU_DEP_2) | instskip(NEXT) | instid1(VALU_DEP_2)
	v_sub_f32_e32 v1, v1, v11
	v_sub_f32_e32 v7, v9, v7
	s_delay_alu instid0(VALU_DEP_2) | instskip(NEXT) | instid1(VALU_DEP_2)
	v_ldexp_f32 v1, v1, 1
	v_dual_mov_b32 v20, v9 :: v_dual_sub_f32 v7, v3, v7
	v_pk_add_f32 v[2:3], v[8:9], v[2:3] neg_lo:[0,1] neg_hi:[0,1]
	s_delay_alu instid0(VALU_DEP_2) | instskip(NEXT) | instid1(VALU_DEP_1)
	v_dual_add_f32 v13, v1, v7 :: v_dual_mov_b32 v7, v8
	v_pk_add_f32 v[14:15], v[8:9], v[12:13]
	s_delay_alu instid0(VALU_DEP_1) | instskip(NEXT) | instid1(VALU_DEP_1)
	v_mov_b32_e32 v3, v15
	v_pk_add_f32 v[16:17], v[6:7], v[2:3]
	v_mov_b32_e32 v16, v15
	v_pk_add_f32 v[2:3], v[6:7], v[2:3] neg_lo:[0,1] neg_hi:[0,1]
	s_delay_alu instid0(VALU_DEP_3) | instskip(NEXT) | instid1(VALU_DEP_1)
	v_dual_mov_b32 v12, v17 :: v_dual_mov_b32 v3, v17
	v_pk_add_f32 v[18:19], v[12:13], v[8:9] neg_lo:[0,1] neg_hi:[0,1]
	v_dual_mov_b32 v9, v8 :: v_dual_mov_b32 v8, v13
	s_delay_alu instid0(VALU_DEP_2) | instskip(NEXT) | instid1(VALU_DEP_1)
	v_dual_mov_b32 v1, v18 :: v_dual_mov_b32 v21, v18
	v_pk_add_f32 v[14:15], v[14:15], v[0:1] neg_lo:[0,1] neg_hi:[0,1]
	s_delay_alu instid0(VALU_DEP_2) | instskip(SKIP_1) | instid1(VALU_DEP_2)
	v_pk_add_f32 v[6:7], v[16:17], v[20:21] neg_lo:[0,1] neg_hi:[0,1]
	v_mov_b32_e32 v14, v2
	v_pk_add_f32 v[6:7], v[8:9], v[6:7] neg_lo:[0,1] neg_hi:[0,1]
	s_delay_alu instid0(VALU_DEP_1) | instskip(NEXT) | instid1(VALU_DEP_1)
	v_pk_add_f32 v[8:9], v[14:15], v[6:7]
	v_mov_b32_e32 v14, v9
	s_delay_alu instid0(VALU_DEP_1) | instskip(NEXT) | instid1(VALU_DEP_1)
	v_pk_add_f32 v[14:15], v[8:9], v[14:15]
	v_pk_add_f32 v[12:13], v[12:13], v[14:15]
	s_delay_alu instid0(VALU_DEP_1) | instskip(NEXT) | instid1(VALU_DEP_1)
	v_mov_b32_e32 v9, v12
	v_pk_add_f32 v[16:17], v[8:9], v[2:3] neg_lo:[0,1] neg_hi:[0,1]
	s_delay_alu instid0(VALU_DEP_1) | instskip(NEXT) | instid1(VALU_DEP_1)
	v_dual_mov_b32 v7, v14 :: v_dual_sub_f32 v1, v8, v16
	v_pk_add_f32 v[6:7], v[6:7], v[16:17] neg_lo:[0,1] neg_hi:[0,1]
	s_delay_alu instid0(VALU_DEP_2) | instskip(NEXT) | instid1(VALU_DEP_1)
	v_sub_f32_e32 v1, v2, v1
	v_add_f32_e32 v1, v6, v1
	s_delay_alu instid0(VALU_DEP_1) | instskip(NEXT) | instid1(VALU_DEP_1)
	v_add_f32_e32 v1, v1, v7
	v_add_f32_e32 v1, v12, v1
	s_delay_alu instid0(VALU_DEP_1) | instskip(SKIP_1) | instid1(VALU_DEP_2)
	v_cndmask_b32_e32 v1, 0x7f800000, v1, vcc_lo
	v_cmp_gt_f32_e64 vcc_lo, 0x33800000, |v5|
	v_cndmask_b32_e32 v1, v1, v5, vcc_lo
	s_delay_alu instid0(VALU_DEP_1) | instskip(NEXT) | instid1(VALU_DEP_1)
	v_div_scale_f32 v2, null, s10, s10, v1
	v_rcp_f32_e32 v3, v2
	v_nop
	s_delay_alu instid0(TRANS32_DEP_1) | instskip(NEXT) | instid1(VALU_DEP_1)
	v_fma_f32 v5, -v2, v3, 1.0
	v_fmac_f32_e32 v3, v5, v3
	v_div_scale_f32 v5, vcc_lo, v1, s10, v1
	s_delay_alu instid0(VALU_DEP_1) | instskip(NEXT) | instid1(VALU_DEP_1)
	v_mul_f32_e32 v6, v5, v3
	v_fma_f32 v7, -v2, v6, v5
	s_delay_alu instid0(VALU_DEP_1) | instskip(NEXT) | instid1(VALU_DEP_1)
	v_fmac_f32_e32 v6, v7, v3
	v_fma_f32 v2, -v2, v6, v5
	s_delay_alu instid0(VALU_DEP_1) | instskip(NEXT) | instid1(VALU_DEP_1)
	v_div_fmas_f32 v2, v2, v3, v6
	v_div_fixup_f32 v2, v2, s10, v1
.LBB14_1299:
	s_or_b32 exec_lo, exec_lo, s9
	v_add_nc_u32_e32 v6, s3, v4
	s_cmp_lt_i32 s0, 11
	s_delay_alu instid0(VALU_DEP_1) | instskip(NEXT) | instid1(VALU_DEP_1)
	v_ashrrev_i32_e32 v7, 31, v6
	v_add_nc_u64_e32 v[8:9], s[6:7], v[6:7]
	s_cbranch_scc1 .LBB14_1306
; %bb.1300:
	s_cmp_gt_i32 s0, 25
	s_mov_b32 s14, 0
	s_cbranch_scc0 .LBB14_1308
; %bb.1301:
	s_cmp_gt_i32 s0, 28
	s_cbranch_scc0 .LBB14_1309
; %bb.1302:
	s_cmp_gt_i32 s0, 43
	;; [unrolled: 3-line block ×3, first 2 shown]
	s_cbranch_scc0 .LBB14_1312
; %bb.1304:
	s_cmp_eq_u32 s0, 46
	s_mov_b32 s16, 0
	s_cbranch_scc0 .LBB14_1313
; %bb.1305:
	global_load_b32 v1, v[8:9], off
	s_mov_b32 s9, 0
	s_mov_b32 s15, -1
	s_wait_loadcnt 0x0
	v_lshlrev_b32_e32 v4, 16, v1
	s_branch .LBB14_1315
.LBB14_1306:
	s_mov_b32 s15, 0
                                        ; implicit-def: $vgpr4
	s_cbranch_execnz .LBB14_1381
.LBB14_1307:
	s_and_not1_b32 vcc_lo, exec_lo, s15
	s_cbranch_vccnz .LBB14_1642
	s_branch .LBB14_1429
.LBB14_1308:
	s_mov_b32 s16, -1
	s_mov_b32 s15, 0
	s_mov_b32 s9, 0
                                        ; implicit-def: $vgpr4
	s_branch .LBB14_1344
.LBB14_1309:
	s_mov_b32 s16, -1
	s_mov_b32 s15, 0
	s_mov_b32 s9, 0
                                        ; implicit-def: $vgpr4
	s_branch .LBB14_1325
.LBB14_1310:
	s_mov_b32 s16, -1
	s_mov_b32 s15, 0
	s_mov_b32 s9, 0
                                        ; implicit-def: $vgpr4
	s_branch .LBB14_1320
.LBB14_1311:
	s_or_b32 s1, s1, exec_lo
	s_trap 2
	s_cbranch_execz .LBB14_1248
	s_branch .LBB14_1249
.LBB14_1312:
	s_mov_b32 s16, -1
	s_mov_b32 s15, 0
	s_mov_b32 s9, 0
	s_branch .LBB14_1314
.LBB14_1313:
	s_mov_b32 s9, -1
	s_mov_b32 s15, 0
.LBB14_1314:
                                        ; implicit-def: $vgpr4
.LBB14_1315:
	s_and_b32 vcc_lo, exec_lo, s16
	s_cbranch_vccz .LBB14_1319
; %bb.1316:
	s_cmp_eq_u32 s0, 44
	s_cbranch_scc0 .LBB14_1318
; %bb.1317:
	global_load_u8 v1, v[8:9], off
	s_mov_b32 s9, 0
	s_mov_b32 s15, -1
	s_wait_loadcnt 0x0
	v_lshlrev_b32_e32 v3, 23, v1
	v_cmp_ne_u32_e32 vcc_lo, 0xff, v1
	s_delay_alu instid0(VALU_DEP_2) | instskip(SKIP_1) | instid1(VALU_DEP_2)
	v_cndmask_b32_e32 v3, 0x7f800001, v3, vcc_lo
	v_cmp_ne_u32_e32 vcc_lo, 0, v1
	v_cndmask_b32_e32 v4, 0x400000, v3, vcc_lo
	s_branch .LBB14_1319
.LBB14_1318:
	s_mov_b32 s9, -1
                                        ; implicit-def: $vgpr4
.LBB14_1319:
	s_mov_b32 s16, 0
.LBB14_1320:
	s_delay_alu instid0(SALU_CYCLE_1)
	s_and_b32 vcc_lo, exec_lo, s16
	s_cbranch_vccz .LBB14_1324
; %bb.1321:
	s_cmp_eq_u32 s0, 29
	s_cbranch_scc0 .LBB14_1323
; %bb.1322:
	global_load_b64 v[4:5], v[8:9], off
	s_mov_b32 s9, 0
	s_mov_b32 s15, -1
	s_mov_b32 s16, 0
	s_wait_loadcnt 0x0
	v_clz_i32_u32_e32 v1, v5
	s_delay_alu instid0(VALU_DEP_1) | instskip(NEXT) | instid1(VALU_DEP_1)
	v_min_u32_e32 v1, 32, v1
	v_lshlrev_b64_e32 v[4:5], v1, v[4:5]
	v_sub_nc_u32_e32 v1, 32, v1
	s_delay_alu instid0(VALU_DEP_2) | instskip(NEXT) | instid1(VALU_DEP_1)
	v_min_u32_e32 v3, 1, v4
	v_or_b32_e32 v3, v5, v3
	s_delay_alu instid0(VALU_DEP_1) | instskip(NEXT) | instid1(VALU_DEP_1)
	v_cvt_f32_u32_e32 v3, v3
	v_ldexp_f32 v4, v3, v1
	s_branch .LBB14_1325
.LBB14_1323:
	s_mov_b32 s9, -1
                                        ; implicit-def: $vgpr4
.LBB14_1324:
	s_mov_b32 s16, 0
.LBB14_1325:
	s_delay_alu instid0(SALU_CYCLE_1)
	s_and_b32 vcc_lo, exec_lo, s16
	s_cbranch_vccz .LBB14_1343
; %bb.1326:
	s_cmp_lt_i32 s0, 27
	s_cbranch_scc1 .LBB14_1329
; %bb.1327:
	s_cmp_gt_i32 s0, 27
	s_cbranch_scc0 .LBB14_1330
; %bb.1328:
	global_load_b32 v1, v[8:9], off
	s_mov_b32 s15, 0
	s_wait_loadcnt 0x0
	v_cvt_f32_u32_e32 v4, v1
	s_branch .LBB14_1331
.LBB14_1329:
	s_mov_b32 s15, -1
                                        ; implicit-def: $vgpr4
	s_branch .LBB14_1334
.LBB14_1330:
	s_mov_b32 s15, -1
                                        ; implicit-def: $vgpr4
.LBB14_1331:
	s_delay_alu instid0(SALU_CYCLE_1)
	s_and_not1_b32 vcc_lo, exec_lo, s15
	s_cbranch_vccnz .LBB14_1333
; %bb.1332:
	global_load_u16 v1, v[8:9], off
	s_wait_loadcnt 0x0
	v_cvt_f32_u32_e32 v4, v1
.LBB14_1333:
	s_mov_b32 s15, 0
.LBB14_1334:
	s_delay_alu instid0(SALU_CYCLE_1)
	s_and_not1_b32 vcc_lo, exec_lo, s15
	s_cbranch_vccnz .LBB14_1342
; %bb.1335:
	global_load_u8 v1, v[8:9], off
	s_mov_b32 s15, 0
	s_mov_b32 s16, exec_lo
	s_wait_loadcnt 0x0
	v_cmpx_lt_i16_e32 0x7f, v1
	s_xor_b32 s16, exec_lo, s16
	s_cbranch_execz .LBB14_1356
; %bb.1336:
	s_mov_b32 s15, -1
	s_mov_b32 s17, exec_lo
	v_cmpx_eq_u16_e32 0x80, v1
; %bb.1337:
	s_xor_b32 s15, exec_lo, -1
; %bb.1338:
	s_or_b32 exec_lo, exec_lo, s17
	s_delay_alu instid0(SALU_CYCLE_1)
	s_and_b32 s15, s15, exec_lo
	s_or_saveexec_b32 s16, s16
	v_mov_b32_e32 v4, 0x7f800001
	s_xor_b32 exec_lo, exec_lo, s16
	s_cbranch_execnz .LBB14_1357
.LBB14_1339:
	s_or_b32 exec_lo, exec_lo, s16
	s_and_saveexec_b32 s16, s15
	s_cbranch_execz .LBB14_1341
.LBB14_1340:
	v_and_b32_e32 v3, 0xffff, v1
	s_delay_alu instid0(VALU_DEP_1) | instskip(SKIP_1) | instid1(VALU_DEP_2)
	v_and_b32_e32 v4, 7, v3
	v_bfe_u32 v11, v3, 3, 4
	v_clz_i32_u32_e32 v5, v4
	s_delay_alu instid0(VALU_DEP_2) | instskip(NEXT) | instid1(VALU_DEP_2)
	v_cmp_eq_u32_e32 vcc_lo, 0, v11
	v_min_u32_e32 v5, 32, v5
	s_delay_alu instid0(VALU_DEP_1) | instskip(NEXT) | instid1(VALU_DEP_1)
	v_subrev_nc_u32_e32 v7, 28, v5
	v_dual_lshlrev_b32 v3, v7, v3 :: v_dual_sub_nc_u32 v5, 29, v5
	s_delay_alu instid0(VALU_DEP_1) | instskip(NEXT) | instid1(VALU_DEP_1)
	v_dual_lshlrev_b32 v1, 24, v1 :: v_dual_bitop2_b32 v3, 7, v3 bitop3:0x40
	v_dual_cndmask_b32 v3, v4, v3, vcc_lo :: v_dual_cndmask_b32 v5, v11, v5, vcc_lo
	s_delay_alu instid0(VALU_DEP_2) | instskip(NEXT) | instid1(VALU_DEP_2)
	v_and_b32_e32 v1, 0x80000000, v1
	v_lshlrev_b32_e32 v3, 20, v3
	s_delay_alu instid0(VALU_DEP_3) | instskip(NEXT) | instid1(VALU_DEP_1)
	v_lshl_add_u32 v4, v5, 23, 0x3b800000
	v_or3_b32 v4, v1, v4, v3
.LBB14_1341:
	s_or_b32 exec_lo, exec_lo, s16
.LBB14_1342:
	s_mov_b32 s15, -1
.LBB14_1343:
	s_mov_b32 s16, 0
.LBB14_1344:
	s_delay_alu instid0(SALU_CYCLE_1)
	s_and_b32 vcc_lo, exec_lo, s16
	s_cbranch_vccz .LBB14_1377
; %bb.1345:
	s_cmp_gt_i32 s0, 22
	s_cbranch_scc0 .LBB14_1355
; %bb.1346:
	s_cmp_lt_i32 s0, 24
	s_cbranch_scc1 .LBB14_1358
; %bb.1347:
	s_cmp_gt_i32 s0, 24
	s_cbranch_scc0 .LBB14_1359
; %bb.1348:
	global_load_u8 v1, v[8:9], off
	s_mov_b32 s15, exec_lo
	s_wait_loadcnt 0x0
	v_cmpx_lt_i16_e32 0x7f, v1
	s_xor_b32 s15, exec_lo, s15
	s_cbranch_execz .LBB14_1371
; %bb.1349:
	s_mov_b32 s14, -1
	s_mov_b32 s16, exec_lo
	v_cmpx_eq_u16_e32 0x80, v1
; %bb.1350:
	s_xor_b32 s14, exec_lo, -1
; %bb.1351:
	s_or_b32 exec_lo, exec_lo, s16
	s_delay_alu instid0(SALU_CYCLE_1)
	s_and_b32 s14, s14, exec_lo
	s_or_saveexec_b32 s15, s15
	v_mov_b32_e32 v4, 0x7f800001
	s_xor_b32 exec_lo, exec_lo, s15
	s_cbranch_execnz .LBB14_1372
.LBB14_1352:
	s_or_b32 exec_lo, exec_lo, s15
	s_and_saveexec_b32 s15, s14
	s_cbranch_execz .LBB14_1354
.LBB14_1353:
	v_and_b32_e32 v3, 0xffff, v1
	s_delay_alu instid0(VALU_DEP_1) | instskip(SKIP_1) | instid1(VALU_DEP_2)
	v_and_b32_e32 v4, 3, v3
	v_bfe_u32 v11, v3, 2, 5
	v_clz_i32_u32_e32 v5, v4
	s_delay_alu instid0(VALU_DEP_2) | instskip(NEXT) | instid1(VALU_DEP_2)
	v_cmp_eq_u32_e32 vcc_lo, 0, v11
	v_min_u32_e32 v5, 32, v5
	s_delay_alu instid0(VALU_DEP_1) | instskip(NEXT) | instid1(VALU_DEP_1)
	v_subrev_nc_u32_e32 v7, 29, v5
	v_dual_lshlrev_b32 v3, v7, v3 :: v_dual_sub_nc_u32 v5, 30, v5
	s_delay_alu instid0(VALU_DEP_1) | instskip(NEXT) | instid1(VALU_DEP_1)
	v_dual_lshlrev_b32 v1, 24, v1 :: v_dual_bitop2_b32 v3, 3, v3 bitop3:0x40
	v_dual_cndmask_b32 v3, v4, v3, vcc_lo :: v_dual_cndmask_b32 v5, v11, v5, vcc_lo
	s_delay_alu instid0(VALU_DEP_2) | instskip(NEXT) | instid1(VALU_DEP_2)
	v_and_b32_e32 v1, 0x80000000, v1
	v_lshlrev_b32_e32 v3, 21, v3
	s_delay_alu instid0(VALU_DEP_3) | instskip(NEXT) | instid1(VALU_DEP_1)
	v_lshl_add_u32 v4, v5, 23, 0x37800000
	v_or3_b32 v4, v1, v4, v3
.LBB14_1354:
	s_or_b32 exec_lo, exec_lo, s15
	s_mov_b32 s14, 0
	s_branch .LBB14_1360
.LBB14_1355:
	s_mov_b32 s14, -1
                                        ; implicit-def: $vgpr4
	s_branch .LBB14_1366
.LBB14_1356:
	s_or_saveexec_b32 s16, s16
	v_mov_b32_e32 v4, 0x7f800001
	s_xor_b32 exec_lo, exec_lo, s16
	s_cbranch_execz .LBB14_1339
.LBB14_1357:
	v_cmp_ne_u16_e32 vcc_lo, 0, v1
	v_mov_b32_e32 v4, 0
	s_and_not1_b32 s15, s15, exec_lo
	s_and_b32 s17, vcc_lo, exec_lo
	s_delay_alu instid0(SALU_CYCLE_1)
	s_or_b32 s15, s15, s17
	s_or_b32 exec_lo, exec_lo, s16
	s_and_saveexec_b32 s16, s15
	s_cbranch_execnz .LBB14_1340
	s_branch .LBB14_1341
.LBB14_1358:
	s_mov_b32 s14, -1
                                        ; implicit-def: $vgpr4
	s_branch .LBB14_1363
.LBB14_1359:
	s_mov_b32 s14, -1
                                        ; implicit-def: $vgpr4
.LBB14_1360:
	s_delay_alu instid0(SALU_CYCLE_1)
	s_and_b32 vcc_lo, exec_lo, s14
	s_cbranch_vccz .LBB14_1362
; %bb.1361:
	global_load_u8 v1, v[8:9], off
	s_wait_loadcnt 0x0
	v_lshlrev_b32_e32 v1, 24, v1
	s_delay_alu instid0(VALU_DEP_1) | instskip(NEXT) | instid1(VALU_DEP_1)
	v_and_b32_e32 v3, 0x7f000000, v1
	v_clz_i32_u32_e32 v4, v3
	v_add_nc_u32_e32 v7, 0x1000000, v3
	v_cmp_ne_u32_e32 vcc_lo, 0, v3
	s_delay_alu instid0(VALU_DEP_3) | instskip(NEXT) | instid1(VALU_DEP_1)
	v_min_u32_e32 v4, 32, v4
	v_sub_nc_u32_e64 v4, v4, 4 clamp
	s_delay_alu instid0(VALU_DEP_1) | instskip(NEXT) | instid1(VALU_DEP_1)
	v_dual_lshlrev_b32 v5, v4, v3 :: v_dual_lshlrev_b32 v4, 23, v4
	v_lshrrev_b32_e32 v5, 4, v5
	s_delay_alu instid0(VALU_DEP_1) | instskip(NEXT) | instid1(VALU_DEP_1)
	v_dual_sub_nc_u32 v4, v5, v4 :: v_dual_ashrrev_i32 v5, 8, v7
	v_add_nc_u32_e32 v4, 0x3c000000, v4
	s_delay_alu instid0(VALU_DEP_1) | instskip(NEXT) | instid1(VALU_DEP_1)
	v_and_or_b32 v4, 0x7f800000, v5, v4
	v_cndmask_b32_e32 v3, 0, v4, vcc_lo
	s_delay_alu instid0(VALU_DEP_1)
	v_and_or_b32 v4, 0x80000000, v1, v3
.LBB14_1362:
	s_mov_b32 s14, 0
.LBB14_1363:
	s_delay_alu instid0(SALU_CYCLE_1)
	s_and_not1_b32 vcc_lo, exec_lo, s14
	s_cbranch_vccnz .LBB14_1365
; %bb.1364:
	global_load_u8 v1, v[8:9], off
	s_wait_loadcnt 0x0
	v_lshlrev_b32_e32 v3, 25, v1
	v_lshlrev_b16 v1, 8, v1
	s_delay_alu instid0(VALU_DEP_1) | instskip(NEXT) | instid1(VALU_DEP_3)
	v_and_or_b32 v5, 0x7f00, v1, 0.5
	v_lshrrev_b32_e32 v4, 4, v3
	v_bfe_i32 v1, v1, 0, 16
	s_delay_alu instid0(VALU_DEP_3) | instskip(NEXT) | instid1(VALU_DEP_3)
	v_add_f32_e32 v5, -0.5, v5
	v_or_b32_e32 v4, 0x70000000, v4
	s_delay_alu instid0(VALU_DEP_1) | instskip(SKIP_1) | instid1(VALU_DEP_2)
	v_mul_f32_e32 v4, 0x7800000, v4
	v_cmp_gt_u32_e32 vcc_lo, 0x8000000, v3
	v_cndmask_b32_e32 v3, v4, v5, vcc_lo
	s_delay_alu instid0(VALU_DEP_1)
	v_and_or_b32 v4, 0x80000000, v1, v3
.LBB14_1365:
	s_mov_b32 s14, 0
	s_mov_b32 s15, -1
.LBB14_1366:
	s_and_not1_b32 vcc_lo, exec_lo, s14
	s_mov_b32 s14, 0
	s_cbranch_vccnz .LBB14_1377
; %bb.1367:
	s_cmp_gt_i32 s0, 14
	s_cbranch_scc0 .LBB14_1370
; %bb.1368:
	s_cmp_eq_u32 s0, 15
	s_cbranch_scc0 .LBB14_1373
; %bb.1369:
	global_load_u16 v1, v[8:9], off
	s_mov_b32 s9, 0
	s_mov_b32 s15, -1
	s_wait_loadcnt 0x0
	v_lshlrev_b32_e32 v4, 16, v1
	s_branch .LBB14_1375
.LBB14_1370:
	s_mov_b32 s14, -1
	s_branch .LBB14_1374
.LBB14_1371:
	s_or_saveexec_b32 s15, s15
	v_mov_b32_e32 v4, 0x7f800001
	s_xor_b32 exec_lo, exec_lo, s15
	s_cbranch_execz .LBB14_1352
.LBB14_1372:
	v_cmp_ne_u16_e32 vcc_lo, 0, v1
	v_mov_b32_e32 v4, 0
	s_and_not1_b32 s14, s14, exec_lo
	s_and_b32 s16, vcc_lo, exec_lo
	s_delay_alu instid0(SALU_CYCLE_1)
	s_or_b32 s14, s14, s16
	s_or_b32 exec_lo, exec_lo, s15
	s_and_saveexec_b32 s15, s14
	s_cbranch_execnz .LBB14_1353
	s_branch .LBB14_1354
.LBB14_1373:
	s_mov_b32 s9, -1
.LBB14_1374:
                                        ; implicit-def: $vgpr4
.LBB14_1375:
	s_and_b32 vcc_lo, exec_lo, s14
	s_mov_b32 s14, 0
	s_cbranch_vccz .LBB14_1377
; %bb.1376:
	s_cmp_lg_u32 s0, 11
	s_mov_b32 s14, -1
	s_cselect_b32 s9, -1, 0
.LBB14_1377:
	s_delay_alu instid0(SALU_CYCLE_1)
	s_and_b32 vcc_lo, exec_lo, s9
	s_cbranch_vccnz .LBB14_1442
; %bb.1378:
	s_and_not1_b32 vcc_lo, exec_lo, s14
	s_cbranch_vccnz .LBB14_1380
.LBB14_1379:
	global_load_u8 v1, v[8:9], off
	s_mov_b32 s15, -1
	s_wait_loadcnt 0x0
	v_cmp_ne_u16_e32 vcc_lo, 0, v1
	v_cndmask_b32_e64 v4, 0, 1.0, vcc_lo
.LBB14_1380:
	s_branch .LBB14_1307
.LBB14_1381:
	s_cmp_lt_i32 s0, 5
	s_cbranch_scc1 .LBB14_1386
; %bb.1382:
	s_cmp_lt_i32 s0, 8
	s_cbranch_scc1 .LBB14_1387
; %bb.1383:
	;; [unrolled: 3-line block ×3, first 2 shown]
	s_cmp_gt_i32 s0, 9
	s_cbranch_scc0 .LBB14_1389
; %bb.1385:
	global_load_b64 v[4:5], v[8:9], off
	s_mov_b32 s9, 0
	s_wait_loadcnt 0x0
	v_cvt_f32_f64_e32 v4, v[4:5]
	s_branch .LBB14_1390
.LBB14_1386:
	s_mov_b32 s9, -1
                                        ; implicit-def: $vgpr4
	s_branch .LBB14_1408
.LBB14_1387:
	s_mov_b32 s9, -1
                                        ; implicit-def: $vgpr4
	s_branch .LBB14_1396
.LBB14_1388:
	s_mov_b32 s9, -1
                                        ; implicit-def: $vgpr4
	s_branch .LBB14_1393
.LBB14_1389:
	s_mov_b32 s9, -1
                                        ; implicit-def: $vgpr4
.LBB14_1390:
	s_delay_alu instid0(SALU_CYCLE_1)
	s_and_not1_b32 vcc_lo, exec_lo, s9
	s_cbranch_vccnz .LBB14_1392
; %bb.1391:
	global_load_b32 v4, v[8:9], off
.LBB14_1392:
	s_mov_b32 s9, 0
.LBB14_1393:
	s_delay_alu instid0(SALU_CYCLE_1)
	s_and_not1_b32 vcc_lo, exec_lo, s9
	s_cbranch_vccnz .LBB14_1395
; %bb.1394:
	global_load_b32 v1, v[8:9], off
	s_wait_loadcnt 0x0
	v_cvt_f32_f16_e32 v4, v1
.LBB14_1395:
	s_mov_b32 s9, 0
.LBB14_1396:
	s_delay_alu instid0(SALU_CYCLE_1)
	s_and_not1_b32 vcc_lo, exec_lo, s9
	s_cbranch_vccnz .LBB14_1407
; %bb.1397:
	s_cmp_lt_i32 s0, 6
	s_cbranch_scc1 .LBB14_1400
; %bb.1398:
	s_cmp_gt_i32 s0, 6
	s_cbranch_scc0 .LBB14_1401
; %bb.1399:
	s_wait_loadcnt 0x0
	global_load_b64 v[4:5], v[8:9], off
	s_mov_b32 s9, 0
	s_wait_loadcnt 0x0
	v_cvt_f32_f64_e32 v4, v[4:5]
	s_branch .LBB14_1402
.LBB14_1400:
	s_mov_b32 s9, -1
                                        ; implicit-def: $vgpr4
	s_branch .LBB14_1405
.LBB14_1401:
	s_mov_b32 s9, -1
                                        ; implicit-def: $vgpr4
.LBB14_1402:
	s_delay_alu instid0(SALU_CYCLE_1)
	s_and_not1_b32 vcc_lo, exec_lo, s9
	s_cbranch_vccnz .LBB14_1404
; %bb.1403:
	s_wait_loadcnt 0x0
	global_load_b32 v4, v[8:9], off
.LBB14_1404:
	s_mov_b32 s9, 0
.LBB14_1405:
	s_delay_alu instid0(SALU_CYCLE_1)
	s_and_not1_b32 vcc_lo, exec_lo, s9
	s_cbranch_vccnz .LBB14_1407
; %bb.1406:
	global_load_u16 v1, v[8:9], off
	s_wait_loadcnt 0x0
	v_cvt_f32_f16_e32 v4, v1
.LBB14_1407:
	s_mov_b32 s9, 0
.LBB14_1408:
	s_delay_alu instid0(SALU_CYCLE_1)
	s_and_not1_b32 vcc_lo, exec_lo, s9
	s_cbranch_vccnz .LBB14_1428
; %bb.1409:
	s_cmp_lt_i32 s0, 2
	s_cbranch_scc1 .LBB14_1413
; %bb.1410:
	s_cmp_lt_i32 s0, 3
	s_cbranch_scc1 .LBB14_1414
; %bb.1411:
	s_cmp_gt_i32 s0, 3
	s_cbranch_scc0 .LBB14_1415
; %bb.1412:
	s_wait_loadcnt 0x0
	global_load_b64 v[4:5], v[8:9], off
	s_mov_b32 s9, 0
	s_wait_loadcnt 0x0
	v_xor_b32_e32 v1, v4, v5
	v_cls_i32_e32 v3, v5
	s_delay_alu instid0(VALU_DEP_2) | instskip(NEXT) | instid1(VALU_DEP_1)
	v_ashrrev_i32_e32 v1, 31, v1
	v_add_nc_u32_e32 v1, 32, v1
	s_delay_alu instid0(VALU_DEP_1) | instskip(NEXT) | instid1(VALU_DEP_1)
	v_add_min_u32_e64 v1, v3, -1, v1
	v_lshlrev_b64_e32 v[4:5], v1, v[4:5]
	v_sub_nc_u32_e32 v1, 32, v1
	s_delay_alu instid0(VALU_DEP_2) | instskip(NEXT) | instid1(VALU_DEP_1)
	v_min_u32_e32 v3, 1, v4
	v_or_b32_e32 v3, v5, v3
	s_delay_alu instid0(VALU_DEP_1) | instskip(NEXT) | instid1(VALU_DEP_1)
	v_cvt_f32_i32_e32 v3, v3
	v_ldexp_f32 v4, v3, v1
	s_branch .LBB14_1416
.LBB14_1413:
	s_mov_b32 s9, -1
                                        ; implicit-def: $vgpr4
	s_branch .LBB14_1422
.LBB14_1414:
	s_mov_b32 s9, -1
                                        ; implicit-def: $vgpr4
	s_branch .LBB14_1419
.LBB14_1415:
	s_mov_b32 s9, -1
                                        ; implicit-def: $vgpr4
.LBB14_1416:
	s_delay_alu instid0(SALU_CYCLE_1)
	s_and_not1_b32 vcc_lo, exec_lo, s9
	s_cbranch_vccnz .LBB14_1418
; %bb.1417:
	global_load_b32 v1, v[8:9], off
	s_wait_loadcnt 0x0
	v_cvt_f32_i32_e32 v4, v1
.LBB14_1418:
	s_mov_b32 s9, 0
.LBB14_1419:
	s_delay_alu instid0(SALU_CYCLE_1)
	s_and_not1_b32 vcc_lo, exec_lo, s9
	s_cbranch_vccnz .LBB14_1421
; %bb.1420:
	global_load_i16 v1, v[8:9], off
	s_wait_loadcnt 0x0
	v_cvt_f32_i32_e32 v4, v1
.LBB14_1421:
	s_mov_b32 s9, 0
.LBB14_1422:
	s_delay_alu instid0(SALU_CYCLE_1)
	s_and_not1_b32 vcc_lo, exec_lo, s9
	s_cbranch_vccnz .LBB14_1428
; %bb.1423:
	s_cmp_gt_i32 s0, 0
	s_mov_b32 s9, 0
	s_cbranch_scc0 .LBB14_1425
; %bb.1424:
	global_load_i8 v1, v[8:9], off
	s_wait_loadcnt 0x0
	v_cvt_f32_i32_e32 v4, v1
	s_branch .LBB14_1426
.LBB14_1425:
	s_mov_b32 s9, -1
                                        ; implicit-def: $vgpr4
.LBB14_1426:
	s_delay_alu instid0(SALU_CYCLE_1)
	s_and_not1_b32 vcc_lo, exec_lo, s9
	s_cbranch_vccnz .LBB14_1428
; %bb.1427:
	global_load_u8 v1, v[8:9], off
	s_wait_loadcnt 0x0
	v_cvt_f32_ubyte0_e32 v4, v1
.LBB14_1428:
.LBB14_1429:
	s_wait_loadcnt 0x0
	s_delay_alu instid0(VALU_DEP_1) | instskip(SKIP_2) | instid1(VALU_DEP_1)
	v_mul_f32_e32 v1, s10, v4
	s_mov_b32 s9, exec_lo
	s_wait_xcnt 0x0
	v_cmpx_nlt_f32_e32 s11, v1
	s_cbranch_execz .LBB14_1431
; %bb.1430:
	v_mul_f32_e32 v3, 0x3fb8aa3b, v1
	v_cmp_ngt_f32_e32 vcc_lo, 0xc2ce8ed0, v1
	s_mov_b32 s14, 0x3e9b6dac
	s_delay_alu instid0(VALU_DEP_2) | instskip(SKIP_1) | instid1(VALU_DEP_2)
	v_rndne_f32_e32 v4, v3
	v_fma_f32 v5, 0x3fb8aa3b, v1, -v3
	v_sub_f32_e32 v3, v3, v4
	s_delay_alu instid0(VALU_DEP_2) | instskip(SKIP_1) | instid1(VALU_DEP_2)
	v_fmamk_f32 v5, v1, 0x32a5705f, v5
	v_cvt_i32_f32_e32 v4, v4
	v_add_f32_e32 v3, v3, v5
	s_delay_alu instid0(VALU_DEP_1) | instskip(SKIP_1) | instid1(TRANS32_DEP_1)
	v_exp_f32_e32 v3, v3
	v_nop
	v_ldexp_f32 v3, v3, v4
	s_delay_alu instid0(VALU_DEP_1) | instskip(SKIP_1) | instid1(VALU_DEP_2)
	v_cndmask_b32_e32 v3, 0, v3, vcc_lo
	v_cmp_nlt_f32_e32 vcc_lo, 0x42b17218, v1
	v_cndmask_b32_e32 v3, 0x7f800000, v3, vcc_lo
	s_delay_alu instid0(VALU_DEP_1) | instskip(NEXT) | instid1(VALU_DEP_1)
	v_add_f32_e32 v1, 1.0, v3
	v_cvt_f64_f32_e32 v[4:5], v1
	s_delay_alu instid0(VALU_DEP_1) | instskip(SKIP_1) | instid1(VALU_DEP_1)
	v_frexp_exp_i32_f64_e32 v4, v[4:5]
	v_frexp_mant_f32_e32 v5, v1
	v_cmp_gt_f32_e32 vcc_lo, 0x3f2aaaab, v5
	s_delay_alu instid0(VALU_DEP_3) | instskip(NEXT) | instid1(VALU_DEP_1)
	v_subrev_co_ci_u32_e64 v7, null, 0, v4, vcc_lo
	v_dual_add_f32 v4, -1.0, v1 :: v_dual_sub_nc_u32 v5, 0, v7
	s_delay_alu instid0(VALU_DEP_1) | instskip(NEXT) | instid1(VALU_DEP_2)
	v_dual_sub_f32 v8, v4, v1 :: v_dual_sub_f32 v4, v3, v4
	v_ldexp_f32 v1, v1, v5
	s_delay_alu instid0(VALU_DEP_1) | instskip(NEXT) | instid1(VALU_DEP_1)
	v_dual_add_f32 v8, 1.0, v8 :: v_dual_add_f32 v9, 1.0, v1
	v_add_f32_e32 v4, v4, v8
	v_cmp_neq_f32_e32 vcc_lo, 0x7f800000, v3
	s_delay_alu instid0(VALU_DEP_3) | instskip(SKIP_1) | instid1(VALU_DEP_4)
	v_add_f32_e32 v8, -1.0, v9
	v_add_f32_e32 v11, -1.0, v1
	v_ldexp_f32 v4, v4, v5
	s_delay_alu instid0(VALU_DEP_2) | instskip(NEXT) | instid1(VALU_DEP_1)
	v_dual_sub_f32 v5, v1, v8 :: v_dual_add_f32 v8, 1.0, v11
	v_add_f32_e32 v12, v4, v5
	s_delay_alu instid0(VALU_DEP_1) | instskip(NEXT) | instid1(VALU_DEP_3)
	v_add_f32_e32 v14, v9, v12
	v_sub_f32_e32 v1, v1, v8
	s_delay_alu instid0(VALU_DEP_2) | instskip(NEXT) | instid1(VALU_DEP_1)
	v_rcp_f32_e32 v15, v14
	v_dual_add_f32 v1, v4, v1 :: v_dual_sub_f32 v4, v9, v14
	s_delay_alu instid0(VALU_DEP_1)
	v_dual_add_f32 v5, v11, v1 :: v_dual_add_f32 v17, v12, v4
	s_delay_alu instid0(TRANS32_DEP_1) | instid1(VALU_DEP_1)
	v_dual_mul_f32 v16, v5, v15 :: v_dual_sub_f32 v11, v11, v5
	s_delay_alu instid0(VALU_DEP_1) | instskip(NEXT) | instid1(VALU_DEP_1)
	v_dual_mul_f32 v8, v14, v16 :: v_dual_add_f32 v1, v1, v11
	v_fma_f32 v12, v16, v14, -v8
	s_delay_alu instid0(VALU_DEP_1) | instskip(NEXT) | instid1(VALU_DEP_1)
	v_fmac_f32_e32 v12, v16, v17
	v_add_f32_e32 v4, v8, v12
	s_delay_alu instid0(VALU_DEP_1) | instskip(NEXT) | instid1(VALU_DEP_1)
	v_dual_sub_f32 v9, v5, v4 :: v_dual_mov_b32 v13, v4
	v_pk_add_f32 v[4:5], v[4:5], v[8:9] neg_lo:[0,1] neg_hi:[0,1]
	s_delay_alu instid0(VALU_DEP_1) | instskip(NEXT) | instid1(VALU_DEP_1)
	v_pk_add_f32 v[4:5], v[4:5], v[12:13] neg_lo:[0,1] neg_hi:[0,1]
	v_add_f32_e32 v1, v1, v5
	s_delay_alu instid0(VALU_DEP_1) | instskip(NEXT) | instid1(VALU_DEP_1)
	v_add_f32_e32 v1, v4, v1
	v_add_f32_e32 v5, v9, v1
	s_delay_alu instid0(VALU_DEP_1) | instskip(NEXT) | instid1(VALU_DEP_1)
	v_mul_f32_e32 v11, v15, v5
	v_mul_f32_e32 v12, v14, v11
	s_delay_alu instid0(VALU_DEP_1) | instskip(NEXT) | instid1(VALU_DEP_1)
	v_dual_fma_f32 v8, v11, v14, -v12 :: v_dual_sub_f32 v14, v9, v5
	v_dual_fmac_f32 v8, v11, v17 :: v_dual_add_f32 v1, v1, v14
	s_delay_alu instid0(VALU_DEP_1) | instskip(NEXT) | instid1(VALU_DEP_1)
	v_add_f32_e32 v4, v12, v8
	v_dual_sub_f32 v13, v5, v4 :: v_dual_mov_b32 v9, v4
	s_delay_alu instid0(VALU_DEP_1) | instskip(SKIP_1) | instid1(VALU_DEP_2)
	v_pk_add_f32 v[4:5], v[4:5], v[12:13] neg_lo:[0,1] neg_hi:[0,1]
	v_add_f32_e32 v12, v16, v11
	v_pk_add_f32 v[4:5], v[4:5], v[8:9] neg_lo:[0,1] neg_hi:[0,1]
	v_cvt_f32_i32_e32 v8, v7
	s_delay_alu instid0(VALU_DEP_2) | instskip(NEXT) | instid1(VALU_DEP_1)
	v_add_f32_e32 v1, v1, v5
	v_add_f32_e32 v1, v4, v1
	v_sub_f32_e32 v4, v12, v16
	s_delay_alu instid0(VALU_DEP_1) | instskip(NEXT) | instid1(VALU_DEP_1)
	v_dual_sub_f32 v4, v11, v4 :: v_dual_add_f32 v1, v13, v1
	v_mul_f32_e32 v1, v15, v1
	s_delay_alu instid0(VALU_DEP_1) | instskip(NEXT) | instid1(VALU_DEP_1)
	v_dual_add_f32 v1, v4, v1 :: v_dual_mov_b32 v4, 0x3f317218
	v_add_f32_e32 v11, v12, v1
	s_delay_alu instid0(VALU_DEP_1) | instskip(NEXT) | instid1(VALU_DEP_1)
	v_mul_f32_e32 v5, v11, v11
	v_fmaak_f32 v13, s14, v5, 0x3ecc95a3
	v_mul_f32_e32 v9, v11, v5
	s_delay_alu instid0(VALU_DEP_2) | instskip(NEXT) | instid1(VALU_DEP_1)
	v_fmaak_f32 v5, v5, v13, 0x3f2aaada
	v_pk_mul_f32 v[4:5], v[8:9], v[4:5]
	s_delay_alu instid0(VALU_DEP_1) | instskip(SKIP_1) | instid1(VALU_DEP_2)
	v_fma_f32 v7, 0x3f317218, v8, -v4
	v_mov_b32_e32 v14, v4
	v_dual_fmamk_f32 v8, v8, 0xb102e308, v7 :: v_dual_sub_f32 v7, v11, v12
	s_delay_alu instid0(VALU_DEP_1) | instskip(SKIP_1) | instid1(VALU_DEP_2)
	v_sub_f32_e32 v1, v1, v7
	v_ldexp_f32 v9, v11, 1
	v_ldexp_f32 v1, v1, 1
	s_delay_alu instid0(VALU_DEP_2) | instskip(NEXT) | instid1(VALU_DEP_1)
	v_pk_add_f32 v[12:13], v[4:5], v[8:9]
	v_dual_sub_f32 v7, v13, v9 :: v_dual_mov_b32 v22, v13
	s_delay_alu instid0(VALU_DEP_1) | instskip(SKIP_1) | instid1(VALU_DEP_2)
	v_dual_mov_b32 v9, v12 :: v_dual_sub_f32 v7, v5, v7
	v_pk_add_f32 v[4:5], v[12:13], v[4:5] neg_lo:[0,1] neg_hi:[0,1]
	v_add_f32_e32 v15, v1, v7
	s_delay_alu instid0(VALU_DEP_1) | instskip(NEXT) | instid1(VALU_DEP_1)
	v_pk_add_f32 v[16:17], v[12:13], v[14:15]
	v_mov_b32_e32 v5, v17
	s_delay_alu instid0(VALU_DEP_1) | instskip(SKIP_2) | instid1(VALU_DEP_3)
	v_pk_add_f32 v[18:19], v[8:9], v[4:5]
	v_mov_b32_e32 v18, v17
	v_pk_add_f32 v[4:5], v[8:9], v[4:5] neg_lo:[0,1] neg_hi:[0,1]
	v_dual_mov_b32 v14, v19 :: v_dual_mov_b32 v5, v19
	s_delay_alu instid0(VALU_DEP_1) | instskip(SKIP_1) | instid1(VALU_DEP_2)
	v_pk_add_f32 v[20:21], v[14:15], v[12:13] neg_lo:[0,1] neg_hi:[0,1]
	v_dual_mov_b32 v13, v12 :: v_dual_mov_b32 v12, v15
	v_dual_mov_b32 v1, v20 :: v_dual_mov_b32 v23, v20
	s_delay_alu instid0(VALU_DEP_1) | instskip(NEXT) | instid1(VALU_DEP_2)
	v_pk_add_f32 v[16:17], v[16:17], v[0:1] neg_lo:[0,1] neg_hi:[0,1]
	v_pk_add_f32 v[8:9], v[18:19], v[22:23] neg_lo:[0,1] neg_hi:[0,1]
	v_mov_b32_e32 v16, v4
	s_delay_alu instid0(VALU_DEP_2) | instskip(NEXT) | instid1(VALU_DEP_1)
	v_pk_add_f32 v[8:9], v[12:13], v[8:9] neg_lo:[0,1] neg_hi:[0,1]
	v_pk_add_f32 v[12:13], v[16:17], v[8:9]
	s_delay_alu instid0(VALU_DEP_1) | instskip(NEXT) | instid1(VALU_DEP_1)
	v_mov_b32_e32 v16, v13
	v_pk_add_f32 v[16:17], v[12:13], v[16:17]
	s_delay_alu instid0(VALU_DEP_1) | instskip(NEXT) | instid1(VALU_DEP_1)
	v_pk_add_f32 v[14:15], v[14:15], v[16:17]
	v_dual_mov_b32 v9, v16 :: v_dual_mov_b32 v13, v14
	s_delay_alu instid0(VALU_DEP_1) | instskip(NEXT) | instid1(VALU_DEP_1)
	v_pk_add_f32 v[18:19], v[12:13], v[4:5] neg_lo:[0,1] neg_hi:[0,1]
	v_sub_f32_e32 v1, v12, v18
	s_delay_alu instid0(VALU_DEP_2) | instskip(NEXT) | instid1(VALU_DEP_2)
	v_pk_add_f32 v[8:9], v[8:9], v[18:19] neg_lo:[0,1] neg_hi:[0,1]
	v_sub_f32_e32 v1, v4, v1
	s_delay_alu instid0(VALU_DEP_1) | instskip(NEXT) | instid1(VALU_DEP_1)
	v_add_f32_e32 v1, v8, v1
	v_add_f32_e32 v1, v1, v9
	s_delay_alu instid0(VALU_DEP_1) | instskip(NEXT) | instid1(VALU_DEP_1)
	v_add_f32_e32 v1, v14, v1
	v_cndmask_b32_e32 v1, 0x7f800000, v1, vcc_lo
	v_cmp_gt_f32_e64 vcc_lo, 0x33800000, |v3|
	s_delay_alu instid0(VALU_DEP_2) | instskip(NEXT) | instid1(VALU_DEP_1)
	v_cndmask_b32_e32 v1, v1, v3, vcc_lo
	v_div_scale_f32 v3, null, s10, s10, v1
	s_delay_alu instid0(VALU_DEP_1) | instskip(SKIP_1) | instid1(TRANS32_DEP_1)
	v_rcp_f32_e32 v4, v3
	v_nop
	v_fma_f32 v5, -v3, v4, 1.0
	s_delay_alu instid0(VALU_DEP_1) | instskip(SKIP_1) | instid1(VALU_DEP_1)
	v_fmac_f32_e32 v4, v5, v4
	v_div_scale_f32 v5, vcc_lo, v1, s10, v1
	v_mul_f32_e32 v7, v5, v4
	s_delay_alu instid0(VALU_DEP_1) | instskip(NEXT) | instid1(VALU_DEP_1)
	v_fma_f32 v8, -v3, v7, v5
	v_fmac_f32_e32 v7, v8, v4
	s_delay_alu instid0(VALU_DEP_1) | instskip(NEXT) | instid1(VALU_DEP_1)
	v_fma_f32 v3, -v3, v7, v5
	v_div_fmas_f32 v3, v3, v4, v7
	s_delay_alu instid0(VALU_DEP_1)
	v_div_fixup_f32 v4, v3, s10, v1
.LBB14_1431:
	s_or_b32 exec_lo, exec_lo, s9
	v_add_nc_u32_e32 v6, s3, v6
	s_cmp_lt_i32 s0, 11
	s_delay_alu instid0(VALU_DEP_1) | instskip(NEXT) | instid1(VALU_DEP_1)
	v_ashrrev_i32_e32 v7, 31, v6
	v_add_nc_u64_e32 v[8:9], s[6:7], v[6:7]
	s_cbranch_scc1 .LBB14_1438
; %bb.1432:
	s_cmp_gt_i32 s0, 25
	s_mov_b32 s6, 0
	s_cbranch_scc0 .LBB14_1439
; %bb.1433:
	s_cmp_gt_i32 s0, 28
	s_cbranch_scc0 .LBB14_1440
; %bb.1434:
	s_cmp_gt_i32 s0, 43
	;; [unrolled: 3-line block ×3, first 2 shown]
	s_cbranch_scc0 .LBB14_1443
; %bb.1436:
	s_cmp_eq_u32 s0, 46
	s_mov_b32 s9, 0
	s_cbranch_scc0 .LBB14_1444
; %bb.1437:
	global_load_b32 v1, v[8:9], off
	s_mov_b32 s3, 0
	s_mov_b32 s7, -1
	s_wait_loadcnt 0x0
	v_lshlrev_b32_e32 v6, 16, v1
	s_branch .LBB14_1446
.LBB14_1438:
	s_mov_b32 s3, -1
	s_mov_b32 s7, 0
                                        ; implicit-def: $vgpr6
	s_branch .LBB14_1512
.LBB14_1439:
	s_mov_b32 s9, -1
	s_mov_b32 s7, 0
	s_mov_b32 s3, 0
                                        ; implicit-def: $vgpr6
	s_branch .LBB14_1475
.LBB14_1440:
	s_mov_b32 s9, -1
	s_mov_b32 s7, 0
	s_mov_b32 s3, 0
                                        ; implicit-def: $vgpr6
	s_branch .LBB14_1456
.LBB14_1441:
	s_mov_b32 s9, -1
	s_mov_b32 s7, 0
	s_mov_b32 s3, 0
                                        ; implicit-def: $vgpr6
	s_branch .LBB14_1451
.LBB14_1442:
	s_or_b32 s1, s1, exec_lo
	s_trap 2
	s_cbranch_execz .LBB14_1379
	s_branch .LBB14_1380
.LBB14_1443:
	s_mov_b32 s9, -1
	s_mov_b32 s7, 0
	s_mov_b32 s3, 0
	s_branch .LBB14_1445
.LBB14_1444:
	s_mov_b32 s3, -1
	s_mov_b32 s7, 0
.LBB14_1445:
                                        ; implicit-def: $vgpr6
.LBB14_1446:
	s_and_b32 vcc_lo, exec_lo, s9
	s_cbranch_vccz .LBB14_1450
; %bb.1447:
	s_cmp_eq_u32 s0, 44
	s_cbranch_scc0 .LBB14_1449
; %bb.1448:
	global_load_u8 v1, v[8:9], off
	s_mov_b32 s3, 0
	s_mov_b32 s7, -1
	s_wait_loadcnt 0x0
	v_lshlrev_b32_e32 v3, 23, v1
	v_cmp_ne_u32_e32 vcc_lo, 0xff, v1
	s_delay_alu instid0(VALU_DEP_2) | instskip(SKIP_1) | instid1(VALU_DEP_2)
	v_cndmask_b32_e32 v3, 0x7f800001, v3, vcc_lo
	v_cmp_ne_u32_e32 vcc_lo, 0, v1
	v_cndmask_b32_e32 v6, 0x400000, v3, vcc_lo
	s_branch .LBB14_1450
.LBB14_1449:
	s_mov_b32 s3, -1
                                        ; implicit-def: $vgpr6
.LBB14_1450:
	s_mov_b32 s9, 0
.LBB14_1451:
	s_delay_alu instid0(SALU_CYCLE_1)
	s_and_b32 vcc_lo, exec_lo, s9
	s_cbranch_vccz .LBB14_1455
; %bb.1452:
	s_cmp_eq_u32 s0, 29
	s_cbranch_scc0 .LBB14_1454
; %bb.1453:
	global_load_b64 v[6:7], v[8:9], off
	s_mov_b32 s3, 0
	s_mov_b32 s7, -1
	s_mov_b32 s9, 0
	s_wait_loadcnt 0x0
	v_clz_i32_u32_e32 v1, v7
	s_delay_alu instid0(VALU_DEP_1) | instskip(NEXT) | instid1(VALU_DEP_1)
	v_min_u32_e32 v1, 32, v1
	v_lshlrev_b64_e32 v[6:7], v1, v[6:7]
	v_sub_nc_u32_e32 v1, 32, v1
	s_delay_alu instid0(VALU_DEP_2) | instskip(NEXT) | instid1(VALU_DEP_1)
	v_min_u32_e32 v3, 1, v6
	v_or_b32_e32 v3, v7, v3
	s_delay_alu instid0(VALU_DEP_1) | instskip(NEXT) | instid1(VALU_DEP_1)
	v_cvt_f32_u32_e32 v3, v3
	v_ldexp_f32 v6, v3, v1
	s_branch .LBB14_1456
.LBB14_1454:
	s_mov_b32 s3, -1
                                        ; implicit-def: $vgpr6
.LBB14_1455:
	s_mov_b32 s9, 0
.LBB14_1456:
	s_delay_alu instid0(SALU_CYCLE_1)
	s_and_b32 vcc_lo, exec_lo, s9
	s_cbranch_vccz .LBB14_1474
; %bb.1457:
	s_cmp_lt_i32 s0, 27
	s_cbranch_scc1 .LBB14_1460
; %bb.1458:
	s_cmp_gt_i32 s0, 27
	s_cbranch_scc0 .LBB14_1461
; %bb.1459:
	global_load_b32 v1, v[8:9], off
	s_mov_b32 s7, 0
	s_wait_loadcnt 0x0
	v_cvt_f32_u32_e32 v6, v1
	s_branch .LBB14_1462
.LBB14_1460:
	s_mov_b32 s7, -1
                                        ; implicit-def: $vgpr6
	s_branch .LBB14_1465
.LBB14_1461:
	s_mov_b32 s7, -1
                                        ; implicit-def: $vgpr6
.LBB14_1462:
	s_delay_alu instid0(SALU_CYCLE_1)
	s_and_not1_b32 vcc_lo, exec_lo, s7
	s_cbranch_vccnz .LBB14_1464
; %bb.1463:
	global_load_u16 v1, v[8:9], off
	s_wait_loadcnt 0x0
	v_cvt_f32_u32_e32 v6, v1
.LBB14_1464:
	s_mov_b32 s7, 0
.LBB14_1465:
	s_delay_alu instid0(SALU_CYCLE_1)
	s_and_not1_b32 vcc_lo, exec_lo, s7
	s_cbranch_vccnz .LBB14_1473
; %bb.1466:
	global_load_u8 v1, v[8:9], off
	s_mov_b32 s7, 0
	s_mov_b32 s9, exec_lo
	s_wait_loadcnt 0x0
	v_cmpx_lt_i16_e32 0x7f, v1
	s_xor_b32 s9, exec_lo, s9
	s_cbranch_execz .LBB14_1487
; %bb.1467:
	s_mov_b32 s7, -1
	s_mov_b32 s14, exec_lo
	v_cmpx_eq_u16_e32 0x80, v1
; %bb.1468:
	s_xor_b32 s7, exec_lo, -1
; %bb.1469:
	s_or_b32 exec_lo, exec_lo, s14
	s_delay_alu instid0(SALU_CYCLE_1)
	s_and_b32 s7, s7, exec_lo
	s_or_saveexec_b32 s9, s9
	v_mov_b32_e32 v6, 0x7f800001
	s_xor_b32 exec_lo, exec_lo, s9
	s_cbranch_execnz .LBB14_1488
.LBB14_1470:
	s_or_b32 exec_lo, exec_lo, s9
	s_and_saveexec_b32 s9, s7
	s_cbranch_execz .LBB14_1472
.LBB14_1471:
	v_and_b32_e32 v3, 0xffff, v1
	s_delay_alu instid0(VALU_DEP_1) | instskip(SKIP_1) | instid1(VALU_DEP_2)
	v_and_b32_e32 v5, 7, v3
	v_bfe_u32 v11, v3, 3, 4
	v_clz_i32_u32_e32 v6, v5
	s_delay_alu instid0(VALU_DEP_2) | instskip(NEXT) | instid1(VALU_DEP_2)
	v_cmp_eq_u32_e32 vcc_lo, 0, v11
	v_min_u32_e32 v6, 32, v6
	s_delay_alu instid0(VALU_DEP_1) | instskip(NEXT) | instid1(VALU_DEP_1)
	v_subrev_nc_u32_e32 v7, 28, v6
	v_dual_lshlrev_b32 v3, v7, v3 :: v_dual_sub_nc_u32 v6, 29, v6
	s_delay_alu instid0(VALU_DEP_1) | instskip(NEXT) | instid1(VALU_DEP_1)
	v_dual_lshlrev_b32 v1, 24, v1 :: v_dual_bitop2_b32 v3, 7, v3 bitop3:0x40
	v_dual_cndmask_b32 v6, v11, v6 :: v_dual_cndmask_b32 v3, v5, v3
	s_delay_alu instid0(VALU_DEP_2) | instskip(NEXT) | instid1(VALU_DEP_2)
	v_and_b32_e32 v1, 0x80000000, v1
	v_lshl_add_u32 v5, v6, 23, 0x3b800000
	s_delay_alu instid0(VALU_DEP_3) | instskip(NEXT) | instid1(VALU_DEP_1)
	v_lshlrev_b32_e32 v3, 20, v3
	v_or3_b32 v6, v1, v5, v3
.LBB14_1472:
	s_or_b32 exec_lo, exec_lo, s9
.LBB14_1473:
	s_mov_b32 s7, -1
.LBB14_1474:
	s_mov_b32 s9, 0
.LBB14_1475:
	s_delay_alu instid0(SALU_CYCLE_1)
	s_and_b32 vcc_lo, exec_lo, s9
	s_cbranch_vccz .LBB14_1508
; %bb.1476:
	s_cmp_gt_i32 s0, 22
	s_cbranch_scc0 .LBB14_1486
; %bb.1477:
	s_cmp_lt_i32 s0, 24
	s_cbranch_scc1 .LBB14_1489
; %bb.1478:
	s_cmp_gt_i32 s0, 24
	s_cbranch_scc0 .LBB14_1490
; %bb.1479:
	global_load_u8 v1, v[8:9], off
	s_mov_b32 s7, exec_lo
	s_wait_loadcnt 0x0
	v_cmpx_lt_i16_e32 0x7f, v1
	s_xor_b32 s7, exec_lo, s7
	s_cbranch_execz .LBB14_1502
; %bb.1480:
	s_mov_b32 s6, -1
	s_mov_b32 s9, exec_lo
	v_cmpx_eq_u16_e32 0x80, v1
; %bb.1481:
	s_xor_b32 s6, exec_lo, -1
; %bb.1482:
	s_or_b32 exec_lo, exec_lo, s9
	s_delay_alu instid0(SALU_CYCLE_1)
	s_and_b32 s6, s6, exec_lo
	s_or_saveexec_b32 s7, s7
	v_mov_b32_e32 v6, 0x7f800001
	s_xor_b32 exec_lo, exec_lo, s7
	s_cbranch_execnz .LBB14_1503
.LBB14_1483:
	s_or_b32 exec_lo, exec_lo, s7
	s_and_saveexec_b32 s7, s6
	s_cbranch_execz .LBB14_1485
.LBB14_1484:
	v_and_b32_e32 v3, 0xffff, v1
	s_delay_alu instid0(VALU_DEP_1) | instskip(SKIP_1) | instid1(VALU_DEP_2)
	v_and_b32_e32 v5, 3, v3
	v_bfe_u32 v11, v3, 2, 5
	v_clz_i32_u32_e32 v6, v5
	s_delay_alu instid0(VALU_DEP_2) | instskip(NEXT) | instid1(VALU_DEP_2)
	v_cmp_eq_u32_e32 vcc_lo, 0, v11
	v_min_u32_e32 v6, 32, v6
	s_delay_alu instid0(VALU_DEP_1) | instskip(NEXT) | instid1(VALU_DEP_1)
	v_subrev_nc_u32_e32 v7, 29, v6
	v_dual_lshlrev_b32 v3, v7, v3 :: v_dual_sub_nc_u32 v6, 30, v6
	s_delay_alu instid0(VALU_DEP_1) | instskip(NEXT) | instid1(VALU_DEP_1)
	v_dual_lshlrev_b32 v1, 24, v1 :: v_dual_bitop2_b32 v3, 3, v3 bitop3:0x40
	v_dual_cndmask_b32 v6, v11, v6 :: v_dual_cndmask_b32 v3, v5, v3
	s_delay_alu instid0(VALU_DEP_2) | instskip(NEXT) | instid1(VALU_DEP_2)
	v_and_b32_e32 v1, 0x80000000, v1
	v_lshl_add_u32 v5, v6, 23, 0x37800000
	s_delay_alu instid0(VALU_DEP_3) | instskip(NEXT) | instid1(VALU_DEP_1)
	v_lshlrev_b32_e32 v3, 21, v3
	v_or3_b32 v6, v1, v5, v3
.LBB14_1485:
	s_or_b32 exec_lo, exec_lo, s7
	s_mov_b32 s6, 0
	s_branch .LBB14_1491
.LBB14_1486:
	s_mov_b32 s6, -1
                                        ; implicit-def: $vgpr6
	s_branch .LBB14_1497
.LBB14_1487:
	s_or_saveexec_b32 s9, s9
	v_mov_b32_e32 v6, 0x7f800001
	s_xor_b32 exec_lo, exec_lo, s9
	s_cbranch_execz .LBB14_1470
.LBB14_1488:
	v_cmp_ne_u16_e32 vcc_lo, 0, v1
	v_mov_b32_e32 v6, 0
	s_and_not1_b32 s7, s7, exec_lo
	s_and_b32 s14, vcc_lo, exec_lo
	s_delay_alu instid0(SALU_CYCLE_1)
	s_or_b32 s7, s7, s14
	s_or_b32 exec_lo, exec_lo, s9
	s_and_saveexec_b32 s9, s7
	s_cbranch_execnz .LBB14_1471
	s_branch .LBB14_1472
.LBB14_1489:
	s_mov_b32 s6, -1
                                        ; implicit-def: $vgpr6
	s_branch .LBB14_1494
.LBB14_1490:
	s_mov_b32 s6, -1
                                        ; implicit-def: $vgpr6
.LBB14_1491:
	s_delay_alu instid0(SALU_CYCLE_1)
	s_and_b32 vcc_lo, exec_lo, s6
	s_cbranch_vccz .LBB14_1493
; %bb.1492:
	global_load_u8 v1, v[8:9], off
	s_wait_loadcnt 0x0
	v_lshlrev_b32_e32 v1, 24, v1
	s_delay_alu instid0(VALU_DEP_1) | instskip(NEXT) | instid1(VALU_DEP_1)
	v_and_b32_e32 v3, 0x7f000000, v1
	v_clz_i32_u32_e32 v5, v3
	v_add_nc_u32_e32 v7, 0x1000000, v3
	v_cmp_ne_u32_e32 vcc_lo, 0, v3
	s_delay_alu instid0(VALU_DEP_3) | instskip(NEXT) | instid1(VALU_DEP_1)
	v_min_u32_e32 v5, 32, v5
	v_sub_nc_u32_e64 v5, v5, 4 clamp
	s_delay_alu instid0(VALU_DEP_1) | instskip(NEXT) | instid1(VALU_DEP_1)
	v_dual_lshlrev_b32 v6, v5, v3 :: v_dual_lshlrev_b32 v5, 23, v5
	v_lshrrev_b32_e32 v6, 4, v6
	s_delay_alu instid0(VALU_DEP_1) | instskip(NEXT) | instid1(VALU_DEP_1)
	v_dual_sub_nc_u32 v5, v6, v5 :: v_dual_ashrrev_i32 v6, 8, v7
	v_add_nc_u32_e32 v5, 0x3c000000, v5
	s_delay_alu instid0(VALU_DEP_1) | instskip(NEXT) | instid1(VALU_DEP_1)
	v_and_or_b32 v5, 0x7f800000, v6, v5
	v_cndmask_b32_e32 v3, 0, v5, vcc_lo
	s_delay_alu instid0(VALU_DEP_1)
	v_and_or_b32 v6, 0x80000000, v1, v3
.LBB14_1493:
	s_mov_b32 s6, 0
.LBB14_1494:
	s_delay_alu instid0(SALU_CYCLE_1)
	s_and_not1_b32 vcc_lo, exec_lo, s6
	s_cbranch_vccnz .LBB14_1496
; %bb.1495:
	global_load_u8 v1, v[8:9], off
	s_wait_loadcnt 0x0
	v_lshlrev_b32_e32 v3, 25, v1
	v_lshlrev_b16 v1, 8, v1
	s_delay_alu instid0(VALU_DEP_1) | instskip(SKIP_1) | instid1(VALU_DEP_2)
	v_and_or_b32 v6, 0x7f00, v1, 0.5
	v_bfe_i32 v1, v1, 0, 16
	v_dual_add_f32 v6, -0.5, v6 :: v_dual_lshrrev_b32 v5, 4, v3
	v_cmp_gt_u32_e32 vcc_lo, 0x8000000, v3
	s_delay_alu instid0(VALU_DEP_2) | instskip(NEXT) | instid1(VALU_DEP_1)
	v_or_b32_e32 v5, 0x70000000, v5
	v_mul_f32_e32 v5, 0x7800000, v5
	s_delay_alu instid0(VALU_DEP_1) | instskip(NEXT) | instid1(VALU_DEP_1)
	v_cndmask_b32_e32 v3, v5, v6, vcc_lo
	v_and_or_b32 v6, 0x80000000, v1, v3
.LBB14_1496:
	s_mov_b32 s6, 0
	s_mov_b32 s7, -1
.LBB14_1497:
	s_and_not1_b32 vcc_lo, exec_lo, s6
	s_mov_b32 s6, 0
	s_cbranch_vccnz .LBB14_1508
; %bb.1498:
	s_cmp_gt_i32 s0, 14
	s_cbranch_scc0 .LBB14_1501
; %bb.1499:
	s_cmp_eq_u32 s0, 15
	s_cbranch_scc0 .LBB14_1504
; %bb.1500:
	global_load_u16 v1, v[8:9], off
	s_mov_b32 s3, 0
	s_mov_b32 s7, -1
	s_wait_loadcnt 0x0
	v_lshlrev_b32_e32 v6, 16, v1
	s_branch .LBB14_1506
.LBB14_1501:
	s_mov_b32 s6, -1
	s_branch .LBB14_1505
.LBB14_1502:
	s_or_saveexec_b32 s7, s7
	v_mov_b32_e32 v6, 0x7f800001
	s_xor_b32 exec_lo, exec_lo, s7
	s_cbranch_execz .LBB14_1483
.LBB14_1503:
	v_cmp_ne_u16_e32 vcc_lo, 0, v1
	v_mov_b32_e32 v6, 0
	s_and_not1_b32 s6, s6, exec_lo
	s_and_b32 s9, vcc_lo, exec_lo
	s_delay_alu instid0(SALU_CYCLE_1)
	s_or_b32 s6, s6, s9
	s_or_b32 exec_lo, exec_lo, s7
	s_and_saveexec_b32 s7, s6
	s_cbranch_execnz .LBB14_1484
	s_branch .LBB14_1485
.LBB14_1504:
	s_mov_b32 s3, -1
.LBB14_1505:
                                        ; implicit-def: $vgpr6
.LBB14_1506:
	s_and_b32 vcc_lo, exec_lo, s6
	s_mov_b32 s6, 0
	s_cbranch_vccz .LBB14_1508
; %bb.1507:
	s_cmp_lg_u32 s0, 11
	s_mov_b32 s6, -1
	s_cselect_b32 s3, -1, 0
.LBB14_1508:
	s_delay_alu instid0(SALU_CYCLE_1)
	s_and_b32 vcc_lo, exec_lo, s3
	s_cbranch_vccnz .LBB14_2044
; %bb.1509:
	s_and_not1_b32 vcc_lo, exec_lo, s6
	s_cbranch_vccnz .LBB14_1511
.LBB14_1510:
	global_load_u8 v1, v[8:9], off
	s_mov_b32 s7, -1
	s_wait_loadcnt 0x0
	v_cmp_ne_u16_e32 vcc_lo, 0, v1
	v_cndmask_b32_e64 v6, 0, 1.0, vcc_lo
.LBB14_1511:
	s_mov_b32 s3, 0
.LBB14_1512:
	s_delay_alu instid0(SALU_CYCLE_1)
	s_and_b32 vcc_lo, exec_lo, s3
	s_cbranch_vccz .LBB14_1561
; %bb.1513:
	s_cmp_lt_i32 s0, 5
	s_cbranch_scc1 .LBB14_1518
; %bb.1514:
	s_cmp_lt_i32 s0, 8
	s_cbranch_scc1 .LBB14_1519
	;; [unrolled: 3-line block ×3, first 2 shown]
; %bb.1516:
	s_cmp_gt_i32 s0, 9
	s_cbranch_scc0 .LBB14_1521
; %bb.1517:
	global_load_b64 v[6:7], v[8:9], off
	s_mov_b32 s3, 0
	s_wait_loadcnt 0x0
	v_cvt_f32_f64_e32 v6, v[6:7]
	s_branch .LBB14_1522
.LBB14_1518:
	s_mov_b32 s3, -1
                                        ; implicit-def: $vgpr6
	s_branch .LBB14_1540
.LBB14_1519:
	s_mov_b32 s3, -1
                                        ; implicit-def: $vgpr6
	s_branch .LBB14_1528
.LBB14_1520:
	s_mov_b32 s3, -1
                                        ; implicit-def: $vgpr6
	s_branch .LBB14_1525
.LBB14_1521:
	s_mov_b32 s3, -1
                                        ; implicit-def: $vgpr6
.LBB14_1522:
	s_delay_alu instid0(SALU_CYCLE_1)
	s_and_not1_b32 vcc_lo, exec_lo, s3
	s_cbranch_vccnz .LBB14_1524
; %bb.1523:
	global_load_b32 v6, v[8:9], off
.LBB14_1524:
	s_mov_b32 s3, 0
.LBB14_1525:
	s_delay_alu instid0(SALU_CYCLE_1)
	s_and_not1_b32 vcc_lo, exec_lo, s3
	s_cbranch_vccnz .LBB14_1527
; %bb.1526:
	global_load_b32 v1, v[8:9], off
	s_wait_loadcnt 0x0
	v_cvt_f32_f16_e32 v6, v1
.LBB14_1527:
	s_mov_b32 s3, 0
.LBB14_1528:
	s_delay_alu instid0(SALU_CYCLE_1)
	s_and_not1_b32 vcc_lo, exec_lo, s3
	s_cbranch_vccnz .LBB14_1539
; %bb.1529:
	s_cmp_lt_i32 s0, 6
	s_cbranch_scc1 .LBB14_1532
; %bb.1530:
	s_cmp_gt_i32 s0, 6
	s_cbranch_scc0 .LBB14_1533
; %bb.1531:
	s_wait_loadcnt 0x0
	global_load_b64 v[6:7], v[8:9], off
	s_mov_b32 s3, 0
	s_wait_loadcnt 0x0
	v_cvt_f32_f64_e32 v6, v[6:7]
	s_branch .LBB14_1534
.LBB14_1532:
	s_mov_b32 s3, -1
                                        ; implicit-def: $vgpr6
	s_branch .LBB14_1537
.LBB14_1533:
	s_mov_b32 s3, -1
                                        ; implicit-def: $vgpr6
.LBB14_1534:
	s_delay_alu instid0(SALU_CYCLE_1)
	s_and_not1_b32 vcc_lo, exec_lo, s3
	s_cbranch_vccnz .LBB14_1536
; %bb.1535:
	s_wait_loadcnt 0x0
	global_load_b32 v6, v[8:9], off
.LBB14_1536:
	s_mov_b32 s3, 0
.LBB14_1537:
	s_delay_alu instid0(SALU_CYCLE_1)
	s_and_not1_b32 vcc_lo, exec_lo, s3
	s_cbranch_vccnz .LBB14_1539
; %bb.1538:
	global_load_u16 v1, v[8:9], off
	s_wait_loadcnt 0x0
	v_cvt_f32_f16_e32 v6, v1
.LBB14_1539:
	s_mov_b32 s3, 0
.LBB14_1540:
	s_delay_alu instid0(SALU_CYCLE_1)
	s_and_not1_b32 vcc_lo, exec_lo, s3
	s_cbranch_vccnz .LBB14_1560
; %bb.1541:
	s_cmp_lt_i32 s0, 2
	s_cbranch_scc1 .LBB14_1545
; %bb.1542:
	s_cmp_lt_i32 s0, 3
	s_cbranch_scc1 .LBB14_1546
; %bb.1543:
	s_cmp_gt_i32 s0, 3
	s_cbranch_scc0 .LBB14_1547
; %bb.1544:
	s_wait_loadcnt 0x0
	global_load_b64 v[6:7], v[8:9], off
	s_mov_b32 s3, 0
	s_wait_loadcnt 0x0
	v_xor_b32_e32 v1, v6, v7
	v_cls_i32_e32 v3, v7
	s_delay_alu instid0(VALU_DEP_2) | instskip(NEXT) | instid1(VALU_DEP_1)
	v_ashrrev_i32_e32 v1, 31, v1
	v_add_nc_u32_e32 v1, 32, v1
	s_delay_alu instid0(VALU_DEP_1) | instskip(NEXT) | instid1(VALU_DEP_1)
	v_add_min_u32_e64 v1, v3, -1, v1
	v_lshlrev_b64_e32 v[6:7], v1, v[6:7]
	v_sub_nc_u32_e32 v1, 32, v1
	s_delay_alu instid0(VALU_DEP_2) | instskip(NEXT) | instid1(VALU_DEP_1)
	v_min_u32_e32 v3, 1, v6
	v_or_b32_e32 v3, v7, v3
	s_delay_alu instid0(VALU_DEP_1) | instskip(NEXT) | instid1(VALU_DEP_1)
	v_cvt_f32_i32_e32 v3, v3
	v_ldexp_f32 v6, v3, v1
	s_branch .LBB14_1548
.LBB14_1545:
	s_mov_b32 s3, -1
                                        ; implicit-def: $vgpr6
	s_branch .LBB14_1554
.LBB14_1546:
	s_mov_b32 s3, -1
                                        ; implicit-def: $vgpr6
	s_branch .LBB14_1551
.LBB14_1547:
	s_mov_b32 s3, -1
                                        ; implicit-def: $vgpr6
.LBB14_1548:
	s_delay_alu instid0(SALU_CYCLE_1)
	s_and_not1_b32 vcc_lo, exec_lo, s3
	s_cbranch_vccnz .LBB14_1550
; %bb.1549:
	global_load_b32 v1, v[8:9], off
	s_wait_loadcnt 0x0
	v_cvt_f32_i32_e32 v6, v1
.LBB14_1550:
	s_mov_b32 s3, 0
.LBB14_1551:
	s_delay_alu instid0(SALU_CYCLE_1)
	s_and_not1_b32 vcc_lo, exec_lo, s3
	s_cbranch_vccnz .LBB14_1553
; %bb.1552:
	global_load_i16 v1, v[8:9], off
	s_wait_loadcnt 0x0
	v_cvt_f32_i32_e32 v6, v1
.LBB14_1553:
	s_mov_b32 s3, 0
.LBB14_1554:
	s_delay_alu instid0(SALU_CYCLE_1)
	s_and_not1_b32 vcc_lo, exec_lo, s3
	s_cbranch_vccnz .LBB14_1560
; %bb.1555:
	s_cmp_gt_i32 s0, 0
	s_mov_b32 s0, 0
	s_cbranch_scc0 .LBB14_1557
; %bb.1556:
	global_load_i8 v1, v[8:9], off
	s_wait_loadcnt 0x0
	v_cvt_f32_i32_e32 v6, v1
	s_branch .LBB14_1558
.LBB14_1557:
	s_mov_b32 s0, -1
                                        ; implicit-def: $vgpr6
.LBB14_1558:
	s_delay_alu instid0(SALU_CYCLE_1)
	s_and_not1_b32 vcc_lo, exec_lo, s0
	s_cbranch_vccnz .LBB14_1560
; %bb.1559:
	global_load_u8 v1, v[8:9], off
	s_wait_loadcnt 0x0
	v_cvt_f32_ubyte0_e32 v6, v1
.LBB14_1560:
	s_mov_b32 s7, -1
.LBB14_1561:
	s_delay_alu instid0(SALU_CYCLE_1)
	s_and_not1_b32 vcc_lo, exec_lo, s7
	s_cbranch_vccnz .LBB14_1642
; %bb.1562:
	s_wait_loadcnt 0x0
	s_delay_alu instid0(VALU_DEP_1) | instskip(SKIP_2) | instid1(VALU_DEP_1)
	v_mul_f32_e32 v1, s10, v6
	s_mov_b32 s0, exec_lo
	s_wait_xcnt 0x0
	v_cmpx_nlt_f32_e32 s11, v1
	s_cbranch_execz .LBB14_1564
; %bb.1563:
	v_mul_f32_e32 v3, 0x3fb8aa3b, v1
	v_cmp_ngt_f32_e32 vcc_lo, 0xc2ce8ed0, v1
	s_mov_b32 s3, 0x3e9b6dac
	s_delay_alu instid0(VALU_DEP_2) | instskip(SKIP_1) | instid1(VALU_DEP_1)
	v_rndne_f32_e32 v5, v3
	v_fma_f32 v6, 0x3fb8aa3b, v1, -v3
	v_dual_sub_f32 v3, v3, v5 :: v_dual_fmamk_f32 v6, v1, 0x32a5705f, v6
	v_cvt_i32_f32_e32 v5, v5
	s_delay_alu instid0(VALU_DEP_2) | instskip(NEXT) | instid1(VALU_DEP_1)
	v_add_f32_e32 v3, v3, v6
	v_exp_f32_e32 v3, v3
	v_nop
	s_delay_alu instid0(TRANS32_DEP_1) | instskip(NEXT) | instid1(VALU_DEP_1)
	v_ldexp_f32 v3, v3, v5
	v_cndmask_b32_e32 v3, 0, v3, vcc_lo
	v_cmp_nlt_f32_e32 vcc_lo, 0x42b17218, v1
	s_delay_alu instid0(VALU_DEP_2) | instskip(NEXT) | instid1(VALU_DEP_1)
	v_cndmask_b32_e32 v3, 0x7f800000, v3, vcc_lo
	v_add_f32_e32 v1, 1.0, v3
	s_delay_alu instid0(VALU_DEP_1) | instskip(NEXT) | instid1(VALU_DEP_1)
	v_cvt_f64_f32_e32 v[6:7], v1
	v_frexp_exp_i32_f64_e32 v5, v[6:7]
	v_frexp_mant_f32_e32 v6, v1
	s_delay_alu instid0(VALU_DEP_1) | instskip(SKIP_1) | instid1(VALU_DEP_1)
	v_cmp_gt_f32_e32 vcc_lo, 0x3f2aaaab, v6
	v_add_f32_e32 v6, -1.0, v1
	v_sub_f32_e32 v8, v6, v1
	s_delay_alu instid0(VALU_DEP_1) | instskip(NEXT) | instid1(VALU_DEP_1)
	v_dual_add_f32 v8, 1.0, v8 :: v_dual_sub_f32 v6, v3, v6
	v_add_f32_e32 v6, v6, v8
	v_subrev_co_ci_u32_e64 v5, null, 0, v5, vcc_lo
	v_cmp_neq_f32_e32 vcc_lo, 0x7f800000, v3
	s_delay_alu instid0(VALU_DEP_2) | instskip(NEXT) | instid1(VALU_DEP_1)
	v_sub_nc_u32_e32 v7, 0, v5
	v_ldexp_f32 v1, v1, v7
	v_ldexp_f32 v6, v6, v7
	s_delay_alu instid0(VALU_DEP_2) | instskip(NEXT) | instid1(VALU_DEP_1)
	v_add_f32_e32 v9, 1.0, v1
	v_add_f32_e32 v8, -1.0, v9
	s_delay_alu instid0(VALU_DEP_1) | instskip(NEXT) | instid1(VALU_DEP_1)
	v_dual_add_f32 v11, -1.0, v1 :: v_dual_sub_f32 v7, v1, v8
	v_add_f32_e32 v12, v6, v7
	s_delay_alu instid0(VALU_DEP_1) | instskip(NEXT) | instid1(VALU_DEP_1)
	v_dual_add_f32 v8, 1.0, v11 :: v_dual_add_f32 v14, v9, v12
	v_rcp_f32_e32 v15, v14
	s_delay_alu instid0(VALU_DEP_1) | instskip(NEXT) | instid1(VALU_DEP_1)
	v_sub_f32_e32 v1, v1, v8
	v_dual_add_f32 v1, v6, v1 :: v_dual_sub_f32 v6, v9, v14
	s_delay_alu instid0(VALU_DEP_1)
	v_add_f32_e32 v7, v11, v1
	s_delay_alu instid0(TRANS32_DEP_1) | instid1(VALU_DEP_1)
	v_mul_f32_e32 v16, v7, v15
	s_delay_alu instid0(VALU_DEP_1) | instskip(NEXT) | instid1(VALU_DEP_1)
	v_dual_mul_f32 v8, v14, v16 :: v_dual_add_f32 v17, v12, v6
	v_dual_sub_f32 v11, v11, v7 :: v_dual_fma_f32 v12, v16, v14, -v8
	s_delay_alu instid0(VALU_DEP_1) | instskip(NEXT) | instid1(VALU_DEP_1)
	v_dual_add_f32 v1, v1, v11 :: v_dual_fmac_f32 v12, v16, v17
	v_add_f32_e32 v6, v8, v12
	s_delay_alu instid0(VALU_DEP_1) | instskip(NEXT) | instid1(VALU_DEP_1)
	v_dual_sub_f32 v9, v7, v6 :: v_dual_mov_b32 v13, v6
	v_pk_add_f32 v[6:7], v[6:7], v[8:9] neg_lo:[0,1] neg_hi:[0,1]
	s_delay_alu instid0(VALU_DEP_1) | instskip(NEXT) | instid1(VALU_DEP_1)
	v_pk_add_f32 v[6:7], v[6:7], v[12:13] neg_lo:[0,1] neg_hi:[0,1]
	v_add_f32_e32 v1, v1, v7
	s_delay_alu instid0(VALU_DEP_1) | instskip(NEXT) | instid1(VALU_DEP_1)
	v_add_f32_e32 v1, v6, v1
	v_add_f32_e32 v7, v9, v1
	s_delay_alu instid0(VALU_DEP_1) | instskip(NEXT) | instid1(VALU_DEP_1)
	v_mul_f32_e32 v11, v15, v7
	v_mul_f32_e32 v12, v14, v11
	s_delay_alu instid0(VALU_DEP_1) | instskip(NEXT) | instid1(VALU_DEP_1)
	v_dual_fma_f32 v8, v11, v14, -v12 :: v_dual_sub_f32 v14, v9, v7
	v_dual_fmac_f32 v8, v11, v17 :: v_dual_add_f32 v1, v1, v14
	s_delay_alu instid0(VALU_DEP_1) | instskip(NEXT) | instid1(VALU_DEP_1)
	v_add_f32_e32 v6, v12, v8
	v_dual_sub_f32 v13, v7, v6 :: v_dual_mov_b32 v9, v6
	s_delay_alu instid0(VALU_DEP_1) | instskip(NEXT) | instid1(VALU_DEP_1)
	v_pk_add_f32 v[6:7], v[6:7], v[12:13] neg_lo:[0,1] neg_hi:[0,1]
	v_pk_add_f32 v[6:7], v[6:7], v[8:9] neg_lo:[0,1] neg_hi:[0,1]
	v_add_f32_e32 v12, v16, v11
	v_cvt_f32_i32_e32 v8, v5
	s_delay_alu instid0(VALU_DEP_3) | instskip(NEXT) | instid1(VALU_DEP_1)
	v_add_f32_e32 v1, v1, v7
	v_dual_add_f32 v1, v6, v1 :: v_dual_sub_f32 v6, v12, v16
	s_delay_alu instid0(VALU_DEP_1) | instskip(NEXT) | instid1(VALU_DEP_1)
	v_dual_add_f32 v1, v13, v1 :: v_dual_sub_f32 v6, v11, v6
	v_mul_f32_e32 v1, v15, v1
	s_delay_alu instid0(VALU_DEP_1) | instskip(NEXT) | instid1(VALU_DEP_1)
	v_dual_add_f32 v1, v6, v1 :: v_dual_mov_b32 v6, 0x3f317218
	v_add_f32_e32 v11, v12, v1
	s_delay_alu instid0(VALU_DEP_1) | instskip(NEXT) | instid1(VALU_DEP_1)
	v_mul_f32_e32 v7, v11, v11
	v_fmaak_f32 v13, s3, v7, 0x3ecc95a3
	v_mul_f32_e32 v9, v11, v7
	s_delay_alu instid0(VALU_DEP_2) | instskip(NEXT) | instid1(VALU_DEP_1)
	v_fmaak_f32 v7, v7, v13, 0x3f2aaada
	v_pk_mul_f32 v[6:7], v[8:9], v[6:7]
	s_delay_alu instid0(VALU_DEP_1) | instskip(SKIP_2) | instid1(VALU_DEP_3)
	v_fma_f32 v5, 0x3f317218, v8, -v6
	v_mov_b32_e32 v14, v6
	v_ldexp_f32 v9, v11, 1
	v_dual_fmamk_f32 v8, v8, 0xb102e308, v5 :: v_dual_sub_f32 v5, v11, v12
	s_delay_alu instid0(VALU_DEP_1) | instskip(NEXT) | instid1(VALU_DEP_2)
	v_pk_add_f32 v[12:13], v[6:7], v[8:9]
	v_sub_f32_e32 v1, v1, v5
	s_delay_alu instid0(VALU_DEP_2) | instskip(NEXT) | instid1(VALU_DEP_1)
	v_dual_sub_f32 v5, v13, v9 :: v_dual_mov_b32 v9, v12
	v_dual_mov_b32 v22, v13 :: v_dual_sub_f32 v5, v7, v5
	s_delay_alu instid0(VALU_DEP_3) | instskip(SKIP_1) | instid1(VALU_DEP_2)
	v_ldexp_f32 v1, v1, 1
	v_pk_add_f32 v[6:7], v[12:13], v[6:7] neg_lo:[0,1] neg_hi:[0,1]
	v_add_f32_e32 v15, v1, v5
	s_delay_alu instid0(VALU_DEP_1) | instskip(NEXT) | instid1(VALU_DEP_1)
	v_pk_add_f32 v[16:17], v[12:13], v[14:15]
	v_mov_b32_e32 v7, v17
	s_delay_alu instid0(VALU_DEP_1) | instskip(SKIP_2) | instid1(VALU_DEP_3)
	v_pk_add_f32 v[18:19], v[8:9], v[6:7]
	v_mov_b32_e32 v18, v17
	v_pk_add_f32 v[6:7], v[8:9], v[6:7] neg_lo:[0,1] neg_hi:[0,1]
	v_dual_mov_b32 v14, v19 :: v_dual_mov_b32 v7, v19
	s_delay_alu instid0(VALU_DEP_1) | instskip(SKIP_1) | instid1(VALU_DEP_2)
	v_pk_add_f32 v[20:21], v[14:15], v[12:13] neg_lo:[0,1] neg_hi:[0,1]
	v_dual_mov_b32 v13, v12 :: v_dual_mov_b32 v12, v15
	v_dual_mov_b32 v1, v20 :: v_dual_mov_b32 v23, v20
	s_delay_alu instid0(VALU_DEP_1) | instskip(NEXT) | instid1(VALU_DEP_2)
	v_pk_add_f32 v[16:17], v[16:17], v[0:1] neg_lo:[0,1] neg_hi:[0,1]
	v_pk_add_f32 v[8:9], v[18:19], v[22:23] neg_lo:[0,1] neg_hi:[0,1]
	v_mov_b32_e32 v16, v6
	s_delay_alu instid0(VALU_DEP_2) | instskip(NEXT) | instid1(VALU_DEP_1)
	v_pk_add_f32 v[8:9], v[12:13], v[8:9] neg_lo:[0,1] neg_hi:[0,1]
	v_pk_add_f32 v[12:13], v[16:17], v[8:9]
	s_delay_alu instid0(VALU_DEP_1) | instskip(NEXT) | instid1(VALU_DEP_1)
	v_mov_b32_e32 v16, v13
	v_pk_add_f32 v[16:17], v[12:13], v[16:17]
	s_delay_alu instid0(VALU_DEP_1) | instskip(NEXT) | instid1(VALU_DEP_1)
	v_pk_add_f32 v[14:15], v[14:15], v[16:17]
	v_mov_b32_e32 v13, v14
	s_delay_alu instid0(VALU_DEP_1) | instskip(NEXT) | instid1(VALU_DEP_1)
	v_pk_add_f32 v[18:19], v[12:13], v[6:7] neg_lo:[0,1] neg_hi:[0,1]
	v_sub_f32_e32 v1, v12, v18
	s_delay_alu instid0(VALU_DEP_1) | instskip(NEXT) | instid1(VALU_DEP_1)
	v_dual_mov_b32 v9, v16 :: v_dual_sub_f32 v1, v6, v1
	v_pk_add_f32 v[8:9], v[8:9], v[18:19] neg_lo:[0,1] neg_hi:[0,1]
	s_delay_alu instid0(VALU_DEP_1) | instskip(NEXT) | instid1(VALU_DEP_1)
	v_add_f32_e32 v1, v8, v1
	v_add_f32_e32 v1, v1, v9
	s_delay_alu instid0(VALU_DEP_1) | instskip(NEXT) | instid1(VALU_DEP_1)
	v_add_f32_e32 v1, v14, v1
	v_cndmask_b32_e32 v1, 0x7f800000, v1, vcc_lo
	v_cmp_gt_f32_e64 vcc_lo, 0x33800000, |v3|
	s_delay_alu instid0(VALU_DEP_2) | instskip(NEXT) | instid1(VALU_DEP_1)
	v_cndmask_b32_e32 v1, v1, v3, vcc_lo
	v_div_scale_f32 v3, null, s10, s10, v1
	s_delay_alu instid0(VALU_DEP_1) | instskip(SKIP_1) | instid1(TRANS32_DEP_1)
	v_rcp_f32_e32 v5, v3
	v_nop
	v_fma_f32 v6, -v3, v5, 1.0
	s_delay_alu instid0(VALU_DEP_1) | instskip(SKIP_1) | instid1(VALU_DEP_1)
	v_fmac_f32_e32 v5, v6, v5
	v_div_scale_f32 v6, vcc_lo, v1, s10, v1
	v_mul_f32_e32 v7, v6, v5
	s_delay_alu instid0(VALU_DEP_1) | instskip(NEXT) | instid1(VALU_DEP_1)
	v_fma_f32 v8, -v3, v7, v6
	v_fmac_f32_e32 v7, v8, v5
	s_delay_alu instid0(VALU_DEP_1) | instskip(NEXT) | instid1(VALU_DEP_1)
	v_fma_f32 v3, -v3, v7, v6
	v_div_fmas_f32 v3, v3, v5, v7
	s_delay_alu instid0(VALU_DEP_1)
	v_div_fixup_f32 v6, v3, s10, v1
.LBB14_1564:
	s_or_b32 exec_lo, exec_lo, s0
	v_mul_lo_u32 v8, s8, v10
	s_and_b32 s14, s2, 0xff
	s_delay_alu instid0(SALU_CYCLE_1) | instskip(NEXT) | instid1(VALU_DEP_1)
	s_cmp_lt_i32 s14, 11
	v_ashrrev_i32_e32 v9, 31, v8
	s_delay_alu instid0(VALU_DEP_1)
	v_add_nc_u64_e32 v[10:11], s[4:5], v[8:9]
	s_cbranch_scc1 .LBB14_1687
; %bb.1565:
	s_and_b32 s2, 0xffff, s14
	s_mov_b32 s7, -1
	s_mov_b32 s3, 0
	s_cmp_gt_i32 s2, 25
	s_mov_b32 s6, 0
	s_mov_b32 s0, 0
	s_cbranch_scc0 .LBB14_1598
; %bb.1566:
	s_cmp_gt_i32 s2, 28
	s_cbranch_scc0 .LBB14_1581
; %bb.1567:
	s_cmp_gt_i32 s2, 43
	;; [unrolled: 3-line block ×3, first 2 shown]
	s_cbranch_scc0 .LBB14_1571
; %bb.1569:
	s_mov_b32 s0, -1
	s_mov_b32 s7, 0
	s_cmp_eq_u32 s2, 46
	s_cbranch_scc0 .LBB14_1571
; %bb.1570:
	v_bfe_u32 v1, v0, 16, 1
	v_cmp_o_f32_e32 vcc_lo, v0, v0
	s_mov_b32 s0, 0
	s_mov_b32 s6, -1
	s_delay_alu instid0(VALU_DEP_2) | instskip(NEXT) | instid1(VALU_DEP_1)
	v_add3_u32 v1, v0, v1, 0x7fff
	v_lshrrev_b32_e32 v1, 16, v1
	s_delay_alu instid0(VALU_DEP_1)
	v_cndmask_b32_e32 v1, 0x7fc0, v1, vcc_lo
	global_store_b32 v[10:11], v1, off
.LBB14_1571:
	s_and_b32 vcc_lo, exec_lo, s7
	s_cbranch_vccz .LBB14_1576
; %bb.1572:
	s_cmp_eq_u32 s2, 44
	s_mov_b32 s0, -1
	s_cbranch_scc0 .LBB14_1576
; %bb.1573:
	v_bfe_u32 v3, v0, 23, 8
	s_wait_xcnt 0x0
	v_mov_b32_e32 v1, 0xff
	s_mov_b32 s6, exec_lo
	s_delay_alu instid0(VALU_DEP_2)
	v_cmpx_ne_u32_e32 0xff, v3
	s_cbranch_execz .LBB14_1575
; %bb.1574:
	v_and_b32_e32 v1, 0x400000, v0
	v_and_or_b32 v3, 0x3fffff, v0, v3
	s_delay_alu instid0(VALU_DEP_2) | instskip(NEXT) | instid1(VALU_DEP_2)
	v_cmp_ne_u32_e32 vcc_lo, 0, v1
	v_cmp_ne_u32_e64 s0, 0, v3
	v_lshrrev_b32_e32 v1, 23, v0
	s_and_b32 s0, vcc_lo, s0
	s_delay_alu instid0(SALU_CYCLE_1) | instskip(NEXT) | instid1(VALU_DEP_1)
	v_cndmask_b32_e64 v3, 0, 1, s0
	v_add_nc_u32_e32 v1, v1, v3
.LBB14_1575:
	s_or_b32 exec_lo, exec_lo, s6
	s_mov_b32 s0, 0
	s_mov_b32 s6, -1
	global_store_b8 v[10:11], v1, off
.LBB14_1576:
	s_mov_b32 s7, 0
.LBB14_1577:
	s_delay_alu instid0(SALU_CYCLE_1)
	s_and_b32 vcc_lo, exec_lo, s7
	s_cbranch_vccz .LBB14_1580
; %bb.1578:
	s_cmp_eq_u32 s2, 29
	s_mov_b32 s0, -1
	s_cbranch_scc0 .LBB14_1580
; %bb.1579:
	s_wait_xcnt 0x0
	v_trunc_f32_e32 v1, v0
	s_mov_b32 s0, 0
	s_mov_b32 s6, -1
	s_delay_alu instid0(VALU_DEP_1) | instskip(NEXT) | instid1(VALU_DEP_1)
	v_mul_f32_e32 v3, 0x2f800000, v1
	v_floor_f32_e32 v3, v3
	s_delay_alu instid0(VALU_DEP_1) | instskip(SKIP_1) | instid1(VALU_DEP_2)
	v_fmamk_f32 v1, v3, 0xcf800000, v1
	v_cvt_u32_f32_e32 v13, v3
	v_cvt_u32_f32_e32 v12, v1
	global_store_b64 v[10:11], v[12:13], off
.LBB14_1580:
	s_mov_b32 s7, 0
.LBB14_1581:
	s_delay_alu instid0(SALU_CYCLE_1)
	s_and_b32 vcc_lo, exec_lo, s7
	s_cbranch_vccz .LBB14_1597
; %bb.1582:
	s_cmp_lt_i32 s2, 27
	s_mov_b32 s6, -1
	s_cbranch_scc1 .LBB14_1588
; %bb.1583:
	s_wait_xcnt 0x0
	v_cvt_u32_f32_e32 v1, v0
	s_cmp_gt_i32 s2, 27
	s_cbranch_scc0 .LBB14_1585
; %bb.1584:
	s_mov_b32 s6, 0
	global_store_b32 v[10:11], v1, off
.LBB14_1585:
	s_and_not1_b32 vcc_lo, exec_lo, s6
	s_cbranch_vccnz .LBB14_1587
; %bb.1586:
	global_store_b16 v[10:11], v1, off
.LBB14_1587:
	s_mov_b32 s6, 0
.LBB14_1588:
	s_delay_alu instid0(SALU_CYCLE_1)
	s_and_not1_b32 vcc_lo, exec_lo, s6
	s_cbranch_vccnz .LBB14_1596
; %bb.1589:
	s_wait_xcnt 0x0
	v_and_b32_e32 v1, 0x7fffffff, v0
	v_mov_b32_e32 v3, 0x80
	s_mov_b32 s6, exec_lo
	s_delay_alu instid0(VALU_DEP_2)
	v_cmpx_gt_u32_e32 0x43800000, v1
	s_cbranch_execz .LBB14_1595
; %bb.1590:
	v_cmp_lt_u32_e32 vcc_lo, 0x3bffffff, v1
	s_mov_b32 s7, 0
                                        ; implicit-def: $vgpr1
	s_and_saveexec_b32 s9, vcc_lo
	s_delay_alu instid0(SALU_CYCLE_1)
	s_xor_b32 s9, exec_lo, s9
	s_cbranch_execz .LBB14_2045
; %bb.1591:
	v_bfe_u32 v1, v0, 20, 1
	s_mov_b32 s7, exec_lo
	s_delay_alu instid0(VALU_DEP_1) | instskip(NEXT) | instid1(VALU_DEP_1)
	v_add3_u32 v1, v0, v1, 0x487ffff
	v_lshrrev_b32_e32 v1, 20, v1
	s_and_not1_saveexec_b32 s9, s9
	s_cbranch_execnz .LBB14_2046
.LBB14_1592:
	s_or_b32 exec_lo, exec_lo, s9
	v_mov_b32_e32 v3, 0
	s_and_saveexec_b32 s9, s7
.LBB14_1593:
	v_lshrrev_b32_e32 v3, 24, v0
	s_delay_alu instid0(VALU_DEP_1)
	v_and_or_b32 v3, 0x80, v3, v1
.LBB14_1594:
	s_or_b32 exec_lo, exec_lo, s9
.LBB14_1595:
	s_delay_alu instid0(SALU_CYCLE_1)
	s_or_b32 exec_lo, exec_lo, s6
	global_store_b8 v[10:11], v3, off
.LBB14_1596:
	s_mov_b32 s6, -1
.LBB14_1597:
	s_mov_b32 s7, 0
.LBB14_1598:
	s_delay_alu instid0(SALU_CYCLE_1)
	s_and_b32 vcc_lo, exec_lo, s7
	s_cbranch_vccz .LBB14_1638
; %bb.1599:
	s_cmp_gt_i32 s2, 22
	s_mov_b32 s3, -1
	s_cbranch_scc0 .LBB14_1631
; %bb.1600:
	s_cmp_lt_i32 s2, 24
	s_cbranch_scc1 .LBB14_1620
; %bb.1601:
	s_cmp_gt_i32 s2, 24
	s_cbranch_scc0 .LBB14_1609
; %bb.1602:
	s_wait_xcnt 0x0
	v_and_b32_e32 v1, 0x7fffffff, v0
	v_mov_b32_e32 v3, 0x80
	s_mov_b32 s3, exec_lo
	s_delay_alu instid0(VALU_DEP_2)
	v_cmpx_gt_u32_e32 0x47800000, v1
	s_cbranch_execz .LBB14_1608
; %bb.1603:
	v_cmp_lt_u32_e32 vcc_lo, 0x37ffffff, v1
	s_mov_b32 s6, 0
                                        ; implicit-def: $vgpr1
	s_and_saveexec_b32 s7, vcc_lo
	s_delay_alu instid0(SALU_CYCLE_1)
	s_xor_b32 s7, exec_lo, s7
	s_cbranch_execz .LBB14_2048
; %bb.1604:
	v_bfe_u32 v1, v0, 21, 1
	s_mov_b32 s6, exec_lo
	s_delay_alu instid0(VALU_DEP_1) | instskip(NEXT) | instid1(VALU_DEP_1)
	v_add3_u32 v1, v0, v1, 0x88fffff
	v_lshrrev_b32_e32 v1, 21, v1
	s_and_not1_saveexec_b32 s7, s7
	s_cbranch_execnz .LBB14_2049
.LBB14_1605:
	s_or_b32 exec_lo, exec_lo, s7
	v_mov_b32_e32 v3, 0
	s_and_saveexec_b32 s7, s6
.LBB14_1606:
	v_lshrrev_b32_e32 v3, 24, v0
	s_delay_alu instid0(VALU_DEP_1)
	v_and_or_b32 v3, 0x80, v3, v1
.LBB14_1607:
	s_or_b32 exec_lo, exec_lo, s7
.LBB14_1608:
	s_delay_alu instid0(SALU_CYCLE_1)
	s_or_b32 exec_lo, exec_lo, s3
	s_mov_b32 s3, 0
	global_store_b8 v[10:11], v3, off
.LBB14_1609:
	s_and_b32 vcc_lo, exec_lo, s3
	s_cbranch_vccz .LBB14_1619
; %bb.1610:
	s_wait_xcnt 0x0
	v_and_b32_e32 v3, 0x7fffffff, v0
	s_mov_b32 s3, exec_lo
                                        ; implicit-def: $vgpr1
	s_delay_alu instid0(VALU_DEP_1)
	v_cmpx_gt_u32_e32 0x43f00000, v3
	s_xor_b32 s3, exec_lo, s3
	s_cbranch_execz .LBB14_1616
; %bb.1611:
	s_mov_b32 s6, exec_lo
                                        ; implicit-def: $vgpr1
	v_cmpx_lt_u32_e32 0x3c7fffff, v3
	s_xor_b32 s6, exec_lo, s6
; %bb.1612:
	v_bfe_u32 v1, v0, 20, 1
	s_delay_alu instid0(VALU_DEP_1) | instskip(NEXT) | instid1(VALU_DEP_1)
	v_add3_u32 v1, v0, v1, 0x407ffff
	v_and_b32_e32 v3, 0xff00000, v1
	v_lshrrev_b32_e32 v1, 20, v1
	s_delay_alu instid0(VALU_DEP_2) | instskip(NEXT) | instid1(VALU_DEP_2)
	v_cmp_ne_u32_e32 vcc_lo, 0x7f00000, v3
	v_cndmask_b32_e32 v1, 0x7e, v1, vcc_lo
; %bb.1613:
	s_and_not1_saveexec_b32 s6, s6
; %bb.1614:
	v_add_f32_e64 v1, 0x46800000, |v0|
; %bb.1615:
	s_or_b32 exec_lo, exec_lo, s6
                                        ; implicit-def: $vgpr3
.LBB14_1616:
	s_and_not1_saveexec_b32 s3, s3
; %bb.1617:
	v_mov_b32_e32 v1, 0x7f
	v_cmp_lt_u32_e32 vcc_lo, 0x7f800000, v3
	s_delay_alu instid0(VALU_DEP_2)
	v_cndmask_b32_e32 v1, 0x7e, v1, vcc_lo
; %bb.1618:
	s_or_b32 exec_lo, exec_lo, s3
	v_lshrrev_b32_e32 v3, 24, v0
	s_delay_alu instid0(VALU_DEP_1)
	v_and_or_b32 v1, 0x80, v3, v1
	global_store_b8 v[10:11], v1, off
.LBB14_1619:
	s_mov_b32 s3, 0
.LBB14_1620:
	s_delay_alu instid0(SALU_CYCLE_1)
	s_and_not1_b32 vcc_lo, exec_lo, s3
	s_cbranch_vccnz .LBB14_1630
; %bb.1621:
	s_wait_xcnt 0x0
	v_and_b32_e32 v3, 0x7fffffff, v0
	s_mov_b32 s3, exec_lo
                                        ; implicit-def: $vgpr1
	s_delay_alu instid0(VALU_DEP_1)
	v_cmpx_gt_u32_e32 0x47800000, v3
	s_xor_b32 s3, exec_lo, s3
	s_cbranch_execz .LBB14_1627
; %bb.1622:
	s_mov_b32 s6, exec_lo
                                        ; implicit-def: $vgpr1
	v_cmpx_lt_u32_e32 0x387fffff, v3
	s_xor_b32 s6, exec_lo, s6
; %bb.1623:
	v_bfe_u32 v1, v0, 21, 1
	s_delay_alu instid0(VALU_DEP_1) | instskip(NEXT) | instid1(VALU_DEP_1)
	v_add3_u32 v1, v0, v1, 0x80fffff
	v_lshrrev_b32_e32 v1, 21, v1
; %bb.1624:
	s_and_not1_saveexec_b32 s6, s6
; %bb.1625:
	v_add_f32_e64 v1, 0x43000000, |v0|
; %bb.1626:
	s_or_b32 exec_lo, exec_lo, s6
                                        ; implicit-def: $vgpr3
.LBB14_1627:
	s_and_not1_saveexec_b32 s3, s3
; %bb.1628:
	v_mov_b32_e32 v1, 0x7f
	v_cmp_lt_u32_e32 vcc_lo, 0x7f800000, v3
	s_delay_alu instid0(VALU_DEP_2)
	v_cndmask_b32_e32 v1, 0x7c, v1, vcc_lo
; %bb.1629:
	s_or_b32 exec_lo, exec_lo, s3
	v_lshrrev_b32_e32 v3, 24, v0
	s_delay_alu instid0(VALU_DEP_1)
	v_and_or_b32 v1, 0x80, v3, v1
	global_store_b8 v[10:11], v1, off
.LBB14_1630:
	s_mov_b32 s3, 0
	s_mov_b32 s6, -1
.LBB14_1631:
	s_and_not1_b32 vcc_lo, exec_lo, s3
	s_mov_b32 s3, 0
	s_cbranch_vccnz .LBB14_1638
; %bb.1632:
	s_cmp_gt_i32 s2, 14
	s_mov_b32 s3, -1
	s_cbranch_scc0 .LBB14_1636
; %bb.1633:
	s_cmp_eq_u32 s2, 15
	s_mov_b32 s0, -1
	s_cbranch_scc0 .LBB14_1635
; %bb.1634:
	s_wait_xcnt 0x0
	v_bfe_u32 v1, v0, 16, 1
	v_cmp_o_f32_e32 vcc_lo, v0, v0
	s_mov_b32 s0, 0
	s_mov_b32 s6, -1
	s_delay_alu instid0(VALU_DEP_2) | instskip(NEXT) | instid1(VALU_DEP_1)
	v_add3_u32 v1, v0, v1, 0x7fff
	v_lshrrev_b32_e32 v1, 16, v1
	s_delay_alu instid0(VALU_DEP_1)
	v_cndmask_b32_e32 v1, 0x7fc0, v1, vcc_lo
	global_store_b16 v[10:11], v1, off
.LBB14_1635:
	s_mov_b32 s3, 0
.LBB14_1636:
	s_delay_alu instid0(SALU_CYCLE_1)
	s_and_b32 vcc_lo, exec_lo, s3
	s_mov_b32 s3, 0
	s_cbranch_vccz .LBB14_1638
; %bb.1637:
	s_cmp_lg_u32 s2, 11
	s_mov_b32 s3, -1
	s_cselect_b32 s0, -1, 0
.LBB14_1638:
	s_delay_alu instid0(SALU_CYCLE_1)
	s_and_b32 vcc_lo, exec_lo, s0
	s_cbranch_vccnz .LBB14_2047
; %bb.1639:
	s_and_not1_b32 vcc_lo, exec_lo, s3
	s_cbranch_vccnz .LBB14_1641
.LBB14_1640:
	v_cmp_neq_f32_e32 vcc_lo, 0, v0
	s_mov_b32 s6, -1
	s_wait_xcnt 0x0
	v_cndmask_b32_e64 v1, 0, 1, vcc_lo
	global_store_b8 v[10:11], v1, off
.LBB14_1641:
	s_mov_b32 s0, 0
	s_branch .LBB14_1688
.LBB14_1642:
	s_mov_b32 s0, 0
	s_mov_b32 s3, 0
                                        ; implicit-def: $sgpr14
                                        ; implicit-def: $vgpr0_vgpr1
                                        ; implicit-def: $vgpr6
.LBB14_1643:
	s_and_not1_b32 s2, s13, exec_lo
	s_and_b32 s4, s1, exec_lo
	s_and_b32 s0, s0, exec_lo
	;; [unrolled: 1-line block ×3, first 2 shown]
	s_or_b32 s13, s2, s4
.LBB14_1644:
	s_wait_xcnt 0x0
	s_or_b32 exec_lo, exec_lo, s12
	s_and_saveexec_b32 s2, s13
	s_cbranch_execz .LBB14_1647
; %bb.1645:
	; divergent unreachable
	s_or_b32 exec_lo, exec_lo, s2
	s_and_saveexec_b32 s2, s1
	s_delay_alu instid0(SALU_CYCLE_1)
	s_xor_b32 s1, exec_lo, s2
	s_cbranch_execnz .LBB14_1648
.LBB14_1646:
	s_or_b32 exec_lo, exec_lo, s1
	s_and_saveexec_b32 s1, s0
	s_cbranch_execnz .LBB14_1649
	s_branch .LBB14_1686
.LBB14_1647:
	s_or_b32 exec_lo, exec_lo, s2
	s_and_saveexec_b32 s2, s1
	s_delay_alu instid0(SALU_CYCLE_1)
	s_xor_b32 s1, exec_lo, s2
	s_cbranch_execz .LBB14_1646
.LBB14_1648:
	s_wait_loadcnt 0x0
	s_delay_alu instid0(VALU_DEP_1)
	v_cmp_neq_f32_e32 vcc_lo, 0, v6
	v_cndmask_b32_e64 v2, 0, 1, vcc_lo
	global_store_b8 v[0:1], v2, off
	s_wait_xcnt 0x0
	s_or_b32 exec_lo, exec_lo, s1
	s_and_saveexec_b32 s1, s0
	s_cbranch_execz .LBB14_1686
.LBB14_1649:
	s_sext_i32_i16 s1, s14
	s_mov_b32 s0, -1
	s_cmp_lt_i32 s1, 5
	s_cbranch_scc1 .LBB14_1670
; %bb.1650:
	s_cmp_lt_i32 s1, 8
	s_cbranch_scc1 .LBB14_1660
; %bb.1651:
	;; [unrolled: 3-line block ×3, first 2 shown]
	s_cmp_gt_i32 s1, 9
	s_cbranch_scc0 .LBB14_1654
; %bb.1653:
	s_wait_loadcnt 0x0
	v_cvt_f64_f32_e32 v[2:3], v6
	v_mov_b32_e32 v4, 0
	s_mov_b32 s0, 0
	s_delay_alu instid0(VALU_DEP_1)
	v_mov_b32_e32 v5, v4
	global_store_b128 v[0:1], v[2:5], off
.LBB14_1654:
	s_and_not1_b32 vcc_lo, exec_lo, s0
	s_cbranch_vccnz .LBB14_1656
; %bb.1655:
	v_mov_b32_e32 v7, 0
	s_wait_loadcnt 0x0
	global_store_b64 v[0:1], v[6:7], off
.LBB14_1656:
	s_mov_b32 s0, 0
.LBB14_1657:
	s_delay_alu instid0(SALU_CYCLE_1)
	s_and_not1_b32 vcc_lo, exec_lo, s0
	s_cbranch_vccnz .LBB14_1659
; %bb.1658:
	s_wait_loadcnt 0x0
	v_cvt_f16_f32_e32 v2, v6
	s_delay_alu instid0(VALU_DEP_1)
	v_and_b32_e32 v2, 0xffff, v2
	global_store_b32 v[0:1], v2, off
.LBB14_1659:
	s_mov_b32 s0, 0
.LBB14_1660:
	s_delay_alu instid0(SALU_CYCLE_1)
	s_and_not1_b32 vcc_lo, exec_lo, s0
	s_cbranch_vccnz .LBB14_1669
; %bb.1661:
	s_sext_i32_i16 s1, s14
	s_mov_b32 s0, -1
	s_cmp_lt_i32 s1, 6
	s_cbranch_scc1 .LBB14_1667
; %bb.1662:
	s_cmp_gt_i32 s1, 6
	s_cbranch_scc0 .LBB14_1664
; %bb.1663:
	s_wait_loadcnt 0x0
	v_cvt_f64_f32_e32 v[2:3], v6
	s_mov_b32 s0, 0
	global_store_b64 v[0:1], v[2:3], off
.LBB14_1664:
	s_and_not1_b32 vcc_lo, exec_lo, s0
	s_cbranch_vccnz .LBB14_1666
; %bb.1665:
	s_wait_loadcnt 0x0
	global_store_b32 v[0:1], v6, off
.LBB14_1666:
	s_mov_b32 s0, 0
.LBB14_1667:
	s_delay_alu instid0(SALU_CYCLE_1)
	s_and_not1_b32 vcc_lo, exec_lo, s0
	s_cbranch_vccnz .LBB14_1669
; %bb.1668:
	s_wait_loadcnt 0x0
	v_cvt_f16_f32_e32 v2, v6
	global_store_b16 v[0:1], v2, off
.LBB14_1669:
	s_mov_b32 s0, 0
.LBB14_1670:
	s_delay_alu instid0(SALU_CYCLE_1)
	s_and_not1_b32 vcc_lo, exec_lo, s0
	s_cbranch_vccnz .LBB14_1686
; %bb.1671:
	s_sext_i32_i16 s1, s14
	s_mov_b32 s0, -1
	s_cmp_lt_i32 s1, 2
	s_cbranch_scc1 .LBB14_1681
; %bb.1672:
	s_cmp_lt_i32 s1, 3
	s_cbranch_scc1 .LBB14_1678
; %bb.1673:
	s_cmp_gt_i32 s1, 3
	s_cbranch_scc0 .LBB14_1675
; %bb.1674:
	s_wait_loadcnt 0x0
	v_trunc_f32_e32 v2, v6
	s_mov_b32 s0, 0
	s_delay_alu instid0(VALU_DEP_1) | instskip(NEXT) | instid1(VALU_DEP_1)
	v_mul_f32_e64 v3, 0x2f800000, |v2|
	v_floor_f32_e32 v3, v3
	s_delay_alu instid0(VALU_DEP_1) | instskip(SKIP_2) | instid1(VALU_DEP_3)
	v_fma_f32 v4, 0xcf800000, v3, |v2|
	v_ashrrev_i32_e32 v2, 31, v2
	v_cvt_u32_f32_e32 v5, v3
	v_cvt_u32_f32_e32 v4, v4
	s_delay_alu instid0(VALU_DEP_2) | instskip(NEXT) | instid1(VALU_DEP_2)
	v_dual_mov_b32 v3, v2 :: v_dual_bitop2_b32 v5, v5, v2 bitop3:0x14
	v_xor_b32_e32 v4, v4, v2
	s_delay_alu instid0(VALU_DEP_1)
	v_sub_nc_u64_e32 v[2:3], v[4:5], v[2:3]
	global_store_b64 v[0:1], v[2:3], off
.LBB14_1675:
	s_and_not1_b32 vcc_lo, exec_lo, s0
	s_cbranch_vccnz .LBB14_1677
; %bb.1676:
	s_wait_loadcnt 0x0
	v_cvt_i32_f32_e32 v2, v6
	global_store_b32 v[0:1], v2, off
.LBB14_1677:
	s_mov_b32 s0, 0
.LBB14_1678:
	s_delay_alu instid0(SALU_CYCLE_1)
	s_and_not1_b32 vcc_lo, exec_lo, s0
	s_cbranch_vccnz .LBB14_1680
; %bb.1679:
	s_wait_loadcnt 0x0
	v_cvt_i32_f32_e32 v2, v6
	global_store_b16 v[0:1], v2, off
.LBB14_1680:
	s_mov_b32 s0, 0
.LBB14_1681:
	s_delay_alu instid0(SALU_CYCLE_1)
	s_and_not1_b32 vcc_lo, exec_lo, s0
	s_cbranch_vccnz .LBB14_1686
; %bb.1682:
	s_sext_i32_i16 s0, s14
	s_delay_alu instid0(SALU_CYCLE_1)
	s_cmp_gt_i32 s0, 0
	s_mov_b32 s0, -1
	s_cbranch_scc0 .LBB14_1684
; %bb.1683:
	s_wait_loadcnt 0x0
	v_cvt_i32_f32_e32 v2, v6
	s_mov_b32 s0, 0
	global_store_b8 v[0:1], v2, off
.LBB14_1684:
	s_and_not1_b32 vcc_lo, exec_lo, s0
	s_cbranch_vccnz .LBB14_1686
; %bb.1685:
	s_wait_loadcnt 0x0
	v_trunc_f32_e32 v2, v6
	s_delay_alu instid0(VALU_DEP_1) | instskip(NEXT) | instid1(VALU_DEP_1)
	v_mul_f32_e64 v3, 0x2f800000, |v2|
	v_floor_f32_e32 v3, v3
	s_delay_alu instid0(VALU_DEP_1) | instskip(SKIP_1) | instid1(VALU_DEP_2)
	v_fma_f32 v3, 0xcf800000, v3, |v2|
	v_ashrrev_i32_e32 v2, 31, v2
	v_cvt_u32_f32_e32 v3, v3
	s_delay_alu instid0(VALU_DEP_1) | instskip(NEXT) | instid1(VALU_DEP_1)
	v_xor_b32_e32 v3, v3, v2
	v_sub_nc_u32_e32 v2, v3, v2
	global_store_b8 v[0:1], v2, off
	s_endpgm
.LBB14_1686:
	s_endpgm
.LBB14_1687:
	s_mov_b32 s0, -1
	s_mov_b32 s6, 0
.LBB14_1688:
	s_and_b32 vcc_lo, exec_lo, s0
	s_cbranch_vccz .LBB14_1727
; %bb.1689:
	s_and_b32 s0, 0xffff, s14
	s_mov_b32 s2, -1
	s_cmp_lt_i32 s0, 5
	s_cbranch_scc1 .LBB14_1710
; %bb.1690:
	s_cmp_lt_i32 s0, 8
	s_cbranch_scc1 .LBB14_1700
; %bb.1691:
	;; [unrolled: 3-line block ×3, first 2 shown]
	s_cmp_gt_i32 s0, 9
	s_cbranch_scc0 .LBB14_1694
; %bb.1693:
	s_wait_xcnt 0x0
	v_cvt_f64_f32_e32 v[12:13], v0
	v_mov_b32_e32 v14, 0
	s_mov_b32 s2, 0
	s_delay_alu instid0(VALU_DEP_1)
	v_mov_b32_e32 v15, v14
	global_store_b128 v[10:11], v[12:15], off
.LBB14_1694:
	s_and_not1_b32 vcc_lo, exec_lo, s2
	s_cbranch_vccnz .LBB14_1696
; %bb.1695:
	s_wait_xcnt 0x0
	v_mov_b32_e32 v1, 0
	global_store_b64 v[10:11], v[0:1], off
.LBB14_1696:
	s_mov_b32 s2, 0
.LBB14_1697:
	s_delay_alu instid0(SALU_CYCLE_1)
	s_and_not1_b32 vcc_lo, exec_lo, s2
	s_cbranch_vccnz .LBB14_1699
; %bb.1698:
	s_wait_xcnt 0x0
	v_cvt_f16_f32_e32 v1, v0
	s_delay_alu instid0(VALU_DEP_1)
	v_and_b32_e32 v1, 0xffff, v1
	global_store_b32 v[10:11], v1, off
.LBB14_1699:
	s_mov_b32 s2, 0
.LBB14_1700:
	s_delay_alu instid0(SALU_CYCLE_1)
	s_and_not1_b32 vcc_lo, exec_lo, s2
	s_cbranch_vccnz .LBB14_1709
; %bb.1701:
	s_cmp_lt_i32 s0, 6
	s_mov_b32 s2, -1
	s_cbranch_scc1 .LBB14_1707
; %bb.1702:
	s_cmp_gt_i32 s0, 6
	s_cbranch_scc0 .LBB14_1704
; %bb.1703:
	s_wait_xcnt 0x0
	v_cvt_f64_f32_e32 v[12:13], v0
	s_mov_b32 s2, 0
	global_store_b64 v[10:11], v[12:13], off
.LBB14_1704:
	s_and_not1_b32 vcc_lo, exec_lo, s2
	s_cbranch_vccnz .LBB14_1706
; %bb.1705:
	global_store_b32 v[10:11], v0, off
.LBB14_1706:
	s_mov_b32 s2, 0
.LBB14_1707:
	s_delay_alu instid0(SALU_CYCLE_1)
	s_and_not1_b32 vcc_lo, exec_lo, s2
	s_cbranch_vccnz .LBB14_1709
; %bb.1708:
	s_wait_xcnt 0x0
	v_cvt_f16_f32_e32 v1, v0
	global_store_b16 v[10:11], v1, off
.LBB14_1709:
	s_mov_b32 s2, 0
.LBB14_1710:
	s_delay_alu instid0(SALU_CYCLE_1)
	s_and_not1_b32 vcc_lo, exec_lo, s2
	s_cbranch_vccnz .LBB14_1726
; %bb.1711:
	s_cmp_lt_i32 s0, 2
	s_mov_b32 s2, -1
	s_cbranch_scc1 .LBB14_1721
; %bb.1712:
	s_cmp_lt_i32 s0, 3
	s_cbranch_scc1 .LBB14_1718
; %bb.1713:
	s_cmp_gt_i32 s0, 3
	s_cbranch_scc0 .LBB14_1715
; %bb.1714:
	s_wait_xcnt 0x0
	v_trunc_f32_e32 v1, v0
	s_mov_b32 s2, 0
	s_delay_alu instid0(VALU_DEP_1) | instskip(SKIP_1) | instid1(VALU_DEP_2)
	v_mul_f32_e64 v3, 0x2f800000, |v1|
	v_ashrrev_i32_e32 v12, 31, v1
	v_floor_f32_e32 v3, v3
	s_delay_alu instid0(VALU_DEP_1) | instskip(SKIP_1) | instid1(VALU_DEP_4)
	v_fma_f32 v5, 0xcf800000, v3, |v1|
	v_cvt_u32_f32_e32 v1, v3
	v_mov_b32_e32 v13, v12
	s_delay_alu instid0(VALU_DEP_3) | instskip(NEXT) | instid1(VALU_DEP_3)
	v_cvt_u32_f32_e32 v3, v5
	v_xor_b32_e32 v15, v1, v12
	s_delay_alu instid0(VALU_DEP_2) | instskip(NEXT) | instid1(VALU_DEP_1)
	v_xor_b32_e32 v14, v3, v12
	v_sub_nc_u64_e32 v[12:13], v[14:15], v[12:13]
	global_store_b64 v[10:11], v[12:13], off
.LBB14_1715:
	s_and_not1_b32 vcc_lo, exec_lo, s2
	s_cbranch_vccnz .LBB14_1717
; %bb.1716:
	s_wait_xcnt 0x0
	v_cvt_i32_f32_e32 v1, v0
	global_store_b32 v[10:11], v1, off
.LBB14_1717:
	s_mov_b32 s2, 0
.LBB14_1718:
	s_delay_alu instid0(SALU_CYCLE_1)
	s_and_not1_b32 vcc_lo, exec_lo, s2
	s_cbranch_vccnz .LBB14_1720
; %bb.1719:
	s_wait_xcnt 0x0
	v_cvt_i32_f32_e32 v1, v0
	global_store_b16 v[10:11], v1, off
.LBB14_1720:
	s_mov_b32 s2, 0
.LBB14_1721:
	s_delay_alu instid0(SALU_CYCLE_1)
	s_and_not1_b32 vcc_lo, exec_lo, s2
	s_cbranch_vccnz .LBB14_1726
; %bb.1722:
	s_cmp_gt_i32 s0, 0
	s_mov_b32 s0, -1
	s_cbranch_scc0 .LBB14_1724
; %bb.1723:
	s_wait_xcnt 0x0
	v_cvt_i32_f32_e32 v1, v0
	s_mov_b32 s0, 0
	global_store_b8 v[10:11], v1, off
.LBB14_1724:
	s_and_not1_b32 vcc_lo, exec_lo, s0
	s_cbranch_vccnz .LBB14_1726
; %bb.1725:
	s_wait_xcnt 0x0
	v_trunc_f32_e32 v0, v0
	s_delay_alu instid0(VALU_DEP_1) | instskip(NEXT) | instid1(VALU_DEP_1)
	v_mul_f32_e64 v1, 0x2f800000, |v0|
	v_floor_f32_e32 v1, v1
	s_delay_alu instid0(VALU_DEP_1) | instskip(SKIP_1) | instid1(VALU_DEP_2)
	v_fma_f32 v1, 0xcf800000, v1, |v0|
	v_ashrrev_i32_e32 v0, 31, v0
	v_cvt_u32_f32_e32 v1, v1
	s_delay_alu instid0(VALU_DEP_1) | instskip(NEXT) | instid1(VALU_DEP_1)
	v_xor_b32_e32 v1, v1, v0
	v_sub_nc_u32_e32 v0, v1, v0
	global_store_b8 v[10:11], v0, off
.LBB14_1726:
	s_mov_b32 s6, -1
.LBB14_1727:
	s_delay_alu instid0(SALU_CYCLE_1)
	s_and_not1_b32 vcc_lo, exec_lo, s6
	s_cbranch_vccnz .LBB14_2042
; %bb.1728:
	s_lshl_b32 s2, s8, 7
	s_cmp_lt_i32 s14, 11
	s_wait_xcnt 0x0
	v_add_nc_u32_e32 v0, s2, v8
	s_delay_alu instid0(VALU_DEP_1) | instskip(NEXT) | instid1(VALU_DEP_1)
	v_ashrrev_i32_e32 v1, 31, v0
	v_add_nc_u64_e32 v[8:9], s[4:5], v[0:1]
	s_cbranch_scc1 .LBB14_1806
; %bb.1729:
	s_and_b32 s3, 0xffff, s14
	s_mov_b32 s8, -1
	s_mov_b32 s6, 0
	s_cmp_gt_i32 s3, 25
	s_mov_b32 s7, 0
	s_mov_b32 s0, 0
	s_cbranch_scc0 .LBB14_1762
; %bb.1730:
	s_cmp_gt_i32 s3, 28
	s_cbranch_scc0 .LBB14_1745
; %bb.1731:
	s_cmp_gt_i32 s3, 43
	;; [unrolled: 3-line block ×3, first 2 shown]
	s_cbranch_scc0 .LBB14_1735
; %bb.1733:
	s_mov_b32 s0, -1
	s_mov_b32 s8, 0
	s_cmp_eq_u32 s3, 46
	s_cbranch_scc0 .LBB14_1735
; %bb.1734:
	v_bfe_u32 v1, v2, 16, 1
	v_cmp_o_f32_e32 vcc_lo, v2, v2
	s_mov_b32 s0, 0
	s_mov_b32 s7, -1
	s_delay_alu instid0(VALU_DEP_2) | instskip(NEXT) | instid1(VALU_DEP_1)
	v_add3_u32 v1, v2, v1, 0x7fff
	v_lshrrev_b32_e32 v1, 16, v1
	s_delay_alu instid0(VALU_DEP_1)
	v_cndmask_b32_e32 v1, 0x7fc0, v1, vcc_lo
	global_store_b32 v[8:9], v1, off
.LBB14_1735:
	s_and_b32 vcc_lo, exec_lo, s8
	s_cbranch_vccz .LBB14_1740
; %bb.1736:
	s_cmp_eq_u32 s3, 44
	s_mov_b32 s0, -1
	s_cbranch_scc0 .LBB14_1740
; %bb.1737:
	v_bfe_u32 v3, v2, 23, 8
	s_wait_xcnt 0x0
	v_mov_b32_e32 v1, 0xff
	s_mov_b32 s7, exec_lo
	s_delay_alu instid0(VALU_DEP_2)
	v_cmpx_ne_u32_e32 0xff, v3
	s_cbranch_execz .LBB14_1739
; %bb.1738:
	v_and_b32_e32 v1, 0x400000, v2
	v_and_or_b32 v3, 0x3fffff, v2, v3
	s_delay_alu instid0(VALU_DEP_2) | instskip(NEXT) | instid1(VALU_DEP_2)
	v_cmp_ne_u32_e32 vcc_lo, 0, v1
	v_cmp_ne_u32_e64 s0, 0, v3
	v_lshrrev_b32_e32 v1, 23, v2
	s_and_b32 s0, vcc_lo, s0
	s_delay_alu instid0(SALU_CYCLE_1) | instskip(NEXT) | instid1(VALU_DEP_1)
	v_cndmask_b32_e64 v3, 0, 1, s0
	v_add_nc_u32_e32 v1, v1, v3
.LBB14_1739:
	s_or_b32 exec_lo, exec_lo, s7
	s_mov_b32 s0, 0
	s_mov_b32 s7, -1
	global_store_b8 v[8:9], v1, off
.LBB14_1740:
	s_mov_b32 s8, 0
.LBB14_1741:
	s_delay_alu instid0(SALU_CYCLE_1)
	s_and_b32 vcc_lo, exec_lo, s8
	s_cbranch_vccz .LBB14_1744
; %bb.1742:
	s_cmp_eq_u32 s3, 29
	s_mov_b32 s0, -1
	s_cbranch_scc0 .LBB14_1744
; %bb.1743:
	s_wait_xcnt 0x0
	v_trunc_f32_e32 v1, v2
	s_mov_b32 s0, 0
	s_mov_b32 s7, -1
	s_delay_alu instid0(VALU_DEP_1) | instskip(NEXT) | instid1(VALU_DEP_1)
	v_mul_f32_e32 v3, 0x2f800000, v1
	v_floor_f32_e32 v3, v3
	s_delay_alu instid0(VALU_DEP_1) | instskip(SKIP_1) | instid1(VALU_DEP_2)
	v_fmamk_f32 v1, v3, 0xcf800000, v1
	v_cvt_u32_f32_e32 v11, v3
	v_cvt_u32_f32_e32 v10, v1
	global_store_b64 v[8:9], v[10:11], off
.LBB14_1744:
	s_mov_b32 s8, 0
.LBB14_1745:
	s_delay_alu instid0(SALU_CYCLE_1)
	s_and_b32 vcc_lo, exec_lo, s8
	s_cbranch_vccz .LBB14_1761
; %bb.1746:
	s_cmp_lt_i32 s3, 27
	s_mov_b32 s7, -1
	s_cbranch_scc1 .LBB14_1752
; %bb.1747:
	s_wait_xcnt 0x0
	v_cvt_u32_f32_e32 v1, v2
	s_cmp_gt_i32 s3, 27
	s_cbranch_scc0 .LBB14_1749
; %bb.1748:
	s_mov_b32 s7, 0
	global_store_b32 v[8:9], v1, off
.LBB14_1749:
	s_and_not1_b32 vcc_lo, exec_lo, s7
	s_cbranch_vccnz .LBB14_1751
; %bb.1750:
	global_store_b16 v[8:9], v1, off
.LBB14_1751:
	s_mov_b32 s7, 0
.LBB14_1752:
	s_delay_alu instid0(SALU_CYCLE_1)
	s_and_not1_b32 vcc_lo, exec_lo, s7
	s_cbranch_vccnz .LBB14_1760
; %bb.1753:
	s_wait_xcnt 0x0
	v_and_b32_e32 v1, 0x7fffffff, v2
	v_mov_b32_e32 v3, 0x80
	s_mov_b32 s7, exec_lo
	s_delay_alu instid0(VALU_DEP_2)
	v_cmpx_gt_u32_e32 0x43800000, v1
	s_cbranch_execz .LBB14_1759
; %bb.1754:
	v_cmp_lt_u32_e32 vcc_lo, 0x3bffffff, v1
	s_mov_b32 s8, 0
                                        ; implicit-def: $vgpr1
	s_and_saveexec_b32 s9, vcc_lo
	s_delay_alu instid0(SALU_CYCLE_1)
	s_xor_b32 s9, exec_lo, s9
	s_cbranch_execz .LBB14_2050
; %bb.1755:
	v_bfe_u32 v1, v2, 20, 1
	s_mov_b32 s8, exec_lo
	s_delay_alu instid0(VALU_DEP_1) | instskip(NEXT) | instid1(VALU_DEP_1)
	v_add3_u32 v1, v2, v1, 0x487ffff
	v_lshrrev_b32_e32 v1, 20, v1
	s_and_not1_saveexec_b32 s9, s9
	s_cbranch_execnz .LBB14_2051
.LBB14_1756:
	s_or_b32 exec_lo, exec_lo, s9
	v_mov_b32_e32 v3, 0
	s_and_saveexec_b32 s9, s8
.LBB14_1757:
	v_lshrrev_b32_e32 v3, 24, v2
	s_delay_alu instid0(VALU_DEP_1)
	v_and_or_b32 v3, 0x80, v3, v1
.LBB14_1758:
	s_or_b32 exec_lo, exec_lo, s9
.LBB14_1759:
	s_delay_alu instid0(SALU_CYCLE_1)
	s_or_b32 exec_lo, exec_lo, s7
	global_store_b8 v[8:9], v3, off
.LBB14_1760:
	s_mov_b32 s7, -1
.LBB14_1761:
	s_mov_b32 s8, 0
.LBB14_1762:
	s_delay_alu instid0(SALU_CYCLE_1)
	s_and_b32 vcc_lo, exec_lo, s8
	s_cbranch_vccz .LBB14_1802
; %bb.1763:
	s_cmp_gt_i32 s3, 22
	s_mov_b32 s6, -1
	s_cbranch_scc0 .LBB14_1795
; %bb.1764:
	s_cmp_lt_i32 s3, 24
	s_cbranch_scc1 .LBB14_1784
; %bb.1765:
	s_cmp_gt_i32 s3, 24
	s_cbranch_scc0 .LBB14_1773
; %bb.1766:
	s_wait_xcnt 0x0
	v_and_b32_e32 v1, 0x7fffffff, v2
	v_mov_b32_e32 v3, 0x80
	s_mov_b32 s6, exec_lo
	s_delay_alu instid0(VALU_DEP_2)
	v_cmpx_gt_u32_e32 0x47800000, v1
	s_cbranch_execz .LBB14_1772
; %bb.1767:
	v_cmp_lt_u32_e32 vcc_lo, 0x37ffffff, v1
	s_mov_b32 s7, 0
                                        ; implicit-def: $vgpr1
	s_and_saveexec_b32 s8, vcc_lo
	s_delay_alu instid0(SALU_CYCLE_1)
	s_xor_b32 s8, exec_lo, s8
	s_cbranch_execz .LBB14_2053
; %bb.1768:
	v_bfe_u32 v1, v2, 21, 1
	s_mov_b32 s7, exec_lo
	s_delay_alu instid0(VALU_DEP_1) | instskip(NEXT) | instid1(VALU_DEP_1)
	v_add3_u32 v1, v2, v1, 0x88fffff
	v_lshrrev_b32_e32 v1, 21, v1
	s_and_not1_saveexec_b32 s8, s8
	s_cbranch_execnz .LBB14_2054
.LBB14_1769:
	s_or_b32 exec_lo, exec_lo, s8
	v_mov_b32_e32 v3, 0
	s_and_saveexec_b32 s8, s7
.LBB14_1770:
	v_lshrrev_b32_e32 v3, 24, v2
	s_delay_alu instid0(VALU_DEP_1)
	v_and_or_b32 v3, 0x80, v3, v1
.LBB14_1771:
	s_or_b32 exec_lo, exec_lo, s8
.LBB14_1772:
	s_delay_alu instid0(SALU_CYCLE_1)
	s_or_b32 exec_lo, exec_lo, s6
	s_mov_b32 s6, 0
	global_store_b8 v[8:9], v3, off
.LBB14_1773:
	s_and_b32 vcc_lo, exec_lo, s6
	s_cbranch_vccz .LBB14_1783
; %bb.1774:
	s_wait_xcnt 0x0
	v_and_b32_e32 v3, 0x7fffffff, v2
	s_mov_b32 s6, exec_lo
                                        ; implicit-def: $vgpr1
	s_delay_alu instid0(VALU_DEP_1)
	v_cmpx_gt_u32_e32 0x43f00000, v3
	s_xor_b32 s6, exec_lo, s6
	s_cbranch_execz .LBB14_1780
; %bb.1775:
	s_mov_b32 s7, exec_lo
                                        ; implicit-def: $vgpr1
	v_cmpx_lt_u32_e32 0x3c7fffff, v3
	s_xor_b32 s7, exec_lo, s7
; %bb.1776:
	v_bfe_u32 v1, v2, 20, 1
	s_delay_alu instid0(VALU_DEP_1) | instskip(NEXT) | instid1(VALU_DEP_1)
	v_add3_u32 v1, v2, v1, 0x407ffff
	v_and_b32_e32 v3, 0xff00000, v1
	v_lshrrev_b32_e32 v1, 20, v1
	s_delay_alu instid0(VALU_DEP_2) | instskip(NEXT) | instid1(VALU_DEP_2)
	v_cmp_ne_u32_e32 vcc_lo, 0x7f00000, v3
	v_cndmask_b32_e32 v1, 0x7e, v1, vcc_lo
; %bb.1777:
	s_and_not1_saveexec_b32 s7, s7
; %bb.1778:
	v_add_f32_e64 v1, 0x46800000, |v2|
; %bb.1779:
	s_or_b32 exec_lo, exec_lo, s7
                                        ; implicit-def: $vgpr3
.LBB14_1780:
	s_and_not1_saveexec_b32 s6, s6
; %bb.1781:
	v_mov_b32_e32 v1, 0x7f
	v_cmp_lt_u32_e32 vcc_lo, 0x7f800000, v3
	s_delay_alu instid0(VALU_DEP_2)
	v_cndmask_b32_e32 v1, 0x7e, v1, vcc_lo
; %bb.1782:
	s_or_b32 exec_lo, exec_lo, s6
	v_lshrrev_b32_e32 v3, 24, v2
	s_delay_alu instid0(VALU_DEP_1)
	v_and_or_b32 v1, 0x80, v3, v1
	global_store_b8 v[8:9], v1, off
.LBB14_1783:
	s_mov_b32 s6, 0
.LBB14_1784:
	s_delay_alu instid0(SALU_CYCLE_1)
	s_and_not1_b32 vcc_lo, exec_lo, s6
	s_cbranch_vccnz .LBB14_1794
; %bb.1785:
	s_wait_xcnt 0x0
	v_and_b32_e32 v3, 0x7fffffff, v2
	s_mov_b32 s6, exec_lo
                                        ; implicit-def: $vgpr1
	s_delay_alu instid0(VALU_DEP_1)
	v_cmpx_gt_u32_e32 0x47800000, v3
	s_xor_b32 s6, exec_lo, s6
	s_cbranch_execz .LBB14_1791
; %bb.1786:
	s_mov_b32 s7, exec_lo
                                        ; implicit-def: $vgpr1
	v_cmpx_lt_u32_e32 0x387fffff, v3
	s_xor_b32 s7, exec_lo, s7
; %bb.1787:
	v_bfe_u32 v1, v2, 21, 1
	s_delay_alu instid0(VALU_DEP_1) | instskip(NEXT) | instid1(VALU_DEP_1)
	v_add3_u32 v1, v2, v1, 0x80fffff
	v_lshrrev_b32_e32 v1, 21, v1
; %bb.1788:
	s_and_not1_saveexec_b32 s7, s7
; %bb.1789:
	v_add_f32_e64 v1, 0x43000000, |v2|
; %bb.1790:
	s_or_b32 exec_lo, exec_lo, s7
                                        ; implicit-def: $vgpr3
.LBB14_1791:
	s_and_not1_saveexec_b32 s6, s6
; %bb.1792:
	v_mov_b32_e32 v1, 0x7f
	v_cmp_lt_u32_e32 vcc_lo, 0x7f800000, v3
	s_delay_alu instid0(VALU_DEP_2)
	v_cndmask_b32_e32 v1, 0x7c, v1, vcc_lo
; %bb.1793:
	s_or_b32 exec_lo, exec_lo, s6
	v_lshrrev_b32_e32 v3, 24, v2
	s_delay_alu instid0(VALU_DEP_1)
	v_and_or_b32 v1, 0x80, v3, v1
	global_store_b8 v[8:9], v1, off
.LBB14_1794:
	s_mov_b32 s6, 0
	s_mov_b32 s7, -1
.LBB14_1795:
	s_and_not1_b32 vcc_lo, exec_lo, s6
	s_mov_b32 s6, 0
	s_cbranch_vccnz .LBB14_1802
; %bb.1796:
	s_cmp_gt_i32 s3, 14
	s_mov_b32 s6, -1
	s_cbranch_scc0 .LBB14_1800
; %bb.1797:
	s_cmp_eq_u32 s3, 15
	s_mov_b32 s0, -1
	s_cbranch_scc0 .LBB14_1799
; %bb.1798:
	s_wait_xcnt 0x0
	v_bfe_u32 v1, v2, 16, 1
	v_cmp_o_f32_e32 vcc_lo, v2, v2
	s_mov_b32 s0, 0
	s_mov_b32 s7, -1
	s_delay_alu instid0(VALU_DEP_2) | instskip(NEXT) | instid1(VALU_DEP_1)
	v_add3_u32 v1, v2, v1, 0x7fff
	v_lshrrev_b32_e32 v1, 16, v1
	s_delay_alu instid0(VALU_DEP_1)
	v_cndmask_b32_e32 v1, 0x7fc0, v1, vcc_lo
	global_store_b16 v[8:9], v1, off
.LBB14_1799:
	s_mov_b32 s6, 0
.LBB14_1800:
	s_delay_alu instid0(SALU_CYCLE_1)
	s_and_b32 vcc_lo, exec_lo, s6
	s_mov_b32 s6, 0
	s_cbranch_vccz .LBB14_1802
; %bb.1801:
	s_cmp_lg_u32 s3, 11
	s_mov_b32 s6, -1
	s_cselect_b32 s0, -1, 0
.LBB14_1802:
	s_delay_alu instid0(SALU_CYCLE_1)
	s_and_b32 vcc_lo, exec_lo, s0
	s_cbranch_vccnz .LBB14_2052
; %bb.1803:
	s_and_not1_b32 vcc_lo, exec_lo, s6
	s_cbranch_vccnz .LBB14_1805
.LBB14_1804:
	v_cmp_neq_f32_e32 vcc_lo, 0, v2
	s_mov_b32 s7, -1
	s_wait_xcnt 0x0
	v_cndmask_b32_e64 v1, 0, 1, vcc_lo
	global_store_b8 v[8:9], v1, off
.LBB14_1805:
	s_mov_b32 s0, 0
	s_branch .LBB14_1807
.LBB14_1806:
	s_mov_b32 s0, -1
	s_mov_b32 s7, 0
.LBB14_1807:
	s_and_b32 vcc_lo, exec_lo, s0
	s_cbranch_vccz .LBB14_1846
; %bb.1808:
	s_and_b32 s0, 0xffff, s14
	s_mov_b32 s3, -1
	s_cmp_lt_i32 s0, 5
	s_cbranch_scc1 .LBB14_1829
; %bb.1809:
	s_cmp_lt_i32 s0, 8
	s_cbranch_scc1 .LBB14_1819
; %bb.1810:
	;; [unrolled: 3-line block ×3, first 2 shown]
	s_cmp_gt_i32 s0, 9
	s_cbranch_scc0 .LBB14_1813
; %bb.1812:
	s_wait_xcnt 0x0
	v_cvt_f64_f32_e32 v[10:11], v2
	v_mov_b32_e32 v12, 0
	s_mov_b32 s3, 0
	s_delay_alu instid0(VALU_DEP_1)
	v_mov_b32_e32 v13, v12
	global_store_b128 v[8:9], v[10:13], off
.LBB14_1813:
	s_and_not1_b32 vcc_lo, exec_lo, s3
	s_cbranch_vccnz .LBB14_1815
; %bb.1814:
	s_wait_xcnt 0x0
	v_mov_b32_e32 v3, 0
	global_store_b64 v[8:9], v[2:3], off
.LBB14_1815:
	s_mov_b32 s3, 0
.LBB14_1816:
	s_delay_alu instid0(SALU_CYCLE_1)
	s_and_not1_b32 vcc_lo, exec_lo, s3
	s_cbranch_vccnz .LBB14_1818
; %bb.1817:
	s_wait_xcnt 0x0
	v_cvt_f16_f32_e32 v1, v2
	s_delay_alu instid0(VALU_DEP_1)
	v_and_b32_e32 v1, 0xffff, v1
	global_store_b32 v[8:9], v1, off
.LBB14_1818:
	s_mov_b32 s3, 0
.LBB14_1819:
	s_delay_alu instid0(SALU_CYCLE_1)
	s_and_not1_b32 vcc_lo, exec_lo, s3
	s_cbranch_vccnz .LBB14_1828
; %bb.1820:
	s_cmp_lt_i32 s0, 6
	s_mov_b32 s3, -1
	s_cbranch_scc1 .LBB14_1826
; %bb.1821:
	s_cmp_gt_i32 s0, 6
	s_cbranch_scc0 .LBB14_1823
; %bb.1822:
	s_wait_xcnt 0x0
	v_cvt_f64_f32_e32 v[10:11], v2
	s_mov_b32 s3, 0
	global_store_b64 v[8:9], v[10:11], off
.LBB14_1823:
	s_and_not1_b32 vcc_lo, exec_lo, s3
	s_cbranch_vccnz .LBB14_1825
; %bb.1824:
	global_store_b32 v[8:9], v2, off
.LBB14_1825:
	s_mov_b32 s3, 0
.LBB14_1826:
	s_delay_alu instid0(SALU_CYCLE_1)
	s_and_not1_b32 vcc_lo, exec_lo, s3
	s_cbranch_vccnz .LBB14_1828
; %bb.1827:
	s_wait_xcnt 0x0
	v_cvt_f16_f32_e32 v1, v2
	global_store_b16 v[8:9], v1, off
.LBB14_1828:
	s_mov_b32 s3, 0
.LBB14_1829:
	s_delay_alu instid0(SALU_CYCLE_1)
	s_and_not1_b32 vcc_lo, exec_lo, s3
	s_cbranch_vccnz .LBB14_1845
; %bb.1830:
	s_cmp_lt_i32 s0, 2
	s_mov_b32 s3, -1
	s_cbranch_scc1 .LBB14_1840
; %bb.1831:
	s_cmp_lt_i32 s0, 3
	s_cbranch_scc1 .LBB14_1837
; %bb.1832:
	s_cmp_gt_i32 s0, 3
	s_cbranch_scc0 .LBB14_1834
; %bb.1833:
	s_wait_xcnt 0x0
	v_trunc_f32_e32 v1, v2
	s_mov_b32 s3, 0
	s_delay_alu instid0(VALU_DEP_1) | instskip(SKIP_1) | instid1(VALU_DEP_2)
	v_mul_f32_e64 v3, 0x2f800000, |v1|
	v_ashrrev_i32_e32 v10, 31, v1
	v_floor_f32_e32 v3, v3
	s_delay_alu instid0(VALU_DEP_1) | instskip(SKIP_1) | instid1(VALU_DEP_4)
	v_fma_f32 v5, 0xcf800000, v3, |v1|
	v_cvt_u32_f32_e32 v1, v3
	v_mov_b32_e32 v11, v10
	s_delay_alu instid0(VALU_DEP_3) | instskip(NEXT) | instid1(VALU_DEP_3)
	v_cvt_u32_f32_e32 v3, v5
	v_xor_b32_e32 v13, v1, v10
	s_delay_alu instid0(VALU_DEP_2) | instskip(NEXT) | instid1(VALU_DEP_1)
	v_xor_b32_e32 v12, v3, v10
	v_sub_nc_u64_e32 v[10:11], v[12:13], v[10:11]
	global_store_b64 v[8:9], v[10:11], off
.LBB14_1834:
	s_and_not1_b32 vcc_lo, exec_lo, s3
	s_cbranch_vccnz .LBB14_1836
; %bb.1835:
	s_wait_xcnt 0x0
	v_cvt_i32_f32_e32 v1, v2
	global_store_b32 v[8:9], v1, off
.LBB14_1836:
	s_mov_b32 s3, 0
.LBB14_1837:
	s_delay_alu instid0(SALU_CYCLE_1)
	s_and_not1_b32 vcc_lo, exec_lo, s3
	s_cbranch_vccnz .LBB14_1839
; %bb.1838:
	s_wait_xcnt 0x0
	v_cvt_i32_f32_e32 v1, v2
	global_store_b16 v[8:9], v1, off
.LBB14_1839:
	s_mov_b32 s3, 0
.LBB14_1840:
	s_delay_alu instid0(SALU_CYCLE_1)
	s_and_not1_b32 vcc_lo, exec_lo, s3
	s_cbranch_vccnz .LBB14_1845
; %bb.1841:
	s_cmp_gt_i32 s0, 0
	s_mov_b32 s0, -1
	s_cbranch_scc0 .LBB14_1843
; %bb.1842:
	s_wait_xcnt 0x0
	v_cvt_i32_f32_e32 v1, v2
	s_mov_b32 s0, 0
	global_store_b8 v[8:9], v1, off
.LBB14_1843:
	s_and_not1_b32 vcc_lo, exec_lo, s0
	s_cbranch_vccnz .LBB14_1845
; %bb.1844:
	s_wait_xcnt 0x0
	v_trunc_f32_e32 v1, v2
	s_delay_alu instid0(VALU_DEP_1) | instskip(NEXT) | instid1(VALU_DEP_1)
	v_mul_f32_e64 v2, 0x2f800000, |v1|
	v_floor_f32_e32 v2, v2
	s_delay_alu instid0(VALU_DEP_1) | instskip(SKIP_1) | instid1(VALU_DEP_2)
	v_fma_f32 v2, 0xcf800000, v2, |v1|
	v_ashrrev_i32_e32 v1, 31, v1
	v_cvt_u32_f32_e32 v2, v2
	s_delay_alu instid0(VALU_DEP_1) | instskip(NEXT) | instid1(VALU_DEP_1)
	v_xor_b32_e32 v2, v2, v1
	v_sub_nc_u32_e32 v1, v2, v1
	global_store_b8 v[8:9], v1, off
.LBB14_1845:
	s_mov_b32 s7, -1
.LBB14_1846:
	s_delay_alu instid0(SALU_CYCLE_1)
	s_and_not1_b32 vcc_lo, exec_lo, s7
	s_cbranch_vccnz .LBB14_2042
; %bb.1847:
	v_add_nc_u32_e32 v0, s2, v0
	s_cmp_lt_i32 s14, 11
	s_wait_xcnt 0x0
	s_delay_alu instid0(VALU_DEP_1) | instskip(NEXT) | instid1(VALU_DEP_1)
	v_ashrrev_i32_e32 v1, 31, v0
	v_add_nc_u64_e32 v[2:3], s[4:5], v[0:1]
	s_cbranch_scc1 .LBB14_1925
; %bb.1848:
	s_and_b32 s3, 0xffff, s14
	s_mov_b32 s8, -1
	s_mov_b32 s6, 0
	s_cmp_gt_i32 s3, 25
	s_mov_b32 s7, 0
	s_mov_b32 s0, 0
	s_cbranch_scc0 .LBB14_1881
; %bb.1849:
	s_cmp_gt_i32 s3, 28
	s_cbranch_scc0 .LBB14_1864
; %bb.1850:
	s_cmp_gt_i32 s3, 43
	;; [unrolled: 3-line block ×3, first 2 shown]
	s_cbranch_scc0 .LBB14_1854
; %bb.1852:
	s_mov_b32 s0, -1
	s_mov_b32 s8, 0
	s_cmp_eq_u32 s3, 46
	s_cbranch_scc0 .LBB14_1854
; %bb.1853:
	v_bfe_u32 v1, v4, 16, 1
	v_cmp_o_f32_e32 vcc_lo, v4, v4
	s_mov_b32 s0, 0
	s_mov_b32 s7, -1
	s_delay_alu instid0(VALU_DEP_2) | instskip(NEXT) | instid1(VALU_DEP_1)
	v_add3_u32 v1, v4, v1, 0x7fff
	v_lshrrev_b32_e32 v1, 16, v1
	s_delay_alu instid0(VALU_DEP_1)
	v_cndmask_b32_e32 v1, 0x7fc0, v1, vcc_lo
	global_store_b32 v[2:3], v1, off
.LBB14_1854:
	s_and_b32 vcc_lo, exec_lo, s8
	s_cbranch_vccz .LBB14_1859
; %bb.1855:
	s_cmp_eq_u32 s3, 44
	s_mov_b32 s0, -1
	s_cbranch_scc0 .LBB14_1859
; %bb.1856:
	v_bfe_u32 v5, v4, 23, 8
	s_wait_xcnt 0x0
	v_mov_b32_e32 v1, 0xff
	s_mov_b32 s7, exec_lo
	s_delay_alu instid0(VALU_DEP_2)
	v_cmpx_ne_u32_e32 0xff, v5
	s_cbranch_execz .LBB14_1858
; %bb.1857:
	v_and_b32_e32 v1, 0x400000, v4
	v_and_or_b32 v5, 0x3fffff, v4, v5
	s_delay_alu instid0(VALU_DEP_2) | instskip(NEXT) | instid1(VALU_DEP_2)
	v_cmp_ne_u32_e32 vcc_lo, 0, v1
	v_cmp_ne_u32_e64 s0, 0, v5
	v_lshrrev_b32_e32 v1, 23, v4
	s_and_b32 s0, vcc_lo, s0
	s_delay_alu instid0(SALU_CYCLE_1) | instskip(NEXT) | instid1(VALU_DEP_1)
	v_cndmask_b32_e64 v5, 0, 1, s0
	v_add_nc_u32_e32 v1, v1, v5
.LBB14_1858:
	s_or_b32 exec_lo, exec_lo, s7
	s_mov_b32 s0, 0
	s_mov_b32 s7, -1
	global_store_b8 v[2:3], v1, off
.LBB14_1859:
	s_mov_b32 s8, 0
.LBB14_1860:
	s_delay_alu instid0(SALU_CYCLE_1)
	s_and_b32 vcc_lo, exec_lo, s8
	s_cbranch_vccz .LBB14_1863
; %bb.1861:
	s_cmp_eq_u32 s3, 29
	s_mov_b32 s0, -1
	s_cbranch_scc0 .LBB14_1863
; %bb.1862:
	s_wait_xcnt 0x0
	v_trunc_f32_e32 v1, v4
	s_mov_b32 s0, 0
	s_mov_b32 s7, -1
	s_delay_alu instid0(VALU_DEP_1) | instskip(NEXT) | instid1(VALU_DEP_1)
	v_mul_f32_e32 v5, 0x2f800000, v1
	v_floor_f32_e32 v5, v5
	s_delay_alu instid0(VALU_DEP_1) | instskip(SKIP_1) | instid1(VALU_DEP_2)
	v_fmamk_f32 v1, v5, 0xcf800000, v1
	v_cvt_u32_f32_e32 v9, v5
	v_cvt_u32_f32_e32 v8, v1
	global_store_b64 v[2:3], v[8:9], off
.LBB14_1863:
	s_mov_b32 s8, 0
.LBB14_1864:
	s_delay_alu instid0(SALU_CYCLE_1)
	s_and_b32 vcc_lo, exec_lo, s8
	s_cbranch_vccz .LBB14_1880
; %bb.1865:
	s_cmp_lt_i32 s3, 27
	s_mov_b32 s7, -1
	s_cbranch_scc1 .LBB14_1871
; %bb.1866:
	s_wait_xcnt 0x0
	v_cvt_u32_f32_e32 v1, v4
	s_cmp_gt_i32 s3, 27
	s_cbranch_scc0 .LBB14_1868
; %bb.1867:
	s_mov_b32 s7, 0
	global_store_b32 v[2:3], v1, off
.LBB14_1868:
	s_and_not1_b32 vcc_lo, exec_lo, s7
	s_cbranch_vccnz .LBB14_1870
; %bb.1869:
	global_store_b16 v[2:3], v1, off
.LBB14_1870:
	s_mov_b32 s7, 0
.LBB14_1871:
	s_delay_alu instid0(SALU_CYCLE_1)
	s_and_not1_b32 vcc_lo, exec_lo, s7
	s_cbranch_vccnz .LBB14_1879
; %bb.1872:
	s_wait_xcnt 0x0
	v_and_b32_e32 v1, 0x7fffffff, v4
	v_mov_b32_e32 v5, 0x80
	s_mov_b32 s7, exec_lo
	s_delay_alu instid0(VALU_DEP_2)
	v_cmpx_gt_u32_e32 0x43800000, v1
	s_cbranch_execz .LBB14_1878
; %bb.1873:
	v_cmp_lt_u32_e32 vcc_lo, 0x3bffffff, v1
	s_mov_b32 s8, 0
                                        ; implicit-def: $vgpr1
	s_and_saveexec_b32 s9, vcc_lo
	s_delay_alu instid0(SALU_CYCLE_1)
	s_xor_b32 s9, exec_lo, s9
	s_cbranch_execz .LBB14_2055
; %bb.1874:
	v_bfe_u32 v1, v4, 20, 1
	s_mov_b32 s8, exec_lo
	s_delay_alu instid0(VALU_DEP_1) | instskip(NEXT) | instid1(VALU_DEP_1)
	v_add3_u32 v1, v4, v1, 0x487ffff
	v_lshrrev_b32_e32 v1, 20, v1
	s_and_not1_saveexec_b32 s9, s9
	s_cbranch_execnz .LBB14_2056
.LBB14_1875:
	s_or_b32 exec_lo, exec_lo, s9
	v_mov_b32_e32 v5, 0
	s_and_saveexec_b32 s9, s8
.LBB14_1876:
	v_lshrrev_b32_e32 v5, 24, v4
	s_delay_alu instid0(VALU_DEP_1)
	v_and_or_b32 v5, 0x80, v5, v1
.LBB14_1877:
	s_or_b32 exec_lo, exec_lo, s9
.LBB14_1878:
	s_delay_alu instid0(SALU_CYCLE_1)
	s_or_b32 exec_lo, exec_lo, s7
	global_store_b8 v[2:3], v5, off
.LBB14_1879:
	s_mov_b32 s7, -1
.LBB14_1880:
	s_mov_b32 s8, 0
.LBB14_1881:
	s_delay_alu instid0(SALU_CYCLE_1)
	s_and_b32 vcc_lo, exec_lo, s8
	s_cbranch_vccz .LBB14_1921
; %bb.1882:
	s_cmp_gt_i32 s3, 22
	s_mov_b32 s6, -1
	s_cbranch_scc0 .LBB14_1914
; %bb.1883:
	s_cmp_lt_i32 s3, 24
	s_cbranch_scc1 .LBB14_1903
; %bb.1884:
	s_cmp_gt_i32 s3, 24
	s_cbranch_scc0 .LBB14_1892
; %bb.1885:
	s_wait_xcnt 0x0
	v_and_b32_e32 v1, 0x7fffffff, v4
	v_mov_b32_e32 v5, 0x80
	s_mov_b32 s6, exec_lo
	s_delay_alu instid0(VALU_DEP_2)
	v_cmpx_gt_u32_e32 0x47800000, v1
	s_cbranch_execz .LBB14_1891
; %bb.1886:
	v_cmp_lt_u32_e32 vcc_lo, 0x37ffffff, v1
	s_mov_b32 s7, 0
                                        ; implicit-def: $vgpr1
	s_and_saveexec_b32 s8, vcc_lo
	s_delay_alu instid0(SALU_CYCLE_1)
	s_xor_b32 s8, exec_lo, s8
	s_cbranch_execz .LBB14_2058
; %bb.1887:
	v_bfe_u32 v1, v4, 21, 1
	s_mov_b32 s7, exec_lo
	s_delay_alu instid0(VALU_DEP_1) | instskip(NEXT) | instid1(VALU_DEP_1)
	v_add3_u32 v1, v4, v1, 0x88fffff
	v_lshrrev_b32_e32 v1, 21, v1
	s_and_not1_saveexec_b32 s8, s8
	s_cbranch_execnz .LBB14_2059
.LBB14_1888:
	s_or_b32 exec_lo, exec_lo, s8
	v_mov_b32_e32 v5, 0
	s_and_saveexec_b32 s8, s7
.LBB14_1889:
	v_lshrrev_b32_e32 v5, 24, v4
	s_delay_alu instid0(VALU_DEP_1)
	v_and_or_b32 v5, 0x80, v5, v1
.LBB14_1890:
	s_or_b32 exec_lo, exec_lo, s8
.LBB14_1891:
	s_delay_alu instid0(SALU_CYCLE_1)
	s_or_b32 exec_lo, exec_lo, s6
	s_mov_b32 s6, 0
	global_store_b8 v[2:3], v5, off
.LBB14_1892:
	s_and_b32 vcc_lo, exec_lo, s6
	s_cbranch_vccz .LBB14_1902
; %bb.1893:
	s_wait_xcnt 0x0
	v_and_b32_e32 v5, 0x7fffffff, v4
	s_mov_b32 s6, exec_lo
                                        ; implicit-def: $vgpr1
	s_delay_alu instid0(VALU_DEP_1)
	v_cmpx_gt_u32_e32 0x43f00000, v5
	s_xor_b32 s6, exec_lo, s6
	s_cbranch_execz .LBB14_1899
; %bb.1894:
	s_mov_b32 s7, exec_lo
                                        ; implicit-def: $vgpr1
	v_cmpx_lt_u32_e32 0x3c7fffff, v5
	s_xor_b32 s7, exec_lo, s7
; %bb.1895:
	v_bfe_u32 v1, v4, 20, 1
	s_delay_alu instid0(VALU_DEP_1) | instskip(NEXT) | instid1(VALU_DEP_1)
	v_add3_u32 v1, v4, v1, 0x407ffff
	v_and_b32_e32 v5, 0xff00000, v1
	v_lshrrev_b32_e32 v1, 20, v1
	s_delay_alu instid0(VALU_DEP_2) | instskip(NEXT) | instid1(VALU_DEP_2)
	v_cmp_ne_u32_e32 vcc_lo, 0x7f00000, v5
	v_cndmask_b32_e32 v1, 0x7e, v1, vcc_lo
; %bb.1896:
	s_and_not1_saveexec_b32 s7, s7
; %bb.1897:
	v_add_f32_e64 v1, 0x46800000, |v4|
; %bb.1898:
	s_or_b32 exec_lo, exec_lo, s7
                                        ; implicit-def: $vgpr5
.LBB14_1899:
	s_and_not1_saveexec_b32 s6, s6
; %bb.1900:
	v_mov_b32_e32 v1, 0x7f
	v_cmp_lt_u32_e32 vcc_lo, 0x7f800000, v5
	s_delay_alu instid0(VALU_DEP_2)
	v_cndmask_b32_e32 v1, 0x7e, v1, vcc_lo
; %bb.1901:
	s_or_b32 exec_lo, exec_lo, s6
	v_lshrrev_b32_e32 v5, 24, v4
	s_delay_alu instid0(VALU_DEP_1)
	v_and_or_b32 v1, 0x80, v5, v1
	global_store_b8 v[2:3], v1, off
.LBB14_1902:
	s_mov_b32 s6, 0
.LBB14_1903:
	s_delay_alu instid0(SALU_CYCLE_1)
	s_and_not1_b32 vcc_lo, exec_lo, s6
	s_cbranch_vccnz .LBB14_1913
; %bb.1904:
	s_wait_xcnt 0x0
	v_and_b32_e32 v5, 0x7fffffff, v4
	s_mov_b32 s6, exec_lo
                                        ; implicit-def: $vgpr1
	s_delay_alu instid0(VALU_DEP_1)
	v_cmpx_gt_u32_e32 0x47800000, v5
	s_xor_b32 s6, exec_lo, s6
	s_cbranch_execz .LBB14_1910
; %bb.1905:
	s_mov_b32 s7, exec_lo
                                        ; implicit-def: $vgpr1
	v_cmpx_lt_u32_e32 0x387fffff, v5
	s_xor_b32 s7, exec_lo, s7
; %bb.1906:
	v_bfe_u32 v1, v4, 21, 1
	s_delay_alu instid0(VALU_DEP_1) | instskip(NEXT) | instid1(VALU_DEP_1)
	v_add3_u32 v1, v4, v1, 0x80fffff
	v_lshrrev_b32_e32 v1, 21, v1
; %bb.1907:
	s_and_not1_saveexec_b32 s7, s7
; %bb.1908:
	v_add_f32_e64 v1, 0x43000000, |v4|
; %bb.1909:
	s_or_b32 exec_lo, exec_lo, s7
                                        ; implicit-def: $vgpr5
.LBB14_1910:
	s_and_not1_saveexec_b32 s6, s6
; %bb.1911:
	v_mov_b32_e32 v1, 0x7f
	v_cmp_lt_u32_e32 vcc_lo, 0x7f800000, v5
	s_delay_alu instid0(VALU_DEP_2)
	v_cndmask_b32_e32 v1, 0x7c, v1, vcc_lo
; %bb.1912:
	s_or_b32 exec_lo, exec_lo, s6
	v_lshrrev_b32_e32 v5, 24, v4
	s_delay_alu instid0(VALU_DEP_1)
	v_and_or_b32 v1, 0x80, v5, v1
	global_store_b8 v[2:3], v1, off
.LBB14_1913:
	s_mov_b32 s6, 0
	s_mov_b32 s7, -1
.LBB14_1914:
	s_and_not1_b32 vcc_lo, exec_lo, s6
	s_mov_b32 s6, 0
	s_cbranch_vccnz .LBB14_1921
; %bb.1915:
	s_cmp_gt_i32 s3, 14
	s_mov_b32 s6, -1
	s_cbranch_scc0 .LBB14_1919
; %bb.1916:
	s_cmp_eq_u32 s3, 15
	s_mov_b32 s0, -1
	s_cbranch_scc0 .LBB14_1918
; %bb.1917:
	s_wait_xcnt 0x0
	v_bfe_u32 v1, v4, 16, 1
	v_cmp_o_f32_e32 vcc_lo, v4, v4
	s_mov_b32 s0, 0
	s_mov_b32 s7, -1
	s_delay_alu instid0(VALU_DEP_2) | instskip(NEXT) | instid1(VALU_DEP_1)
	v_add3_u32 v1, v4, v1, 0x7fff
	v_lshrrev_b32_e32 v1, 16, v1
	s_delay_alu instid0(VALU_DEP_1)
	v_cndmask_b32_e32 v1, 0x7fc0, v1, vcc_lo
	global_store_b16 v[2:3], v1, off
.LBB14_1918:
	s_mov_b32 s6, 0
.LBB14_1919:
	s_delay_alu instid0(SALU_CYCLE_1)
	s_and_b32 vcc_lo, exec_lo, s6
	s_mov_b32 s6, 0
	s_cbranch_vccz .LBB14_1921
; %bb.1920:
	s_cmp_lg_u32 s3, 11
	s_mov_b32 s6, -1
	s_cselect_b32 s0, -1, 0
.LBB14_1921:
	s_delay_alu instid0(SALU_CYCLE_1)
	s_and_b32 vcc_lo, exec_lo, s0
	s_cbranch_vccnz .LBB14_2057
; %bb.1922:
	s_and_not1_b32 vcc_lo, exec_lo, s6
	s_cbranch_vccnz .LBB14_1924
.LBB14_1923:
	v_cmp_neq_f32_e32 vcc_lo, 0, v4
	s_mov_b32 s7, -1
	s_wait_xcnt 0x0
	v_cndmask_b32_e64 v1, 0, 1, vcc_lo
	global_store_b8 v[2:3], v1, off
.LBB14_1924:
	s_mov_b32 s0, 0
	s_branch .LBB14_1926
.LBB14_1925:
	s_mov_b32 s0, -1
	s_mov_b32 s7, 0
.LBB14_1926:
	s_and_b32 vcc_lo, exec_lo, s0
	s_cbranch_vccz .LBB14_1965
; %bb.1927:
	s_and_b32 s0, 0xffff, s14
	s_mov_b32 s3, -1
	s_cmp_lt_i32 s0, 5
	s_cbranch_scc1 .LBB14_1948
; %bb.1928:
	s_cmp_lt_i32 s0, 8
	s_cbranch_scc1 .LBB14_1938
; %bb.1929:
	;; [unrolled: 3-line block ×3, first 2 shown]
	s_cmp_gt_i32 s0, 9
	s_cbranch_scc0 .LBB14_1932
; %bb.1931:
	s_wait_xcnt 0x0
	v_cvt_f64_f32_e32 v[8:9], v4
	v_mov_b32_e32 v10, 0
	s_mov_b32 s3, 0
	s_delay_alu instid0(VALU_DEP_1)
	v_mov_b32_e32 v11, v10
	global_store_b128 v[2:3], v[8:11], off
.LBB14_1932:
	s_and_not1_b32 vcc_lo, exec_lo, s3
	s_cbranch_vccnz .LBB14_1934
; %bb.1933:
	s_wait_xcnt 0x0
	v_mov_b32_e32 v5, 0
	global_store_b64 v[2:3], v[4:5], off
.LBB14_1934:
	s_mov_b32 s3, 0
.LBB14_1935:
	s_delay_alu instid0(SALU_CYCLE_1)
	s_and_not1_b32 vcc_lo, exec_lo, s3
	s_cbranch_vccnz .LBB14_1937
; %bb.1936:
	s_wait_xcnt 0x0
	v_cvt_f16_f32_e32 v1, v4
	s_delay_alu instid0(VALU_DEP_1)
	v_and_b32_e32 v1, 0xffff, v1
	global_store_b32 v[2:3], v1, off
.LBB14_1937:
	s_mov_b32 s3, 0
.LBB14_1938:
	s_delay_alu instid0(SALU_CYCLE_1)
	s_and_not1_b32 vcc_lo, exec_lo, s3
	s_cbranch_vccnz .LBB14_1947
; %bb.1939:
	s_cmp_lt_i32 s0, 6
	s_mov_b32 s3, -1
	s_cbranch_scc1 .LBB14_1945
; %bb.1940:
	s_cmp_gt_i32 s0, 6
	s_cbranch_scc0 .LBB14_1942
; %bb.1941:
	s_wait_xcnt 0x0
	v_cvt_f64_f32_e32 v[8:9], v4
	s_mov_b32 s3, 0
	global_store_b64 v[2:3], v[8:9], off
.LBB14_1942:
	s_and_not1_b32 vcc_lo, exec_lo, s3
	s_cbranch_vccnz .LBB14_1944
; %bb.1943:
	global_store_b32 v[2:3], v4, off
.LBB14_1944:
	s_mov_b32 s3, 0
.LBB14_1945:
	s_delay_alu instid0(SALU_CYCLE_1)
	s_and_not1_b32 vcc_lo, exec_lo, s3
	s_cbranch_vccnz .LBB14_1947
; %bb.1946:
	s_wait_xcnt 0x0
	v_cvt_f16_f32_e32 v1, v4
	global_store_b16 v[2:3], v1, off
.LBB14_1947:
	s_mov_b32 s3, 0
.LBB14_1948:
	s_delay_alu instid0(SALU_CYCLE_1)
	s_and_not1_b32 vcc_lo, exec_lo, s3
	s_cbranch_vccnz .LBB14_1964
; %bb.1949:
	s_cmp_lt_i32 s0, 2
	s_mov_b32 s3, -1
	s_cbranch_scc1 .LBB14_1959
; %bb.1950:
	s_cmp_lt_i32 s0, 3
	s_cbranch_scc1 .LBB14_1956
; %bb.1951:
	s_cmp_gt_i32 s0, 3
	s_cbranch_scc0 .LBB14_1953
; %bb.1952:
	s_wait_xcnt 0x0
	v_trunc_f32_e32 v1, v4
	s_mov_b32 s3, 0
	s_delay_alu instid0(VALU_DEP_1) | instskip(SKIP_1) | instid1(VALU_DEP_2)
	v_mul_f32_e64 v5, 0x2f800000, |v1|
	v_ashrrev_i32_e32 v8, 31, v1
	v_floor_f32_e32 v5, v5
	s_delay_alu instid0(VALU_DEP_1) | instskip(SKIP_1) | instid1(VALU_DEP_4)
	v_fma_f32 v7, 0xcf800000, v5, |v1|
	v_cvt_u32_f32_e32 v1, v5
	v_mov_b32_e32 v9, v8
	s_delay_alu instid0(VALU_DEP_3) | instskip(NEXT) | instid1(VALU_DEP_3)
	v_cvt_u32_f32_e32 v5, v7
	v_xor_b32_e32 v11, v1, v8
	s_delay_alu instid0(VALU_DEP_2) | instskip(NEXT) | instid1(VALU_DEP_1)
	v_xor_b32_e32 v10, v5, v8
	v_sub_nc_u64_e32 v[8:9], v[10:11], v[8:9]
	global_store_b64 v[2:3], v[8:9], off
.LBB14_1953:
	s_and_not1_b32 vcc_lo, exec_lo, s3
	s_cbranch_vccnz .LBB14_1955
; %bb.1954:
	s_wait_xcnt 0x0
	v_cvt_i32_f32_e32 v1, v4
	global_store_b32 v[2:3], v1, off
.LBB14_1955:
	s_mov_b32 s3, 0
.LBB14_1956:
	s_delay_alu instid0(SALU_CYCLE_1)
	s_and_not1_b32 vcc_lo, exec_lo, s3
	s_cbranch_vccnz .LBB14_1958
; %bb.1957:
	s_wait_xcnt 0x0
	v_cvt_i32_f32_e32 v1, v4
	global_store_b16 v[2:3], v1, off
.LBB14_1958:
	s_mov_b32 s3, 0
.LBB14_1959:
	s_delay_alu instid0(SALU_CYCLE_1)
	s_and_not1_b32 vcc_lo, exec_lo, s3
	s_cbranch_vccnz .LBB14_1964
; %bb.1960:
	s_cmp_gt_i32 s0, 0
	s_mov_b32 s0, -1
	s_cbranch_scc0 .LBB14_1962
; %bb.1961:
	s_wait_xcnt 0x0
	v_cvt_i32_f32_e32 v1, v4
	s_mov_b32 s0, 0
	global_store_b8 v[2:3], v1, off
.LBB14_1962:
	s_and_not1_b32 vcc_lo, exec_lo, s0
	s_cbranch_vccnz .LBB14_1964
; %bb.1963:
	s_wait_xcnt 0x0
	v_trunc_f32_e32 v1, v4
	s_delay_alu instid0(VALU_DEP_1) | instskip(NEXT) | instid1(VALU_DEP_1)
	v_mul_f32_e64 v4, 0x2f800000, |v1|
	v_floor_f32_e32 v4, v4
	s_delay_alu instid0(VALU_DEP_1) | instskip(SKIP_1) | instid1(VALU_DEP_2)
	v_fma_f32 v4, 0xcf800000, v4, |v1|
	v_ashrrev_i32_e32 v1, 31, v1
	v_cvt_u32_f32_e32 v4, v4
	s_delay_alu instid0(VALU_DEP_1) | instskip(NEXT) | instid1(VALU_DEP_1)
	v_xor_b32_e32 v4, v4, v1
	v_sub_nc_u32_e32 v1, v4, v1
	global_store_b8 v[2:3], v1, off
.LBB14_1964:
	s_mov_b32 s7, -1
.LBB14_1965:
	s_delay_alu instid0(SALU_CYCLE_1)
	s_and_not1_b32 vcc_lo, exec_lo, s7
	s_cbranch_vccnz .LBB14_2042
; %bb.1966:
	v_add_nc_u32_e32 v0, s2, v0
	s_cmp_lt_i32 s14, 11
	s_wait_xcnt 0x0
	s_delay_alu instid0(VALU_DEP_1) | instskip(NEXT) | instid1(VALU_DEP_1)
	v_ashrrev_i32_e32 v1, 31, v0
	v_add_nc_u64_e32 v[0:1], s[4:5], v[0:1]
	s_cbranch_scc1 .LBB14_2043
; %bb.1967:
	s_and_b32 s2, 0xffff, s14
	s_mov_b32 s4, -1
	s_mov_b32 s3, 0
	s_cmp_gt_i32 s2, 25
	s_mov_b32 s0, 0
	s_cbranch_scc0 .LBB14_2000
; %bb.1968:
	s_cmp_gt_i32 s2, 28
	s_cbranch_scc0 .LBB14_1984
; %bb.1969:
	s_cmp_gt_i32 s2, 43
	;; [unrolled: 3-line block ×3, first 2 shown]
	s_cbranch_scc0 .LBB14_1974
; %bb.1971:
	s_cmp_eq_u32 s2, 46
	s_mov_b32 s0, -1
	s_cbranch_scc0 .LBB14_1973
; %bb.1972:
	v_bfe_u32 v2, v6, 16, 1
	v_cmp_o_f32_e32 vcc_lo, v6, v6
	s_mov_b32 s0, 0
	s_delay_alu instid0(VALU_DEP_2) | instskip(NEXT) | instid1(VALU_DEP_1)
	v_add3_u32 v2, v6, v2, 0x7fff
	v_lshrrev_b32_e32 v2, 16, v2
	s_delay_alu instid0(VALU_DEP_1)
	v_cndmask_b32_e32 v2, 0x7fc0, v2, vcc_lo
	global_store_b32 v[0:1], v2, off
.LBB14_1973:
	s_mov_b32 s4, 0
.LBB14_1974:
	s_delay_alu instid0(SALU_CYCLE_1)
	s_and_b32 vcc_lo, exec_lo, s4
	s_cbranch_vccz .LBB14_1979
; %bb.1975:
	s_cmp_eq_u32 s2, 44
	s_mov_b32 s0, -1
	s_cbranch_scc0 .LBB14_1979
; %bb.1976:
	v_bfe_u32 v3, v6, 23, 8
	s_wait_xcnt 0x0
	v_mov_b32_e32 v2, 0xff
	s_mov_b32 s4, exec_lo
	s_delay_alu instid0(VALU_DEP_2)
	v_cmpx_ne_u32_e32 0xff, v3
	s_cbranch_execz .LBB14_1978
; %bb.1977:
	v_and_b32_e32 v2, 0x400000, v6
	v_and_or_b32 v3, 0x3fffff, v6, v3
	s_delay_alu instid0(VALU_DEP_2) | instskip(NEXT) | instid1(VALU_DEP_2)
	v_cmp_ne_u32_e32 vcc_lo, 0, v2
	v_cmp_ne_u32_e64 s0, 0, v3
	v_lshrrev_b32_e32 v2, 23, v6
	s_and_b32 s0, vcc_lo, s0
	s_delay_alu instid0(SALU_CYCLE_1) | instskip(NEXT) | instid1(VALU_DEP_1)
	v_cndmask_b32_e64 v3, 0, 1, s0
	v_add_nc_u32_e32 v2, v2, v3
.LBB14_1978:
	s_or_b32 exec_lo, exec_lo, s4
	s_mov_b32 s0, 0
	global_store_b8 v[0:1], v2, off
.LBB14_1979:
	s_mov_b32 s4, 0
.LBB14_1980:
	s_delay_alu instid0(SALU_CYCLE_1)
	s_and_b32 vcc_lo, exec_lo, s4
	s_cbranch_vccz .LBB14_1983
; %bb.1981:
	s_cmp_eq_u32 s2, 29
	s_mov_b32 s0, -1
	s_cbranch_scc0 .LBB14_1983
; %bb.1982:
	s_wait_xcnt 0x0
	v_trunc_f32_e32 v2, v6
	s_mov_b32 s0, 0
	s_delay_alu instid0(VALU_DEP_1) | instskip(NEXT) | instid1(VALU_DEP_1)
	v_mul_f32_e32 v3, 0x2f800000, v2
	v_floor_f32_e32 v3, v3
	s_delay_alu instid0(VALU_DEP_1) | instskip(SKIP_1) | instid1(VALU_DEP_2)
	v_fmamk_f32 v2, v3, 0xcf800000, v2
	v_cvt_u32_f32_e32 v3, v3
	v_cvt_u32_f32_e32 v2, v2
	global_store_b64 v[0:1], v[2:3], off
.LBB14_1983:
	s_mov_b32 s4, 0
.LBB14_1984:
	s_delay_alu instid0(SALU_CYCLE_1)
	s_and_b32 vcc_lo, exec_lo, s4
	s_cbranch_vccz .LBB14_1999
; %bb.1985:
	s_cmp_lt_i32 s2, 27
	s_mov_b32 s4, -1
	s_cbranch_scc1 .LBB14_1991
; %bb.1986:
	s_wait_xcnt 0x0
	v_cvt_u32_f32_e32 v2, v6
	s_cmp_gt_i32 s2, 27
	s_cbranch_scc0 .LBB14_1988
; %bb.1987:
	s_mov_b32 s4, 0
	global_store_b32 v[0:1], v2, off
.LBB14_1988:
	s_and_not1_b32 vcc_lo, exec_lo, s4
	s_cbranch_vccnz .LBB14_1990
; %bb.1989:
	global_store_b16 v[0:1], v2, off
.LBB14_1990:
	s_mov_b32 s4, 0
.LBB14_1991:
	s_delay_alu instid0(SALU_CYCLE_1)
	s_and_not1_b32 vcc_lo, exec_lo, s4
	s_cbranch_vccnz .LBB14_1999
; %bb.1992:
	s_wait_xcnt 0x0
	v_and_b32_e32 v2, 0x7fffffff, v6
	v_mov_b32_e32 v3, 0x80
	s_mov_b32 s4, exec_lo
	s_delay_alu instid0(VALU_DEP_2)
	v_cmpx_gt_u32_e32 0x43800000, v2
	s_cbranch_execz .LBB14_1998
; %bb.1993:
	v_cmp_lt_u32_e32 vcc_lo, 0x3bffffff, v2
	s_mov_b32 s5, 0
                                        ; implicit-def: $vgpr2
	s_and_saveexec_b32 s6, vcc_lo
	s_delay_alu instid0(SALU_CYCLE_1)
	s_xor_b32 s6, exec_lo, s6
	s_cbranch_execz .LBB14_2060
; %bb.1994:
	v_bfe_u32 v2, v6, 20, 1
	s_mov_b32 s5, exec_lo
	s_delay_alu instid0(VALU_DEP_1) | instskip(NEXT) | instid1(VALU_DEP_1)
	v_add3_u32 v2, v6, v2, 0x487ffff
	v_lshrrev_b32_e32 v2, 20, v2
	s_and_not1_saveexec_b32 s6, s6
	s_cbranch_execnz .LBB14_2061
.LBB14_1995:
	s_or_b32 exec_lo, exec_lo, s6
	v_mov_b32_e32 v3, 0
	s_and_saveexec_b32 s6, s5
.LBB14_1996:
	v_lshrrev_b32_e32 v3, 24, v6
	s_delay_alu instid0(VALU_DEP_1)
	v_and_or_b32 v3, 0x80, v3, v2
.LBB14_1997:
	s_or_b32 exec_lo, exec_lo, s6
.LBB14_1998:
	s_delay_alu instid0(SALU_CYCLE_1)
	s_or_b32 exec_lo, exec_lo, s4
	global_store_b8 v[0:1], v3, off
.LBB14_1999:
	s_mov_b32 s4, 0
.LBB14_2000:
	s_delay_alu instid0(SALU_CYCLE_1)
	s_and_b32 vcc_lo, exec_lo, s4
	s_cbranch_vccz .LBB14_2040
; %bb.2001:
	s_cmp_gt_i32 s2, 22
	s_mov_b32 s3, -1
	s_cbranch_scc0 .LBB14_2033
; %bb.2002:
	s_cmp_lt_i32 s2, 24
	s_cbranch_scc1 .LBB14_2022
; %bb.2003:
	s_cmp_gt_i32 s2, 24
	s_cbranch_scc0 .LBB14_2011
; %bb.2004:
	s_wait_xcnt 0x0
	v_and_b32_e32 v2, 0x7fffffff, v6
	v_mov_b32_e32 v3, 0x80
	s_mov_b32 s3, exec_lo
	s_delay_alu instid0(VALU_DEP_2)
	v_cmpx_gt_u32_e32 0x47800000, v2
	s_cbranch_execz .LBB14_2010
; %bb.2005:
	v_cmp_lt_u32_e32 vcc_lo, 0x37ffffff, v2
	s_mov_b32 s4, 0
                                        ; implicit-def: $vgpr2
	s_and_saveexec_b32 s5, vcc_lo
	s_delay_alu instid0(SALU_CYCLE_1)
	s_xor_b32 s5, exec_lo, s5
	s_cbranch_execz .LBB14_2063
; %bb.2006:
	v_bfe_u32 v2, v6, 21, 1
	s_mov_b32 s4, exec_lo
	s_delay_alu instid0(VALU_DEP_1) | instskip(NEXT) | instid1(VALU_DEP_1)
	v_add3_u32 v2, v6, v2, 0x88fffff
	v_lshrrev_b32_e32 v2, 21, v2
	s_and_not1_saveexec_b32 s5, s5
	s_cbranch_execnz .LBB14_2064
.LBB14_2007:
	s_or_b32 exec_lo, exec_lo, s5
	v_mov_b32_e32 v3, 0
	s_and_saveexec_b32 s5, s4
.LBB14_2008:
	v_lshrrev_b32_e32 v3, 24, v6
	s_delay_alu instid0(VALU_DEP_1)
	v_and_or_b32 v3, 0x80, v3, v2
.LBB14_2009:
	s_or_b32 exec_lo, exec_lo, s5
.LBB14_2010:
	s_delay_alu instid0(SALU_CYCLE_1)
	s_or_b32 exec_lo, exec_lo, s3
	s_mov_b32 s3, 0
	global_store_b8 v[0:1], v3, off
.LBB14_2011:
	s_and_b32 vcc_lo, exec_lo, s3
	s_cbranch_vccz .LBB14_2021
; %bb.2012:
	s_wait_xcnt 0x0
	v_and_b32_e32 v3, 0x7fffffff, v6
	s_mov_b32 s3, exec_lo
                                        ; implicit-def: $vgpr2
	s_delay_alu instid0(VALU_DEP_1)
	v_cmpx_gt_u32_e32 0x43f00000, v3
	s_xor_b32 s3, exec_lo, s3
	s_cbranch_execz .LBB14_2018
; %bb.2013:
	s_mov_b32 s4, exec_lo
                                        ; implicit-def: $vgpr2
	v_cmpx_lt_u32_e32 0x3c7fffff, v3
	s_xor_b32 s4, exec_lo, s4
; %bb.2014:
	v_bfe_u32 v2, v6, 20, 1
	s_delay_alu instid0(VALU_DEP_1) | instskip(NEXT) | instid1(VALU_DEP_1)
	v_add3_u32 v2, v6, v2, 0x407ffff
	v_and_b32_e32 v3, 0xff00000, v2
	v_lshrrev_b32_e32 v2, 20, v2
	s_delay_alu instid0(VALU_DEP_2) | instskip(NEXT) | instid1(VALU_DEP_2)
	v_cmp_ne_u32_e32 vcc_lo, 0x7f00000, v3
	v_cndmask_b32_e32 v2, 0x7e, v2, vcc_lo
; %bb.2015:
	s_and_not1_saveexec_b32 s4, s4
; %bb.2016:
	v_add_f32_e64 v2, 0x46800000, |v6|
; %bb.2017:
	s_or_b32 exec_lo, exec_lo, s4
                                        ; implicit-def: $vgpr3
.LBB14_2018:
	s_and_not1_saveexec_b32 s3, s3
; %bb.2019:
	v_mov_b32_e32 v2, 0x7f
	v_cmp_lt_u32_e32 vcc_lo, 0x7f800000, v3
	s_delay_alu instid0(VALU_DEP_2)
	v_cndmask_b32_e32 v2, 0x7e, v2, vcc_lo
; %bb.2020:
	s_or_b32 exec_lo, exec_lo, s3
	v_lshrrev_b32_e32 v3, 24, v6
	s_delay_alu instid0(VALU_DEP_1)
	v_and_or_b32 v2, 0x80, v3, v2
	global_store_b8 v[0:1], v2, off
.LBB14_2021:
	s_mov_b32 s3, 0
.LBB14_2022:
	s_delay_alu instid0(SALU_CYCLE_1)
	s_and_not1_b32 vcc_lo, exec_lo, s3
	s_cbranch_vccnz .LBB14_2032
; %bb.2023:
	s_wait_xcnt 0x0
	v_and_b32_e32 v3, 0x7fffffff, v6
	s_mov_b32 s3, exec_lo
                                        ; implicit-def: $vgpr2
	s_delay_alu instid0(VALU_DEP_1)
	v_cmpx_gt_u32_e32 0x47800000, v3
	s_xor_b32 s3, exec_lo, s3
	s_cbranch_execz .LBB14_2029
; %bb.2024:
	s_mov_b32 s4, exec_lo
                                        ; implicit-def: $vgpr2
	v_cmpx_lt_u32_e32 0x387fffff, v3
	s_xor_b32 s4, exec_lo, s4
; %bb.2025:
	v_bfe_u32 v2, v6, 21, 1
	s_delay_alu instid0(VALU_DEP_1) | instskip(NEXT) | instid1(VALU_DEP_1)
	v_add3_u32 v2, v6, v2, 0x80fffff
	v_lshrrev_b32_e32 v2, 21, v2
; %bb.2026:
	s_and_not1_saveexec_b32 s4, s4
; %bb.2027:
	v_add_f32_e64 v2, 0x43000000, |v6|
; %bb.2028:
	s_or_b32 exec_lo, exec_lo, s4
                                        ; implicit-def: $vgpr3
.LBB14_2029:
	s_and_not1_saveexec_b32 s3, s3
; %bb.2030:
	v_mov_b32_e32 v2, 0x7f
	v_cmp_lt_u32_e32 vcc_lo, 0x7f800000, v3
	s_delay_alu instid0(VALU_DEP_2)
	v_cndmask_b32_e32 v2, 0x7c, v2, vcc_lo
; %bb.2031:
	s_or_b32 exec_lo, exec_lo, s3
	v_lshrrev_b32_e32 v3, 24, v6
	s_delay_alu instid0(VALU_DEP_1)
	v_and_or_b32 v2, 0x80, v3, v2
	global_store_b8 v[0:1], v2, off
.LBB14_2032:
	s_mov_b32 s3, 0
.LBB14_2033:
	s_delay_alu instid0(SALU_CYCLE_1)
	s_and_not1_b32 vcc_lo, exec_lo, s3
	s_mov_b32 s3, 0
	s_cbranch_vccnz .LBB14_2040
; %bb.2034:
	s_cmp_gt_i32 s2, 14
	s_mov_b32 s3, -1
	s_cbranch_scc0 .LBB14_2038
; %bb.2035:
	s_cmp_eq_u32 s2, 15
	s_mov_b32 s0, -1
	s_cbranch_scc0 .LBB14_2037
; %bb.2036:
	s_wait_xcnt 0x0
	v_bfe_u32 v2, v6, 16, 1
	v_cmp_o_f32_e32 vcc_lo, v6, v6
	s_mov_b32 s0, 0
	s_delay_alu instid0(VALU_DEP_2) | instskip(NEXT) | instid1(VALU_DEP_1)
	v_add3_u32 v2, v6, v2, 0x7fff
	v_lshrrev_b32_e32 v2, 16, v2
	s_delay_alu instid0(VALU_DEP_1)
	v_cndmask_b32_e32 v2, 0x7fc0, v2, vcc_lo
	global_store_b16 v[0:1], v2, off
.LBB14_2037:
	s_mov_b32 s3, 0
.LBB14_2038:
	s_delay_alu instid0(SALU_CYCLE_1)
	s_and_b32 vcc_lo, exec_lo, s3
	s_mov_b32 s3, 0
	s_cbranch_vccz .LBB14_2040
; %bb.2039:
	s_cmp_lg_u32 s2, 11
	s_mov_b32 s3, -1
	s_cselect_b32 s0, -1, 0
.LBB14_2040:
	s_delay_alu instid0(SALU_CYCLE_1)
	s_and_b32 vcc_lo, exec_lo, s0
	s_cbranch_vccnz .LBB14_2062
.LBB14_2041:
	s_mov_b32 s0, 0
	s_branch .LBB14_1643
.LBB14_2042:
	s_mov_b32 s0, 0
	s_mov_b32 s3, 0
                                        ; implicit-def: $sgpr14
                                        ; implicit-def: $vgpr0_vgpr1
	s_branch .LBB14_1643
.LBB14_2043:
	s_mov_b32 s3, 0
	s_mov_b32 s0, -1
	s_branch .LBB14_1643
.LBB14_2044:
	s_or_b32 s1, s1, exec_lo
	s_trap 2
	s_cbranch_execz .LBB14_1510
	s_branch .LBB14_1511
.LBB14_2045:
	s_and_not1_saveexec_b32 s9, s9
	s_cbranch_execz .LBB14_1592
.LBB14_2046:
	v_add_f32_e64 v1, 0x46000000, |v0|
	s_and_not1_b32 s7, s7, exec_lo
	s_delay_alu instid0(VALU_DEP_1) | instskip(NEXT) | instid1(VALU_DEP_1)
	v_and_b32_e32 v1, 0xff, v1
	v_cmp_ne_u32_e32 vcc_lo, 0, v1
	s_and_b32 s10, vcc_lo, exec_lo
	s_delay_alu instid0(SALU_CYCLE_1)
	s_or_b32 s7, s7, s10
	s_or_b32 exec_lo, exec_lo, s9
	v_mov_b32_e32 v3, 0
	s_and_saveexec_b32 s9, s7
	s_cbranch_execnz .LBB14_1593
	s_branch .LBB14_1594
.LBB14_2047:
	s_or_b32 s1, s1, exec_lo
	s_trap 2
	s_cbranch_execz .LBB14_1640
	s_branch .LBB14_1641
.LBB14_2048:
	s_and_not1_saveexec_b32 s7, s7
	s_cbranch_execz .LBB14_1605
.LBB14_2049:
	v_add_f32_e64 v1, 0x42800000, |v0|
	s_and_not1_b32 s6, s6, exec_lo
	s_delay_alu instid0(VALU_DEP_1) | instskip(NEXT) | instid1(VALU_DEP_1)
	v_and_b32_e32 v1, 0xff, v1
	v_cmp_ne_u32_e32 vcc_lo, 0, v1
	s_and_b32 s9, vcc_lo, exec_lo
	s_delay_alu instid0(SALU_CYCLE_1)
	s_or_b32 s6, s6, s9
	s_or_b32 exec_lo, exec_lo, s7
	v_mov_b32_e32 v3, 0
	s_and_saveexec_b32 s7, s6
	s_cbranch_execnz .LBB14_1606
	s_branch .LBB14_1607
.LBB14_2050:
	s_and_not1_saveexec_b32 s9, s9
	s_cbranch_execz .LBB14_1756
.LBB14_2051:
	v_add_f32_e64 v1, 0x46000000, |v2|
	s_and_not1_b32 s8, s8, exec_lo
	s_delay_alu instid0(VALU_DEP_1) | instskip(NEXT) | instid1(VALU_DEP_1)
	v_and_b32_e32 v1, 0xff, v1
	v_cmp_ne_u32_e32 vcc_lo, 0, v1
	s_and_b32 s10, vcc_lo, exec_lo
	s_delay_alu instid0(SALU_CYCLE_1)
	s_or_b32 s8, s8, s10
	s_or_b32 exec_lo, exec_lo, s9
	v_mov_b32_e32 v3, 0
	s_and_saveexec_b32 s9, s8
	s_cbranch_execnz .LBB14_1757
	s_branch .LBB14_1758
.LBB14_2052:
	s_or_b32 s1, s1, exec_lo
	s_trap 2
	s_cbranch_execz .LBB14_1804
	s_branch .LBB14_1805
.LBB14_2053:
	s_and_not1_saveexec_b32 s8, s8
	s_cbranch_execz .LBB14_1769
.LBB14_2054:
	v_add_f32_e64 v1, 0x42800000, |v2|
	s_and_not1_b32 s7, s7, exec_lo
	s_delay_alu instid0(VALU_DEP_1) | instskip(NEXT) | instid1(VALU_DEP_1)
	v_and_b32_e32 v1, 0xff, v1
	v_cmp_ne_u32_e32 vcc_lo, 0, v1
	s_and_b32 s9, vcc_lo, exec_lo
	s_delay_alu instid0(SALU_CYCLE_1)
	s_or_b32 s7, s7, s9
	s_or_b32 exec_lo, exec_lo, s8
	v_mov_b32_e32 v3, 0
	s_and_saveexec_b32 s8, s7
	s_cbranch_execnz .LBB14_1770
	s_branch .LBB14_1771
.LBB14_2055:
	s_and_not1_saveexec_b32 s9, s9
	s_cbranch_execz .LBB14_1875
.LBB14_2056:
	v_add_f32_e64 v1, 0x46000000, |v4|
	s_and_not1_b32 s8, s8, exec_lo
	s_delay_alu instid0(VALU_DEP_1) | instskip(NEXT) | instid1(VALU_DEP_1)
	v_and_b32_e32 v1, 0xff, v1
	v_cmp_ne_u32_e32 vcc_lo, 0, v1
	s_and_b32 s10, vcc_lo, exec_lo
	s_delay_alu instid0(SALU_CYCLE_1)
	s_or_b32 s8, s8, s10
	s_or_b32 exec_lo, exec_lo, s9
	v_mov_b32_e32 v5, 0
	s_and_saveexec_b32 s9, s8
	s_cbranch_execnz .LBB14_1876
	s_branch .LBB14_1877
.LBB14_2057:
	s_or_b32 s1, s1, exec_lo
	s_trap 2
	s_cbranch_execz .LBB14_1923
	s_branch .LBB14_1924
.LBB14_2058:
	s_and_not1_saveexec_b32 s8, s8
	s_cbranch_execz .LBB14_1888
.LBB14_2059:
	v_add_f32_e64 v1, 0x42800000, |v4|
	s_and_not1_b32 s7, s7, exec_lo
	s_delay_alu instid0(VALU_DEP_1) | instskip(NEXT) | instid1(VALU_DEP_1)
	v_and_b32_e32 v1, 0xff, v1
	v_cmp_ne_u32_e32 vcc_lo, 0, v1
	s_and_b32 s9, vcc_lo, exec_lo
	s_delay_alu instid0(SALU_CYCLE_1)
	s_or_b32 s7, s7, s9
	s_or_b32 exec_lo, exec_lo, s8
	v_mov_b32_e32 v5, 0
	s_and_saveexec_b32 s8, s7
	s_cbranch_execnz .LBB14_1889
	s_branch .LBB14_1890
.LBB14_2060:
	s_and_not1_saveexec_b32 s6, s6
	s_cbranch_execz .LBB14_1995
.LBB14_2061:
	v_add_f32_e64 v2, 0x46000000, |v6|
	s_and_not1_b32 s5, s5, exec_lo
	s_delay_alu instid0(VALU_DEP_1) | instskip(NEXT) | instid1(VALU_DEP_1)
	v_and_b32_e32 v2, 0xff, v2
	v_cmp_ne_u32_e32 vcc_lo, 0, v2
	s_and_b32 s7, vcc_lo, exec_lo
	s_delay_alu instid0(SALU_CYCLE_1)
	s_or_b32 s5, s5, s7
	s_or_b32 exec_lo, exec_lo, s6
	v_mov_b32_e32 v3, 0
	s_and_saveexec_b32 s6, s5
	s_cbranch_execnz .LBB14_1996
	s_branch .LBB14_1997
.LBB14_2062:
	s_mov_b32 s3, 0
	s_or_b32 s1, s1, exec_lo
	s_trap 2
	s_branch .LBB14_2041
.LBB14_2063:
	s_and_not1_saveexec_b32 s5, s5
	s_cbranch_execz .LBB14_2007
.LBB14_2064:
	v_add_f32_e64 v2, 0x42800000, |v6|
	s_and_not1_b32 s4, s4, exec_lo
	s_delay_alu instid0(VALU_DEP_1) | instskip(NEXT) | instid1(VALU_DEP_1)
	v_and_b32_e32 v2, 0xff, v2
	v_cmp_ne_u32_e32 vcc_lo, 0, v2
	s_and_b32 s6, vcc_lo, exec_lo
	s_delay_alu instid0(SALU_CYCLE_1)
	s_or_b32 s4, s4, s6
	s_or_b32 exec_lo, exec_lo, s5
	v_mov_b32_e32 v3, 0
	s_and_saveexec_b32 s5, s4
	s_cbranch_execnz .LBB14_2008
	s_branch .LBB14_2009
	.section	.rodata,"a",@progbits
	.p2align	6, 0x0
	.amdhsa_kernel _ZN2at6native32elementwise_kernel_manual_unrollILi128ELi4EZNS0_15gpu_kernel_implIZZZNS0_12_GLOBAL__N_115softplus_kernelERNS_18TensorIteratorBaseERKN3c106ScalarES9_ENKUlvE_clEvENKUlvE0_clEvEUlfE_EEvS5_RKT_EUlibE_EEviT1_
		.amdhsa_group_segment_fixed_size 0
		.amdhsa_private_segment_fixed_size 0
		.amdhsa_kernarg_size 48
		.amdhsa_user_sgpr_count 2
		.amdhsa_user_sgpr_dispatch_ptr 0
		.amdhsa_user_sgpr_queue_ptr 0
		.amdhsa_user_sgpr_kernarg_segment_ptr 1
		.amdhsa_user_sgpr_dispatch_id 0
		.amdhsa_user_sgpr_kernarg_preload_length 0
		.amdhsa_user_sgpr_kernarg_preload_offset 0
		.amdhsa_user_sgpr_private_segment_size 0
		.amdhsa_wavefront_size32 1
		.amdhsa_uses_dynamic_stack 0
		.amdhsa_enable_private_segment 0
		.amdhsa_system_sgpr_workgroup_id_x 1
		.amdhsa_system_sgpr_workgroup_id_y 0
		.amdhsa_system_sgpr_workgroup_id_z 0
		.amdhsa_system_sgpr_workgroup_info 0
		.amdhsa_system_vgpr_workitem_id 0
		.amdhsa_next_free_vgpr 24
		.amdhsa_next_free_sgpr 28
		.amdhsa_named_barrier_count 0
		.amdhsa_reserve_vcc 1
		.amdhsa_float_round_mode_32 0
		.amdhsa_float_round_mode_16_64 0
		.amdhsa_float_denorm_mode_32 3
		.amdhsa_float_denorm_mode_16_64 3
		.amdhsa_fp16_overflow 0
		.amdhsa_memory_ordered 1
		.amdhsa_forward_progress 1
		.amdhsa_inst_pref_size 255
		.amdhsa_round_robin_scheduling 0
		.amdhsa_exception_fp_ieee_invalid_op 0
		.amdhsa_exception_fp_denorm_src 0
		.amdhsa_exception_fp_ieee_div_zero 0
		.amdhsa_exception_fp_ieee_overflow 0
		.amdhsa_exception_fp_ieee_underflow 0
		.amdhsa_exception_fp_ieee_inexact 0
		.amdhsa_exception_int_div_zero 0
	.end_amdhsa_kernel
	.section	.text._ZN2at6native32elementwise_kernel_manual_unrollILi128ELi4EZNS0_15gpu_kernel_implIZZZNS0_12_GLOBAL__N_115softplus_kernelERNS_18TensorIteratorBaseERKN3c106ScalarES9_ENKUlvE_clEvENKUlvE0_clEvEUlfE_EEvS5_RKT_EUlibE_EEviT1_,"axG",@progbits,_ZN2at6native32elementwise_kernel_manual_unrollILi128ELi4EZNS0_15gpu_kernel_implIZZZNS0_12_GLOBAL__N_115softplus_kernelERNS_18TensorIteratorBaseERKN3c106ScalarES9_ENKUlvE_clEvENKUlvE0_clEvEUlfE_EEvS5_RKT_EUlibE_EEviT1_,comdat
.Lfunc_end14:
	.size	_ZN2at6native32elementwise_kernel_manual_unrollILi128ELi4EZNS0_15gpu_kernel_implIZZZNS0_12_GLOBAL__N_115softplus_kernelERNS_18TensorIteratorBaseERKN3c106ScalarES9_ENKUlvE_clEvENKUlvE0_clEvEUlfE_EEvS5_RKT_EUlibE_EEviT1_, .Lfunc_end14-_ZN2at6native32elementwise_kernel_manual_unrollILi128ELi4EZNS0_15gpu_kernel_implIZZZNS0_12_GLOBAL__N_115softplus_kernelERNS_18TensorIteratorBaseERKN3c106ScalarES9_ENKUlvE_clEvENKUlvE0_clEvEUlfE_EEvS5_RKT_EUlibE_EEviT1_
                                        ; -- End function
	.set _ZN2at6native32elementwise_kernel_manual_unrollILi128ELi4EZNS0_15gpu_kernel_implIZZZNS0_12_GLOBAL__N_115softplus_kernelERNS_18TensorIteratorBaseERKN3c106ScalarES9_ENKUlvE_clEvENKUlvE0_clEvEUlfE_EEvS5_RKT_EUlibE_EEviT1_.num_vgpr, 24
	.set _ZN2at6native32elementwise_kernel_manual_unrollILi128ELi4EZNS0_15gpu_kernel_implIZZZNS0_12_GLOBAL__N_115softplus_kernelERNS_18TensorIteratorBaseERKN3c106ScalarES9_ENKUlvE_clEvENKUlvE0_clEvEUlfE_EEvS5_RKT_EUlibE_EEviT1_.num_agpr, 0
	.set _ZN2at6native32elementwise_kernel_manual_unrollILi128ELi4EZNS0_15gpu_kernel_implIZZZNS0_12_GLOBAL__N_115softplus_kernelERNS_18TensorIteratorBaseERKN3c106ScalarES9_ENKUlvE_clEvENKUlvE0_clEvEUlfE_EEvS5_RKT_EUlibE_EEviT1_.numbered_sgpr, 28
	.set _ZN2at6native32elementwise_kernel_manual_unrollILi128ELi4EZNS0_15gpu_kernel_implIZZZNS0_12_GLOBAL__N_115softplus_kernelERNS_18TensorIteratorBaseERKN3c106ScalarES9_ENKUlvE_clEvENKUlvE0_clEvEUlfE_EEvS5_RKT_EUlibE_EEviT1_.num_named_barrier, 0
	.set _ZN2at6native32elementwise_kernel_manual_unrollILi128ELi4EZNS0_15gpu_kernel_implIZZZNS0_12_GLOBAL__N_115softplus_kernelERNS_18TensorIteratorBaseERKN3c106ScalarES9_ENKUlvE_clEvENKUlvE0_clEvEUlfE_EEvS5_RKT_EUlibE_EEviT1_.private_seg_size, 0
	.set _ZN2at6native32elementwise_kernel_manual_unrollILi128ELi4EZNS0_15gpu_kernel_implIZZZNS0_12_GLOBAL__N_115softplus_kernelERNS_18TensorIteratorBaseERKN3c106ScalarES9_ENKUlvE_clEvENKUlvE0_clEvEUlfE_EEvS5_RKT_EUlibE_EEviT1_.uses_vcc, 1
	.set _ZN2at6native32elementwise_kernel_manual_unrollILi128ELi4EZNS0_15gpu_kernel_implIZZZNS0_12_GLOBAL__N_115softplus_kernelERNS_18TensorIteratorBaseERKN3c106ScalarES9_ENKUlvE_clEvENKUlvE0_clEvEUlfE_EEvS5_RKT_EUlibE_EEviT1_.uses_flat_scratch, 0
	.set _ZN2at6native32elementwise_kernel_manual_unrollILi128ELi4EZNS0_15gpu_kernel_implIZZZNS0_12_GLOBAL__N_115softplus_kernelERNS_18TensorIteratorBaseERKN3c106ScalarES9_ENKUlvE_clEvENKUlvE0_clEvEUlfE_EEvS5_RKT_EUlibE_EEviT1_.has_dyn_sized_stack, 0
	.set _ZN2at6native32elementwise_kernel_manual_unrollILi128ELi4EZNS0_15gpu_kernel_implIZZZNS0_12_GLOBAL__N_115softplus_kernelERNS_18TensorIteratorBaseERKN3c106ScalarES9_ENKUlvE_clEvENKUlvE0_clEvEUlfE_EEvS5_RKT_EUlibE_EEviT1_.has_recursion, 0
	.set _ZN2at6native32elementwise_kernel_manual_unrollILi128ELi4EZNS0_15gpu_kernel_implIZZZNS0_12_GLOBAL__N_115softplus_kernelERNS_18TensorIteratorBaseERKN3c106ScalarES9_ENKUlvE_clEvENKUlvE0_clEvEUlfE_EEvS5_RKT_EUlibE_EEviT1_.has_indirect_call, 0
	.section	.AMDGPU.csdata,"",@progbits
; Kernel info:
; codeLenInByte = 45388
; TotalNumSgprs: 30
; NumVgprs: 24
; ScratchSize: 0
; MemoryBound: 1
; FloatMode: 240
; IeeeMode: 1
; LDSByteSize: 0 bytes/workgroup (compile time only)
; SGPRBlocks: 0
; VGPRBlocks: 1
; NumSGPRsForWavesPerEU: 30
; NumVGPRsForWavesPerEU: 24
; NamedBarCnt: 0
; Occupancy: 16
; WaveLimiterHint : 0
; COMPUTE_PGM_RSRC2:SCRATCH_EN: 0
; COMPUTE_PGM_RSRC2:USER_SGPR: 2
; COMPUTE_PGM_RSRC2:TRAP_HANDLER: 0
; COMPUTE_PGM_RSRC2:TGID_X_EN: 1
; COMPUTE_PGM_RSRC2:TGID_Y_EN: 0
; COMPUTE_PGM_RSRC2:TGID_Z_EN: 0
; COMPUTE_PGM_RSRC2:TIDIG_COMP_CNT: 0
	.section	.text._ZN2at6native32elementwise_kernel_manual_unrollILi128ELi4EZNS0_15gpu_kernel_implIZZZNS0_12_GLOBAL__N_115softplus_kernelERNS_18TensorIteratorBaseERKN3c106ScalarES9_ENKUlvE_clEvENKUlvE0_clEvEUlfE_EEvS5_RKT_EUlibE0_EEviT1_,"axG",@progbits,_ZN2at6native32elementwise_kernel_manual_unrollILi128ELi4EZNS0_15gpu_kernel_implIZZZNS0_12_GLOBAL__N_115softplus_kernelERNS_18TensorIteratorBaseERKN3c106ScalarES9_ENKUlvE_clEvENKUlvE0_clEvEUlfE_EEvS5_RKT_EUlibE0_EEviT1_,comdat
	.globl	_ZN2at6native32elementwise_kernel_manual_unrollILi128ELi4EZNS0_15gpu_kernel_implIZZZNS0_12_GLOBAL__N_115softplus_kernelERNS_18TensorIteratorBaseERKN3c106ScalarES9_ENKUlvE_clEvENKUlvE0_clEvEUlfE_EEvS5_RKT_EUlibE0_EEviT1_ ; -- Begin function _ZN2at6native32elementwise_kernel_manual_unrollILi128ELi4EZNS0_15gpu_kernel_implIZZZNS0_12_GLOBAL__N_115softplus_kernelERNS_18TensorIteratorBaseERKN3c106ScalarES9_ENKUlvE_clEvENKUlvE0_clEvEUlfE_EEvS5_RKT_EUlibE0_EEviT1_
	.p2align	8
	.type	_ZN2at6native32elementwise_kernel_manual_unrollILi128ELi4EZNS0_15gpu_kernel_implIZZZNS0_12_GLOBAL__N_115softplus_kernelERNS_18TensorIteratorBaseERKN3c106ScalarES9_ENKUlvE_clEvENKUlvE0_clEvEUlfE_EEvS5_RKT_EUlibE0_EEviT1_,@function
_ZN2at6native32elementwise_kernel_manual_unrollILi128ELi4EZNS0_15gpu_kernel_implIZZZNS0_12_GLOBAL__N_115softplus_kernelERNS_18TensorIteratorBaseERKN3c106ScalarES9_ENKUlvE_clEvENKUlvE0_clEvEUlfE_EEvS5_RKT_EUlibE0_EEviT1_: ; @_ZN2at6native32elementwise_kernel_manual_unrollILi128ELi4EZNS0_15gpu_kernel_implIZZZNS0_12_GLOBAL__N_115softplus_kernelERNS_18TensorIteratorBaseERKN3c106ScalarES9_ENKUlvE_clEvENKUlvE0_clEvEUlfE_EEvS5_RKT_EUlibE0_EEviT1_
; %bb.0:
	s_clause 0x1
	s_load_b32 s19, s[0:1], 0x8
	s_load_b32 s38, s[0:1], 0x0
	s_bfe_u32 s2, ttmp6, 0x4000c
	s_and_b32 s3, ttmp6, 15
	s_add_co_i32 s2, s2, 1
	s_getreg_b32 s4, hwreg(HW_REG_IB_STS2, 6, 4)
	s_mul_i32 s2, ttmp9, s2
	s_mov_b32 s34, 0
	s_add_co_i32 s3, s3, s2
	s_cmp_eq_u32 s4, 0
	s_mov_b32 s27, -1
	s_cselect_b32 s2, ttmp9, s3
	s_mov_b32 s8, 0
	v_lshl_or_b32 v0, s2, 9, v0
	s_add_nc_u64 s[2:3], s[0:1], 8
	s_wait_xcnt 0x0
	s_mov_b32 s0, exec_lo
	s_delay_alu instid0(VALU_DEP_1) | instskip(SKIP_2) | instid1(SALU_CYCLE_1)
	v_or_b32_e32 v9, 0x180, v0
	s_wait_kmcnt 0x0
	s_add_co_i32 s33, s19, -1
	s_cmp_gt_u32 s33, 1
	s_cselect_b32 s35, -1, 0
	v_cmpx_le_i32_e64 s38, v9
	s_xor_b32 s36, exec_lo, s0
	s_cbranch_execz .LBB15_1104
; %bb.1:
	s_clause 0x4
	s_load_b128 s[8:11], s[2:3], 0x4
	s_load_b64 s[0:1], s[2:3], 0x14
	s_load_b96 s[16:18], s[2:3], 0x158
	s_load_b128 s[12:15], s[2:3], 0xc4
	s_load_b128 s[4:7], s[2:3], 0x148
	s_cmp_lg_u32 s19, 0
	s_mov_b32 s21, 0
	s_cselect_b32 s40, -1, 0
	s_min_u32 s39, s33, 15
	s_cmp_gt_u32 s19, 1
	s_add_nc_u64 s[24:25], s[2:3], 0xc4
	s_mov_b32 s23, s21
	s_mov_b32 s42, s21
	s_cselect_b32 s37, -1, 0
	s_mov_b32 s41, s21
	s_mov_b32 s43, exec_lo
	s_wait_kmcnt 0x0
	s_mov_b32 s20, s9
	s_mov_b32 s22, s0
	s_bfe_u32 s9, s18, 0x80008
	v_cmpx_gt_i32_e64 s38, v0
	s_cbranch_execz .LBB15_269
; %bb.2:
	s_and_not1_b32 vcc_lo, exec_lo, s35
	s_cbranch_vccnz .LBB15_8
; %bb.3:
	s_and_not1_b32 vcc_lo, exec_lo, s40
	s_cbranch_vccnz .LBB15_9
; %bb.4:
	s_add_co_i32 s0, s39, 1
	s_cmp_eq_u32 s33, 2
	s_cbranch_scc1 .LBB15_10
; %bb.5:
	v_dual_mov_b32 v4, 0 :: v_dual_mov_b32 v2, 0
	v_mov_b32_e32 v1, v0
	s_and_b32 s26, s0, 28
	s_mov_b32 s27, 0
	s_mov_b64 s[28:29], s[2:3]
	s_mov_b64 s[30:31], s[24:25]
.LBB15_6:                               ; =>This Inner Loop Header: Depth=1
	s_clause 0x1
	s_load_b256 s[44:51], s[28:29], 0x4
	s_load_b128 s[60:63], s[28:29], 0x24
	s_load_b256 s[52:59], s[30:31], 0x0
	s_add_co_i32 s27, s27, 4
	s_wait_xcnt 0x0
	s_add_nc_u64 s[28:29], s[28:29], 48
	s_cmp_lg_u32 s26, s27
	s_add_nc_u64 s[30:31], s[30:31], 32
	s_wait_kmcnt 0x0
	v_mul_hi_u32 v3, s45, v1
	s_delay_alu instid0(VALU_DEP_1) | instskip(NEXT) | instid1(VALU_DEP_1)
	v_add_nc_u32_e32 v3, v1, v3
	v_lshrrev_b32_e32 v3, s46, v3
	s_delay_alu instid0(VALU_DEP_1) | instskip(NEXT) | instid1(VALU_DEP_1)
	v_mul_hi_u32 v5, s48, v3
	v_add_nc_u32_e32 v5, v3, v5
	s_delay_alu instid0(VALU_DEP_1) | instskip(NEXT) | instid1(VALU_DEP_1)
	v_lshrrev_b32_e32 v5, s49, v5
	v_mul_hi_u32 v6, s51, v5
	s_delay_alu instid0(VALU_DEP_1) | instskip(SKIP_1) | instid1(VALU_DEP_1)
	v_add_nc_u32_e32 v6, v5, v6
	v_mul_lo_u32 v7, v3, s44
	v_sub_nc_u32_e32 v1, v1, v7
	v_mul_lo_u32 v7, v5, s47
	s_delay_alu instid0(VALU_DEP_4) | instskip(NEXT) | instid1(VALU_DEP_3)
	v_lshrrev_b32_e32 v6, s60, v6
	v_mad_u32 v2, v1, s53, v2
	v_mad_u32 v1, v1, s52, v4
	s_delay_alu instid0(VALU_DEP_4) | instskip(NEXT) | instid1(VALU_DEP_4)
	v_sub_nc_u32_e32 v3, v3, v7
	v_mul_hi_u32 v8, s62, v6
	v_mul_lo_u32 v4, v6, s50
	s_delay_alu instid0(VALU_DEP_3) | instskip(SKIP_1) | instid1(VALU_DEP_4)
	v_mad_u32 v2, v3, s55, v2
	v_mad_u32 v3, v3, s54, v1
	v_add_nc_u32_e32 v7, v6, v8
	s_delay_alu instid0(VALU_DEP_1) | instskip(NEXT) | instid1(VALU_DEP_1)
	v_dual_sub_nc_u32 v4, v5, v4 :: v_dual_lshrrev_b32 v1, s63, v7
	v_mad_u32 v2, v4, s57, v2
	s_delay_alu instid0(VALU_DEP_4) | instskip(NEXT) | instid1(VALU_DEP_3)
	v_mad_u32 v3, v4, s56, v3
	v_mul_lo_u32 v5, v1, s61
	s_delay_alu instid0(VALU_DEP_1) | instskip(NEXT) | instid1(VALU_DEP_1)
	v_sub_nc_u32_e32 v4, v6, v5
	v_mad_u32 v2, v4, s59, v2
	s_delay_alu instid0(VALU_DEP_4)
	v_mad_u32 v4, v4, s58, v3
	s_cbranch_scc1 .LBB15_6
; %bb.7:
	s_delay_alu instid0(VALU_DEP_2)
	v_mov_b32_e32 v5, v2
	s_and_b32 s0, s0, 3
	s_mov_b32 s27, 0
	s_cmp_eq_u32 s0, 0
	s_cbranch_scc0 .LBB15_11
	s_branch .LBB15_14
.LBB15_8:
                                        ; implicit-def: $vgpr2
                                        ; implicit-def: $vgpr4
	s_branch .LBB15_15
.LBB15_9:
	v_dual_mov_b32 v2, 0 :: v_dual_mov_b32 v4, 0
	s_branch .LBB15_14
.LBB15_10:
	v_mov_b64_e32 v[4:5], 0
	v_mov_b32_e32 v1, v0
	s_mov_b32 s26, 0
                                        ; implicit-def: $vgpr2
	s_and_b32 s0, s0, 3
	s_mov_b32 s27, 0
	s_cmp_eq_u32 s0, 0
	s_cbranch_scc1 .LBB15_14
.LBB15_11:
	s_lshl_b32 s28, s26, 3
	s_mov_b32 s29, s27
	s_mul_u64 s[30:31], s[26:27], 12
	s_add_nc_u64 s[28:29], s[2:3], s[28:29]
	s_delay_alu instid0(SALU_CYCLE_1)
	s_add_nc_u64 s[26:27], s[28:29], 0xc4
	s_add_nc_u64 s[28:29], s[2:3], s[30:31]
.LBB15_12:                              ; =>This Inner Loop Header: Depth=1
	s_load_b96 s[44:46], s[28:29], 0x4
	s_load_b64 s[30:31], s[26:27], 0x0
	s_add_co_i32 s0, s0, -1
	s_wait_xcnt 0x0
	s_add_nc_u64 s[28:29], s[28:29], 12
	s_cmp_lg_u32 s0, 0
	s_add_nc_u64 s[26:27], s[26:27], 8
	s_wait_kmcnt 0x0
	v_mul_hi_u32 v2, s45, v1
	s_delay_alu instid0(VALU_DEP_1) | instskip(NEXT) | instid1(VALU_DEP_1)
	v_add_nc_u32_e32 v2, v1, v2
	v_lshrrev_b32_e32 v2, s46, v2
	s_delay_alu instid0(VALU_DEP_1) | instskip(NEXT) | instid1(VALU_DEP_1)
	v_mul_lo_u32 v3, v2, s44
	v_sub_nc_u32_e32 v1, v1, v3
	s_delay_alu instid0(VALU_DEP_1)
	v_mad_u32 v5, v1, s31, v5
	v_mad_u32 v4, v1, s30, v4
	v_mov_b32_e32 v1, v2
	s_cbranch_scc1 .LBB15_12
; %bb.13:
	s_delay_alu instid0(VALU_DEP_3)
	v_mov_b32_e32 v2, v5
.LBB15_14:
	s_cbranch_execnz .LBB15_17
.LBB15_15:
	v_mov_b32_e32 v1, 0
	s_and_not1_b32 vcc_lo, exec_lo, s37
	s_delay_alu instid0(VALU_DEP_1) | instskip(NEXT) | instid1(VALU_DEP_1)
	v_mul_u64_e32 v[2:3], s[20:21], v[0:1]
	v_add_nc_u32_e32 v2, v0, v3
	s_delay_alu instid0(VALU_DEP_1) | instskip(NEXT) | instid1(VALU_DEP_1)
	v_lshrrev_b32_e32 v6, s10, v2
	v_mul_lo_u32 v2, v6, s8
	s_delay_alu instid0(VALU_DEP_1) | instskip(NEXT) | instid1(VALU_DEP_1)
	v_sub_nc_u32_e32 v3, v0, v2
	v_mul_lo_u32 v2, v3, s13
	v_mul_lo_u32 v4, v3, s12
	s_cbranch_vccnz .LBB15_17
; %bb.16:
	v_mov_b32_e32 v7, v1
	s_delay_alu instid0(VALU_DEP_1) | instskip(NEXT) | instid1(VALU_DEP_1)
	v_mul_u64_e32 v[8:9], s[22:23], v[6:7]
	v_add_nc_u32_e32 v1, v6, v9
	s_delay_alu instid0(VALU_DEP_1) | instskip(NEXT) | instid1(VALU_DEP_1)
	v_lshrrev_b32_e32 v1, s1, v1
	v_mul_lo_u32 v1, v1, s11
	s_delay_alu instid0(VALU_DEP_1) | instskip(NEXT) | instid1(VALU_DEP_1)
	v_sub_nc_u32_e32 v1, v6, v1
	v_mad_u32 v4, v1, s14, v4
	v_mad_u32 v2, v1, s15, v2
.LBB15_17:
	v_mov_b32_e32 v3, 0
	s_and_b32 s0, 0xffff, s9
	s_delay_alu instid0(SALU_CYCLE_1) | instskip(NEXT) | instid1(VALU_DEP_1)
	s_cmp_lt_i32 s0, 11
	v_add_nc_u64_e32 v[6:7], s[6:7], v[2:3]
	s_cbranch_scc1 .LBB15_24
; %bb.18:
	s_cmp_gt_i32 s0, 25
	s_cbranch_scc0 .LBB15_35
; %bb.19:
	s_cmp_gt_i32 s0, 28
	s_cbranch_scc0 .LBB15_38
	;; [unrolled: 3-line block ×4, first 2 shown]
; %bb.22:
	s_cmp_eq_u32 s0, 46
	s_mov_b32 s28, 0
	s_cbranch_scc0 .LBB15_44
; %bb.23:
	global_load_b32 v1, v[6:7], off
	s_mov_b32 s27, -1
	s_mov_b32 s26, 0
	s_wait_loadcnt 0x0
	v_lshlrev_b32_e32 v2, 16, v1
	s_branch .LBB15_46
.LBB15_24:
	s_mov_b32 s26, 0
	s_mov_b32 s27, 0
                                        ; implicit-def: $vgpr2
	s_cbranch_execnz .LBB15_219
.LBB15_25:
	s_and_not1_b32 vcc_lo, exec_lo, s27
	s_cbranch_vccnz .LBB15_266
.LBB15_26:
	s_wait_loadcnt 0x0
	s_delay_alu instid0(VALU_DEP_1) | instskip(SKIP_1) | instid1(VALU_DEP_1)
	v_mul_f32_e32 v1, s16, v2
	s_mov_b32 s0, exec_lo
	v_cmpx_nlt_f32_e32 s17, v1
	s_cbranch_execz .LBB15_28
; %bb.27:
	v_mul_f32_e32 v2, 0x3fb8aa3b, v1
	v_cmp_ngt_f32_e32 vcc_lo, 0xc2ce8ed0, v1
	s_mov_b32 s27, 0x3e9b6dac
	s_delay_alu instid0(VALU_DEP_2) | instskip(SKIP_1) | instid1(VALU_DEP_1)
	v_rndne_f32_e32 v3, v2
	v_fma_f32 v5, 0x3fb8aa3b, v1, -v2
	v_dual_sub_f32 v2, v2, v3 :: v_dual_fmamk_f32 v5, v1, 0x32a5705f, v5
	v_cvt_i32_f32_e32 v3, v3
	s_delay_alu instid0(VALU_DEP_2) | instskip(NEXT) | instid1(VALU_DEP_1)
	v_add_f32_e32 v2, v2, v5
	v_exp_f32_e32 v2, v2
	v_nop
	s_delay_alu instid0(TRANS32_DEP_1) | instskip(NEXT) | instid1(VALU_DEP_1)
	v_ldexp_f32 v2, v2, v3
	v_cndmask_b32_e32 v2, 0, v2, vcc_lo
	v_cmp_nlt_f32_e32 vcc_lo, 0x42b17218, v1
	s_delay_alu instid0(VALU_DEP_2) | instskip(NEXT) | instid1(VALU_DEP_1)
	v_cndmask_b32_e32 v5, 0x7f800000, v2, vcc_lo
	v_add_f32_e32 v1, 1.0, v5
	s_delay_alu instid0(VALU_DEP_1) | instskip(NEXT) | instid1(VALU_DEP_1)
	v_cvt_f64_f32_e32 v[2:3], v1
	v_frexp_exp_i32_f64_e32 v2, v[2:3]
	v_frexp_mant_f32_e32 v3, v1
	s_delay_alu instid0(VALU_DEP_1) | instskip(NEXT) | instid1(VALU_DEP_3)
	v_cmp_gt_f32_e32 vcc_lo, 0x3f2aaaab, v3
	v_subrev_co_ci_u32_e64 v10, null, 0, v2, vcc_lo
	v_add_f32_e32 v2, -1.0, v1
	v_cmp_neq_f32_e32 vcc_lo, 0x7f800000, v5
	s_delay_alu instid0(VALU_DEP_2) | instskip(SKIP_1) | instid1(VALU_DEP_2)
	v_dual_sub_f32 v6, v2, v1 :: v_dual_sub_nc_u32 v3, 0, v10
	v_sub_f32_e32 v2, v5, v2
	v_ldexp_f32 v1, v1, v3
	s_delay_alu instid0(VALU_DEP_1) | instskip(NEXT) | instid1(VALU_DEP_1)
	v_dual_add_f32 v6, 1.0, v6 :: v_dual_add_f32 v9, -1.0, v1
	v_dual_add_f32 v7, 1.0, v1 :: v_dual_add_f32 v2, v2, v6
	s_delay_alu instid0(VALU_DEP_1) | instskip(NEXT) | instid1(VALU_DEP_2)
	v_add_f32_e32 v6, -1.0, v7
	v_ldexp_f32 v2, v2, v3
	s_delay_alu instid0(VALU_DEP_2) | instskip(NEXT) | instid1(VALU_DEP_1)
	v_dual_sub_f32 v3, v1, v6 :: v_dual_add_f32 v6, 1.0, v9
	v_dual_add_f32 v8, v2, v3 :: v_dual_sub_f32 v1, v1, v6
	s_delay_alu instid0(VALU_DEP_1) | instskip(NEXT) | instid1(VALU_DEP_1)
	v_dual_add_f32 v11, v7, v8 :: v_dual_add_f32 v1, v2, v1
	v_rcp_f32_e32 v12, v11
	s_delay_alu instid0(VALU_DEP_1)
	v_dual_add_f32 v3, v9, v1 :: v_dual_sub_f32 v2, v7, v11
	s_delay_alu instid0(TRANS32_DEP_1) | instid1(VALU_DEP_1)
	v_dual_sub_f32 v15, v9, v3 :: v_dual_mul_f32 v13, v3, v12
	s_delay_alu instid0(VALU_DEP_1) | instskip(NEXT) | instid1(VALU_DEP_2)
	v_dual_add_f32 v14, v8, v2 :: v_dual_add_f32 v1, v1, v15
	v_mul_f32_e32 v6, v11, v13
	s_delay_alu instid0(VALU_DEP_1) | instskip(NEXT) | instid1(VALU_DEP_1)
	v_fma_f32 v8, v13, v11, -v6
	v_fmac_f32_e32 v8, v13, v14
	s_delay_alu instid0(VALU_DEP_1) | instskip(NEXT) | instid1(VALU_DEP_1)
	v_add_f32_e32 v2, v6, v8
	v_dual_sub_f32 v7, v3, v2 :: v_dual_mov_b32 v9, v2
	s_delay_alu instid0(VALU_DEP_1) | instskip(NEXT) | instid1(VALU_DEP_1)
	v_pk_add_f32 v[2:3], v[2:3], v[6:7] neg_lo:[0,1] neg_hi:[0,1]
	v_pk_add_f32 v[2:3], v[2:3], v[8:9] neg_lo:[0,1] neg_hi:[0,1]
	s_delay_alu instid0(VALU_DEP_1) | instskip(NEXT) | instid1(VALU_DEP_1)
	v_add_f32_e32 v1, v1, v3
	v_add_f32_e32 v1, v2, v1
	s_delay_alu instid0(VALU_DEP_1) | instskip(NEXT) | instid1(VALU_DEP_1)
	v_add_f32_e32 v3, v7, v1
	v_mul_f32_e32 v15, v12, v3
	s_delay_alu instid0(VALU_DEP_1) | instskip(NEXT) | instid1(VALU_DEP_1)
	v_mul_f32_e32 v8, v11, v15
	v_fma_f32 v6, v15, v11, -v8
	s_delay_alu instid0(VALU_DEP_1) | instskip(NEXT) | instid1(VALU_DEP_1)
	v_fmac_f32_e32 v6, v15, v14
	v_dual_add_f32 v2, v8, v6 :: v_dual_sub_f32 v11, v7, v3
	s_delay_alu instid0(VALU_DEP_1) | instskip(SKIP_1) | instid1(VALU_DEP_1)
	v_dual_mov_b32 v7, v2 :: v_dual_add_f32 v1, v1, v11
	v_sub_f32_e32 v9, v3, v2
	v_pk_add_f32 v[2:3], v[2:3], v[8:9] neg_lo:[0,1] neg_hi:[0,1]
	v_add_f32_e32 v8, v13, v15
	s_delay_alu instid0(VALU_DEP_2) | instskip(SKIP_1) | instid1(VALU_DEP_2)
	v_pk_add_f32 v[2:3], v[2:3], v[6:7] neg_lo:[0,1] neg_hi:[0,1]
	v_cvt_f32_i32_e32 v6, v10
	v_add_f32_e32 v1, v1, v3
	s_delay_alu instid0(VALU_DEP_1) | instskip(SKIP_1) | instid1(VALU_DEP_1)
	v_add_f32_e32 v1, v2, v1
	v_sub_f32_e32 v2, v8, v13
	v_dual_add_f32 v1, v9, v1 :: v_dual_sub_f32 v2, v15, v2
	s_delay_alu instid0(VALU_DEP_1) | instskip(NEXT) | instid1(VALU_DEP_1)
	v_mul_f32_e32 v1, v12, v1
	v_dual_add_f32 v1, v2, v1 :: v_dual_mov_b32 v2, 0x3f317218
	s_delay_alu instid0(VALU_DEP_1) | instskip(NEXT) | instid1(VALU_DEP_1)
	v_add_f32_e32 v9, v8, v1
	v_mul_f32_e32 v3, v9, v9
	s_delay_alu instid0(VALU_DEP_1) | instskip(SKIP_1) | instid1(VALU_DEP_2)
	v_fmaak_f32 v11, s27, v3, 0x3ecc95a3
	v_mul_f32_e32 v7, v9, v3
	v_fmaak_f32 v3, v3, v11, 0x3f2aaada
	s_delay_alu instid0(VALU_DEP_1) | instskip(NEXT) | instid1(VALU_DEP_1)
	v_pk_mul_f32 v[2:3], v[6:7], v[2:3]
	v_fma_f32 v10, 0x3f317218, v6, -v2
	s_delay_alu instid0(VALU_DEP_1) | instskip(SKIP_2) | instid1(VALU_DEP_2)
	v_fmamk_f32 v6, v6, 0xb102e308, v10
	v_ldexp_f32 v7, v9, 1
	v_sub_f32_e32 v10, v9, v8
	v_pk_add_f32 v[8:9], v[2:3], v[6:7]
	s_delay_alu instid0(VALU_DEP_1) | instskip(NEXT) | instid1(VALU_DEP_3)
	v_sub_f32_e32 v7, v9, v7
	v_dual_sub_f32 v1, v1, v10 :: v_dual_mov_b32 v10, v2
	s_delay_alu instid0(VALU_DEP_2) | instskip(NEXT) | instid1(VALU_DEP_2)
	v_sub_f32_e32 v7, v3, v7
	v_ldexp_f32 v1, v1, 1
	v_pk_add_f32 v[2:3], v[8:9], v[2:3] neg_lo:[0,1] neg_hi:[0,1]
	s_delay_alu instid0(VALU_DEP_2) | instskip(NEXT) | instid1(VALU_DEP_1)
	v_dual_add_f32 v11, v1, v7 :: v_dual_mov_b32 v7, v8
	v_pk_add_f32 v[12:13], v[8:9], v[10:11]
	s_delay_alu instid0(VALU_DEP_1) | instskip(NEXT) | instid1(VALU_DEP_1)
	v_dual_mov_b32 v18, v9 :: v_dual_mov_b32 v3, v13
	v_pk_add_f32 v[14:15], v[6:7], v[2:3]
	s_delay_alu instid0(VALU_DEP_1) | instskip(SKIP_2) | instid1(VALU_DEP_3)
	v_dual_mov_b32 v14, v13 :: v_dual_mov_b32 v10, v15
	v_pk_add_f32 v[2:3], v[6:7], v[2:3] neg_lo:[0,1] neg_hi:[0,1]
	v_mov_b32_e32 v3, v15
	v_pk_add_f32 v[16:17], v[10:11], v[8:9] neg_lo:[0,1] neg_hi:[0,1]
	v_dual_mov_b32 v9, v8 :: v_dual_mov_b32 v8, v11
	s_delay_alu instid0(VALU_DEP_2) | instskip(NEXT) | instid1(VALU_DEP_1)
	v_dual_mov_b32 v1, v16 :: v_dual_mov_b32 v19, v16
	v_pk_add_f32 v[12:13], v[12:13], v[0:1] neg_lo:[0,1] neg_hi:[0,1]
	s_delay_alu instid0(VALU_DEP_2) | instskip(SKIP_1) | instid1(VALU_DEP_2)
	v_pk_add_f32 v[6:7], v[14:15], v[18:19] neg_lo:[0,1] neg_hi:[0,1]
	v_mov_b32_e32 v12, v2
	v_pk_add_f32 v[6:7], v[8:9], v[6:7] neg_lo:[0,1] neg_hi:[0,1]
	s_delay_alu instid0(VALU_DEP_1) | instskip(NEXT) | instid1(VALU_DEP_1)
	v_pk_add_f32 v[8:9], v[12:13], v[6:7]
	v_mov_b32_e32 v12, v9
	s_delay_alu instid0(VALU_DEP_1) | instskip(NEXT) | instid1(VALU_DEP_1)
	v_pk_add_f32 v[12:13], v[8:9], v[12:13]
	v_pk_add_f32 v[10:11], v[10:11], v[12:13]
	s_delay_alu instid0(VALU_DEP_1) | instskip(NEXT) | instid1(VALU_DEP_1)
	v_mov_b32_e32 v9, v10
	v_pk_add_f32 v[14:15], v[8:9], v[2:3] neg_lo:[0,1] neg_hi:[0,1]
	s_delay_alu instid0(VALU_DEP_1) | instskip(NEXT) | instid1(VALU_DEP_1)
	v_sub_f32_e32 v1, v8, v14
	v_dual_mov_b32 v7, v12 :: v_dual_sub_f32 v1, v2, v1
	s_delay_alu instid0(VALU_DEP_1) | instskip(NEXT) | instid1(VALU_DEP_1)
	v_pk_add_f32 v[6:7], v[6:7], v[14:15] neg_lo:[0,1] neg_hi:[0,1]
	v_add_f32_e32 v1, v6, v1
	s_delay_alu instid0(VALU_DEP_1) | instskip(NEXT) | instid1(VALU_DEP_1)
	v_add_f32_e32 v1, v1, v7
	v_add_f32_e32 v1, v10, v1
	s_delay_alu instid0(VALU_DEP_1) | instskip(SKIP_1) | instid1(VALU_DEP_2)
	v_cndmask_b32_e32 v1, 0x7f800000, v1, vcc_lo
	v_cmp_gt_f32_e64 vcc_lo, 0x33800000, |v5|
	v_cndmask_b32_e32 v1, v1, v5, vcc_lo
	s_delay_alu instid0(VALU_DEP_1) | instskip(NEXT) | instid1(VALU_DEP_1)
	v_div_scale_f32 v2, null, s16, s16, v1
	v_rcp_f32_e32 v3, v2
	v_nop
	s_delay_alu instid0(TRANS32_DEP_1) | instskip(NEXT) | instid1(VALU_DEP_1)
	v_fma_f32 v5, -v2, v3, 1.0
	v_fmac_f32_e32 v3, v5, v3
	v_div_scale_f32 v5, vcc_lo, v1, s16, v1
	s_delay_alu instid0(VALU_DEP_1) | instskip(NEXT) | instid1(VALU_DEP_1)
	v_mul_f32_e32 v6, v5, v3
	v_fma_f32 v7, -v2, v6, v5
	s_delay_alu instid0(VALU_DEP_1) | instskip(NEXT) | instid1(VALU_DEP_1)
	v_fmac_f32_e32 v6, v7, v3
	v_fma_f32 v2, -v2, v6, v5
	s_delay_alu instid0(VALU_DEP_1) | instskip(NEXT) | instid1(VALU_DEP_1)
	v_div_fmas_f32 v2, v2, v3, v6
	v_div_fixup_f32 v2, v2, s16, v1
.LBB15_28:
	s_or_b32 exec_lo, exec_lo, s0
	v_mov_b32_e32 v5, 0
	s_and_b32 s27, s18, 0xff
	s_delay_alu instid0(SALU_CYCLE_1) | instskip(NEXT) | instid1(VALU_DEP_1)
	s_cmp_lt_i32 s27, 11
	v_add_nc_u64_e32 v[4:5], s[4:5], v[4:5]
	s_cbranch_scc1 .LBB15_36
; %bb.29:
	s_and_b32 s28, 0xffff, s27
	s_delay_alu instid0(SALU_CYCLE_1)
	s_cmp_gt_i32 s28, 25
	s_cbranch_scc0 .LBB15_39
; %bb.30:
	s_cmp_gt_i32 s28, 28
	s_cbranch_scc0 .LBB15_41
; %bb.31:
	;; [unrolled: 3-line block ×4, first 2 shown]
	s_mov_b32 s30, 0
	s_mov_b32 s0, -1
	s_cmp_eq_u32 s28, 46
	s_mov_b32 s29, 0
	s_cbranch_scc0 .LBB15_50
; %bb.34:
	v_bfe_u32 v1, v2, 16, 1
	v_cmp_o_f32_e32 vcc_lo, v2, v2
	s_mov_b32 s29, -1
	s_mov_b32 s0, 0
	s_delay_alu instid0(VALU_DEP_2) | instskip(NEXT) | instid1(VALU_DEP_1)
	v_add3_u32 v1, v2, v1, 0x7fff
	v_lshrrev_b32_e32 v1, 16, v1
	s_delay_alu instid0(VALU_DEP_1)
	v_cndmask_b32_e32 v1, 0x7fc0, v1, vcc_lo
	global_store_b32 v[4:5], v1, off
	s_branch .LBB15_50
.LBB15_35:
	s_mov_b32 s26, 0
	s_mov_b32 s27, 0
                                        ; implicit-def: $vgpr2
	s_cbranch_execnz .LBB15_184
	s_branch .LBB15_218
.LBB15_36:
	s_mov_b32 s0, 0
	s_mov_b32 s29, 0
	s_cbranch_execnz .LBB15_119
.LBB15_37:
	s_and_not1_b32 vcc_lo, exec_lo, s29
	s_cbranch_vccz .LBB15_157
	s_branch .LBB15_267
.LBB15_38:
	s_mov_b32 s28, -1
	s_mov_b32 s26, 0
	s_mov_b32 s27, 0
                                        ; implicit-def: $vgpr2
	s_branch .LBB15_165
.LBB15_39:
	s_mov_b32 s30, -1
	s_mov_b32 s0, 0
	s_mov_b32 s29, 0
	s_branch .LBB15_77
.LBB15_40:
	s_mov_b32 s28, -1
	s_mov_b32 s26, 0
	s_mov_b32 s27, 0
                                        ; implicit-def: $vgpr2
	s_branch .LBB15_160
.LBB15_41:
	s_mov_b32 s30, -1
	s_mov_b32 s0, 0
	s_mov_b32 s29, 0
	s_branch .LBB15_60
.LBB15_42:
	s_mov_b32 s28, -1
	s_mov_b32 s26, 0
	s_branch .LBB15_45
.LBB15_43:
	s_mov_b32 s30, -1
	s_mov_b32 s0, 0
	s_mov_b32 s29, 0
	s_branch .LBB15_56
.LBB15_44:
	s_mov_b32 s26, -1
.LBB15_45:
	s_mov_b32 s27, 0
                                        ; implicit-def: $vgpr2
.LBB15_46:
	s_and_b32 vcc_lo, exec_lo, s28
	s_cbranch_vccz .LBB15_159
; %bb.47:
	s_cmp_eq_u32 s0, 44
	s_cbranch_scc0 .LBB15_158
; %bb.48:
	global_load_u8 v1, v[6:7], off
	s_mov_b32 s26, 0
	s_mov_b32 s27, -1
	s_wait_loadcnt 0x0
	v_lshlrev_b32_e32 v2, 23, v1
	v_cmp_ne_u32_e32 vcc_lo, 0xff, v1
	s_delay_alu instid0(VALU_DEP_2) | instskip(SKIP_1) | instid1(VALU_DEP_2)
	v_cndmask_b32_e32 v2, 0x7f800001, v2, vcc_lo
	v_cmp_ne_u32_e32 vcc_lo, 0, v1
	v_cndmask_b32_e32 v2, 0x400000, v2, vcc_lo
	s_branch .LBB15_159
.LBB15_49:
	s_mov_b32 s30, -1
	s_mov_b32 s0, 0
	s_mov_b32 s29, 0
.LBB15_50:
	s_and_b32 vcc_lo, exec_lo, s30
	s_cbranch_vccz .LBB15_55
; %bb.51:
	s_cmp_eq_u32 s28, 44
	s_mov_b32 s0, -1
	s_cbranch_scc0 .LBB15_55
; %bb.52:
	v_bfe_u32 v3, v2, 23, 8
	s_wait_xcnt 0x0
	v_mov_b32_e32 v1, 0xff
	s_mov_b32 s29, exec_lo
	s_delay_alu instid0(VALU_DEP_2)
	v_cmpx_ne_u32_e32 0xff, v3
	s_cbranch_execz .LBB15_54
; %bb.53:
	v_and_b32_e32 v1, 0x400000, v2
	v_and_or_b32 v3, 0x3fffff, v2, v3
	s_delay_alu instid0(VALU_DEP_2) | instskip(NEXT) | instid1(VALU_DEP_2)
	v_cmp_ne_u32_e32 vcc_lo, 0, v1
	v_cmp_ne_u32_e64 s0, 0, v3
	v_lshrrev_b32_e32 v1, 23, v2
	s_and_b32 s0, vcc_lo, s0
	s_delay_alu instid0(SALU_CYCLE_1) | instskip(NEXT) | instid1(VALU_DEP_1)
	v_cndmask_b32_e64 v3, 0, 1, s0
	v_add_nc_u32_e32 v1, v1, v3
.LBB15_54:
	s_or_b32 exec_lo, exec_lo, s29
	s_mov_b32 s29, -1
	s_mov_b32 s0, 0
	global_store_b8 v[4:5], v1, off
.LBB15_55:
	s_mov_b32 s30, 0
.LBB15_56:
	s_delay_alu instid0(SALU_CYCLE_1)
	s_and_b32 vcc_lo, exec_lo, s30
	s_cbranch_vccz .LBB15_59
; %bb.57:
	s_cmp_eq_u32 s28, 29
	s_mov_b32 s0, -1
	s_cbranch_scc0 .LBB15_59
; %bb.58:
	s_wait_xcnt 0x0
	v_trunc_f32_e32 v1, v2
	s_mov_b32 s29, -1
	s_mov_b32 s0, 0
	s_mov_b32 s30, 0
	s_delay_alu instid0(VALU_DEP_1) | instskip(NEXT) | instid1(VALU_DEP_1)
	v_mul_f32_e32 v3, 0x2f800000, v1
	v_floor_f32_e32 v3, v3
	s_delay_alu instid0(VALU_DEP_1) | instskip(SKIP_1) | instid1(VALU_DEP_2)
	v_fmamk_f32 v1, v3, 0xcf800000, v1
	v_cvt_u32_f32_e32 v7, v3
	v_cvt_u32_f32_e32 v6, v1
	global_store_b64 v[4:5], v[6:7], off
	s_branch .LBB15_60
.LBB15_59:
	s_mov_b32 s30, 0
.LBB15_60:
	s_delay_alu instid0(SALU_CYCLE_1)
	s_and_b32 vcc_lo, exec_lo, s30
	s_cbranch_vccz .LBB15_76
; %bb.61:
	s_cmp_lt_i32 s28, 27
	s_mov_b32 s29, -1
	s_cbranch_scc1 .LBB15_67
; %bb.62:
	s_wait_xcnt 0x0
	v_cvt_u32_f32_e32 v1, v2
	s_cmp_gt_i32 s28, 27
	s_cbranch_scc0 .LBB15_64
; %bb.63:
	s_mov_b32 s29, 0
	global_store_b32 v[4:5], v1, off
.LBB15_64:
	s_and_not1_b32 vcc_lo, exec_lo, s29
	s_cbranch_vccnz .LBB15_66
; %bb.65:
	global_store_b16 v[4:5], v1, off
.LBB15_66:
	s_mov_b32 s29, 0
.LBB15_67:
	s_delay_alu instid0(SALU_CYCLE_1)
	s_and_not1_b32 vcc_lo, exec_lo, s29
	s_cbranch_vccnz .LBB15_75
; %bb.68:
	s_wait_xcnt 0x0
	v_and_b32_e32 v1, 0x7fffffff, v2
	v_mov_b32_e32 v3, 0x80
	s_mov_b32 s29, exec_lo
	s_delay_alu instid0(VALU_DEP_2)
	v_cmpx_gt_u32_e32 0x43800000, v1
	s_cbranch_execz .LBB15_74
; %bb.69:
	v_cmp_lt_u32_e32 vcc_lo, 0x3bffffff, v1
	s_mov_b32 s30, 0
                                        ; implicit-def: $vgpr1
	s_and_saveexec_b32 s31, vcc_lo
	s_delay_alu instid0(SALU_CYCLE_1)
	s_xor_b32 s31, exec_lo, s31
	s_cbranch_execz .LBB15_314
; %bb.70:
	v_bfe_u32 v1, v2, 20, 1
	s_mov_b32 s30, exec_lo
	s_delay_alu instid0(VALU_DEP_1) | instskip(NEXT) | instid1(VALU_DEP_1)
	v_add3_u32 v1, v2, v1, 0x487ffff
	v_lshrrev_b32_e32 v1, 20, v1
	s_and_not1_saveexec_b32 s31, s31
	s_cbranch_execnz .LBB15_315
.LBB15_71:
	s_or_b32 exec_lo, exec_lo, s31
	v_mov_b32_e32 v3, 0
	s_and_saveexec_b32 s31, s30
.LBB15_72:
	v_lshrrev_b32_e32 v3, 24, v2
	s_delay_alu instid0(VALU_DEP_1)
	v_and_or_b32 v3, 0x80, v3, v1
.LBB15_73:
	s_or_b32 exec_lo, exec_lo, s31
.LBB15_74:
	s_delay_alu instid0(SALU_CYCLE_1)
	s_or_b32 exec_lo, exec_lo, s29
	global_store_b8 v[4:5], v3, off
.LBB15_75:
	s_mov_b32 s29, -1
.LBB15_76:
	s_mov_b32 s30, 0
.LBB15_77:
	s_delay_alu instid0(SALU_CYCLE_1)
	s_and_b32 vcc_lo, exec_lo, s30
	s_cbranch_vccz .LBB15_118
; %bb.78:
	s_cmp_gt_i32 s28, 22
	s_mov_b32 s30, -1
	s_cbranch_scc0 .LBB15_110
; %bb.79:
	s_cmp_lt_i32 s28, 24
	s_mov_b32 s29, -1
	s_cbranch_scc1 .LBB15_99
; %bb.80:
	s_cmp_gt_i32 s28, 24
	s_cbranch_scc0 .LBB15_88
; %bb.81:
	s_wait_xcnt 0x0
	v_and_b32_e32 v1, 0x7fffffff, v2
	v_mov_b32_e32 v3, 0x80
	s_mov_b32 s29, exec_lo
	s_delay_alu instid0(VALU_DEP_2)
	v_cmpx_gt_u32_e32 0x47800000, v1
	s_cbranch_execz .LBB15_87
; %bb.82:
	v_cmp_lt_u32_e32 vcc_lo, 0x37ffffff, v1
	s_mov_b32 s30, 0
                                        ; implicit-def: $vgpr1
	s_and_saveexec_b32 s31, vcc_lo
	s_delay_alu instid0(SALU_CYCLE_1)
	s_xor_b32 s31, exec_lo, s31
	s_cbranch_execz .LBB15_318
; %bb.83:
	v_bfe_u32 v1, v2, 21, 1
	s_mov_b32 s30, exec_lo
	s_delay_alu instid0(VALU_DEP_1) | instskip(NEXT) | instid1(VALU_DEP_1)
	v_add3_u32 v1, v2, v1, 0x88fffff
	v_lshrrev_b32_e32 v1, 21, v1
	s_and_not1_saveexec_b32 s31, s31
	s_cbranch_execnz .LBB15_319
.LBB15_84:
	s_or_b32 exec_lo, exec_lo, s31
	v_mov_b32_e32 v3, 0
	s_and_saveexec_b32 s31, s30
.LBB15_85:
	v_lshrrev_b32_e32 v3, 24, v2
	s_delay_alu instid0(VALU_DEP_1)
	v_and_or_b32 v3, 0x80, v3, v1
.LBB15_86:
	s_or_b32 exec_lo, exec_lo, s31
.LBB15_87:
	s_delay_alu instid0(SALU_CYCLE_1)
	s_or_b32 exec_lo, exec_lo, s29
	s_mov_b32 s29, 0
	global_store_b8 v[4:5], v3, off
.LBB15_88:
	s_and_b32 vcc_lo, exec_lo, s29
	s_cbranch_vccz .LBB15_98
; %bb.89:
	s_wait_xcnt 0x0
	v_and_b32_e32 v3, 0x7fffffff, v2
	s_mov_b32 s29, exec_lo
                                        ; implicit-def: $vgpr1
	s_delay_alu instid0(VALU_DEP_1)
	v_cmpx_gt_u32_e32 0x43f00000, v3
	s_xor_b32 s29, exec_lo, s29
	s_cbranch_execz .LBB15_95
; %bb.90:
	s_mov_b32 s30, exec_lo
                                        ; implicit-def: $vgpr1
	v_cmpx_lt_u32_e32 0x3c7fffff, v3
	s_xor_b32 s30, exec_lo, s30
; %bb.91:
	v_bfe_u32 v1, v2, 20, 1
	s_delay_alu instid0(VALU_DEP_1) | instskip(NEXT) | instid1(VALU_DEP_1)
	v_add3_u32 v1, v2, v1, 0x407ffff
	v_and_b32_e32 v3, 0xff00000, v1
	v_lshrrev_b32_e32 v1, 20, v1
	s_delay_alu instid0(VALU_DEP_2) | instskip(NEXT) | instid1(VALU_DEP_2)
	v_cmp_ne_u32_e32 vcc_lo, 0x7f00000, v3
	v_cndmask_b32_e32 v1, 0x7e, v1, vcc_lo
; %bb.92:
	s_and_not1_saveexec_b32 s30, s30
; %bb.93:
	v_add_f32_e64 v1, 0x46800000, |v2|
; %bb.94:
	s_or_b32 exec_lo, exec_lo, s30
                                        ; implicit-def: $vgpr3
.LBB15_95:
	s_and_not1_saveexec_b32 s29, s29
; %bb.96:
	v_mov_b32_e32 v1, 0x7f
	v_cmp_lt_u32_e32 vcc_lo, 0x7f800000, v3
	s_delay_alu instid0(VALU_DEP_2)
	v_cndmask_b32_e32 v1, 0x7e, v1, vcc_lo
; %bb.97:
	s_or_b32 exec_lo, exec_lo, s29
	v_lshrrev_b32_e32 v3, 24, v2
	s_delay_alu instid0(VALU_DEP_1)
	v_and_or_b32 v1, 0x80, v3, v1
	global_store_b8 v[4:5], v1, off
.LBB15_98:
	s_mov_b32 s29, 0
.LBB15_99:
	s_delay_alu instid0(SALU_CYCLE_1)
	s_and_not1_b32 vcc_lo, exec_lo, s29
	s_cbranch_vccnz .LBB15_109
; %bb.100:
	s_wait_xcnt 0x0
	v_and_b32_e32 v3, 0x7fffffff, v2
	s_mov_b32 s29, exec_lo
                                        ; implicit-def: $vgpr1
	s_delay_alu instid0(VALU_DEP_1)
	v_cmpx_gt_u32_e32 0x47800000, v3
	s_xor_b32 s29, exec_lo, s29
	s_cbranch_execz .LBB15_106
; %bb.101:
	s_mov_b32 s30, exec_lo
                                        ; implicit-def: $vgpr1
	v_cmpx_lt_u32_e32 0x387fffff, v3
	s_xor_b32 s30, exec_lo, s30
; %bb.102:
	v_bfe_u32 v1, v2, 21, 1
	s_delay_alu instid0(VALU_DEP_1) | instskip(NEXT) | instid1(VALU_DEP_1)
	v_add3_u32 v1, v2, v1, 0x80fffff
	v_lshrrev_b32_e32 v1, 21, v1
; %bb.103:
	s_and_not1_saveexec_b32 s30, s30
; %bb.104:
	v_add_f32_e64 v1, 0x43000000, |v2|
; %bb.105:
	s_or_b32 exec_lo, exec_lo, s30
                                        ; implicit-def: $vgpr3
.LBB15_106:
	s_and_not1_saveexec_b32 s29, s29
; %bb.107:
	v_mov_b32_e32 v1, 0x7f
	v_cmp_lt_u32_e32 vcc_lo, 0x7f800000, v3
	s_delay_alu instid0(VALU_DEP_2)
	v_cndmask_b32_e32 v1, 0x7c, v1, vcc_lo
; %bb.108:
	s_or_b32 exec_lo, exec_lo, s29
	v_lshrrev_b32_e32 v3, 24, v2
	s_delay_alu instid0(VALU_DEP_1)
	v_and_or_b32 v1, 0x80, v3, v1
	global_store_b8 v[4:5], v1, off
.LBB15_109:
	s_mov_b32 s30, 0
	s_mov_b32 s29, -1
.LBB15_110:
	s_and_not1_b32 vcc_lo, exec_lo, s30
	s_cbranch_vccnz .LBB15_118
; %bb.111:
	s_cmp_gt_i32 s28, 14
	s_mov_b32 s30, -1
	s_cbranch_scc0 .LBB15_115
; %bb.112:
	s_cmp_eq_u32 s28, 15
	s_mov_b32 s0, -1
	s_cbranch_scc0 .LBB15_114
; %bb.113:
	s_wait_xcnt 0x0
	v_bfe_u32 v1, v2, 16, 1
	v_cmp_o_f32_e32 vcc_lo, v2, v2
	s_mov_b32 s29, -1
	s_mov_b32 s0, 0
	s_delay_alu instid0(VALU_DEP_2) | instskip(NEXT) | instid1(VALU_DEP_1)
	v_add3_u32 v1, v2, v1, 0x7fff
	v_lshrrev_b32_e32 v1, 16, v1
	s_delay_alu instid0(VALU_DEP_1)
	v_cndmask_b32_e32 v1, 0x7fc0, v1, vcc_lo
	global_store_b16 v[4:5], v1, off
.LBB15_114:
	s_mov_b32 s30, 0
.LBB15_115:
	s_delay_alu instid0(SALU_CYCLE_1)
	s_and_b32 vcc_lo, exec_lo, s30
	s_cbranch_vccz .LBB15_118
; %bb.116:
	s_cmp_eq_u32 s28, 11
	s_mov_b32 s0, -1
	s_cbranch_scc0 .LBB15_118
; %bb.117:
	v_cmp_neq_f32_e32 vcc_lo, 0, v2
	s_mov_b32 s0, 0
	s_mov_b32 s29, -1
	s_wait_xcnt 0x0
	v_cndmask_b32_e64 v1, 0, 1, vcc_lo
	global_store_b8 v[4:5], v1, off
.LBB15_118:
	s_branch .LBB15_37
.LBB15_119:
	s_and_b32 s27, 0xffff, s27
	s_mov_b32 s28, -1
	s_cmp_lt_i32 s27, 5
	s_cbranch_scc1 .LBB15_140
; %bb.120:
	s_cmp_lt_i32 s27, 8
	s_cbranch_scc1 .LBB15_130
; %bb.121:
	;; [unrolled: 3-line block ×3, first 2 shown]
	s_cmp_gt_i32 s27, 9
	s_cbranch_scc0 .LBB15_124
; %bb.123:
	s_wait_xcnt 0x0
	v_cvt_f64_f32_e32 v[6:7], v2
	v_mov_b32_e32 v8, 0
	s_mov_b32 s28, 0
	s_delay_alu instid0(VALU_DEP_1)
	v_mov_b32_e32 v9, v8
	global_store_b128 v[4:5], v[6:9], off
.LBB15_124:
	s_and_not1_b32 vcc_lo, exec_lo, s28
	s_cbranch_vccnz .LBB15_126
; %bb.125:
	s_wait_xcnt 0x0
	v_mov_b32_e32 v3, 0
	global_store_b64 v[4:5], v[2:3], off
.LBB15_126:
	s_mov_b32 s28, 0
.LBB15_127:
	s_delay_alu instid0(SALU_CYCLE_1)
	s_and_not1_b32 vcc_lo, exec_lo, s28
	s_cbranch_vccnz .LBB15_129
; %bb.128:
	s_wait_xcnt 0x0
	v_cvt_f16_f32_e32 v1, v2
	s_delay_alu instid0(VALU_DEP_1)
	v_and_b32_e32 v1, 0xffff, v1
	global_store_b32 v[4:5], v1, off
.LBB15_129:
	s_mov_b32 s28, 0
.LBB15_130:
	s_delay_alu instid0(SALU_CYCLE_1)
	s_and_not1_b32 vcc_lo, exec_lo, s28
	s_cbranch_vccnz .LBB15_139
; %bb.131:
	s_cmp_lt_i32 s27, 6
	s_mov_b32 s28, -1
	s_cbranch_scc1 .LBB15_137
; %bb.132:
	s_cmp_gt_i32 s27, 6
	s_cbranch_scc0 .LBB15_134
; %bb.133:
	s_wait_xcnt 0x0
	v_cvt_f64_f32_e32 v[6:7], v2
	s_mov_b32 s28, 0
	global_store_b64 v[4:5], v[6:7], off
.LBB15_134:
	s_and_not1_b32 vcc_lo, exec_lo, s28
	s_cbranch_vccnz .LBB15_136
; %bb.135:
	global_store_b32 v[4:5], v2, off
.LBB15_136:
	s_mov_b32 s28, 0
.LBB15_137:
	s_delay_alu instid0(SALU_CYCLE_1)
	s_and_not1_b32 vcc_lo, exec_lo, s28
	s_cbranch_vccnz .LBB15_139
; %bb.138:
	s_wait_xcnt 0x0
	v_cvt_f16_f32_e32 v1, v2
	global_store_b16 v[4:5], v1, off
.LBB15_139:
	s_mov_b32 s28, 0
.LBB15_140:
	s_delay_alu instid0(SALU_CYCLE_1)
	s_and_not1_b32 vcc_lo, exec_lo, s28
	s_cbranch_vccnz .LBB15_156
; %bb.141:
	s_cmp_lt_i32 s27, 2
	s_mov_b32 s28, -1
	s_cbranch_scc1 .LBB15_151
; %bb.142:
	s_cmp_lt_i32 s27, 3
	s_cbranch_scc1 .LBB15_148
; %bb.143:
	s_cmp_gt_i32 s27, 3
	s_cbranch_scc0 .LBB15_145
; %bb.144:
	s_wait_xcnt 0x0
	v_trunc_f32_e32 v1, v2
	s_mov_b32 s28, 0
	s_delay_alu instid0(VALU_DEP_1) | instskip(SKIP_1) | instid1(VALU_DEP_2)
	v_mul_f32_e64 v3, 0x2f800000, |v1|
	v_ashrrev_i32_e32 v6, 31, v1
	v_floor_f32_e32 v3, v3
	s_delay_alu instid0(VALU_DEP_1) | instskip(SKIP_1) | instid1(VALU_DEP_2)
	v_fma_f32 v7, 0xcf800000, v3, |v1|
	v_cvt_u32_f32_e32 v1, v3
	v_cvt_u32_f32_e32 v3, v7
	s_delay_alu instid0(VALU_DEP_2) | instskip(NEXT) | instid1(VALU_DEP_2)
	v_dual_mov_b32 v7, v6 :: v_dual_bitop2_b32 v9, v1, v6 bitop3:0x14
	v_xor_b32_e32 v8, v3, v6
	s_delay_alu instid0(VALU_DEP_1)
	v_sub_nc_u64_e32 v[6:7], v[8:9], v[6:7]
	global_store_b64 v[4:5], v[6:7], off
.LBB15_145:
	s_and_not1_b32 vcc_lo, exec_lo, s28
	s_cbranch_vccnz .LBB15_147
; %bb.146:
	s_wait_xcnt 0x0
	v_cvt_i32_f32_e32 v1, v2
	global_store_b32 v[4:5], v1, off
.LBB15_147:
	s_mov_b32 s28, 0
.LBB15_148:
	s_delay_alu instid0(SALU_CYCLE_1)
	s_and_not1_b32 vcc_lo, exec_lo, s28
	s_cbranch_vccnz .LBB15_150
; %bb.149:
	s_wait_xcnt 0x0
	v_cvt_i32_f32_e32 v1, v2
	global_store_b16 v[4:5], v1, off
.LBB15_150:
	s_mov_b32 s28, 0
.LBB15_151:
	s_delay_alu instid0(SALU_CYCLE_1)
	s_and_not1_b32 vcc_lo, exec_lo, s28
	s_cbranch_vccnz .LBB15_156
; %bb.152:
	s_cmp_gt_i32 s27, 0
	s_mov_b32 s27, -1
	s_cbranch_scc0 .LBB15_154
; %bb.153:
	s_wait_xcnt 0x0
	v_cvt_i32_f32_e32 v1, v2
	s_mov_b32 s27, 0
	global_store_b8 v[4:5], v1, off
.LBB15_154:
	s_and_not1_b32 vcc_lo, exec_lo, s27
	s_cbranch_vccnz .LBB15_156
; %bb.155:
	s_wait_xcnt 0x0
	v_trunc_f32_e32 v1, v2
	s_delay_alu instid0(VALU_DEP_1) | instskip(NEXT) | instid1(VALU_DEP_1)
	v_mul_f32_e64 v2, 0x2f800000, |v1|
	v_floor_f32_e32 v2, v2
	s_delay_alu instid0(VALU_DEP_1) | instskip(SKIP_1) | instid1(VALU_DEP_2)
	v_fma_f32 v2, 0xcf800000, v2, |v1|
	v_ashrrev_i32_e32 v1, 31, v1
	v_cvt_u32_f32_e32 v2, v2
	s_delay_alu instid0(VALU_DEP_1) | instskip(NEXT) | instid1(VALU_DEP_1)
	v_xor_b32_e32 v2, v2, v1
	v_sub_nc_u32_e32 v1, v2, v1
	global_store_b8 v[4:5], v1, off
.LBB15_156:
.LBB15_157:
	v_add_nc_u32_e32 v0, 0x80, v0
	s_mov_b32 s27, -1
	s_branch .LBB15_268
.LBB15_158:
	s_mov_b32 s26, -1
                                        ; implicit-def: $vgpr2
.LBB15_159:
	s_mov_b32 s28, 0
.LBB15_160:
	s_delay_alu instid0(SALU_CYCLE_1)
	s_and_b32 vcc_lo, exec_lo, s28
	s_cbranch_vccz .LBB15_164
; %bb.161:
	s_cmp_eq_u32 s0, 29
	s_cbranch_scc0 .LBB15_163
; %bb.162:
	global_load_b64 v[2:3], v[6:7], off
	s_mov_b32 s27, -1
	s_mov_b32 s26, 0
	s_mov_b32 s28, 0
	s_wait_loadcnt 0x0
	v_clz_i32_u32_e32 v1, v3
	s_delay_alu instid0(VALU_DEP_1) | instskip(NEXT) | instid1(VALU_DEP_1)
	v_min_u32_e32 v1, 32, v1
	v_lshlrev_b64_e32 v[2:3], v1, v[2:3]
	v_sub_nc_u32_e32 v1, 32, v1
	s_delay_alu instid0(VALU_DEP_2) | instskip(NEXT) | instid1(VALU_DEP_1)
	v_min_u32_e32 v2, 1, v2
	v_or_b32_e32 v2, v3, v2
	s_delay_alu instid0(VALU_DEP_1) | instskip(NEXT) | instid1(VALU_DEP_1)
	v_cvt_f32_u32_e32 v2, v2
	v_ldexp_f32 v2, v2, v1
	s_branch .LBB15_165
.LBB15_163:
	s_mov_b32 s26, -1
                                        ; implicit-def: $vgpr2
.LBB15_164:
	s_mov_b32 s28, 0
.LBB15_165:
	s_delay_alu instid0(SALU_CYCLE_1)
	s_and_b32 vcc_lo, exec_lo, s28
	s_cbranch_vccz .LBB15_183
; %bb.166:
	s_cmp_lt_i32 s0, 27
	s_cbranch_scc1 .LBB15_169
; %bb.167:
	s_cmp_gt_i32 s0, 27
	s_cbranch_scc0 .LBB15_170
; %bb.168:
	global_load_b32 v1, v[6:7], off
	s_mov_b32 s27, 0
	s_wait_loadcnt 0x0
	v_cvt_f32_u32_e32 v2, v1
	s_branch .LBB15_171
.LBB15_169:
	s_mov_b32 s27, -1
                                        ; implicit-def: $vgpr2
	s_branch .LBB15_174
.LBB15_170:
	s_mov_b32 s27, -1
                                        ; implicit-def: $vgpr2
.LBB15_171:
	s_delay_alu instid0(SALU_CYCLE_1)
	s_and_not1_b32 vcc_lo, exec_lo, s27
	s_cbranch_vccnz .LBB15_173
; %bb.172:
	global_load_u16 v1, v[6:7], off
	s_wait_loadcnt 0x0
	v_cvt_f32_u32_e32 v2, v1
.LBB15_173:
	s_mov_b32 s27, 0
.LBB15_174:
	s_delay_alu instid0(SALU_CYCLE_1)
	s_and_not1_b32 vcc_lo, exec_lo, s27
	s_cbranch_vccnz .LBB15_182
; %bb.175:
	global_load_u8 v1, v[6:7], off
	s_mov_b32 s27, 0
	s_mov_b32 s28, exec_lo
	s_wait_loadcnt 0x0
	v_cmpx_lt_i16_e32 0x7f, v1
	s_xor_b32 s28, exec_lo, s28
	s_cbranch_execz .LBB15_195
; %bb.176:
	s_mov_b32 s27, -1
	s_mov_b32 s29, exec_lo
	v_cmpx_eq_u16_e32 0x80, v1
; %bb.177:
	s_xor_b32 s27, exec_lo, -1
; %bb.178:
	s_or_b32 exec_lo, exec_lo, s29
	s_delay_alu instid0(SALU_CYCLE_1)
	s_and_b32 s27, s27, exec_lo
	s_or_saveexec_b32 s28, s28
	v_mov_b32_e32 v2, 0x7f800001
	s_xor_b32 exec_lo, exec_lo, s28
	s_cbranch_execnz .LBB15_196
.LBB15_179:
	s_or_b32 exec_lo, exec_lo, s28
	s_and_saveexec_b32 s28, s27
	s_cbranch_execz .LBB15_181
.LBB15_180:
	v_and_b32_e32 v2, 0xffff, v1
	s_delay_alu instid0(VALU_DEP_1) | instskip(SKIP_1) | instid1(VALU_DEP_2)
	v_and_b32_e32 v3, 7, v2
	v_bfe_u32 v9, v2, 3, 4
	v_clz_i32_u32_e32 v5, v3
	s_delay_alu instid0(VALU_DEP_2) | instskip(NEXT) | instid1(VALU_DEP_2)
	v_cmp_eq_u32_e32 vcc_lo, 0, v9
	v_min_u32_e32 v5, 32, v5
	s_delay_alu instid0(VALU_DEP_1) | instskip(NEXT) | instid1(VALU_DEP_1)
	v_subrev_nc_u32_e32 v8, 28, v5
	v_dual_lshlrev_b32 v2, v8, v2 :: v_dual_sub_nc_u32 v5, 29, v5
	s_delay_alu instid0(VALU_DEP_1) | instskip(NEXT) | instid1(VALU_DEP_1)
	v_dual_lshlrev_b32 v1, 24, v1 :: v_dual_bitop2_b32 v2, 7, v2 bitop3:0x40
	v_dual_cndmask_b32 v2, v3, v2 :: v_dual_cndmask_b32 v5, v9, v5
	s_delay_alu instid0(VALU_DEP_2) | instskip(NEXT) | instid1(VALU_DEP_2)
	v_and_b32_e32 v1, 0x80000000, v1
	v_lshlrev_b32_e32 v2, 20, v2
	s_delay_alu instid0(VALU_DEP_3) | instskip(NEXT) | instid1(VALU_DEP_1)
	v_lshl_add_u32 v3, v5, 23, 0x3b800000
	v_or3_b32 v2, v1, v3, v2
.LBB15_181:
	s_or_b32 exec_lo, exec_lo, s28
.LBB15_182:
	s_mov_b32 s27, -1
.LBB15_183:
	s_branch .LBB15_218
.LBB15_184:
	s_cmp_gt_i32 s0, 22
	s_cbranch_scc0 .LBB15_194
; %bb.185:
	s_cmp_lt_i32 s0, 24
	s_cbranch_scc1 .LBB15_197
; %bb.186:
	s_cmp_gt_i32 s0, 24
	s_cbranch_scc0 .LBB15_198
; %bb.187:
	global_load_u8 v1, v[6:7], off
	s_mov_b32 s27, 0
	s_mov_b32 s28, exec_lo
	s_wait_loadcnt 0x0
	v_cmpx_lt_i16_e32 0x7f, v1
	s_xor_b32 s28, exec_lo, s28
	s_cbranch_execz .LBB15_210
; %bb.188:
	s_mov_b32 s27, -1
	s_mov_b32 s29, exec_lo
	v_cmpx_eq_u16_e32 0x80, v1
; %bb.189:
	s_xor_b32 s27, exec_lo, -1
; %bb.190:
	s_or_b32 exec_lo, exec_lo, s29
	s_delay_alu instid0(SALU_CYCLE_1)
	s_and_b32 s27, s27, exec_lo
	s_or_saveexec_b32 s28, s28
	v_mov_b32_e32 v2, 0x7f800001
	s_xor_b32 exec_lo, exec_lo, s28
	s_cbranch_execnz .LBB15_211
.LBB15_191:
	s_or_b32 exec_lo, exec_lo, s28
	s_and_saveexec_b32 s28, s27
	s_cbranch_execz .LBB15_193
.LBB15_192:
	v_and_b32_e32 v2, 0xffff, v1
	s_delay_alu instid0(VALU_DEP_1) | instskip(SKIP_1) | instid1(VALU_DEP_2)
	v_and_b32_e32 v3, 3, v2
	v_bfe_u32 v9, v2, 2, 5
	v_clz_i32_u32_e32 v5, v3
	s_delay_alu instid0(VALU_DEP_2) | instskip(NEXT) | instid1(VALU_DEP_2)
	v_cmp_eq_u32_e32 vcc_lo, 0, v9
	v_min_u32_e32 v5, 32, v5
	s_delay_alu instid0(VALU_DEP_1) | instskip(NEXT) | instid1(VALU_DEP_1)
	v_subrev_nc_u32_e32 v8, 29, v5
	v_dual_lshlrev_b32 v2, v8, v2 :: v_dual_sub_nc_u32 v5, 30, v5
	s_delay_alu instid0(VALU_DEP_1) | instskip(NEXT) | instid1(VALU_DEP_1)
	v_dual_lshlrev_b32 v1, 24, v1 :: v_dual_bitop2_b32 v2, 3, v2 bitop3:0x40
	v_dual_cndmask_b32 v2, v3, v2 :: v_dual_cndmask_b32 v5, v9, v5
	s_delay_alu instid0(VALU_DEP_2) | instskip(NEXT) | instid1(VALU_DEP_2)
	v_and_b32_e32 v1, 0x80000000, v1
	v_lshlrev_b32_e32 v2, 21, v2
	s_delay_alu instid0(VALU_DEP_3) | instskip(NEXT) | instid1(VALU_DEP_1)
	v_lshl_add_u32 v3, v5, 23, 0x37800000
	v_or3_b32 v2, v1, v3, v2
.LBB15_193:
	s_or_b32 exec_lo, exec_lo, s28
	s_mov_b32 s27, 0
	s_branch .LBB15_199
.LBB15_194:
	s_mov_b32 s28, -1
                                        ; implicit-def: $vgpr2
	s_branch .LBB15_205
.LBB15_195:
	s_or_saveexec_b32 s28, s28
	v_mov_b32_e32 v2, 0x7f800001
	s_xor_b32 exec_lo, exec_lo, s28
	s_cbranch_execz .LBB15_179
.LBB15_196:
	v_cmp_ne_u16_e32 vcc_lo, 0, v1
	v_mov_b32_e32 v2, 0
	s_and_not1_b32 s27, s27, exec_lo
	s_and_b32 s29, vcc_lo, exec_lo
	s_delay_alu instid0(SALU_CYCLE_1)
	s_or_b32 s27, s27, s29
	s_or_b32 exec_lo, exec_lo, s28
	s_and_saveexec_b32 s28, s27
	s_cbranch_execnz .LBB15_180
	s_branch .LBB15_181
.LBB15_197:
	s_mov_b32 s27, -1
                                        ; implicit-def: $vgpr2
	s_branch .LBB15_202
.LBB15_198:
	s_mov_b32 s27, -1
                                        ; implicit-def: $vgpr2
.LBB15_199:
	s_delay_alu instid0(SALU_CYCLE_1)
	s_and_b32 vcc_lo, exec_lo, s27
	s_cbranch_vccz .LBB15_201
; %bb.200:
	global_load_u8 v1, v[6:7], off
	s_wait_loadcnt 0x0
	v_lshlrev_b32_e32 v1, 24, v1
	s_delay_alu instid0(VALU_DEP_1) | instskip(NEXT) | instid1(VALU_DEP_1)
	v_and_b32_e32 v2, 0x7f000000, v1
	v_clz_i32_u32_e32 v3, v2
	v_add_nc_u32_e32 v8, 0x1000000, v2
	v_cmp_ne_u32_e32 vcc_lo, 0, v2
	s_delay_alu instid0(VALU_DEP_3) | instskip(NEXT) | instid1(VALU_DEP_1)
	v_min_u32_e32 v3, 32, v3
	v_sub_nc_u32_e64 v3, v3, 4 clamp
	s_delay_alu instid0(VALU_DEP_1) | instskip(NEXT) | instid1(VALU_DEP_1)
	v_dual_lshlrev_b32 v5, v3, v2 :: v_dual_lshlrev_b32 v3, 23, v3
	v_lshrrev_b32_e32 v5, 4, v5
	s_delay_alu instid0(VALU_DEP_1) | instskip(NEXT) | instid1(VALU_DEP_1)
	v_dual_sub_nc_u32 v3, v5, v3 :: v_dual_ashrrev_i32 v5, 8, v8
	v_add_nc_u32_e32 v3, 0x3c000000, v3
	s_delay_alu instid0(VALU_DEP_1) | instskip(NEXT) | instid1(VALU_DEP_1)
	v_and_or_b32 v3, 0x7f800000, v5, v3
	v_cndmask_b32_e32 v2, 0, v3, vcc_lo
	s_delay_alu instid0(VALU_DEP_1)
	v_and_or_b32 v2, 0x80000000, v1, v2
.LBB15_201:
	s_mov_b32 s27, 0
.LBB15_202:
	s_delay_alu instid0(SALU_CYCLE_1)
	s_and_not1_b32 vcc_lo, exec_lo, s27
	s_cbranch_vccnz .LBB15_204
; %bb.203:
	global_load_u8 v1, v[6:7], off
	s_wait_loadcnt 0x0
	v_lshlrev_b32_e32 v2, 25, v1
	v_lshlrev_b16 v1, 8, v1
	s_delay_alu instid0(VALU_DEP_1) | instskip(NEXT) | instid1(VALU_DEP_3)
	v_and_or_b32 v5, 0x7f00, v1, 0.5
	v_lshrrev_b32_e32 v3, 4, v2
	v_bfe_i32 v1, v1, 0, 16
	s_delay_alu instid0(VALU_DEP_3) | instskip(NEXT) | instid1(VALU_DEP_3)
	v_add_f32_e32 v5, -0.5, v5
	v_or_b32_e32 v3, 0x70000000, v3
	s_delay_alu instid0(VALU_DEP_1) | instskip(SKIP_1) | instid1(VALU_DEP_2)
	v_mul_f32_e32 v3, 0x7800000, v3
	v_cmp_gt_u32_e32 vcc_lo, 0x8000000, v2
	v_cndmask_b32_e32 v2, v3, v5, vcc_lo
	s_delay_alu instid0(VALU_DEP_1)
	v_and_or_b32 v2, 0x80000000, v1, v2
.LBB15_204:
	s_mov_b32 s28, 0
	s_mov_b32 s27, -1
.LBB15_205:
	s_and_not1_b32 vcc_lo, exec_lo, s28
	s_cbranch_vccnz .LBB15_218
; %bb.206:
	s_cmp_gt_i32 s0, 14
	s_cbranch_scc0 .LBB15_209
; %bb.207:
	s_cmp_eq_u32 s0, 15
	s_cbranch_scc0 .LBB15_212
; %bb.208:
	global_load_u16 v1, v[6:7], off
	s_mov_b32 s27, -1
	s_mov_b32 s26, 0
	s_wait_loadcnt 0x0
	v_lshlrev_b32_e32 v2, 16, v1
	s_branch .LBB15_213
.LBB15_209:
	s_mov_b32 s28, -1
                                        ; implicit-def: $vgpr2
	s_branch .LBB15_214
.LBB15_210:
	s_or_saveexec_b32 s28, s28
	v_mov_b32_e32 v2, 0x7f800001
	s_xor_b32 exec_lo, exec_lo, s28
	s_cbranch_execz .LBB15_191
.LBB15_211:
	v_cmp_ne_u16_e32 vcc_lo, 0, v1
	v_mov_b32_e32 v2, 0
	s_and_not1_b32 s27, s27, exec_lo
	s_and_b32 s29, vcc_lo, exec_lo
	s_delay_alu instid0(SALU_CYCLE_1)
	s_or_b32 s27, s27, s29
	s_or_b32 exec_lo, exec_lo, s28
	s_and_saveexec_b32 s28, s27
	s_cbranch_execnz .LBB15_192
	s_branch .LBB15_193
.LBB15_212:
	s_mov_b32 s26, -1
                                        ; implicit-def: $vgpr2
.LBB15_213:
	s_mov_b32 s28, 0
.LBB15_214:
	s_delay_alu instid0(SALU_CYCLE_1)
	s_and_b32 vcc_lo, exec_lo, s28
	s_cbranch_vccz .LBB15_218
; %bb.215:
	s_cmp_eq_u32 s0, 11
	s_cbranch_scc0 .LBB15_217
; %bb.216:
	global_load_u8 v1, v[6:7], off
	s_mov_b32 s26, 0
	s_mov_b32 s27, -1
	s_wait_loadcnt 0x0
	v_cmp_ne_u16_e32 vcc_lo, 0, v1
	v_cndmask_b32_e64 v2, 0, 1.0, vcc_lo
	s_branch .LBB15_218
.LBB15_217:
	s_mov_b32 s26, -1
                                        ; implicit-def: $vgpr2
.LBB15_218:
	s_branch .LBB15_25
.LBB15_219:
	s_cmp_lt_i32 s0, 5
	s_cbranch_scc1 .LBB15_224
; %bb.220:
	s_cmp_lt_i32 s0, 8
	s_cbranch_scc1 .LBB15_225
; %bb.221:
	;; [unrolled: 3-line block ×3, first 2 shown]
	s_cmp_gt_i32 s0, 9
	s_cbranch_scc0 .LBB15_227
; %bb.223:
	global_load_b64 v[2:3], v[6:7], off
	s_mov_b32 s27, 0
	s_wait_loadcnt 0x0
	v_cvt_f32_f64_e32 v2, v[2:3]
	s_branch .LBB15_228
.LBB15_224:
                                        ; implicit-def: $vgpr2
	s_branch .LBB15_246
.LBB15_225:
	s_mov_b32 s27, -1
                                        ; implicit-def: $vgpr2
	s_branch .LBB15_234
.LBB15_226:
	s_mov_b32 s27, -1
                                        ; implicit-def: $vgpr2
	s_branch .LBB15_231
.LBB15_227:
	s_mov_b32 s27, -1
                                        ; implicit-def: $vgpr2
.LBB15_228:
	s_delay_alu instid0(SALU_CYCLE_1)
	s_and_not1_b32 vcc_lo, exec_lo, s27
	s_cbranch_vccnz .LBB15_230
; %bb.229:
	global_load_b32 v2, v[6:7], off
.LBB15_230:
	s_mov_b32 s27, 0
.LBB15_231:
	s_delay_alu instid0(SALU_CYCLE_1)
	s_and_not1_b32 vcc_lo, exec_lo, s27
	s_cbranch_vccnz .LBB15_233
; %bb.232:
	global_load_b32 v1, v[6:7], off
	s_wait_loadcnt 0x0
	v_cvt_f32_f16_e32 v2, v1
.LBB15_233:
	s_mov_b32 s27, 0
.LBB15_234:
	s_delay_alu instid0(SALU_CYCLE_1)
	s_and_not1_b32 vcc_lo, exec_lo, s27
	s_cbranch_vccnz .LBB15_245
; %bb.235:
	s_cmp_lt_i32 s0, 6
	s_cbranch_scc1 .LBB15_238
; %bb.236:
	s_cmp_gt_i32 s0, 6
	s_cbranch_scc0 .LBB15_239
; %bb.237:
	s_wait_loadcnt 0x0
	global_load_b64 v[2:3], v[6:7], off
	s_mov_b32 s27, 0
	s_wait_loadcnt 0x0
	v_cvt_f32_f64_e32 v2, v[2:3]
	s_branch .LBB15_240
.LBB15_238:
	s_mov_b32 s27, -1
                                        ; implicit-def: $vgpr2
	s_branch .LBB15_243
.LBB15_239:
	s_mov_b32 s27, -1
                                        ; implicit-def: $vgpr2
.LBB15_240:
	s_delay_alu instid0(SALU_CYCLE_1)
	s_and_not1_b32 vcc_lo, exec_lo, s27
	s_cbranch_vccnz .LBB15_242
; %bb.241:
	s_wait_loadcnt 0x0
	global_load_b32 v2, v[6:7], off
.LBB15_242:
	s_mov_b32 s27, 0
.LBB15_243:
	s_delay_alu instid0(SALU_CYCLE_1)
	s_and_not1_b32 vcc_lo, exec_lo, s27
	s_cbranch_vccnz .LBB15_245
; %bb.244:
	global_load_u16 v1, v[6:7], off
	s_wait_loadcnt 0x0
	v_cvt_f32_f16_e32 v2, v1
.LBB15_245:
	s_cbranch_execnz .LBB15_265
.LBB15_246:
	s_cmp_lt_i32 s0, 2
	s_cbranch_scc1 .LBB15_250
; %bb.247:
	s_cmp_lt_i32 s0, 3
	s_cbranch_scc1 .LBB15_251
; %bb.248:
	s_cmp_gt_i32 s0, 3
	s_cbranch_scc0 .LBB15_252
; %bb.249:
	s_wait_loadcnt 0x0
	global_load_b64 v[2:3], v[6:7], off
	s_mov_b32 s27, 0
	s_wait_loadcnt 0x0
	v_xor_b32_e32 v1, v2, v3
	v_cls_i32_e32 v5, v3
	s_delay_alu instid0(VALU_DEP_2) | instskip(NEXT) | instid1(VALU_DEP_1)
	v_ashrrev_i32_e32 v1, 31, v1
	v_add_nc_u32_e32 v1, 32, v1
	s_delay_alu instid0(VALU_DEP_1) | instskip(NEXT) | instid1(VALU_DEP_1)
	v_add_min_u32_e64 v1, v5, -1, v1
	v_lshlrev_b64_e32 v[2:3], v1, v[2:3]
	v_sub_nc_u32_e32 v1, 32, v1
	s_delay_alu instid0(VALU_DEP_2) | instskip(NEXT) | instid1(VALU_DEP_1)
	v_min_u32_e32 v2, 1, v2
	v_or_b32_e32 v2, v3, v2
	s_delay_alu instid0(VALU_DEP_1) | instskip(NEXT) | instid1(VALU_DEP_1)
	v_cvt_f32_i32_e32 v2, v2
	v_ldexp_f32 v2, v2, v1
	s_branch .LBB15_253
.LBB15_250:
	s_mov_b32 s27, -1
                                        ; implicit-def: $vgpr2
	s_branch .LBB15_259
.LBB15_251:
	s_mov_b32 s27, -1
                                        ; implicit-def: $vgpr2
	s_branch .LBB15_256
.LBB15_252:
	s_mov_b32 s27, -1
                                        ; implicit-def: $vgpr2
.LBB15_253:
	s_delay_alu instid0(SALU_CYCLE_1)
	s_and_not1_b32 vcc_lo, exec_lo, s27
	s_cbranch_vccnz .LBB15_255
; %bb.254:
	global_load_b32 v1, v[6:7], off
	s_wait_loadcnt 0x0
	v_cvt_f32_i32_e32 v2, v1
.LBB15_255:
	s_mov_b32 s27, 0
.LBB15_256:
	s_delay_alu instid0(SALU_CYCLE_1)
	s_and_not1_b32 vcc_lo, exec_lo, s27
	s_cbranch_vccnz .LBB15_258
; %bb.257:
	global_load_i16 v1, v[6:7], off
	s_wait_loadcnt 0x0
	v_cvt_f32_i32_e32 v2, v1
.LBB15_258:
	s_mov_b32 s27, 0
.LBB15_259:
	s_delay_alu instid0(SALU_CYCLE_1)
	s_and_not1_b32 vcc_lo, exec_lo, s27
	s_cbranch_vccnz .LBB15_265
; %bb.260:
	s_cmp_gt_i32 s0, 0
	s_mov_b32 s0, 0
	s_cbranch_scc0 .LBB15_262
; %bb.261:
	global_load_i8 v1, v[6:7], off
	s_wait_loadcnt 0x0
	v_cvt_f32_i32_e32 v2, v1
	s_branch .LBB15_263
.LBB15_262:
	s_mov_b32 s0, -1
                                        ; implicit-def: $vgpr2
.LBB15_263:
	s_delay_alu instid0(SALU_CYCLE_1)
	s_and_not1_b32 vcc_lo, exec_lo, s0
	s_cbranch_vccnz .LBB15_265
; %bb.264:
	global_load_u8 v1, v[6:7], off
	s_wait_loadcnt 0x0
	v_cvt_f32_ubyte0_e32 v2, v1
.LBB15_265:
	s_branch .LBB15_26
.LBB15_266:
	s_mov_b32 s0, 0
.LBB15_267:
	s_mov_b32 s27, 0
                                        ; implicit-def: $vgpr0
.LBB15_268:
	s_and_b32 s41, s0, exec_lo
	s_and_b32 s42, s26, exec_lo
	s_or_not1_b32 s27, s27, exec_lo
.LBB15_269:
	s_wait_xcnt 0x0
	s_or_b32 exec_lo, exec_lo, s43
	s_mov_b32 s26, 0
	s_mov_b32 s0, 0
                                        ; implicit-def: $vgpr6_vgpr7
                                        ; implicit-def: $vgpr4
                                        ; implicit-def: $vgpr2
	s_and_saveexec_b32 s43, s27
	s_cbranch_execz .LBB15_277
; %bb.270:
	s_mov_b32 s0, -1
	s_mov_b32 s44, s42
	s_mov_b32 s45, s41
	s_mov_b32 s46, exec_lo
	v_cmpx_gt_i32_e64 s38, v0
	s_cbranch_execz .LBB15_550
; %bb.271:
	s_and_not1_b32 vcc_lo, exec_lo, s35
	s_cbranch_vccnz .LBB15_280
; %bb.272:
	s_and_not1_b32 vcc_lo, exec_lo, s40
	s_cbranch_vccnz .LBB15_281
; %bb.273:
	s_add_co_i32 s0, s39, 1
	s_cmp_eq_u32 s33, 2
	s_cbranch_scc1 .LBB15_282
; %bb.274:
	s_wait_loadcnt 0x0
	v_dual_mov_b32 v4, 0 :: v_dual_mov_b32 v2, 0
	v_mov_b32_e32 v1, v0
	s_and_b32 s26, s0, 28
	s_mov_b32 s27, 0
	s_mov_b64 s[28:29], s[2:3]
	s_mov_b64 s[30:31], s[24:25]
.LBB15_275:                             ; =>This Inner Loop Header: Depth=1
	s_clause 0x1
	s_load_b256 s[48:55], s[28:29], 0x4
	s_load_b128 s[64:67], s[28:29], 0x24
	s_load_b256 s[56:63], s[30:31], 0x0
	s_add_co_i32 s27, s27, 4
	s_wait_xcnt 0x0
	s_add_nc_u64 s[28:29], s[28:29], 48
	s_cmp_eq_u32 s26, s27
	s_add_nc_u64 s[30:31], s[30:31], 32
	s_wait_kmcnt 0x0
	v_mul_hi_u32 v3, s49, v1
	s_delay_alu instid0(VALU_DEP_1) | instskip(NEXT) | instid1(VALU_DEP_1)
	v_add_nc_u32_e32 v3, v1, v3
	v_lshrrev_b32_e32 v3, s50, v3
	s_delay_alu instid0(VALU_DEP_1) | instskip(NEXT) | instid1(VALU_DEP_1)
	v_mul_hi_u32 v5, s52, v3
	v_add_nc_u32_e32 v5, v3, v5
	s_delay_alu instid0(VALU_DEP_1) | instskip(NEXT) | instid1(VALU_DEP_1)
	v_lshrrev_b32_e32 v5, s53, v5
	v_mul_hi_u32 v6, s55, v5
	s_delay_alu instid0(VALU_DEP_1) | instskip(SKIP_1) | instid1(VALU_DEP_1)
	v_add_nc_u32_e32 v6, v5, v6
	v_mul_lo_u32 v7, v3, s48
	v_sub_nc_u32_e32 v1, v1, v7
	v_mul_lo_u32 v7, v5, s51
	s_delay_alu instid0(VALU_DEP_4) | instskip(NEXT) | instid1(VALU_DEP_3)
	v_lshrrev_b32_e32 v6, s64, v6
	v_mad_u32 v2, v1, s57, v2
	v_mad_u32 v1, v1, s56, v4
	s_delay_alu instid0(VALU_DEP_4) | instskip(NEXT) | instid1(VALU_DEP_4)
	v_sub_nc_u32_e32 v3, v3, v7
	v_mul_hi_u32 v8, s66, v6
	v_mul_lo_u32 v4, v6, s54
	s_delay_alu instid0(VALU_DEP_3) | instskip(SKIP_1) | instid1(VALU_DEP_4)
	v_mad_u32 v2, v3, s59, v2
	v_mad_u32 v3, v3, s58, v1
	v_add_nc_u32_e32 v7, v6, v8
	s_delay_alu instid0(VALU_DEP_1) | instskip(NEXT) | instid1(VALU_DEP_1)
	v_dual_sub_nc_u32 v4, v5, v4 :: v_dual_lshrrev_b32 v1, s67, v7
	v_mad_u32 v2, v4, s61, v2
	s_delay_alu instid0(VALU_DEP_4) | instskip(NEXT) | instid1(VALU_DEP_3)
	v_mad_u32 v3, v4, s60, v3
	v_mul_lo_u32 v5, v1, s65
	s_delay_alu instid0(VALU_DEP_1) | instskip(NEXT) | instid1(VALU_DEP_1)
	v_sub_nc_u32_e32 v4, v6, v5
	v_mad_u32 v2, v4, s63, v2
	s_delay_alu instid0(VALU_DEP_4)
	v_mad_u32 v4, v4, s62, v3
	s_cbranch_scc0 .LBB15_275
; %bb.276:
	s_delay_alu instid0(VALU_DEP_2)
	v_mov_b32_e32 v5, v2
	s_branch .LBB15_283
.LBB15_277:
	s_or_b32 exec_lo, exec_lo, s43
	s_mov_b32 s1, 0
	s_and_saveexec_b32 s6, s42
	s_cbranch_execnz .LBB15_934
.LBB15_278:
	s_or_b32 exec_lo, exec_lo, s6
	s_and_saveexec_b32 s6, s21
	s_delay_alu instid0(SALU_CYCLE_1)
	s_xor_b32 s6, exec_lo, s6
	s_cbranch_execz .LBB15_935
.LBB15_279:
	global_load_u8 v0, v[6:7], off
	s_or_b32 s0, s0, exec_lo
	s_wait_loadcnt 0x0
	v_cmp_ne_u16_e32 vcc_lo, 0, v0
	v_cndmask_b32_e64 v2, 0, 1.0, vcc_lo
	s_wait_xcnt 0x0
	s_or_b32 exec_lo, exec_lo, s6
	s_and_saveexec_b32 s6, s26
	s_cbranch_execz .LBB15_981
	s_branch .LBB15_936
.LBB15_280:
                                        ; implicit-def: $vgpr2
                                        ; implicit-def: $vgpr4
	s_and_not1_b32 vcc_lo, exec_lo, s0
	s_cbranch_vccnz .LBB15_290
	s_branch .LBB15_288
.LBB15_281:
	s_wait_loadcnt 0x0
	v_dual_mov_b32 v2, 0 :: v_dual_mov_b32 v4, 0
	s_branch .LBB15_287
.LBB15_282:
	v_mov_b64_e32 v[4:5], 0
	v_mov_b32_e32 v1, v0
                                        ; implicit-def: $vgpr2
.LBB15_283:
	s_and_b32 s0, s0, 3
	s_mov_b32 s27, 0
	s_cmp_eq_u32 s0, 0
	s_cbranch_scc1 .LBB15_287
; %bb.284:
	s_lshl_b32 s28, s26, 3
	s_mov_b32 s29, s27
	s_mul_u64 s[30:31], s[26:27], 12
	s_add_nc_u64 s[28:29], s[2:3], s[28:29]
	s_delay_alu instid0(SALU_CYCLE_1)
	s_add_nc_u64 s[26:27], s[28:29], 0xc4
	s_add_nc_u64 s[28:29], s[2:3], s[30:31]
.LBB15_285:                             ; =>This Inner Loop Header: Depth=1
	s_load_b96 s[48:50], s[28:29], 0x4
	s_load_b64 s[30:31], s[26:27], 0x0
	s_add_co_i32 s0, s0, -1
	s_wait_xcnt 0x0
	s_add_nc_u64 s[28:29], s[28:29], 12
	s_cmp_lg_u32 s0, 0
	s_add_nc_u64 s[26:27], s[26:27], 8
	s_wait_loadcnt 0x0
	s_wait_kmcnt 0x0
	v_mul_hi_u32 v2, s49, v1
	s_delay_alu instid0(VALU_DEP_1) | instskip(NEXT) | instid1(VALU_DEP_1)
	v_add_nc_u32_e32 v2, v1, v2
	v_lshrrev_b32_e32 v2, s50, v2
	s_delay_alu instid0(VALU_DEP_1) | instskip(NEXT) | instid1(VALU_DEP_1)
	v_mul_lo_u32 v3, v2, s48
	v_sub_nc_u32_e32 v1, v1, v3
	s_delay_alu instid0(VALU_DEP_1)
	v_mad_u32 v5, v1, s31, v5
	v_mad_u32 v4, v1, s30, v4
	v_mov_b32_e32 v1, v2
	s_cbranch_scc1 .LBB15_285
; %bb.286:
	s_delay_alu instid0(VALU_DEP_3)
	v_mov_b32_e32 v2, v5
.LBB15_287:
	s_cbranch_execnz .LBB15_290
.LBB15_288:
	v_mov_b32_e32 v1, 0
	s_and_not1_b32 vcc_lo, exec_lo, s37
	s_wait_loadcnt 0x0
	s_delay_alu instid0(VALU_DEP_1) | instskip(NEXT) | instid1(VALU_DEP_1)
	v_mul_u64_e32 v[2:3], s[20:21], v[0:1]
	v_add_nc_u32_e32 v2, v0, v3
	s_delay_alu instid0(VALU_DEP_1) | instskip(NEXT) | instid1(VALU_DEP_1)
	v_lshrrev_b32_e32 v6, s10, v2
	v_mul_lo_u32 v2, v6, s8
	s_delay_alu instid0(VALU_DEP_1) | instskip(NEXT) | instid1(VALU_DEP_1)
	v_sub_nc_u32_e32 v3, v0, v2
	v_mul_lo_u32 v2, v3, s13
	v_mul_lo_u32 v4, v3, s12
	s_cbranch_vccnz .LBB15_290
; %bb.289:
	v_mov_b32_e32 v7, v1
	s_delay_alu instid0(VALU_DEP_1) | instskip(NEXT) | instid1(VALU_DEP_1)
	v_mul_u64_e32 v[8:9], s[22:23], v[6:7]
	v_add_nc_u32_e32 v1, v6, v9
	s_delay_alu instid0(VALU_DEP_1) | instskip(NEXT) | instid1(VALU_DEP_1)
	v_lshrrev_b32_e32 v1, s1, v1
	v_mul_lo_u32 v1, v1, s11
	s_delay_alu instid0(VALU_DEP_1) | instskip(NEXT) | instid1(VALU_DEP_1)
	v_sub_nc_u32_e32 v1, v6, v1
	v_mad_u32 v4, v1, s14, v4
	v_mad_u32 v2, v1, s15, v2
.LBB15_290:
	v_mov_b32_e32 v3, 0
	s_and_b32 s0, 0xffff, s9
	s_delay_alu instid0(SALU_CYCLE_1) | instskip(SKIP_1) | instid1(VALU_DEP_1)
	s_cmp_lt_i32 s0, 11
	s_wait_loadcnt 0x0
	v_add_nc_u64_e32 v[6:7], s[6:7], v[2:3]
	s_cbranch_scc1 .LBB15_297
; %bb.291:
	s_cmp_gt_i32 s0, 25
	s_cbranch_scc0 .LBB15_308
; %bb.292:
	s_cmp_gt_i32 s0, 28
	s_cbranch_scc0 .LBB15_310
	;; [unrolled: 3-line block ×4, first 2 shown]
; %bb.295:
	s_cmp_eq_u32 s0, 46
	s_mov_b32 s28, 0
	s_cbranch_scc0 .LBB15_320
; %bb.296:
	global_load_b32 v1, v[6:7], off
	s_mov_b32 s27, -1
	s_mov_b32 s26, 0
	s_wait_loadcnt 0x0
	v_lshlrev_b32_e32 v2, 16, v1
	s_branch .LBB15_322
.LBB15_297:
	s_mov_b32 s27, 0
	s_mov_b32 s26, s42
                                        ; implicit-def: $vgpr2
	s_cbranch_execnz .LBB15_499
.LBB15_298:
	s_and_not1_b32 vcc_lo, exec_lo, s27
	s_cbranch_vccnz .LBB15_547
.LBB15_299:
	s_wait_loadcnt 0x0
	s_delay_alu instid0(VALU_DEP_1) | instskip(SKIP_2) | instid1(VALU_DEP_1)
	v_mul_f32_e32 v1, s16, v2
	s_mov_b32 s0, exec_lo
	s_wait_xcnt 0x0
	v_cmpx_nlt_f32_e32 s17, v1
	s_cbranch_execz .LBB15_301
; %bb.300:
	v_mul_f32_e32 v2, 0x3fb8aa3b, v1
	v_cmp_ngt_f32_e32 vcc_lo, 0xc2ce8ed0, v1
	s_mov_b32 s27, 0x3e9b6dac
	s_delay_alu instid0(VALU_DEP_2) | instskip(SKIP_1) | instid1(VALU_DEP_1)
	v_rndne_f32_e32 v3, v2
	v_fma_f32 v5, 0x3fb8aa3b, v1, -v2
	v_dual_sub_f32 v2, v2, v3 :: v_dual_fmamk_f32 v5, v1, 0x32a5705f, v5
	v_cvt_i32_f32_e32 v3, v3
	s_delay_alu instid0(VALU_DEP_2) | instskip(NEXT) | instid1(VALU_DEP_1)
	v_add_f32_e32 v2, v2, v5
	v_exp_f32_e32 v2, v2
	v_nop
	s_delay_alu instid0(TRANS32_DEP_1) | instskip(NEXT) | instid1(VALU_DEP_1)
	v_ldexp_f32 v2, v2, v3
	v_cndmask_b32_e32 v2, 0, v2, vcc_lo
	v_cmp_nlt_f32_e32 vcc_lo, 0x42b17218, v1
	s_delay_alu instid0(VALU_DEP_2) | instskip(NEXT) | instid1(VALU_DEP_1)
	v_cndmask_b32_e32 v5, 0x7f800000, v2, vcc_lo
	v_add_f32_e32 v1, 1.0, v5
	s_delay_alu instid0(VALU_DEP_1) | instskip(NEXT) | instid1(VALU_DEP_1)
	v_cvt_f64_f32_e32 v[2:3], v1
	v_frexp_exp_i32_f64_e32 v2, v[2:3]
	v_frexp_mant_f32_e32 v3, v1
	s_delay_alu instid0(VALU_DEP_1) | instskip(NEXT) | instid1(VALU_DEP_3)
	v_cmp_gt_f32_e32 vcc_lo, 0x3f2aaaab, v3
	v_subrev_co_ci_u32_e64 v10, null, 0, v2, vcc_lo
	v_add_f32_e32 v2, -1.0, v1
	v_cmp_neq_f32_e32 vcc_lo, 0x7f800000, v5
	s_delay_alu instid0(VALU_DEP_2) | instskip(SKIP_1) | instid1(VALU_DEP_2)
	v_dual_sub_f32 v6, v2, v1 :: v_dual_sub_nc_u32 v3, 0, v10
	v_sub_f32_e32 v2, v5, v2
	v_ldexp_f32 v1, v1, v3
	s_delay_alu instid0(VALU_DEP_1) | instskip(NEXT) | instid1(VALU_DEP_1)
	v_dual_add_f32 v6, 1.0, v6 :: v_dual_add_f32 v9, -1.0, v1
	v_dual_add_f32 v7, 1.0, v1 :: v_dual_add_f32 v2, v2, v6
	s_delay_alu instid0(VALU_DEP_1) | instskip(NEXT) | instid1(VALU_DEP_2)
	v_add_f32_e32 v6, -1.0, v7
	v_ldexp_f32 v2, v2, v3
	s_delay_alu instid0(VALU_DEP_2) | instskip(NEXT) | instid1(VALU_DEP_1)
	v_dual_sub_f32 v3, v1, v6 :: v_dual_add_f32 v6, 1.0, v9
	v_dual_add_f32 v8, v2, v3 :: v_dual_sub_f32 v1, v1, v6
	s_delay_alu instid0(VALU_DEP_1) | instskip(NEXT) | instid1(VALU_DEP_1)
	v_dual_add_f32 v11, v7, v8 :: v_dual_add_f32 v1, v2, v1
	v_rcp_f32_e32 v12, v11
	s_delay_alu instid0(VALU_DEP_1)
	v_dual_add_f32 v3, v9, v1 :: v_dual_sub_f32 v2, v7, v11
	s_delay_alu instid0(TRANS32_DEP_1) | instid1(VALU_DEP_1)
	v_dual_sub_f32 v15, v9, v3 :: v_dual_mul_f32 v13, v3, v12
	s_delay_alu instid0(VALU_DEP_1) | instskip(NEXT) | instid1(VALU_DEP_2)
	v_dual_add_f32 v14, v8, v2 :: v_dual_add_f32 v1, v1, v15
	v_mul_f32_e32 v6, v11, v13
	s_delay_alu instid0(VALU_DEP_1) | instskip(NEXT) | instid1(VALU_DEP_1)
	v_fma_f32 v8, v13, v11, -v6
	v_fmac_f32_e32 v8, v13, v14
	s_delay_alu instid0(VALU_DEP_1) | instskip(NEXT) | instid1(VALU_DEP_1)
	v_add_f32_e32 v2, v6, v8
	v_dual_sub_f32 v7, v3, v2 :: v_dual_mov_b32 v9, v2
	s_delay_alu instid0(VALU_DEP_1) | instskip(NEXT) | instid1(VALU_DEP_1)
	v_pk_add_f32 v[2:3], v[2:3], v[6:7] neg_lo:[0,1] neg_hi:[0,1]
	v_pk_add_f32 v[2:3], v[2:3], v[8:9] neg_lo:[0,1] neg_hi:[0,1]
	s_delay_alu instid0(VALU_DEP_1) | instskip(NEXT) | instid1(VALU_DEP_1)
	v_add_f32_e32 v1, v1, v3
	v_add_f32_e32 v1, v2, v1
	s_delay_alu instid0(VALU_DEP_1) | instskip(NEXT) | instid1(VALU_DEP_1)
	v_add_f32_e32 v3, v7, v1
	v_mul_f32_e32 v15, v12, v3
	s_delay_alu instid0(VALU_DEP_1) | instskip(NEXT) | instid1(VALU_DEP_1)
	v_mul_f32_e32 v8, v11, v15
	v_fma_f32 v6, v15, v11, -v8
	s_delay_alu instid0(VALU_DEP_1) | instskip(NEXT) | instid1(VALU_DEP_1)
	v_fmac_f32_e32 v6, v15, v14
	v_dual_add_f32 v2, v8, v6 :: v_dual_sub_f32 v11, v7, v3
	s_delay_alu instid0(VALU_DEP_1) | instskip(SKIP_1) | instid1(VALU_DEP_1)
	v_dual_mov_b32 v7, v2 :: v_dual_add_f32 v1, v1, v11
	v_sub_f32_e32 v9, v3, v2
	v_pk_add_f32 v[2:3], v[2:3], v[8:9] neg_lo:[0,1] neg_hi:[0,1]
	v_add_f32_e32 v8, v13, v15
	s_delay_alu instid0(VALU_DEP_2) | instskip(SKIP_1) | instid1(VALU_DEP_2)
	v_pk_add_f32 v[2:3], v[2:3], v[6:7] neg_lo:[0,1] neg_hi:[0,1]
	v_cvt_f32_i32_e32 v6, v10
	v_add_f32_e32 v1, v1, v3
	s_delay_alu instid0(VALU_DEP_1) | instskip(SKIP_1) | instid1(VALU_DEP_1)
	v_add_f32_e32 v1, v2, v1
	v_sub_f32_e32 v2, v8, v13
	v_dual_add_f32 v1, v9, v1 :: v_dual_sub_f32 v2, v15, v2
	s_delay_alu instid0(VALU_DEP_1) | instskip(NEXT) | instid1(VALU_DEP_1)
	v_mul_f32_e32 v1, v12, v1
	v_dual_add_f32 v1, v2, v1 :: v_dual_mov_b32 v2, 0x3f317218
	s_delay_alu instid0(VALU_DEP_1) | instskip(NEXT) | instid1(VALU_DEP_1)
	v_add_f32_e32 v9, v8, v1
	v_mul_f32_e32 v3, v9, v9
	s_delay_alu instid0(VALU_DEP_1) | instskip(SKIP_1) | instid1(VALU_DEP_2)
	v_fmaak_f32 v11, s27, v3, 0x3ecc95a3
	v_mul_f32_e32 v7, v9, v3
	v_fmaak_f32 v3, v3, v11, 0x3f2aaada
	s_delay_alu instid0(VALU_DEP_1) | instskip(NEXT) | instid1(VALU_DEP_1)
	v_pk_mul_f32 v[2:3], v[6:7], v[2:3]
	v_fma_f32 v10, 0x3f317218, v6, -v2
	s_delay_alu instid0(VALU_DEP_1) | instskip(SKIP_2) | instid1(VALU_DEP_2)
	v_fmamk_f32 v6, v6, 0xb102e308, v10
	v_ldexp_f32 v7, v9, 1
	v_sub_f32_e32 v10, v9, v8
	v_pk_add_f32 v[8:9], v[2:3], v[6:7]
	s_delay_alu instid0(VALU_DEP_1) | instskip(NEXT) | instid1(VALU_DEP_3)
	v_sub_f32_e32 v7, v9, v7
	v_dual_sub_f32 v1, v1, v10 :: v_dual_mov_b32 v10, v2
	s_delay_alu instid0(VALU_DEP_2) | instskip(NEXT) | instid1(VALU_DEP_2)
	v_sub_f32_e32 v7, v3, v7
	v_ldexp_f32 v1, v1, 1
	v_pk_add_f32 v[2:3], v[8:9], v[2:3] neg_lo:[0,1] neg_hi:[0,1]
	s_delay_alu instid0(VALU_DEP_2) | instskip(NEXT) | instid1(VALU_DEP_1)
	v_dual_add_f32 v11, v1, v7 :: v_dual_mov_b32 v7, v8
	v_pk_add_f32 v[12:13], v[8:9], v[10:11]
	s_delay_alu instid0(VALU_DEP_1) | instskip(NEXT) | instid1(VALU_DEP_1)
	v_dual_mov_b32 v18, v9 :: v_dual_mov_b32 v3, v13
	v_pk_add_f32 v[14:15], v[6:7], v[2:3]
	s_delay_alu instid0(VALU_DEP_1) | instskip(SKIP_2) | instid1(VALU_DEP_3)
	v_dual_mov_b32 v14, v13 :: v_dual_mov_b32 v10, v15
	v_pk_add_f32 v[2:3], v[6:7], v[2:3] neg_lo:[0,1] neg_hi:[0,1]
	v_mov_b32_e32 v3, v15
	v_pk_add_f32 v[16:17], v[10:11], v[8:9] neg_lo:[0,1] neg_hi:[0,1]
	v_dual_mov_b32 v9, v8 :: v_dual_mov_b32 v8, v11
	s_delay_alu instid0(VALU_DEP_2) | instskip(NEXT) | instid1(VALU_DEP_1)
	v_dual_mov_b32 v1, v16 :: v_dual_mov_b32 v19, v16
	v_pk_add_f32 v[12:13], v[12:13], v[0:1] neg_lo:[0,1] neg_hi:[0,1]
	s_delay_alu instid0(VALU_DEP_2) | instskip(SKIP_1) | instid1(VALU_DEP_2)
	v_pk_add_f32 v[6:7], v[14:15], v[18:19] neg_lo:[0,1] neg_hi:[0,1]
	v_mov_b32_e32 v12, v2
	v_pk_add_f32 v[6:7], v[8:9], v[6:7] neg_lo:[0,1] neg_hi:[0,1]
	s_delay_alu instid0(VALU_DEP_1) | instskip(NEXT) | instid1(VALU_DEP_1)
	v_pk_add_f32 v[8:9], v[12:13], v[6:7]
	v_mov_b32_e32 v12, v9
	s_delay_alu instid0(VALU_DEP_1) | instskip(NEXT) | instid1(VALU_DEP_1)
	v_pk_add_f32 v[12:13], v[8:9], v[12:13]
	v_pk_add_f32 v[10:11], v[10:11], v[12:13]
	s_delay_alu instid0(VALU_DEP_1) | instskip(NEXT) | instid1(VALU_DEP_1)
	v_mov_b32_e32 v9, v10
	v_pk_add_f32 v[14:15], v[8:9], v[2:3] neg_lo:[0,1] neg_hi:[0,1]
	s_delay_alu instid0(VALU_DEP_1) | instskip(NEXT) | instid1(VALU_DEP_1)
	v_sub_f32_e32 v1, v8, v14
	v_dual_mov_b32 v7, v12 :: v_dual_sub_f32 v1, v2, v1
	s_delay_alu instid0(VALU_DEP_1) | instskip(NEXT) | instid1(VALU_DEP_1)
	v_pk_add_f32 v[6:7], v[6:7], v[14:15] neg_lo:[0,1] neg_hi:[0,1]
	v_add_f32_e32 v1, v6, v1
	s_delay_alu instid0(VALU_DEP_1) | instskip(NEXT) | instid1(VALU_DEP_1)
	v_add_f32_e32 v1, v1, v7
	v_add_f32_e32 v1, v10, v1
	s_delay_alu instid0(VALU_DEP_1) | instskip(SKIP_1) | instid1(VALU_DEP_2)
	v_cndmask_b32_e32 v1, 0x7f800000, v1, vcc_lo
	v_cmp_gt_f32_e64 vcc_lo, 0x33800000, |v5|
	v_cndmask_b32_e32 v1, v1, v5, vcc_lo
	s_delay_alu instid0(VALU_DEP_1) | instskip(NEXT) | instid1(VALU_DEP_1)
	v_div_scale_f32 v2, null, s16, s16, v1
	v_rcp_f32_e32 v3, v2
	v_nop
	s_delay_alu instid0(TRANS32_DEP_1) | instskip(NEXT) | instid1(VALU_DEP_1)
	v_fma_f32 v5, -v2, v3, 1.0
	v_fmac_f32_e32 v3, v5, v3
	v_div_scale_f32 v5, vcc_lo, v1, s16, v1
	s_delay_alu instid0(VALU_DEP_1) | instskip(NEXT) | instid1(VALU_DEP_1)
	v_mul_f32_e32 v6, v5, v3
	v_fma_f32 v7, -v2, v6, v5
	s_delay_alu instid0(VALU_DEP_1) | instskip(NEXT) | instid1(VALU_DEP_1)
	v_fmac_f32_e32 v6, v7, v3
	v_fma_f32 v2, -v2, v6, v5
	s_delay_alu instid0(VALU_DEP_1) | instskip(NEXT) | instid1(VALU_DEP_1)
	v_div_fmas_f32 v2, v2, v3, v6
	v_div_fixup_f32 v2, v2, s16, v1
.LBB15_301:
	s_or_b32 exec_lo, exec_lo, s0
	v_mov_b32_e32 v5, 0
	s_and_b32 s27, s18, 0xff
	s_delay_alu instid0(SALU_CYCLE_1) | instskip(NEXT) | instid1(VALU_DEP_1)
	s_cmp_lt_i32 s27, 11
	v_add_nc_u64_e32 v[4:5], s[4:5], v[4:5]
	s_cbranch_scc1 .LBB15_309
; %bb.302:
	s_and_b32 s28, 0xffff, s27
	s_delay_alu instid0(SALU_CYCLE_1)
	s_cmp_gt_i32 s28, 25
	s_cbranch_scc0 .LBB15_311
; %bb.303:
	s_cmp_gt_i32 s28, 28
	s_cbranch_scc0 .LBB15_313
; %bb.304:
	;; [unrolled: 3-line block ×4, first 2 shown]
	s_mov_b32 s30, 0
	s_mov_b32 s0, -1
	s_cmp_eq_u32 s28, 46
	s_mov_b32 s29, 0
	s_cbranch_scc0 .LBB15_326
; %bb.307:
	v_bfe_u32 v1, v2, 16, 1
	v_cmp_o_f32_e32 vcc_lo, v2, v2
	s_mov_b32 s29, -1
	s_mov_b32 s0, 0
	s_delay_alu instid0(VALU_DEP_2) | instskip(NEXT) | instid1(VALU_DEP_1)
	v_add3_u32 v1, v2, v1, 0x7fff
	v_lshrrev_b32_e32 v1, 16, v1
	s_delay_alu instid0(VALU_DEP_1)
	v_cndmask_b32_e32 v1, 0x7fc0, v1, vcc_lo
	global_store_b32 v[4:5], v1, off
	s_branch .LBB15_326
.LBB15_308:
	s_mov_b32 s28, -1
	s_mov_b32 s27, 0
	s_mov_b32 s26, s42
                                        ; implicit-def: $vgpr2
	s_branch .LBB15_463
.LBB15_309:
	s_mov_b32 s28, -1
	s_mov_b32 s29, 0
	s_mov_b32 s0, s41
	s_branch .LBB15_395
.LBB15_310:
	s_mov_b32 s28, -1
	s_mov_b32 s27, 0
	s_mov_b32 s26, s42
                                        ; implicit-def: $vgpr2
	s_branch .LBB15_444
.LBB15_311:
	s_mov_b32 s30, -1
	s_mov_b32 s29, 0
	s_mov_b32 s0, s41
	s_branch .LBB15_353
.LBB15_312:
	s_mov_b32 s28, -1
	s_mov_b32 s27, 0
	s_mov_b32 s26, s42
                                        ; implicit-def: $vgpr2
	s_branch .LBB15_439
.LBB15_313:
	s_mov_b32 s30, -1
	s_mov_b32 s29, 0
	s_mov_b32 s0, s41
	s_branch .LBB15_336
.LBB15_314:
	s_and_not1_saveexec_b32 s31, s31
	s_cbranch_execz .LBB15_71
.LBB15_315:
	v_add_f32_e64 v1, 0x46000000, |v2|
	s_and_not1_b32 s30, s30, exec_lo
	s_delay_alu instid0(VALU_DEP_1) | instskip(NEXT) | instid1(VALU_DEP_1)
	v_and_b32_e32 v1, 0xff, v1
	v_cmp_ne_u32_e32 vcc_lo, 0, v1
	s_and_b32 s41, vcc_lo, exec_lo
	s_delay_alu instid0(SALU_CYCLE_1)
	s_or_b32 s30, s30, s41
	s_or_b32 exec_lo, exec_lo, s31
	v_mov_b32_e32 v3, 0
	s_and_saveexec_b32 s31, s30
	s_cbranch_execnz .LBB15_72
	s_branch .LBB15_73
.LBB15_316:
	s_mov_b32 s28, -1
	s_mov_b32 s27, 0
	s_mov_b32 s26, s42
	s_branch .LBB15_321
.LBB15_317:
	s_mov_b32 s30, -1
	s_mov_b32 s29, 0
	s_mov_b32 s0, s41
	s_branch .LBB15_332
.LBB15_318:
	s_and_not1_saveexec_b32 s31, s31
	s_cbranch_execz .LBB15_84
.LBB15_319:
	v_add_f32_e64 v1, 0x42800000, |v2|
	s_and_not1_b32 s30, s30, exec_lo
	s_delay_alu instid0(VALU_DEP_1) | instskip(NEXT) | instid1(VALU_DEP_1)
	v_and_b32_e32 v1, 0xff, v1
	v_cmp_ne_u32_e32 vcc_lo, 0, v1
	s_and_b32 s41, vcc_lo, exec_lo
	s_delay_alu instid0(SALU_CYCLE_1)
	s_or_b32 s30, s30, s41
	s_or_b32 exec_lo, exec_lo, s31
	v_mov_b32_e32 v3, 0
	s_and_saveexec_b32 s31, s30
	s_cbranch_execnz .LBB15_85
	s_branch .LBB15_86
.LBB15_320:
	s_mov_b32 s26, -1
	s_mov_b32 s27, 0
.LBB15_321:
                                        ; implicit-def: $vgpr2
.LBB15_322:
	s_and_b32 vcc_lo, exec_lo, s28
	s_cbranch_vccz .LBB15_438
; %bb.323:
	s_cmp_eq_u32 s0, 44
	s_cbranch_scc0 .LBB15_437
; %bb.324:
	global_load_u8 v1, v[6:7], off
	s_mov_b32 s26, 0
	s_mov_b32 s27, -1
	s_wait_loadcnt 0x0
	v_lshlrev_b32_e32 v2, 23, v1
	v_cmp_ne_u32_e32 vcc_lo, 0xff, v1
	s_delay_alu instid0(VALU_DEP_2) | instskip(SKIP_1) | instid1(VALU_DEP_2)
	v_cndmask_b32_e32 v2, 0x7f800001, v2, vcc_lo
	v_cmp_ne_u32_e32 vcc_lo, 0, v1
	v_cndmask_b32_e32 v2, 0x400000, v2, vcc_lo
	s_branch .LBB15_438
.LBB15_325:
	s_mov_b32 s30, -1
	s_mov_b32 s29, 0
	s_mov_b32 s0, s41
.LBB15_326:
	s_and_b32 vcc_lo, exec_lo, s30
	s_cbranch_vccz .LBB15_331
; %bb.327:
	s_cmp_eq_u32 s28, 44
	s_mov_b32 s0, -1
	s_cbranch_scc0 .LBB15_331
; %bb.328:
	v_bfe_u32 v3, v2, 23, 8
	s_wait_xcnt 0x0
	v_mov_b32_e32 v1, 0xff
	s_mov_b32 s29, exec_lo
	s_delay_alu instid0(VALU_DEP_2)
	v_cmpx_ne_u32_e32 0xff, v3
	s_cbranch_execz .LBB15_330
; %bb.329:
	v_and_b32_e32 v1, 0x400000, v2
	v_and_or_b32 v3, 0x3fffff, v2, v3
	s_delay_alu instid0(VALU_DEP_2) | instskip(NEXT) | instid1(VALU_DEP_2)
	v_cmp_ne_u32_e32 vcc_lo, 0, v1
	v_cmp_ne_u32_e64 s0, 0, v3
	v_lshrrev_b32_e32 v1, 23, v2
	s_and_b32 s0, vcc_lo, s0
	s_delay_alu instid0(SALU_CYCLE_1) | instskip(NEXT) | instid1(VALU_DEP_1)
	v_cndmask_b32_e64 v3, 0, 1, s0
	v_add_nc_u32_e32 v1, v1, v3
.LBB15_330:
	s_or_b32 exec_lo, exec_lo, s29
	s_mov_b32 s29, -1
	s_mov_b32 s0, 0
	global_store_b8 v[4:5], v1, off
.LBB15_331:
	s_mov_b32 s30, 0
.LBB15_332:
	s_delay_alu instid0(SALU_CYCLE_1)
	s_and_b32 vcc_lo, exec_lo, s30
	s_cbranch_vccz .LBB15_335
; %bb.333:
	s_cmp_eq_u32 s28, 29
	s_mov_b32 s0, -1
	s_cbranch_scc0 .LBB15_335
; %bb.334:
	s_wait_xcnt 0x0
	v_trunc_f32_e32 v1, v2
	s_mov_b32 s29, -1
	s_mov_b32 s0, 0
	s_mov_b32 s30, 0
	s_delay_alu instid0(VALU_DEP_1) | instskip(NEXT) | instid1(VALU_DEP_1)
	v_mul_f32_e32 v3, 0x2f800000, v1
	v_floor_f32_e32 v3, v3
	s_delay_alu instid0(VALU_DEP_1) | instskip(SKIP_1) | instid1(VALU_DEP_2)
	v_fmamk_f32 v1, v3, 0xcf800000, v1
	v_cvt_u32_f32_e32 v7, v3
	v_cvt_u32_f32_e32 v6, v1
	global_store_b64 v[4:5], v[6:7], off
	s_branch .LBB15_336
.LBB15_335:
	s_mov_b32 s30, 0
.LBB15_336:
	s_delay_alu instid0(SALU_CYCLE_1)
	s_and_b32 vcc_lo, exec_lo, s30
	s_cbranch_vccz .LBB15_352
; %bb.337:
	s_cmp_lt_i32 s28, 27
	s_mov_b32 s29, -1
	s_cbranch_scc1 .LBB15_343
; %bb.338:
	s_wait_xcnt 0x0
	v_cvt_u32_f32_e32 v1, v2
	s_cmp_gt_i32 s28, 27
	s_cbranch_scc0 .LBB15_340
; %bb.339:
	s_mov_b32 s29, 0
	global_store_b32 v[4:5], v1, off
.LBB15_340:
	s_and_not1_b32 vcc_lo, exec_lo, s29
	s_cbranch_vccnz .LBB15_342
; %bb.341:
	global_store_b16 v[4:5], v1, off
.LBB15_342:
	s_mov_b32 s29, 0
.LBB15_343:
	s_delay_alu instid0(SALU_CYCLE_1)
	s_and_not1_b32 vcc_lo, exec_lo, s29
	s_cbranch_vccnz .LBB15_351
; %bb.344:
	s_wait_xcnt 0x0
	v_and_b32_e32 v1, 0x7fffffff, v2
	v_mov_b32_e32 v3, 0x80
	s_mov_b32 s29, exec_lo
	s_delay_alu instid0(VALU_DEP_2)
	v_cmpx_gt_u32_e32 0x43800000, v1
	s_cbranch_execz .LBB15_350
; %bb.345:
	v_cmp_lt_u32_e32 vcc_lo, 0x3bffffff, v1
	s_mov_b32 s30, 0
                                        ; implicit-def: $vgpr1
	s_and_saveexec_b32 s31, vcc_lo
	s_delay_alu instid0(SALU_CYCLE_1)
	s_xor_b32 s31, exec_lo, s31
	s_cbranch_execz .LBB15_580
; %bb.346:
	v_bfe_u32 v1, v2, 20, 1
	s_mov_b32 s30, exec_lo
	s_delay_alu instid0(VALU_DEP_1) | instskip(NEXT) | instid1(VALU_DEP_1)
	v_add3_u32 v1, v2, v1, 0x487ffff
	v_lshrrev_b32_e32 v1, 20, v1
	s_and_not1_saveexec_b32 s31, s31
	s_cbranch_execnz .LBB15_581
.LBB15_347:
	s_or_b32 exec_lo, exec_lo, s31
	v_mov_b32_e32 v3, 0
	s_and_saveexec_b32 s31, s30
.LBB15_348:
	v_lshrrev_b32_e32 v3, 24, v2
	s_delay_alu instid0(VALU_DEP_1)
	v_and_or_b32 v3, 0x80, v3, v1
.LBB15_349:
	s_or_b32 exec_lo, exec_lo, s31
.LBB15_350:
	s_delay_alu instid0(SALU_CYCLE_1)
	s_or_b32 exec_lo, exec_lo, s29
	global_store_b8 v[4:5], v3, off
.LBB15_351:
	s_mov_b32 s29, -1
.LBB15_352:
	s_mov_b32 s30, 0
.LBB15_353:
	s_delay_alu instid0(SALU_CYCLE_1)
	s_and_b32 vcc_lo, exec_lo, s30
	s_cbranch_vccz .LBB15_394
; %bb.354:
	s_cmp_gt_i32 s28, 22
	s_mov_b32 s30, -1
	s_cbranch_scc0 .LBB15_386
; %bb.355:
	s_cmp_lt_i32 s28, 24
	s_mov_b32 s29, -1
	s_cbranch_scc1 .LBB15_375
; %bb.356:
	s_cmp_gt_i32 s28, 24
	s_cbranch_scc0 .LBB15_364
; %bb.357:
	s_wait_xcnt 0x0
	v_and_b32_e32 v1, 0x7fffffff, v2
	v_mov_b32_e32 v3, 0x80
	s_mov_b32 s29, exec_lo
	s_delay_alu instid0(VALU_DEP_2)
	v_cmpx_gt_u32_e32 0x47800000, v1
	s_cbranch_execz .LBB15_363
; %bb.358:
	v_cmp_lt_u32_e32 vcc_lo, 0x37ffffff, v1
	s_mov_b32 s30, 0
                                        ; implicit-def: $vgpr1
	s_and_saveexec_b32 s31, vcc_lo
	s_delay_alu instid0(SALU_CYCLE_1)
	s_xor_b32 s31, exec_lo, s31
	s_cbranch_execz .LBB15_583
; %bb.359:
	v_bfe_u32 v1, v2, 21, 1
	s_mov_b32 s30, exec_lo
	s_delay_alu instid0(VALU_DEP_1) | instskip(NEXT) | instid1(VALU_DEP_1)
	v_add3_u32 v1, v2, v1, 0x88fffff
	v_lshrrev_b32_e32 v1, 21, v1
	s_and_not1_saveexec_b32 s31, s31
	s_cbranch_execnz .LBB15_584
.LBB15_360:
	s_or_b32 exec_lo, exec_lo, s31
	v_mov_b32_e32 v3, 0
	s_and_saveexec_b32 s31, s30
.LBB15_361:
	v_lshrrev_b32_e32 v3, 24, v2
	s_delay_alu instid0(VALU_DEP_1)
	v_and_or_b32 v3, 0x80, v3, v1
.LBB15_362:
	s_or_b32 exec_lo, exec_lo, s31
.LBB15_363:
	s_delay_alu instid0(SALU_CYCLE_1)
	s_or_b32 exec_lo, exec_lo, s29
	s_mov_b32 s29, 0
	global_store_b8 v[4:5], v3, off
.LBB15_364:
	s_and_b32 vcc_lo, exec_lo, s29
	s_cbranch_vccz .LBB15_374
; %bb.365:
	s_wait_xcnt 0x0
	v_and_b32_e32 v3, 0x7fffffff, v2
	s_mov_b32 s29, exec_lo
                                        ; implicit-def: $vgpr1
	s_delay_alu instid0(VALU_DEP_1)
	v_cmpx_gt_u32_e32 0x43f00000, v3
	s_xor_b32 s29, exec_lo, s29
	s_cbranch_execz .LBB15_371
; %bb.366:
	s_mov_b32 s30, exec_lo
                                        ; implicit-def: $vgpr1
	v_cmpx_lt_u32_e32 0x3c7fffff, v3
	s_xor_b32 s30, exec_lo, s30
; %bb.367:
	v_bfe_u32 v1, v2, 20, 1
	s_delay_alu instid0(VALU_DEP_1) | instskip(NEXT) | instid1(VALU_DEP_1)
	v_add3_u32 v1, v2, v1, 0x407ffff
	v_and_b32_e32 v3, 0xff00000, v1
	v_lshrrev_b32_e32 v1, 20, v1
	s_delay_alu instid0(VALU_DEP_2) | instskip(NEXT) | instid1(VALU_DEP_2)
	v_cmp_ne_u32_e32 vcc_lo, 0x7f00000, v3
	v_cndmask_b32_e32 v1, 0x7e, v1, vcc_lo
; %bb.368:
	s_and_not1_saveexec_b32 s30, s30
; %bb.369:
	v_add_f32_e64 v1, 0x46800000, |v2|
; %bb.370:
	s_or_b32 exec_lo, exec_lo, s30
                                        ; implicit-def: $vgpr3
.LBB15_371:
	s_and_not1_saveexec_b32 s29, s29
; %bb.372:
	v_mov_b32_e32 v1, 0x7f
	v_cmp_lt_u32_e32 vcc_lo, 0x7f800000, v3
	s_delay_alu instid0(VALU_DEP_2)
	v_cndmask_b32_e32 v1, 0x7e, v1, vcc_lo
; %bb.373:
	s_or_b32 exec_lo, exec_lo, s29
	v_lshrrev_b32_e32 v3, 24, v2
	s_delay_alu instid0(VALU_DEP_1)
	v_and_or_b32 v1, 0x80, v3, v1
	global_store_b8 v[4:5], v1, off
.LBB15_374:
	s_mov_b32 s29, 0
.LBB15_375:
	s_delay_alu instid0(SALU_CYCLE_1)
	s_and_not1_b32 vcc_lo, exec_lo, s29
	s_cbranch_vccnz .LBB15_385
; %bb.376:
	s_wait_xcnt 0x0
	v_and_b32_e32 v3, 0x7fffffff, v2
	s_mov_b32 s29, exec_lo
                                        ; implicit-def: $vgpr1
	s_delay_alu instid0(VALU_DEP_1)
	v_cmpx_gt_u32_e32 0x47800000, v3
	s_xor_b32 s29, exec_lo, s29
	s_cbranch_execz .LBB15_382
; %bb.377:
	s_mov_b32 s30, exec_lo
                                        ; implicit-def: $vgpr1
	v_cmpx_lt_u32_e32 0x387fffff, v3
	s_xor_b32 s30, exec_lo, s30
; %bb.378:
	v_bfe_u32 v1, v2, 21, 1
	s_delay_alu instid0(VALU_DEP_1) | instskip(NEXT) | instid1(VALU_DEP_1)
	v_add3_u32 v1, v2, v1, 0x80fffff
	v_lshrrev_b32_e32 v1, 21, v1
; %bb.379:
	s_and_not1_saveexec_b32 s30, s30
; %bb.380:
	v_add_f32_e64 v1, 0x43000000, |v2|
; %bb.381:
	s_or_b32 exec_lo, exec_lo, s30
                                        ; implicit-def: $vgpr3
.LBB15_382:
	s_and_not1_saveexec_b32 s29, s29
; %bb.383:
	v_mov_b32_e32 v1, 0x7f
	v_cmp_lt_u32_e32 vcc_lo, 0x7f800000, v3
	s_delay_alu instid0(VALU_DEP_2)
	v_cndmask_b32_e32 v1, 0x7c, v1, vcc_lo
; %bb.384:
	s_or_b32 exec_lo, exec_lo, s29
	v_lshrrev_b32_e32 v3, 24, v2
	s_delay_alu instid0(VALU_DEP_1)
	v_and_or_b32 v1, 0x80, v3, v1
	global_store_b8 v[4:5], v1, off
.LBB15_385:
	s_mov_b32 s30, 0
	s_mov_b32 s29, -1
.LBB15_386:
	s_and_not1_b32 vcc_lo, exec_lo, s30
	s_cbranch_vccnz .LBB15_394
; %bb.387:
	s_cmp_gt_i32 s28, 14
	s_mov_b32 s30, -1
	s_cbranch_scc0 .LBB15_391
; %bb.388:
	s_cmp_eq_u32 s28, 15
	s_mov_b32 s0, -1
	s_cbranch_scc0 .LBB15_390
; %bb.389:
	s_wait_xcnt 0x0
	v_bfe_u32 v1, v2, 16, 1
	v_cmp_o_f32_e32 vcc_lo, v2, v2
	s_mov_b32 s29, -1
	s_mov_b32 s0, 0
	s_delay_alu instid0(VALU_DEP_2) | instskip(NEXT) | instid1(VALU_DEP_1)
	v_add3_u32 v1, v2, v1, 0x7fff
	v_lshrrev_b32_e32 v1, 16, v1
	s_delay_alu instid0(VALU_DEP_1)
	v_cndmask_b32_e32 v1, 0x7fc0, v1, vcc_lo
	global_store_b16 v[4:5], v1, off
.LBB15_390:
	s_mov_b32 s30, 0
.LBB15_391:
	s_delay_alu instid0(SALU_CYCLE_1)
	s_and_b32 vcc_lo, exec_lo, s30
	s_cbranch_vccz .LBB15_394
; %bb.392:
	s_cmp_eq_u32 s28, 11
	s_mov_b32 s0, -1
	s_cbranch_scc0 .LBB15_394
; %bb.393:
	v_cmp_neq_f32_e32 vcc_lo, 0, v2
	s_mov_b32 s0, 0
	s_mov_b32 s29, -1
	s_wait_xcnt 0x0
	v_cndmask_b32_e64 v1, 0, 1, vcc_lo
	global_store_b8 v[4:5], v1, off
.LBB15_394:
	s_mov_b32 s28, 0
.LBB15_395:
	s_delay_alu instid0(SALU_CYCLE_1)
	s_and_b32 vcc_lo, exec_lo, s28
	s_cbranch_vccz .LBB15_434
; %bb.396:
	s_and_b32 s27, 0xffff, s27
	s_mov_b32 s28, -1
	s_cmp_lt_i32 s27, 5
	s_cbranch_scc1 .LBB15_417
; %bb.397:
	s_cmp_lt_i32 s27, 8
	s_cbranch_scc1 .LBB15_407
; %bb.398:
	;; [unrolled: 3-line block ×3, first 2 shown]
	s_cmp_gt_i32 s27, 9
	s_cbranch_scc0 .LBB15_401
; %bb.400:
	s_wait_xcnt 0x0
	v_cvt_f64_f32_e32 v[6:7], v2
	v_mov_b32_e32 v8, 0
	s_mov_b32 s28, 0
	s_delay_alu instid0(VALU_DEP_1)
	v_mov_b32_e32 v9, v8
	global_store_b128 v[4:5], v[6:9], off
.LBB15_401:
	s_and_not1_b32 vcc_lo, exec_lo, s28
	s_cbranch_vccnz .LBB15_403
; %bb.402:
	s_wait_xcnt 0x0
	v_mov_b32_e32 v3, 0
	global_store_b64 v[4:5], v[2:3], off
.LBB15_403:
	s_mov_b32 s28, 0
.LBB15_404:
	s_delay_alu instid0(SALU_CYCLE_1)
	s_and_not1_b32 vcc_lo, exec_lo, s28
	s_cbranch_vccnz .LBB15_406
; %bb.405:
	s_wait_xcnt 0x0
	v_cvt_f16_f32_e32 v1, v2
	s_delay_alu instid0(VALU_DEP_1)
	v_and_b32_e32 v1, 0xffff, v1
	global_store_b32 v[4:5], v1, off
.LBB15_406:
	s_mov_b32 s28, 0
.LBB15_407:
	s_delay_alu instid0(SALU_CYCLE_1)
	s_and_not1_b32 vcc_lo, exec_lo, s28
	s_cbranch_vccnz .LBB15_416
; %bb.408:
	s_cmp_lt_i32 s27, 6
	s_mov_b32 s28, -1
	s_cbranch_scc1 .LBB15_414
; %bb.409:
	s_cmp_gt_i32 s27, 6
	s_cbranch_scc0 .LBB15_411
; %bb.410:
	s_wait_xcnt 0x0
	v_cvt_f64_f32_e32 v[6:7], v2
	s_mov_b32 s28, 0
	global_store_b64 v[4:5], v[6:7], off
.LBB15_411:
	s_and_not1_b32 vcc_lo, exec_lo, s28
	s_cbranch_vccnz .LBB15_413
; %bb.412:
	global_store_b32 v[4:5], v2, off
.LBB15_413:
	s_mov_b32 s28, 0
.LBB15_414:
	s_delay_alu instid0(SALU_CYCLE_1)
	s_and_not1_b32 vcc_lo, exec_lo, s28
	s_cbranch_vccnz .LBB15_416
; %bb.415:
	s_wait_xcnt 0x0
	v_cvt_f16_f32_e32 v1, v2
	global_store_b16 v[4:5], v1, off
.LBB15_416:
	s_mov_b32 s28, 0
.LBB15_417:
	s_delay_alu instid0(SALU_CYCLE_1)
	s_and_not1_b32 vcc_lo, exec_lo, s28
	s_cbranch_vccnz .LBB15_433
; %bb.418:
	s_cmp_lt_i32 s27, 2
	s_mov_b32 s28, -1
	s_cbranch_scc1 .LBB15_428
; %bb.419:
	s_cmp_lt_i32 s27, 3
	s_cbranch_scc1 .LBB15_425
; %bb.420:
	s_cmp_gt_i32 s27, 3
	s_cbranch_scc0 .LBB15_422
; %bb.421:
	s_wait_xcnt 0x0
	v_trunc_f32_e32 v1, v2
	s_mov_b32 s28, 0
	s_delay_alu instid0(VALU_DEP_1) | instskip(SKIP_1) | instid1(VALU_DEP_2)
	v_mul_f32_e64 v3, 0x2f800000, |v1|
	v_ashrrev_i32_e32 v6, 31, v1
	v_floor_f32_e32 v3, v3
	s_delay_alu instid0(VALU_DEP_1) | instskip(SKIP_1) | instid1(VALU_DEP_2)
	v_fma_f32 v7, 0xcf800000, v3, |v1|
	v_cvt_u32_f32_e32 v1, v3
	v_cvt_u32_f32_e32 v3, v7
	s_delay_alu instid0(VALU_DEP_2) | instskip(NEXT) | instid1(VALU_DEP_2)
	v_dual_mov_b32 v7, v6 :: v_dual_bitop2_b32 v9, v1, v6 bitop3:0x14
	v_xor_b32_e32 v8, v3, v6
	s_delay_alu instid0(VALU_DEP_1)
	v_sub_nc_u64_e32 v[6:7], v[8:9], v[6:7]
	global_store_b64 v[4:5], v[6:7], off
.LBB15_422:
	s_and_not1_b32 vcc_lo, exec_lo, s28
	s_cbranch_vccnz .LBB15_424
; %bb.423:
	s_wait_xcnt 0x0
	v_cvt_i32_f32_e32 v1, v2
	global_store_b32 v[4:5], v1, off
.LBB15_424:
	s_mov_b32 s28, 0
.LBB15_425:
	s_delay_alu instid0(SALU_CYCLE_1)
	s_and_not1_b32 vcc_lo, exec_lo, s28
	s_cbranch_vccnz .LBB15_427
; %bb.426:
	s_wait_xcnt 0x0
	v_cvt_i32_f32_e32 v1, v2
	global_store_b16 v[4:5], v1, off
.LBB15_427:
	s_mov_b32 s28, 0
.LBB15_428:
	s_delay_alu instid0(SALU_CYCLE_1)
	s_and_not1_b32 vcc_lo, exec_lo, s28
	s_cbranch_vccnz .LBB15_433
; %bb.429:
	s_cmp_gt_i32 s27, 0
	s_mov_b32 s27, -1
	s_cbranch_scc0 .LBB15_431
; %bb.430:
	s_wait_xcnt 0x0
	v_cvt_i32_f32_e32 v1, v2
	s_mov_b32 s27, 0
	global_store_b8 v[4:5], v1, off
.LBB15_431:
	s_and_not1_b32 vcc_lo, exec_lo, s27
	s_cbranch_vccnz .LBB15_433
; %bb.432:
	s_wait_xcnt 0x0
	v_trunc_f32_e32 v1, v2
	s_delay_alu instid0(VALU_DEP_1) | instskip(NEXT) | instid1(VALU_DEP_1)
	v_mul_f32_e64 v2, 0x2f800000, |v1|
	v_floor_f32_e32 v2, v2
	s_delay_alu instid0(VALU_DEP_1) | instskip(SKIP_1) | instid1(VALU_DEP_2)
	v_fma_f32 v2, 0xcf800000, v2, |v1|
	v_ashrrev_i32_e32 v1, 31, v1
	v_cvt_u32_f32_e32 v2, v2
	s_delay_alu instid0(VALU_DEP_1) | instskip(NEXT) | instid1(VALU_DEP_1)
	v_xor_b32_e32 v2, v2, v1
	v_sub_nc_u32_e32 v1, v2, v1
	global_store_b8 v[4:5], v1, off
.LBB15_433:
	s_mov_b32 s29, -1
.LBB15_434:
	s_delay_alu instid0(SALU_CYCLE_1)
	s_and_not1_b32 vcc_lo, exec_lo, s29
	s_cbranch_vccnz .LBB15_436
; %bb.435:
	v_add_nc_u32_e32 v0, 0x80, v0
	s_mov_b32 s27, -1
	s_branch .LBB15_549
.LBB15_436:
	s_mov_b32 s27, 0
	s_branch .LBB15_548
.LBB15_437:
	s_mov_b32 s26, -1
                                        ; implicit-def: $vgpr2
.LBB15_438:
	s_mov_b32 s28, 0
.LBB15_439:
	s_delay_alu instid0(SALU_CYCLE_1)
	s_and_b32 vcc_lo, exec_lo, s28
	s_cbranch_vccz .LBB15_443
; %bb.440:
	s_cmp_eq_u32 s0, 29
	s_cbranch_scc0 .LBB15_442
; %bb.441:
	global_load_b64 v[2:3], v[6:7], off
	s_mov_b32 s27, -1
	s_mov_b32 s26, 0
	s_mov_b32 s28, 0
	s_wait_loadcnt 0x0
	v_clz_i32_u32_e32 v1, v3
	s_delay_alu instid0(VALU_DEP_1) | instskip(NEXT) | instid1(VALU_DEP_1)
	v_min_u32_e32 v1, 32, v1
	v_lshlrev_b64_e32 v[2:3], v1, v[2:3]
	v_sub_nc_u32_e32 v1, 32, v1
	s_delay_alu instid0(VALU_DEP_2) | instskip(NEXT) | instid1(VALU_DEP_1)
	v_min_u32_e32 v2, 1, v2
	v_or_b32_e32 v2, v3, v2
	s_delay_alu instid0(VALU_DEP_1) | instskip(NEXT) | instid1(VALU_DEP_1)
	v_cvt_f32_u32_e32 v2, v2
	v_ldexp_f32 v2, v2, v1
	s_branch .LBB15_444
.LBB15_442:
	s_mov_b32 s26, -1
                                        ; implicit-def: $vgpr2
.LBB15_443:
	s_mov_b32 s28, 0
.LBB15_444:
	s_delay_alu instid0(SALU_CYCLE_1)
	s_and_b32 vcc_lo, exec_lo, s28
	s_cbranch_vccz .LBB15_462
; %bb.445:
	s_cmp_lt_i32 s0, 27
	s_cbranch_scc1 .LBB15_448
; %bb.446:
	s_cmp_gt_i32 s0, 27
	s_cbranch_scc0 .LBB15_449
; %bb.447:
	global_load_b32 v1, v[6:7], off
	s_mov_b32 s27, 0
	s_wait_loadcnt 0x0
	v_cvt_f32_u32_e32 v2, v1
	s_branch .LBB15_450
.LBB15_448:
	s_mov_b32 s27, -1
                                        ; implicit-def: $vgpr2
	s_branch .LBB15_453
.LBB15_449:
	s_mov_b32 s27, -1
                                        ; implicit-def: $vgpr2
.LBB15_450:
	s_delay_alu instid0(SALU_CYCLE_1)
	s_and_not1_b32 vcc_lo, exec_lo, s27
	s_cbranch_vccnz .LBB15_452
; %bb.451:
	global_load_u16 v1, v[6:7], off
	s_wait_loadcnt 0x0
	v_cvt_f32_u32_e32 v2, v1
.LBB15_452:
	s_mov_b32 s27, 0
.LBB15_453:
	s_delay_alu instid0(SALU_CYCLE_1)
	s_and_not1_b32 vcc_lo, exec_lo, s27
	s_cbranch_vccnz .LBB15_461
; %bb.454:
	global_load_u8 v1, v[6:7], off
	s_mov_b32 s27, 0
	s_mov_b32 s28, exec_lo
	s_wait_loadcnt 0x0
	v_cmpx_lt_i16_e32 0x7f, v1
	s_xor_b32 s28, exec_lo, s28
	s_cbranch_execz .LBB15_475
; %bb.455:
	s_mov_b32 s27, -1
	s_mov_b32 s29, exec_lo
	v_cmpx_eq_u16_e32 0x80, v1
; %bb.456:
	s_xor_b32 s27, exec_lo, -1
; %bb.457:
	s_or_b32 exec_lo, exec_lo, s29
	s_delay_alu instid0(SALU_CYCLE_1)
	s_and_b32 s27, s27, exec_lo
	s_or_saveexec_b32 s28, s28
	v_mov_b32_e32 v2, 0x7f800001
	s_xor_b32 exec_lo, exec_lo, s28
	s_cbranch_execnz .LBB15_476
.LBB15_458:
	s_or_b32 exec_lo, exec_lo, s28
	s_and_saveexec_b32 s28, s27
	s_cbranch_execz .LBB15_460
.LBB15_459:
	v_and_b32_e32 v2, 0xffff, v1
	s_delay_alu instid0(VALU_DEP_1) | instskip(SKIP_1) | instid1(VALU_DEP_2)
	v_and_b32_e32 v3, 7, v2
	v_bfe_u32 v9, v2, 3, 4
	v_clz_i32_u32_e32 v5, v3
	s_delay_alu instid0(VALU_DEP_2) | instskip(NEXT) | instid1(VALU_DEP_2)
	v_cmp_eq_u32_e32 vcc_lo, 0, v9
	v_min_u32_e32 v5, 32, v5
	s_delay_alu instid0(VALU_DEP_1) | instskip(NEXT) | instid1(VALU_DEP_1)
	v_subrev_nc_u32_e32 v8, 28, v5
	v_dual_lshlrev_b32 v2, v8, v2 :: v_dual_sub_nc_u32 v5, 29, v5
	s_delay_alu instid0(VALU_DEP_1) | instskip(NEXT) | instid1(VALU_DEP_1)
	v_dual_lshlrev_b32 v1, 24, v1 :: v_dual_bitop2_b32 v2, 7, v2 bitop3:0x40
	v_dual_cndmask_b32 v2, v3, v2 :: v_dual_cndmask_b32 v5, v9, v5
	s_delay_alu instid0(VALU_DEP_2) | instskip(NEXT) | instid1(VALU_DEP_2)
	v_and_b32_e32 v1, 0x80000000, v1
	v_lshlrev_b32_e32 v2, 20, v2
	s_delay_alu instid0(VALU_DEP_3) | instskip(NEXT) | instid1(VALU_DEP_1)
	v_lshl_add_u32 v3, v5, 23, 0x3b800000
	v_or3_b32 v2, v1, v3, v2
.LBB15_460:
	s_or_b32 exec_lo, exec_lo, s28
.LBB15_461:
	s_mov_b32 s27, -1
.LBB15_462:
	s_mov_b32 s28, 0
.LBB15_463:
	s_delay_alu instid0(SALU_CYCLE_1)
	s_and_b32 vcc_lo, exec_lo, s28
	s_cbranch_vccz .LBB15_498
; %bb.464:
	s_cmp_gt_i32 s0, 22
	s_cbranch_scc0 .LBB15_474
; %bb.465:
	s_cmp_lt_i32 s0, 24
	s_cbranch_scc1 .LBB15_477
; %bb.466:
	s_cmp_gt_i32 s0, 24
	s_cbranch_scc0 .LBB15_478
; %bb.467:
	global_load_u8 v1, v[6:7], off
	s_mov_b32 s27, 0
	s_mov_b32 s28, exec_lo
	s_wait_loadcnt 0x0
	v_cmpx_lt_i16_e32 0x7f, v1
	s_xor_b32 s28, exec_lo, s28
	s_cbranch_execz .LBB15_490
; %bb.468:
	s_mov_b32 s27, -1
	s_mov_b32 s29, exec_lo
	v_cmpx_eq_u16_e32 0x80, v1
; %bb.469:
	s_xor_b32 s27, exec_lo, -1
; %bb.470:
	s_or_b32 exec_lo, exec_lo, s29
	s_delay_alu instid0(SALU_CYCLE_1)
	s_and_b32 s27, s27, exec_lo
	s_or_saveexec_b32 s28, s28
	v_mov_b32_e32 v2, 0x7f800001
	s_xor_b32 exec_lo, exec_lo, s28
	s_cbranch_execnz .LBB15_491
.LBB15_471:
	s_or_b32 exec_lo, exec_lo, s28
	s_and_saveexec_b32 s28, s27
	s_cbranch_execz .LBB15_473
.LBB15_472:
	v_and_b32_e32 v2, 0xffff, v1
	s_delay_alu instid0(VALU_DEP_1) | instskip(SKIP_1) | instid1(VALU_DEP_2)
	v_and_b32_e32 v3, 3, v2
	v_bfe_u32 v9, v2, 2, 5
	v_clz_i32_u32_e32 v5, v3
	s_delay_alu instid0(VALU_DEP_2) | instskip(NEXT) | instid1(VALU_DEP_2)
	v_cmp_eq_u32_e32 vcc_lo, 0, v9
	v_min_u32_e32 v5, 32, v5
	s_delay_alu instid0(VALU_DEP_1) | instskip(NEXT) | instid1(VALU_DEP_1)
	v_subrev_nc_u32_e32 v8, 29, v5
	v_dual_lshlrev_b32 v2, v8, v2 :: v_dual_sub_nc_u32 v5, 30, v5
	s_delay_alu instid0(VALU_DEP_1) | instskip(NEXT) | instid1(VALU_DEP_1)
	v_dual_lshlrev_b32 v1, 24, v1 :: v_dual_bitop2_b32 v2, 3, v2 bitop3:0x40
	v_dual_cndmask_b32 v2, v3, v2 :: v_dual_cndmask_b32 v5, v9, v5
	s_delay_alu instid0(VALU_DEP_2) | instskip(NEXT) | instid1(VALU_DEP_2)
	v_and_b32_e32 v1, 0x80000000, v1
	v_lshlrev_b32_e32 v2, 21, v2
	s_delay_alu instid0(VALU_DEP_3) | instskip(NEXT) | instid1(VALU_DEP_1)
	v_lshl_add_u32 v3, v5, 23, 0x37800000
	v_or3_b32 v2, v1, v3, v2
.LBB15_473:
	s_or_b32 exec_lo, exec_lo, s28
	s_mov_b32 s27, 0
	s_branch .LBB15_479
.LBB15_474:
	s_mov_b32 s28, -1
                                        ; implicit-def: $vgpr2
	s_branch .LBB15_485
.LBB15_475:
	s_or_saveexec_b32 s28, s28
	v_mov_b32_e32 v2, 0x7f800001
	s_xor_b32 exec_lo, exec_lo, s28
	s_cbranch_execz .LBB15_458
.LBB15_476:
	v_cmp_ne_u16_e32 vcc_lo, 0, v1
	v_mov_b32_e32 v2, 0
	s_and_not1_b32 s27, s27, exec_lo
	s_and_b32 s29, vcc_lo, exec_lo
	s_delay_alu instid0(SALU_CYCLE_1)
	s_or_b32 s27, s27, s29
	s_or_b32 exec_lo, exec_lo, s28
	s_and_saveexec_b32 s28, s27
	s_cbranch_execnz .LBB15_459
	s_branch .LBB15_460
.LBB15_477:
	s_mov_b32 s27, -1
                                        ; implicit-def: $vgpr2
	s_branch .LBB15_482
.LBB15_478:
	s_mov_b32 s27, -1
                                        ; implicit-def: $vgpr2
.LBB15_479:
	s_delay_alu instid0(SALU_CYCLE_1)
	s_and_b32 vcc_lo, exec_lo, s27
	s_cbranch_vccz .LBB15_481
; %bb.480:
	global_load_u8 v1, v[6:7], off
	s_wait_loadcnt 0x0
	v_lshlrev_b32_e32 v1, 24, v1
	s_delay_alu instid0(VALU_DEP_1) | instskip(NEXT) | instid1(VALU_DEP_1)
	v_and_b32_e32 v2, 0x7f000000, v1
	v_clz_i32_u32_e32 v3, v2
	v_add_nc_u32_e32 v8, 0x1000000, v2
	v_cmp_ne_u32_e32 vcc_lo, 0, v2
	s_delay_alu instid0(VALU_DEP_3) | instskip(NEXT) | instid1(VALU_DEP_1)
	v_min_u32_e32 v3, 32, v3
	v_sub_nc_u32_e64 v3, v3, 4 clamp
	s_delay_alu instid0(VALU_DEP_1) | instskip(NEXT) | instid1(VALU_DEP_1)
	v_dual_lshlrev_b32 v5, v3, v2 :: v_dual_lshlrev_b32 v3, 23, v3
	v_lshrrev_b32_e32 v5, 4, v5
	s_delay_alu instid0(VALU_DEP_1) | instskip(NEXT) | instid1(VALU_DEP_1)
	v_dual_sub_nc_u32 v3, v5, v3 :: v_dual_ashrrev_i32 v5, 8, v8
	v_add_nc_u32_e32 v3, 0x3c000000, v3
	s_delay_alu instid0(VALU_DEP_1) | instskip(NEXT) | instid1(VALU_DEP_1)
	v_and_or_b32 v3, 0x7f800000, v5, v3
	v_cndmask_b32_e32 v2, 0, v3, vcc_lo
	s_delay_alu instid0(VALU_DEP_1)
	v_and_or_b32 v2, 0x80000000, v1, v2
.LBB15_481:
	s_mov_b32 s27, 0
.LBB15_482:
	s_delay_alu instid0(SALU_CYCLE_1)
	s_and_not1_b32 vcc_lo, exec_lo, s27
	s_cbranch_vccnz .LBB15_484
; %bb.483:
	global_load_u8 v1, v[6:7], off
	s_wait_loadcnt 0x0
	v_lshlrev_b32_e32 v2, 25, v1
	v_lshlrev_b16 v1, 8, v1
	s_delay_alu instid0(VALU_DEP_1) | instskip(NEXT) | instid1(VALU_DEP_3)
	v_and_or_b32 v5, 0x7f00, v1, 0.5
	v_lshrrev_b32_e32 v3, 4, v2
	v_bfe_i32 v1, v1, 0, 16
	s_delay_alu instid0(VALU_DEP_3) | instskip(NEXT) | instid1(VALU_DEP_3)
	v_add_f32_e32 v5, -0.5, v5
	v_or_b32_e32 v3, 0x70000000, v3
	s_delay_alu instid0(VALU_DEP_1) | instskip(SKIP_1) | instid1(VALU_DEP_2)
	v_mul_f32_e32 v3, 0x7800000, v3
	v_cmp_gt_u32_e32 vcc_lo, 0x8000000, v2
	v_cndmask_b32_e32 v2, v3, v5, vcc_lo
	s_delay_alu instid0(VALU_DEP_1)
	v_and_or_b32 v2, 0x80000000, v1, v2
.LBB15_484:
	s_mov_b32 s28, 0
	s_mov_b32 s27, -1
.LBB15_485:
	s_and_not1_b32 vcc_lo, exec_lo, s28
	s_cbranch_vccnz .LBB15_498
; %bb.486:
	s_cmp_gt_i32 s0, 14
	s_cbranch_scc0 .LBB15_489
; %bb.487:
	s_cmp_eq_u32 s0, 15
	s_cbranch_scc0 .LBB15_492
; %bb.488:
	global_load_u16 v1, v[6:7], off
	s_mov_b32 s27, -1
	s_mov_b32 s26, 0
	s_wait_loadcnt 0x0
	v_lshlrev_b32_e32 v2, 16, v1
	s_branch .LBB15_493
.LBB15_489:
	s_mov_b32 s28, -1
                                        ; implicit-def: $vgpr2
	s_branch .LBB15_494
.LBB15_490:
	s_or_saveexec_b32 s28, s28
	v_mov_b32_e32 v2, 0x7f800001
	s_xor_b32 exec_lo, exec_lo, s28
	s_cbranch_execz .LBB15_471
.LBB15_491:
	v_cmp_ne_u16_e32 vcc_lo, 0, v1
	v_mov_b32_e32 v2, 0
	s_and_not1_b32 s27, s27, exec_lo
	s_and_b32 s29, vcc_lo, exec_lo
	s_delay_alu instid0(SALU_CYCLE_1)
	s_or_b32 s27, s27, s29
	s_or_b32 exec_lo, exec_lo, s28
	s_and_saveexec_b32 s28, s27
	s_cbranch_execnz .LBB15_472
	s_branch .LBB15_473
.LBB15_492:
	s_mov_b32 s26, -1
                                        ; implicit-def: $vgpr2
.LBB15_493:
	s_mov_b32 s28, 0
.LBB15_494:
	s_delay_alu instid0(SALU_CYCLE_1)
	s_and_b32 vcc_lo, exec_lo, s28
	s_cbranch_vccz .LBB15_498
; %bb.495:
	s_cmp_eq_u32 s0, 11
	s_cbranch_scc0 .LBB15_497
; %bb.496:
	global_load_u8 v1, v[6:7], off
	s_mov_b32 s26, 0
	s_mov_b32 s27, -1
	s_wait_loadcnt 0x0
	v_cmp_ne_u16_e32 vcc_lo, 0, v1
	v_cndmask_b32_e64 v2, 0, 1.0, vcc_lo
	s_branch .LBB15_498
.LBB15_497:
	s_mov_b32 s26, -1
                                        ; implicit-def: $vgpr2
.LBB15_498:
	s_branch .LBB15_298
.LBB15_499:
	s_cmp_lt_i32 s0, 5
	s_cbranch_scc1 .LBB15_504
; %bb.500:
	s_cmp_lt_i32 s0, 8
	s_cbranch_scc1 .LBB15_505
; %bb.501:
	;; [unrolled: 3-line block ×3, first 2 shown]
	s_cmp_gt_i32 s0, 9
	s_cbranch_scc0 .LBB15_507
; %bb.503:
	global_load_b64 v[2:3], v[6:7], off
	s_mov_b32 s27, 0
	s_wait_loadcnt 0x0
	v_cvt_f32_f64_e32 v2, v[2:3]
	s_branch .LBB15_508
.LBB15_504:
	s_mov_b32 s27, -1
                                        ; implicit-def: $vgpr2
	s_branch .LBB15_526
.LBB15_505:
	s_mov_b32 s27, -1
                                        ; implicit-def: $vgpr2
	s_branch .LBB15_514
.LBB15_506:
	s_mov_b32 s27, -1
                                        ; implicit-def: $vgpr2
	s_branch .LBB15_511
.LBB15_507:
	s_mov_b32 s27, -1
                                        ; implicit-def: $vgpr2
.LBB15_508:
	s_delay_alu instid0(SALU_CYCLE_1)
	s_and_not1_b32 vcc_lo, exec_lo, s27
	s_cbranch_vccnz .LBB15_510
; %bb.509:
	global_load_b32 v2, v[6:7], off
.LBB15_510:
	s_mov_b32 s27, 0
.LBB15_511:
	s_delay_alu instid0(SALU_CYCLE_1)
	s_and_not1_b32 vcc_lo, exec_lo, s27
	s_cbranch_vccnz .LBB15_513
; %bb.512:
	global_load_b32 v1, v[6:7], off
	s_wait_loadcnt 0x0
	v_cvt_f32_f16_e32 v2, v1
.LBB15_513:
	s_mov_b32 s27, 0
.LBB15_514:
	s_delay_alu instid0(SALU_CYCLE_1)
	s_and_not1_b32 vcc_lo, exec_lo, s27
	s_cbranch_vccnz .LBB15_525
; %bb.515:
	s_cmp_lt_i32 s0, 6
	s_cbranch_scc1 .LBB15_518
; %bb.516:
	s_cmp_gt_i32 s0, 6
	s_cbranch_scc0 .LBB15_519
; %bb.517:
	s_wait_loadcnt 0x0
	global_load_b64 v[2:3], v[6:7], off
	s_mov_b32 s27, 0
	s_wait_loadcnt 0x0
	v_cvt_f32_f64_e32 v2, v[2:3]
	s_branch .LBB15_520
.LBB15_518:
	s_mov_b32 s27, -1
                                        ; implicit-def: $vgpr2
	s_branch .LBB15_523
.LBB15_519:
	s_mov_b32 s27, -1
                                        ; implicit-def: $vgpr2
.LBB15_520:
	s_delay_alu instid0(SALU_CYCLE_1)
	s_and_not1_b32 vcc_lo, exec_lo, s27
	s_cbranch_vccnz .LBB15_522
; %bb.521:
	s_wait_loadcnt 0x0
	global_load_b32 v2, v[6:7], off
.LBB15_522:
	s_mov_b32 s27, 0
.LBB15_523:
	s_delay_alu instid0(SALU_CYCLE_1)
	s_and_not1_b32 vcc_lo, exec_lo, s27
	s_cbranch_vccnz .LBB15_525
; %bb.524:
	global_load_u16 v1, v[6:7], off
	s_wait_loadcnt 0x0
	v_cvt_f32_f16_e32 v2, v1
.LBB15_525:
	s_mov_b32 s27, 0
.LBB15_526:
	s_delay_alu instid0(SALU_CYCLE_1)
	s_and_not1_b32 vcc_lo, exec_lo, s27
	s_cbranch_vccnz .LBB15_546
; %bb.527:
	s_cmp_lt_i32 s0, 2
	s_cbranch_scc1 .LBB15_531
; %bb.528:
	s_cmp_lt_i32 s0, 3
	s_cbranch_scc1 .LBB15_532
; %bb.529:
	s_cmp_gt_i32 s0, 3
	s_cbranch_scc0 .LBB15_533
; %bb.530:
	s_wait_loadcnt 0x0
	global_load_b64 v[2:3], v[6:7], off
	s_mov_b32 s27, 0
	s_wait_loadcnt 0x0
	v_xor_b32_e32 v1, v2, v3
	v_cls_i32_e32 v5, v3
	s_delay_alu instid0(VALU_DEP_2) | instskip(NEXT) | instid1(VALU_DEP_1)
	v_ashrrev_i32_e32 v1, 31, v1
	v_add_nc_u32_e32 v1, 32, v1
	s_delay_alu instid0(VALU_DEP_1) | instskip(NEXT) | instid1(VALU_DEP_1)
	v_add_min_u32_e64 v1, v5, -1, v1
	v_lshlrev_b64_e32 v[2:3], v1, v[2:3]
	v_sub_nc_u32_e32 v1, 32, v1
	s_delay_alu instid0(VALU_DEP_2) | instskip(NEXT) | instid1(VALU_DEP_1)
	v_min_u32_e32 v2, 1, v2
	v_or_b32_e32 v2, v3, v2
	s_delay_alu instid0(VALU_DEP_1) | instskip(NEXT) | instid1(VALU_DEP_1)
	v_cvt_f32_i32_e32 v2, v2
	v_ldexp_f32 v2, v2, v1
	s_branch .LBB15_534
.LBB15_531:
	s_mov_b32 s27, -1
                                        ; implicit-def: $vgpr2
	s_branch .LBB15_540
.LBB15_532:
	s_mov_b32 s27, -1
                                        ; implicit-def: $vgpr2
	s_branch .LBB15_537
.LBB15_533:
	s_mov_b32 s27, -1
                                        ; implicit-def: $vgpr2
.LBB15_534:
	s_delay_alu instid0(SALU_CYCLE_1)
	s_and_not1_b32 vcc_lo, exec_lo, s27
	s_cbranch_vccnz .LBB15_536
; %bb.535:
	global_load_b32 v1, v[6:7], off
	s_wait_loadcnt 0x0
	v_cvt_f32_i32_e32 v2, v1
.LBB15_536:
	s_mov_b32 s27, 0
.LBB15_537:
	s_delay_alu instid0(SALU_CYCLE_1)
	s_and_not1_b32 vcc_lo, exec_lo, s27
	s_cbranch_vccnz .LBB15_539
; %bb.538:
	global_load_i16 v1, v[6:7], off
	s_wait_loadcnt 0x0
	v_cvt_f32_i32_e32 v2, v1
.LBB15_539:
	s_mov_b32 s27, 0
.LBB15_540:
	s_delay_alu instid0(SALU_CYCLE_1)
	s_and_not1_b32 vcc_lo, exec_lo, s27
	s_cbranch_vccnz .LBB15_546
; %bb.541:
	s_cmp_gt_i32 s0, 0
	s_mov_b32 s0, 0
	s_cbranch_scc0 .LBB15_543
; %bb.542:
	global_load_i8 v1, v[6:7], off
	s_wait_loadcnt 0x0
	v_cvt_f32_i32_e32 v2, v1
	s_branch .LBB15_544
.LBB15_543:
	s_mov_b32 s0, -1
                                        ; implicit-def: $vgpr2
.LBB15_544:
	s_delay_alu instid0(SALU_CYCLE_1)
	s_and_not1_b32 vcc_lo, exec_lo, s0
	s_cbranch_vccnz .LBB15_546
; %bb.545:
	global_load_u8 v1, v[6:7], off
	s_wait_loadcnt 0x0
	v_cvt_f32_ubyte0_e32 v2, v1
.LBB15_546:
	s_branch .LBB15_299
.LBB15_547:
	s_mov_b32 s27, 0
	s_mov_b32 s0, s41
.LBB15_548:
                                        ; implicit-def: $vgpr0
.LBB15_549:
	s_and_not1_b32 s28, s41, exec_lo
	s_and_b32 s0, s0, exec_lo
	s_and_not1_b32 s29, s42, exec_lo
	s_and_b32 s26, s26, exec_lo
	s_or_b32 s45, s28, s0
	s_or_b32 s44, s29, s26
	s_or_not1_b32 s0, s27, exec_lo
.LBB15_550:
	s_wait_xcnt 0x0
	s_or_b32 exec_lo, exec_lo, s46
	s_mov_b32 s27, 0
	s_mov_b32 s26, 0
	;; [unrolled: 1-line block ×3, first 2 shown]
                                        ; implicit-def: $vgpr6_vgpr7
                                        ; implicit-def: $vgpr4
                                        ; implicit-def: $vgpr2
	s_and_saveexec_b32 s46, s0
	s_cbranch_execz .LBB15_933
; %bb.551:
	s_mov_b32 s29, -1
	s_mov_b32 s0, s44
	s_mov_b32 s30, s45
	s_mov_b32 s47, exec_lo
	v_cmpx_gt_i32_e64 s38, v0
	s_cbranch_execz .LBB15_830
; %bb.552:
	s_and_not1_b32 vcc_lo, exec_lo, s35
	s_cbranch_vccnz .LBB15_558
; %bb.553:
	s_and_not1_b32 vcc_lo, exec_lo, s40
	s_cbranch_vccnz .LBB15_559
; %bb.554:
	s_add_co_i32 s0, s39, 1
	s_cmp_eq_u32 s33, 2
	s_cbranch_scc1 .LBB15_560
; %bb.555:
	s_wait_loadcnt 0x0
	v_dual_mov_b32 v4, 0 :: v_dual_mov_b32 v2, 0
	v_mov_b32_e32 v1, v0
	s_and_b32 s26, s0, 28
	s_mov_b64 s[28:29], s[2:3]
	s_mov_b64 s[30:31], s[24:25]
.LBB15_556:                             ; =>This Inner Loop Header: Depth=1
	s_clause 0x1
	s_load_b256 s[48:55], s[28:29], 0x4
	s_load_b128 s[64:67], s[28:29], 0x24
	s_load_b256 s[56:63], s[30:31], 0x0
	s_add_co_i32 s27, s27, 4
	s_wait_xcnt 0x0
	s_add_nc_u64 s[28:29], s[28:29], 48
	s_cmp_eq_u32 s26, s27
	s_add_nc_u64 s[30:31], s[30:31], 32
	s_wait_kmcnt 0x0
	v_mul_hi_u32 v3, s49, v1
	s_delay_alu instid0(VALU_DEP_1) | instskip(NEXT) | instid1(VALU_DEP_1)
	v_add_nc_u32_e32 v3, v1, v3
	v_lshrrev_b32_e32 v3, s50, v3
	s_delay_alu instid0(VALU_DEP_1) | instskip(NEXT) | instid1(VALU_DEP_1)
	v_mul_hi_u32 v5, s52, v3
	v_add_nc_u32_e32 v5, v3, v5
	s_delay_alu instid0(VALU_DEP_1) | instskip(NEXT) | instid1(VALU_DEP_1)
	v_lshrrev_b32_e32 v5, s53, v5
	v_mul_hi_u32 v6, s55, v5
	s_delay_alu instid0(VALU_DEP_1) | instskip(SKIP_1) | instid1(VALU_DEP_1)
	v_add_nc_u32_e32 v6, v5, v6
	v_mul_lo_u32 v7, v3, s48
	v_sub_nc_u32_e32 v1, v1, v7
	v_mul_lo_u32 v7, v5, s51
	s_delay_alu instid0(VALU_DEP_4) | instskip(NEXT) | instid1(VALU_DEP_3)
	v_lshrrev_b32_e32 v6, s64, v6
	v_mad_u32 v2, v1, s57, v2
	v_mad_u32 v1, v1, s56, v4
	s_delay_alu instid0(VALU_DEP_4) | instskip(NEXT) | instid1(VALU_DEP_4)
	v_sub_nc_u32_e32 v3, v3, v7
	v_mul_hi_u32 v8, s66, v6
	v_mul_lo_u32 v4, v6, s54
	s_delay_alu instid0(VALU_DEP_3) | instskip(SKIP_1) | instid1(VALU_DEP_4)
	v_mad_u32 v2, v3, s59, v2
	v_mad_u32 v3, v3, s58, v1
	v_add_nc_u32_e32 v7, v6, v8
	s_delay_alu instid0(VALU_DEP_1) | instskip(NEXT) | instid1(VALU_DEP_1)
	v_dual_sub_nc_u32 v4, v5, v4 :: v_dual_lshrrev_b32 v1, s67, v7
	v_mad_u32 v2, v4, s61, v2
	s_delay_alu instid0(VALU_DEP_4) | instskip(NEXT) | instid1(VALU_DEP_3)
	v_mad_u32 v3, v4, s60, v3
	v_mul_lo_u32 v5, v1, s65
	s_delay_alu instid0(VALU_DEP_1) | instskip(NEXT) | instid1(VALU_DEP_1)
	v_sub_nc_u32_e32 v4, v6, v5
	v_mad_u32 v2, v4, s63, v2
	s_delay_alu instid0(VALU_DEP_4)
	v_mad_u32 v4, v4, s62, v3
	s_cbranch_scc0 .LBB15_556
; %bb.557:
	s_delay_alu instid0(VALU_DEP_2)
	v_mov_b32_e32 v5, v2
	s_branch .LBB15_561
.LBB15_558:
	s_mov_b32 s0, -1
                                        ; implicit-def: $vgpr2
                                        ; implicit-def: $vgpr4
	s_branch .LBB15_566
.LBB15_559:
	s_wait_loadcnt 0x0
	v_dual_mov_b32 v2, 0 :: v_dual_mov_b32 v4, 0
	s_branch .LBB15_565
.LBB15_560:
	v_mov_b64_e32 v[4:5], 0
	v_mov_b32_e32 v1, v0
                                        ; implicit-def: $vgpr2
.LBB15_561:
	s_and_b32 s0, s0, 3
	s_mov_b32 s27, 0
	s_cmp_eq_u32 s0, 0
	s_cbranch_scc1 .LBB15_565
; %bb.562:
	s_lshl_b32 s28, s26, 3
	s_mov_b32 s29, s27
	s_mul_u64 s[30:31], s[26:27], 12
	s_add_nc_u64 s[28:29], s[2:3], s[28:29]
	s_delay_alu instid0(SALU_CYCLE_1)
	s_add_nc_u64 s[26:27], s[28:29], 0xc4
	s_add_nc_u64 s[28:29], s[2:3], s[30:31]
.LBB15_563:                             ; =>This Inner Loop Header: Depth=1
	s_load_b96 s[48:50], s[28:29], 0x4
	s_load_b64 s[30:31], s[26:27], 0x0
	s_add_co_i32 s0, s0, -1
	s_wait_xcnt 0x0
	s_add_nc_u64 s[28:29], s[28:29], 12
	s_cmp_lg_u32 s0, 0
	s_add_nc_u64 s[26:27], s[26:27], 8
	s_wait_loadcnt 0x0
	s_wait_kmcnt 0x0
	v_mul_hi_u32 v2, s49, v1
	s_delay_alu instid0(VALU_DEP_1) | instskip(NEXT) | instid1(VALU_DEP_1)
	v_add_nc_u32_e32 v2, v1, v2
	v_lshrrev_b32_e32 v2, s50, v2
	s_delay_alu instid0(VALU_DEP_1) | instskip(NEXT) | instid1(VALU_DEP_1)
	v_mul_lo_u32 v3, v2, s48
	v_sub_nc_u32_e32 v1, v1, v3
	s_delay_alu instid0(VALU_DEP_1)
	v_mad_u32 v5, v1, s31, v5
	v_mad_u32 v4, v1, s30, v4
	v_mov_b32_e32 v1, v2
	s_cbranch_scc1 .LBB15_563
; %bb.564:
	s_delay_alu instid0(VALU_DEP_3)
	v_mov_b32_e32 v2, v5
.LBB15_565:
	s_mov_b32 s0, 0
.LBB15_566:
	s_delay_alu instid0(SALU_CYCLE_1)
	s_and_not1_b32 vcc_lo, exec_lo, s0
	s_cbranch_vccnz .LBB15_569
; %bb.567:
	v_mov_b32_e32 v1, 0
	s_and_not1_b32 vcc_lo, exec_lo, s37
	s_wait_loadcnt 0x0
	s_delay_alu instid0(VALU_DEP_1) | instskip(NEXT) | instid1(VALU_DEP_1)
	v_mul_u64_e32 v[2:3], s[20:21], v[0:1]
	v_add_nc_u32_e32 v2, v0, v3
	s_delay_alu instid0(VALU_DEP_1) | instskip(NEXT) | instid1(VALU_DEP_1)
	v_lshrrev_b32_e32 v6, s10, v2
	v_mul_lo_u32 v2, v6, s8
	s_delay_alu instid0(VALU_DEP_1) | instskip(NEXT) | instid1(VALU_DEP_1)
	v_sub_nc_u32_e32 v3, v0, v2
	v_mul_lo_u32 v2, v3, s13
	v_mul_lo_u32 v4, v3, s12
	s_cbranch_vccnz .LBB15_569
; %bb.568:
	v_mov_b32_e32 v7, v1
	s_delay_alu instid0(VALU_DEP_1) | instskip(NEXT) | instid1(VALU_DEP_1)
	v_mul_u64_e32 v[8:9], s[22:23], v[6:7]
	v_add_nc_u32_e32 v1, v6, v9
	s_delay_alu instid0(VALU_DEP_1) | instskip(NEXT) | instid1(VALU_DEP_1)
	v_lshrrev_b32_e32 v1, s1, v1
	v_mul_lo_u32 v1, v1, s11
	s_delay_alu instid0(VALU_DEP_1) | instskip(NEXT) | instid1(VALU_DEP_1)
	v_sub_nc_u32_e32 v1, v6, v1
	v_mad_u32 v4, v1, s14, v4
	v_mad_u32 v2, v1, s15, v2
.LBB15_569:
	v_mov_b32_e32 v3, 0
	s_and_b32 s0, 0xffff, s9
	s_delay_alu instid0(SALU_CYCLE_1) | instskip(SKIP_1) | instid1(VALU_DEP_1)
	s_cmp_lt_i32 s0, 11
	s_wait_loadcnt 0x0
	v_add_nc_u64_e32 v[6:7], s[6:7], v[2:3]
	s_cbranch_scc1 .LBB15_576
; %bb.570:
	s_cmp_gt_i32 s0, 25
	s_cbranch_scc0 .LBB15_577
; %bb.571:
	s_cmp_gt_i32 s0, 28
	s_cbranch_scc0 .LBB15_578
	;; [unrolled: 3-line block ×4, first 2 shown]
; %bb.574:
	s_cmp_eq_u32 s0, 46
	s_mov_b32 s28, 0
	s_cbranch_scc0 .LBB15_585
; %bb.575:
	global_load_b32 v1, v[6:7], off
	s_mov_b32 s27, -1
	s_mov_b32 s26, 0
	s_wait_loadcnt 0x0
	v_lshlrev_b32_e32 v2, 16, v1
	s_branch .LBB15_587
.LBB15_576:
	s_mov_b32 s28, -1
	s_mov_b32 s27, 0
	s_mov_b32 s26, s44
                                        ; implicit-def: $vgpr2
	s_branch .LBB15_652
.LBB15_577:
	s_mov_b32 s28, -1
	s_mov_b32 s27, 0
	s_mov_b32 s26, s44
                                        ; implicit-def: $vgpr2
	s_branch .LBB15_616
.LBB15_578:
	s_mov_b32 s28, -1
	s_mov_b32 s27, 0
	s_mov_b32 s26, s44
                                        ; implicit-def: $vgpr2
	s_branch .LBB15_597
.LBB15_579:
	s_mov_b32 s28, -1
	s_mov_b32 s27, 0
	s_mov_b32 s26, s44
                                        ; implicit-def: $vgpr2
	s_branch .LBB15_592
.LBB15_580:
	s_and_not1_saveexec_b32 s31, s31
	s_cbranch_execz .LBB15_347
.LBB15_581:
	v_add_f32_e64 v1, 0x46000000, |v2|
	s_and_not1_b32 s30, s30, exec_lo
	s_delay_alu instid0(VALU_DEP_1) | instskip(NEXT) | instid1(VALU_DEP_1)
	v_and_b32_e32 v1, 0xff, v1
	v_cmp_ne_u32_e32 vcc_lo, 0, v1
	s_and_b32 s44, vcc_lo, exec_lo
	s_delay_alu instid0(SALU_CYCLE_1)
	s_or_b32 s30, s30, s44
	s_or_b32 exec_lo, exec_lo, s31
	v_mov_b32_e32 v3, 0
	s_and_saveexec_b32 s31, s30
	s_cbranch_execnz .LBB15_348
	s_branch .LBB15_349
.LBB15_582:
	s_mov_b32 s28, -1
	s_mov_b32 s27, 0
	s_mov_b32 s26, s44
	s_branch .LBB15_586
.LBB15_583:
	s_and_not1_saveexec_b32 s31, s31
	s_cbranch_execz .LBB15_360
.LBB15_584:
	v_add_f32_e64 v1, 0x42800000, |v2|
	s_and_not1_b32 s30, s30, exec_lo
	s_delay_alu instid0(VALU_DEP_1) | instskip(NEXT) | instid1(VALU_DEP_1)
	v_and_b32_e32 v1, 0xff, v1
	v_cmp_ne_u32_e32 vcc_lo, 0, v1
	s_and_b32 s44, vcc_lo, exec_lo
	s_delay_alu instid0(SALU_CYCLE_1)
	s_or_b32 s30, s30, s44
	s_or_b32 exec_lo, exec_lo, s31
	v_mov_b32_e32 v3, 0
	s_and_saveexec_b32 s31, s30
	s_cbranch_execnz .LBB15_361
	s_branch .LBB15_362
.LBB15_585:
	s_mov_b32 s26, -1
	s_mov_b32 s27, 0
.LBB15_586:
                                        ; implicit-def: $vgpr2
.LBB15_587:
	s_and_b32 vcc_lo, exec_lo, s28
	s_cbranch_vccz .LBB15_591
; %bb.588:
	s_cmp_eq_u32 s0, 44
	s_cbranch_scc0 .LBB15_590
; %bb.589:
	global_load_u8 v1, v[6:7], off
	s_mov_b32 s26, 0
	s_mov_b32 s27, -1
	s_wait_loadcnt 0x0
	v_lshlrev_b32_e32 v2, 23, v1
	v_cmp_ne_u32_e32 vcc_lo, 0xff, v1
	s_delay_alu instid0(VALU_DEP_2) | instskip(SKIP_1) | instid1(VALU_DEP_2)
	v_cndmask_b32_e32 v2, 0x7f800001, v2, vcc_lo
	v_cmp_ne_u32_e32 vcc_lo, 0, v1
	v_cndmask_b32_e32 v2, 0x400000, v2, vcc_lo
	s_branch .LBB15_591
.LBB15_590:
	s_mov_b32 s26, -1
                                        ; implicit-def: $vgpr2
.LBB15_591:
	s_mov_b32 s28, 0
.LBB15_592:
	s_delay_alu instid0(SALU_CYCLE_1)
	s_and_b32 vcc_lo, exec_lo, s28
	s_cbranch_vccz .LBB15_596
; %bb.593:
	s_cmp_eq_u32 s0, 29
	s_cbranch_scc0 .LBB15_595
; %bb.594:
	global_load_b64 v[2:3], v[6:7], off
	s_mov_b32 s27, -1
	s_mov_b32 s26, 0
	s_mov_b32 s28, 0
	s_wait_loadcnt 0x0
	v_clz_i32_u32_e32 v1, v3
	s_delay_alu instid0(VALU_DEP_1) | instskip(NEXT) | instid1(VALU_DEP_1)
	v_min_u32_e32 v1, 32, v1
	v_lshlrev_b64_e32 v[2:3], v1, v[2:3]
	v_sub_nc_u32_e32 v1, 32, v1
	s_delay_alu instid0(VALU_DEP_2) | instskip(NEXT) | instid1(VALU_DEP_1)
	v_min_u32_e32 v2, 1, v2
	v_or_b32_e32 v2, v3, v2
	s_delay_alu instid0(VALU_DEP_1) | instskip(NEXT) | instid1(VALU_DEP_1)
	v_cvt_f32_u32_e32 v2, v2
	v_ldexp_f32 v2, v2, v1
	s_branch .LBB15_597
.LBB15_595:
	s_mov_b32 s26, -1
                                        ; implicit-def: $vgpr2
.LBB15_596:
	s_mov_b32 s28, 0
.LBB15_597:
	s_delay_alu instid0(SALU_CYCLE_1)
	s_and_b32 vcc_lo, exec_lo, s28
	s_cbranch_vccz .LBB15_615
; %bb.598:
	s_cmp_lt_i32 s0, 27
	s_cbranch_scc1 .LBB15_601
; %bb.599:
	s_cmp_gt_i32 s0, 27
	s_cbranch_scc0 .LBB15_602
; %bb.600:
	global_load_b32 v1, v[6:7], off
	s_mov_b32 s27, 0
	s_wait_loadcnt 0x0
	v_cvt_f32_u32_e32 v2, v1
	s_branch .LBB15_603
.LBB15_601:
	s_mov_b32 s27, -1
                                        ; implicit-def: $vgpr2
	s_branch .LBB15_606
.LBB15_602:
	s_mov_b32 s27, -1
                                        ; implicit-def: $vgpr2
.LBB15_603:
	s_delay_alu instid0(SALU_CYCLE_1)
	s_and_not1_b32 vcc_lo, exec_lo, s27
	s_cbranch_vccnz .LBB15_605
; %bb.604:
	global_load_u16 v1, v[6:7], off
	s_wait_loadcnt 0x0
	v_cvt_f32_u32_e32 v2, v1
.LBB15_605:
	s_mov_b32 s27, 0
.LBB15_606:
	s_delay_alu instid0(SALU_CYCLE_1)
	s_and_not1_b32 vcc_lo, exec_lo, s27
	s_cbranch_vccnz .LBB15_614
; %bb.607:
	global_load_u8 v1, v[6:7], off
	s_mov_b32 s27, 0
	s_mov_b32 s28, exec_lo
	s_wait_loadcnt 0x0
	v_cmpx_lt_i16_e32 0x7f, v1
	s_xor_b32 s28, exec_lo, s28
	s_cbranch_execz .LBB15_628
; %bb.608:
	s_mov_b32 s27, -1
	s_mov_b32 s29, exec_lo
	v_cmpx_eq_u16_e32 0x80, v1
; %bb.609:
	s_xor_b32 s27, exec_lo, -1
; %bb.610:
	s_or_b32 exec_lo, exec_lo, s29
	s_delay_alu instid0(SALU_CYCLE_1)
	s_and_b32 s27, s27, exec_lo
	s_or_saveexec_b32 s28, s28
	v_mov_b32_e32 v2, 0x7f800001
	s_xor_b32 exec_lo, exec_lo, s28
	s_cbranch_execnz .LBB15_629
.LBB15_611:
	s_or_b32 exec_lo, exec_lo, s28
	s_and_saveexec_b32 s28, s27
	s_cbranch_execz .LBB15_613
.LBB15_612:
	v_and_b32_e32 v2, 0xffff, v1
	s_delay_alu instid0(VALU_DEP_1) | instskip(SKIP_1) | instid1(VALU_DEP_2)
	v_and_b32_e32 v3, 7, v2
	v_bfe_u32 v9, v2, 3, 4
	v_clz_i32_u32_e32 v5, v3
	s_delay_alu instid0(VALU_DEP_2) | instskip(NEXT) | instid1(VALU_DEP_2)
	v_cmp_eq_u32_e32 vcc_lo, 0, v9
	v_min_u32_e32 v5, 32, v5
	s_delay_alu instid0(VALU_DEP_1) | instskip(NEXT) | instid1(VALU_DEP_1)
	v_subrev_nc_u32_e32 v8, 28, v5
	v_dual_lshlrev_b32 v2, v8, v2 :: v_dual_sub_nc_u32 v5, 29, v5
	s_delay_alu instid0(VALU_DEP_1) | instskip(NEXT) | instid1(VALU_DEP_1)
	v_dual_lshlrev_b32 v1, 24, v1 :: v_dual_bitop2_b32 v2, 7, v2 bitop3:0x40
	v_dual_cndmask_b32 v2, v3, v2 :: v_dual_cndmask_b32 v5, v9, v5
	s_delay_alu instid0(VALU_DEP_2) | instskip(NEXT) | instid1(VALU_DEP_2)
	v_and_b32_e32 v1, 0x80000000, v1
	v_lshlrev_b32_e32 v2, 20, v2
	s_delay_alu instid0(VALU_DEP_3) | instskip(NEXT) | instid1(VALU_DEP_1)
	v_lshl_add_u32 v3, v5, 23, 0x3b800000
	v_or3_b32 v2, v1, v3, v2
.LBB15_613:
	s_or_b32 exec_lo, exec_lo, s28
.LBB15_614:
	s_mov_b32 s27, -1
.LBB15_615:
	s_mov_b32 s28, 0
.LBB15_616:
	s_delay_alu instid0(SALU_CYCLE_1)
	s_and_b32 vcc_lo, exec_lo, s28
	s_cbranch_vccz .LBB15_651
; %bb.617:
	s_cmp_gt_i32 s0, 22
	s_cbranch_scc0 .LBB15_627
; %bb.618:
	s_cmp_lt_i32 s0, 24
	s_cbranch_scc1 .LBB15_630
; %bb.619:
	s_cmp_gt_i32 s0, 24
	s_cbranch_scc0 .LBB15_631
; %bb.620:
	global_load_u8 v1, v[6:7], off
	s_mov_b32 s27, 0
	s_mov_b32 s28, exec_lo
	s_wait_loadcnt 0x0
	v_cmpx_lt_i16_e32 0x7f, v1
	s_xor_b32 s28, exec_lo, s28
	s_cbranch_execz .LBB15_643
; %bb.621:
	s_mov_b32 s27, -1
	s_mov_b32 s29, exec_lo
	v_cmpx_eq_u16_e32 0x80, v1
; %bb.622:
	s_xor_b32 s27, exec_lo, -1
; %bb.623:
	s_or_b32 exec_lo, exec_lo, s29
	s_delay_alu instid0(SALU_CYCLE_1)
	s_and_b32 s27, s27, exec_lo
	s_or_saveexec_b32 s28, s28
	v_mov_b32_e32 v2, 0x7f800001
	s_xor_b32 exec_lo, exec_lo, s28
	s_cbranch_execnz .LBB15_644
.LBB15_624:
	s_or_b32 exec_lo, exec_lo, s28
	s_and_saveexec_b32 s28, s27
	s_cbranch_execz .LBB15_626
.LBB15_625:
	v_and_b32_e32 v2, 0xffff, v1
	s_delay_alu instid0(VALU_DEP_1) | instskip(SKIP_1) | instid1(VALU_DEP_2)
	v_and_b32_e32 v3, 3, v2
	v_bfe_u32 v9, v2, 2, 5
	v_clz_i32_u32_e32 v5, v3
	s_delay_alu instid0(VALU_DEP_2) | instskip(NEXT) | instid1(VALU_DEP_2)
	v_cmp_eq_u32_e32 vcc_lo, 0, v9
	v_min_u32_e32 v5, 32, v5
	s_delay_alu instid0(VALU_DEP_1) | instskip(NEXT) | instid1(VALU_DEP_1)
	v_subrev_nc_u32_e32 v8, 29, v5
	v_dual_lshlrev_b32 v2, v8, v2 :: v_dual_sub_nc_u32 v5, 30, v5
	s_delay_alu instid0(VALU_DEP_1) | instskip(NEXT) | instid1(VALU_DEP_1)
	v_dual_lshlrev_b32 v1, 24, v1 :: v_dual_bitop2_b32 v2, 3, v2 bitop3:0x40
	v_dual_cndmask_b32 v2, v3, v2 :: v_dual_cndmask_b32 v5, v9, v5
	s_delay_alu instid0(VALU_DEP_2) | instskip(NEXT) | instid1(VALU_DEP_2)
	v_and_b32_e32 v1, 0x80000000, v1
	v_lshlrev_b32_e32 v2, 21, v2
	s_delay_alu instid0(VALU_DEP_3) | instskip(NEXT) | instid1(VALU_DEP_1)
	v_lshl_add_u32 v3, v5, 23, 0x37800000
	v_or3_b32 v2, v1, v3, v2
.LBB15_626:
	s_or_b32 exec_lo, exec_lo, s28
	s_mov_b32 s27, 0
	s_branch .LBB15_632
.LBB15_627:
	s_mov_b32 s28, -1
                                        ; implicit-def: $vgpr2
	s_branch .LBB15_638
.LBB15_628:
	s_or_saveexec_b32 s28, s28
	v_mov_b32_e32 v2, 0x7f800001
	s_xor_b32 exec_lo, exec_lo, s28
	s_cbranch_execz .LBB15_611
.LBB15_629:
	v_cmp_ne_u16_e32 vcc_lo, 0, v1
	v_mov_b32_e32 v2, 0
	s_and_not1_b32 s27, s27, exec_lo
	s_and_b32 s29, vcc_lo, exec_lo
	s_delay_alu instid0(SALU_CYCLE_1)
	s_or_b32 s27, s27, s29
	s_or_b32 exec_lo, exec_lo, s28
	s_and_saveexec_b32 s28, s27
	s_cbranch_execnz .LBB15_612
	s_branch .LBB15_613
.LBB15_630:
	s_mov_b32 s27, -1
                                        ; implicit-def: $vgpr2
	s_branch .LBB15_635
.LBB15_631:
	s_mov_b32 s27, -1
                                        ; implicit-def: $vgpr2
.LBB15_632:
	s_delay_alu instid0(SALU_CYCLE_1)
	s_and_b32 vcc_lo, exec_lo, s27
	s_cbranch_vccz .LBB15_634
; %bb.633:
	global_load_u8 v1, v[6:7], off
	s_wait_loadcnt 0x0
	v_lshlrev_b32_e32 v1, 24, v1
	s_delay_alu instid0(VALU_DEP_1) | instskip(NEXT) | instid1(VALU_DEP_1)
	v_and_b32_e32 v2, 0x7f000000, v1
	v_clz_i32_u32_e32 v3, v2
	v_add_nc_u32_e32 v8, 0x1000000, v2
	v_cmp_ne_u32_e32 vcc_lo, 0, v2
	s_delay_alu instid0(VALU_DEP_3) | instskip(NEXT) | instid1(VALU_DEP_1)
	v_min_u32_e32 v3, 32, v3
	v_sub_nc_u32_e64 v3, v3, 4 clamp
	s_delay_alu instid0(VALU_DEP_1) | instskip(NEXT) | instid1(VALU_DEP_1)
	v_dual_lshlrev_b32 v5, v3, v2 :: v_dual_lshlrev_b32 v3, 23, v3
	v_lshrrev_b32_e32 v5, 4, v5
	s_delay_alu instid0(VALU_DEP_1) | instskip(NEXT) | instid1(VALU_DEP_1)
	v_dual_sub_nc_u32 v3, v5, v3 :: v_dual_ashrrev_i32 v5, 8, v8
	v_add_nc_u32_e32 v3, 0x3c000000, v3
	s_delay_alu instid0(VALU_DEP_1) | instskip(NEXT) | instid1(VALU_DEP_1)
	v_and_or_b32 v3, 0x7f800000, v5, v3
	v_cndmask_b32_e32 v2, 0, v3, vcc_lo
	s_delay_alu instid0(VALU_DEP_1)
	v_and_or_b32 v2, 0x80000000, v1, v2
.LBB15_634:
	s_mov_b32 s27, 0
.LBB15_635:
	s_delay_alu instid0(SALU_CYCLE_1)
	s_and_not1_b32 vcc_lo, exec_lo, s27
	s_cbranch_vccnz .LBB15_637
; %bb.636:
	global_load_u8 v1, v[6:7], off
	s_wait_loadcnt 0x0
	v_lshlrev_b32_e32 v2, 25, v1
	v_lshlrev_b16 v1, 8, v1
	s_delay_alu instid0(VALU_DEP_1) | instskip(NEXT) | instid1(VALU_DEP_3)
	v_and_or_b32 v5, 0x7f00, v1, 0.5
	v_lshrrev_b32_e32 v3, 4, v2
	v_bfe_i32 v1, v1, 0, 16
	s_delay_alu instid0(VALU_DEP_3) | instskip(NEXT) | instid1(VALU_DEP_3)
	v_add_f32_e32 v5, -0.5, v5
	v_or_b32_e32 v3, 0x70000000, v3
	s_delay_alu instid0(VALU_DEP_1) | instskip(SKIP_1) | instid1(VALU_DEP_2)
	v_mul_f32_e32 v3, 0x7800000, v3
	v_cmp_gt_u32_e32 vcc_lo, 0x8000000, v2
	v_cndmask_b32_e32 v2, v3, v5, vcc_lo
	s_delay_alu instid0(VALU_DEP_1)
	v_and_or_b32 v2, 0x80000000, v1, v2
.LBB15_637:
	s_mov_b32 s28, 0
	s_mov_b32 s27, -1
.LBB15_638:
	s_and_not1_b32 vcc_lo, exec_lo, s28
	s_cbranch_vccnz .LBB15_651
; %bb.639:
	s_cmp_gt_i32 s0, 14
	s_cbranch_scc0 .LBB15_642
; %bb.640:
	s_cmp_eq_u32 s0, 15
	s_cbranch_scc0 .LBB15_645
; %bb.641:
	global_load_u16 v1, v[6:7], off
	s_mov_b32 s27, -1
	s_mov_b32 s26, 0
	s_wait_loadcnt 0x0
	v_lshlrev_b32_e32 v2, 16, v1
	s_branch .LBB15_646
.LBB15_642:
	s_mov_b32 s28, -1
                                        ; implicit-def: $vgpr2
	s_branch .LBB15_647
.LBB15_643:
	s_or_saveexec_b32 s28, s28
	v_mov_b32_e32 v2, 0x7f800001
	s_xor_b32 exec_lo, exec_lo, s28
	s_cbranch_execz .LBB15_624
.LBB15_644:
	v_cmp_ne_u16_e32 vcc_lo, 0, v1
	v_mov_b32_e32 v2, 0
	s_and_not1_b32 s27, s27, exec_lo
	s_and_b32 s29, vcc_lo, exec_lo
	s_delay_alu instid0(SALU_CYCLE_1)
	s_or_b32 s27, s27, s29
	s_or_b32 exec_lo, exec_lo, s28
	s_and_saveexec_b32 s28, s27
	s_cbranch_execnz .LBB15_625
	s_branch .LBB15_626
.LBB15_645:
	s_mov_b32 s26, -1
                                        ; implicit-def: $vgpr2
.LBB15_646:
	s_mov_b32 s28, 0
.LBB15_647:
	s_delay_alu instid0(SALU_CYCLE_1)
	s_and_b32 vcc_lo, exec_lo, s28
	s_cbranch_vccz .LBB15_651
; %bb.648:
	s_cmp_eq_u32 s0, 11
	s_cbranch_scc0 .LBB15_650
; %bb.649:
	global_load_u8 v1, v[6:7], off
	s_mov_b32 s26, 0
	s_mov_b32 s27, -1
	s_wait_loadcnt 0x0
	v_cmp_ne_u16_e32 vcc_lo, 0, v1
	v_cndmask_b32_e64 v2, 0, 1.0, vcc_lo
	s_branch .LBB15_651
.LBB15_650:
	s_mov_b32 s26, -1
                                        ; implicit-def: $vgpr2
.LBB15_651:
	s_mov_b32 s28, 0
.LBB15_652:
	s_delay_alu instid0(SALU_CYCLE_1)
	s_and_b32 vcc_lo, exec_lo, s28
	s_cbranch_vccz .LBB15_701
; %bb.653:
	s_cmp_lt_i32 s0, 5
	s_cbranch_scc1 .LBB15_658
; %bb.654:
	s_cmp_lt_i32 s0, 8
	s_cbranch_scc1 .LBB15_659
	;; [unrolled: 3-line block ×3, first 2 shown]
; %bb.656:
	s_cmp_gt_i32 s0, 9
	s_cbranch_scc0 .LBB15_661
; %bb.657:
	global_load_b64 v[2:3], v[6:7], off
	s_mov_b32 s27, 0
	s_wait_loadcnt 0x0
	v_cvt_f32_f64_e32 v2, v[2:3]
	s_branch .LBB15_662
.LBB15_658:
	s_mov_b32 s27, -1
                                        ; implicit-def: $vgpr2
	s_branch .LBB15_680
.LBB15_659:
	s_mov_b32 s27, -1
                                        ; implicit-def: $vgpr2
	s_branch .LBB15_668
.LBB15_660:
	s_mov_b32 s27, -1
                                        ; implicit-def: $vgpr2
	s_branch .LBB15_665
.LBB15_661:
	s_mov_b32 s27, -1
                                        ; implicit-def: $vgpr2
.LBB15_662:
	s_delay_alu instid0(SALU_CYCLE_1)
	s_and_not1_b32 vcc_lo, exec_lo, s27
	s_cbranch_vccnz .LBB15_664
; %bb.663:
	global_load_b32 v2, v[6:7], off
.LBB15_664:
	s_mov_b32 s27, 0
.LBB15_665:
	s_delay_alu instid0(SALU_CYCLE_1)
	s_and_not1_b32 vcc_lo, exec_lo, s27
	s_cbranch_vccnz .LBB15_667
; %bb.666:
	global_load_b32 v1, v[6:7], off
	s_wait_loadcnt 0x0
	v_cvt_f32_f16_e32 v2, v1
.LBB15_667:
	s_mov_b32 s27, 0
.LBB15_668:
	s_delay_alu instid0(SALU_CYCLE_1)
	s_and_not1_b32 vcc_lo, exec_lo, s27
	s_cbranch_vccnz .LBB15_679
; %bb.669:
	s_cmp_lt_i32 s0, 6
	s_cbranch_scc1 .LBB15_672
; %bb.670:
	s_cmp_gt_i32 s0, 6
	s_cbranch_scc0 .LBB15_673
; %bb.671:
	s_wait_loadcnt 0x0
	global_load_b64 v[2:3], v[6:7], off
	s_mov_b32 s27, 0
	s_wait_loadcnt 0x0
	v_cvt_f32_f64_e32 v2, v[2:3]
	s_branch .LBB15_674
.LBB15_672:
	s_mov_b32 s27, -1
                                        ; implicit-def: $vgpr2
	s_branch .LBB15_677
.LBB15_673:
	s_mov_b32 s27, -1
                                        ; implicit-def: $vgpr2
.LBB15_674:
	s_delay_alu instid0(SALU_CYCLE_1)
	s_and_not1_b32 vcc_lo, exec_lo, s27
	s_cbranch_vccnz .LBB15_676
; %bb.675:
	s_wait_loadcnt 0x0
	global_load_b32 v2, v[6:7], off
.LBB15_676:
	s_mov_b32 s27, 0
.LBB15_677:
	s_delay_alu instid0(SALU_CYCLE_1)
	s_and_not1_b32 vcc_lo, exec_lo, s27
	s_cbranch_vccnz .LBB15_679
; %bb.678:
	global_load_u16 v1, v[6:7], off
	s_wait_loadcnt 0x0
	v_cvt_f32_f16_e32 v2, v1
.LBB15_679:
	s_mov_b32 s27, 0
.LBB15_680:
	s_delay_alu instid0(SALU_CYCLE_1)
	s_and_not1_b32 vcc_lo, exec_lo, s27
	s_cbranch_vccnz .LBB15_700
; %bb.681:
	s_cmp_lt_i32 s0, 2
	s_cbranch_scc1 .LBB15_685
; %bb.682:
	s_cmp_lt_i32 s0, 3
	s_cbranch_scc1 .LBB15_686
; %bb.683:
	s_cmp_gt_i32 s0, 3
	s_cbranch_scc0 .LBB15_687
; %bb.684:
	s_wait_loadcnt 0x0
	global_load_b64 v[2:3], v[6:7], off
	s_mov_b32 s27, 0
	s_wait_loadcnt 0x0
	v_xor_b32_e32 v1, v2, v3
	v_cls_i32_e32 v5, v3
	s_delay_alu instid0(VALU_DEP_2) | instskip(NEXT) | instid1(VALU_DEP_1)
	v_ashrrev_i32_e32 v1, 31, v1
	v_add_nc_u32_e32 v1, 32, v1
	s_delay_alu instid0(VALU_DEP_1) | instskip(NEXT) | instid1(VALU_DEP_1)
	v_add_min_u32_e64 v1, v5, -1, v1
	v_lshlrev_b64_e32 v[2:3], v1, v[2:3]
	v_sub_nc_u32_e32 v1, 32, v1
	s_delay_alu instid0(VALU_DEP_2) | instskip(NEXT) | instid1(VALU_DEP_1)
	v_min_u32_e32 v2, 1, v2
	v_or_b32_e32 v2, v3, v2
	s_delay_alu instid0(VALU_DEP_1) | instskip(NEXT) | instid1(VALU_DEP_1)
	v_cvt_f32_i32_e32 v2, v2
	v_ldexp_f32 v2, v2, v1
	s_branch .LBB15_688
.LBB15_685:
	s_mov_b32 s27, -1
                                        ; implicit-def: $vgpr2
	s_branch .LBB15_694
.LBB15_686:
	s_mov_b32 s27, -1
                                        ; implicit-def: $vgpr2
	s_branch .LBB15_691
.LBB15_687:
	s_mov_b32 s27, -1
                                        ; implicit-def: $vgpr2
.LBB15_688:
	s_delay_alu instid0(SALU_CYCLE_1)
	s_and_not1_b32 vcc_lo, exec_lo, s27
	s_cbranch_vccnz .LBB15_690
; %bb.689:
	global_load_b32 v1, v[6:7], off
	s_wait_loadcnt 0x0
	v_cvt_f32_i32_e32 v2, v1
.LBB15_690:
	s_mov_b32 s27, 0
.LBB15_691:
	s_delay_alu instid0(SALU_CYCLE_1)
	s_and_not1_b32 vcc_lo, exec_lo, s27
	s_cbranch_vccnz .LBB15_693
; %bb.692:
	global_load_i16 v1, v[6:7], off
	s_wait_loadcnt 0x0
	v_cvt_f32_i32_e32 v2, v1
.LBB15_693:
	s_mov_b32 s27, 0
.LBB15_694:
	s_delay_alu instid0(SALU_CYCLE_1)
	s_and_not1_b32 vcc_lo, exec_lo, s27
	s_cbranch_vccnz .LBB15_700
; %bb.695:
	s_cmp_gt_i32 s0, 0
	s_mov_b32 s0, 0
	s_cbranch_scc0 .LBB15_697
; %bb.696:
	global_load_i8 v1, v[6:7], off
	s_wait_loadcnt 0x0
	v_cvt_f32_i32_e32 v2, v1
	s_branch .LBB15_698
.LBB15_697:
	s_mov_b32 s0, -1
                                        ; implicit-def: $vgpr2
.LBB15_698:
	s_delay_alu instid0(SALU_CYCLE_1)
	s_and_not1_b32 vcc_lo, exec_lo, s0
	s_cbranch_vccnz .LBB15_700
; %bb.699:
	global_load_u8 v1, v[6:7], off
	s_wait_loadcnt 0x0
	v_cvt_f32_ubyte0_e32 v2, v1
.LBB15_700:
	s_mov_b32 s27, -1
.LBB15_701:
	s_delay_alu instid0(SALU_CYCLE_1)
	s_and_not1_b32 vcc_lo, exec_lo, s27
	s_cbranch_vccnz .LBB15_711
; %bb.702:
	s_wait_loadcnt 0x0
	s_delay_alu instid0(VALU_DEP_1) | instskip(SKIP_2) | instid1(VALU_DEP_1)
	v_mul_f32_e32 v1, s16, v2
	s_mov_b32 s0, exec_lo
	s_wait_xcnt 0x0
	v_cmpx_nlt_f32_e32 s17, v1
	s_cbranch_execz .LBB15_704
; %bb.703:
	v_mul_f32_e32 v2, 0x3fb8aa3b, v1
	v_cmp_ngt_f32_e32 vcc_lo, 0xc2ce8ed0, v1
	s_mov_b32 s27, 0x3e9b6dac
	s_delay_alu instid0(VALU_DEP_2) | instskip(SKIP_1) | instid1(VALU_DEP_1)
	v_rndne_f32_e32 v3, v2
	v_fma_f32 v5, 0x3fb8aa3b, v1, -v2
	v_dual_sub_f32 v2, v2, v3 :: v_dual_fmamk_f32 v5, v1, 0x32a5705f, v5
	v_cvt_i32_f32_e32 v3, v3
	s_delay_alu instid0(VALU_DEP_2) | instskip(NEXT) | instid1(VALU_DEP_1)
	v_add_f32_e32 v2, v2, v5
	v_exp_f32_e32 v2, v2
	v_nop
	s_delay_alu instid0(TRANS32_DEP_1) | instskip(NEXT) | instid1(VALU_DEP_1)
	v_ldexp_f32 v2, v2, v3
	v_cndmask_b32_e32 v2, 0, v2, vcc_lo
	v_cmp_nlt_f32_e32 vcc_lo, 0x42b17218, v1
	s_delay_alu instid0(VALU_DEP_2) | instskip(NEXT) | instid1(VALU_DEP_1)
	v_cndmask_b32_e32 v5, 0x7f800000, v2, vcc_lo
	v_add_f32_e32 v1, 1.0, v5
	s_delay_alu instid0(VALU_DEP_1) | instskip(NEXT) | instid1(VALU_DEP_1)
	v_cvt_f64_f32_e32 v[2:3], v1
	v_frexp_exp_i32_f64_e32 v2, v[2:3]
	v_frexp_mant_f32_e32 v3, v1
	s_delay_alu instid0(VALU_DEP_1) | instskip(NEXT) | instid1(VALU_DEP_3)
	v_cmp_gt_f32_e32 vcc_lo, 0x3f2aaaab, v3
	v_subrev_co_ci_u32_e64 v10, null, 0, v2, vcc_lo
	v_add_f32_e32 v2, -1.0, v1
	v_cmp_neq_f32_e32 vcc_lo, 0x7f800000, v5
	s_delay_alu instid0(VALU_DEP_2) | instskip(SKIP_1) | instid1(VALU_DEP_2)
	v_dual_sub_f32 v6, v2, v1 :: v_dual_sub_nc_u32 v3, 0, v10
	v_sub_f32_e32 v2, v5, v2
	v_ldexp_f32 v1, v1, v3
	s_delay_alu instid0(VALU_DEP_1) | instskip(NEXT) | instid1(VALU_DEP_1)
	v_dual_add_f32 v6, 1.0, v6 :: v_dual_add_f32 v9, -1.0, v1
	v_dual_add_f32 v7, 1.0, v1 :: v_dual_add_f32 v2, v2, v6
	s_delay_alu instid0(VALU_DEP_1) | instskip(NEXT) | instid1(VALU_DEP_2)
	v_add_f32_e32 v6, -1.0, v7
	v_ldexp_f32 v2, v2, v3
	s_delay_alu instid0(VALU_DEP_2) | instskip(NEXT) | instid1(VALU_DEP_1)
	v_dual_sub_f32 v3, v1, v6 :: v_dual_add_f32 v6, 1.0, v9
	v_dual_add_f32 v8, v2, v3 :: v_dual_sub_f32 v1, v1, v6
	s_delay_alu instid0(VALU_DEP_1) | instskip(NEXT) | instid1(VALU_DEP_1)
	v_dual_add_f32 v11, v7, v8 :: v_dual_add_f32 v1, v2, v1
	v_rcp_f32_e32 v12, v11
	s_delay_alu instid0(VALU_DEP_1)
	v_dual_add_f32 v3, v9, v1 :: v_dual_sub_f32 v2, v7, v11
	s_delay_alu instid0(TRANS32_DEP_1) | instid1(VALU_DEP_1)
	v_dual_sub_f32 v15, v9, v3 :: v_dual_mul_f32 v13, v3, v12
	s_delay_alu instid0(VALU_DEP_1) | instskip(NEXT) | instid1(VALU_DEP_2)
	v_dual_add_f32 v14, v8, v2 :: v_dual_add_f32 v1, v1, v15
	v_mul_f32_e32 v6, v11, v13
	s_delay_alu instid0(VALU_DEP_1) | instskip(NEXT) | instid1(VALU_DEP_1)
	v_fma_f32 v8, v13, v11, -v6
	v_fmac_f32_e32 v8, v13, v14
	s_delay_alu instid0(VALU_DEP_1) | instskip(NEXT) | instid1(VALU_DEP_1)
	v_add_f32_e32 v2, v6, v8
	v_dual_sub_f32 v7, v3, v2 :: v_dual_mov_b32 v9, v2
	s_delay_alu instid0(VALU_DEP_1) | instskip(NEXT) | instid1(VALU_DEP_1)
	v_pk_add_f32 v[2:3], v[2:3], v[6:7] neg_lo:[0,1] neg_hi:[0,1]
	v_pk_add_f32 v[2:3], v[2:3], v[8:9] neg_lo:[0,1] neg_hi:[0,1]
	s_delay_alu instid0(VALU_DEP_1) | instskip(NEXT) | instid1(VALU_DEP_1)
	v_add_f32_e32 v1, v1, v3
	v_add_f32_e32 v1, v2, v1
	s_delay_alu instid0(VALU_DEP_1) | instskip(NEXT) | instid1(VALU_DEP_1)
	v_add_f32_e32 v3, v7, v1
	v_mul_f32_e32 v15, v12, v3
	s_delay_alu instid0(VALU_DEP_1) | instskip(NEXT) | instid1(VALU_DEP_1)
	v_mul_f32_e32 v8, v11, v15
	v_fma_f32 v6, v15, v11, -v8
	s_delay_alu instid0(VALU_DEP_1) | instskip(NEXT) | instid1(VALU_DEP_1)
	v_fmac_f32_e32 v6, v15, v14
	v_dual_add_f32 v2, v8, v6 :: v_dual_sub_f32 v11, v7, v3
	s_delay_alu instid0(VALU_DEP_1) | instskip(SKIP_1) | instid1(VALU_DEP_1)
	v_dual_mov_b32 v7, v2 :: v_dual_add_f32 v1, v1, v11
	v_sub_f32_e32 v9, v3, v2
	v_pk_add_f32 v[2:3], v[2:3], v[8:9] neg_lo:[0,1] neg_hi:[0,1]
	v_add_f32_e32 v8, v13, v15
	s_delay_alu instid0(VALU_DEP_2) | instskip(SKIP_1) | instid1(VALU_DEP_2)
	v_pk_add_f32 v[2:3], v[2:3], v[6:7] neg_lo:[0,1] neg_hi:[0,1]
	v_cvt_f32_i32_e32 v6, v10
	v_add_f32_e32 v1, v1, v3
	s_delay_alu instid0(VALU_DEP_1) | instskip(SKIP_1) | instid1(VALU_DEP_1)
	v_add_f32_e32 v1, v2, v1
	v_sub_f32_e32 v2, v8, v13
	v_dual_add_f32 v1, v9, v1 :: v_dual_sub_f32 v2, v15, v2
	s_delay_alu instid0(VALU_DEP_1) | instskip(NEXT) | instid1(VALU_DEP_1)
	v_mul_f32_e32 v1, v12, v1
	v_dual_add_f32 v1, v2, v1 :: v_dual_mov_b32 v2, 0x3f317218
	s_delay_alu instid0(VALU_DEP_1) | instskip(NEXT) | instid1(VALU_DEP_1)
	v_add_f32_e32 v9, v8, v1
	v_mul_f32_e32 v3, v9, v9
	s_delay_alu instid0(VALU_DEP_1) | instskip(SKIP_1) | instid1(VALU_DEP_2)
	v_fmaak_f32 v11, s27, v3, 0x3ecc95a3
	v_mul_f32_e32 v7, v9, v3
	v_fmaak_f32 v3, v3, v11, 0x3f2aaada
	s_delay_alu instid0(VALU_DEP_1) | instskip(NEXT) | instid1(VALU_DEP_1)
	v_pk_mul_f32 v[2:3], v[6:7], v[2:3]
	v_fma_f32 v10, 0x3f317218, v6, -v2
	s_delay_alu instid0(VALU_DEP_1) | instskip(SKIP_2) | instid1(VALU_DEP_2)
	v_fmamk_f32 v6, v6, 0xb102e308, v10
	v_ldexp_f32 v7, v9, 1
	v_sub_f32_e32 v10, v9, v8
	v_pk_add_f32 v[8:9], v[2:3], v[6:7]
	s_delay_alu instid0(VALU_DEP_1) | instskip(NEXT) | instid1(VALU_DEP_3)
	v_sub_f32_e32 v7, v9, v7
	v_dual_sub_f32 v1, v1, v10 :: v_dual_mov_b32 v10, v2
	s_delay_alu instid0(VALU_DEP_2) | instskip(NEXT) | instid1(VALU_DEP_2)
	v_sub_f32_e32 v7, v3, v7
	v_ldexp_f32 v1, v1, 1
	v_pk_add_f32 v[2:3], v[8:9], v[2:3] neg_lo:[0,1] neg_hi:[0,1]
	s_delay_alu instid0(VALU_DEP_2) | instskip(NEXT) | instid1(VALU_DEP_1)
	v_dual_add_f32 v11, v1, v7 :: v_dual_mov_b32 v7, v8
	v_pk_add_f32 v[12:13], v[8:9], v[10:11]
	s_delay_alu instid0(VALU_DEP_1) | instskip(NEXT) | instid1(VALU_DEP_1)
	v_dual_mov_b32 v18, v9 :: v_dual_mov_b32 v3, v13
	v_pk_add_f32 v[14:15], v[6:7], v[2:3]
	s_delay_alu instid0(VALU_DEP_1) | instskip(SKIP_2) | instid1(VALU_DEP_3)
	v_dual_mov_b32 v14, v13 :: v_dual_mov_b32 v10, v15
	v_pk_add_f32 v[2:3], v[6:7], v[2:3] neg_lo:[0,1] neg_hi:[0,1]
	v_mov_b32_e32 v3, v15
	v_pk_add_f32 v[16:17], v[10:11], v[8:9] neg_lo:[0,1] neg_hi:[0,1]
	v_dual_mov_b32 v9, v8 :: v_dual_mov_b32 v8, v11
	s_delay_alu instid0(VALU_DEP_2) | instskip(NEXT) | instid1(VALU_DEP_1)
	v_dual_mov_b32 v1, v16 :: v_dual_mov_b32 v19, v16
	v_pk_add_f32 v[12:13], v[12:13], v[0:1] neg_lo:[0,1] neg_hi:[0,1]
	s_delay_alu instid0(VALU_DEP_2) | instskip(SKIP_1) | instid1(VALU_DEP_2)
	v_pk_add_f32 v[6:7], v[14:15], v[18:19] neg_lo:[0,1] neg_hi:[0,1]
	v_mov_b32_e32 v12, v2
	v_pk_add_f32 v[6:7], v[8:9], v[6:7] neg_lo:[0,1] neg_hi:[0,1]
	s_delay_alu instid0(VALU_DEP_1) | instskip(NEXT) | instid1(VALU_DEP_1)
	v_pk_add_f32 v[8:9], v[12:13], v[6:7]
	v_mov_b32_e32 v12, v9
	s_delay_alu instid0(VALU_DEP_1) | instskip(NEXT) | instid1(VALU_DEP_1)
	v_pk_add_f32 v[12:13], v[8:9], v[12:13]
	v_pk_add_f32 v[10:11], v[10:11], v[12:13]
	s_delay_alu instid0(VALU_DEP_1) | instskip(NEXT) | instid1(VALU_DEP_1)
	v_mov_b32_e32 v9, v10
	v_pk_add_f32 v[14:15], v[8:9], v[2:3] neg_lo:[0,1] neg_hi:[0,1]
	s_delay_alu instid0(VALU_DEP_1) | instskip(NEXT) | instid1(VALU_DEP_1)
	v_sub_f32_e32 v1, v8, v14
	v_dual_mov_b32 v7, v12 :: v_dual_sub_f32 v1, v2, v1
	s_delay_alu instid0(VALU_DEP_1) | instskip(NEXT) | instid1(VALU_DEP_1)
	v_pk_add_f32 v[6:7], v[6:7], v[14:15] neg_lo:[0,1] neg_hi:[0,1]
	v_add_f32_e32 v1, v6, v1
	s_delay_alu instid0(VALU_DEP_1) | instskip(NEXT) | instid1(VALU_DEP_1)
	v_add_f32_e32 v1, v1, v7
	v_add_f32_e32 v1, v10, v1
	s_delay_alu instid0(VALU_DEP_1) | instskip(SKIP_1) | instid1(VALU_DEP_2)
	v_cndmask_b32_e32 v1, 0x7f800000, v1, vcc_lo
	v_cmp_gt_f32_e64 vcc_lo, 0x33800000, |v5|
	v_cndmask_b32_e32 v1, v1, v5, vcc_lo
	s_delay_alu instid0(VALU_DEP_1) | instskip(NEXT) | instid1(VALU_DEP_1)
	v_div_scale_f32 v2, null, s16, s16, v1
	v_rcp_f32_e32 v3, v2
	v_nop
	s_delay_alu instid0(TRANS32_DEP_1) | instskip(NEXT) | instid1(VALU_DEP_1)
	v_fma_f32 v5, -v2, v3, 1.0
	v_fmac_f32_e32 v3, v5, v3
	v_div_scale_f32 v5, vcc_lo, v1, s16, v1
	s_delay_alu instid0(VALU_DEP_1) | instskip(NEXT) | instid1(VALU_DEP_1)
	v_mul_f32_e32 v6, v5, v3
	v_fma_f32 v7, -v2, v6, v5
	s_delay_alu instid0(VALU_DEP_1) | instskip(NEXT) | instid1(VALU_DEP_1)
	v_fmac_f32_e32 v6, v7, v3
	v_fma_f32 v2, -v2, v6, v5
	s_delay_alu instid0(VALU_DEP_1) | instskip(NEXT) | instid1(VALU_DEP_1)
	v_div_fmas_f32 v2, v2, v3, v6
	v_div_fixup_f32 v2, v2, s16, v1
.LBB15_704:
	s_or_b32 exec_lo, exec_lo, s0
	v_mov_b32_e32 v5, 0
	s_and_b32 s27, s18, 0xff
	s_delay_alu instid0(SALU_CYCLE_1) | instskip(NEXT) | instid1(VALU_DEP_1)
	s_cmp_lt_i32 s27, 11
	v_add_nc_u64_e32 v[4:5], s[4:5], v[4:5]
	s_cbranch_scc1 .LBB15_712
; %bb.705:
	s_and_b32 s28, 0xffff, s27
	s_delay_alu instid0(SALU_CYCLE_1)
	s_cmp_gt_i32 s28, 25
	s_cbranch_scc0 .LBB15_713
; %bb.706:
	s_cmp_gt_i32 s28, 28
	s_cbranch_scc0 .LBB15_714
; %bb.707:
	;; [unrolled: 3-line block ×4, first 2 shown]
	s_mov_b32 s30, 0
	s_mov_b32 s0, -1
	s_cmp_eq_u32 s28, 46
	s_mov_b32 s29, 0
	s_cbranch_scc0 .LBB15_717
; %bb.710:
	v_bfe_u32 v1, v2, 16, 1
	v_cmp_o_f32_e32 vcc_lo, v2, v2
	s_mov_b32 s29, -1
	s_mov_b32 s0, 0
	s_delay_alu instid0(VALU_DEP_2) | instskip(NEXT) | instid1(VALU_DEP_1)
	v_add3_u32 v1, v2, v1, 0x7fff
	v_lshrrev_b32_e32 v1, 16, v1
	s_delay_alu instid0(VALU_DEP_1)
	v_cndmask_b32_e32 v1, 0x7fc0, v1, vcc_lo
	global_store_b32 v[4:5], v1, off
	s_branch .LBB15_717
.LBB15_711:
	s_mov_b32 s27, 0
	s_mov_b32 s0, s45
	s_branch .LBB15_828
.LBB15_712:
	s_mov_b32 s28, -1
	s_mov_b32 s29, 0
	s_mov_b32 s0, s45
	s_branch .LBB15_786
.LBB15_713:
	s_mov_b32 s30, -1
	s_mov_b32 s29, 0
	s_mov_b32 s0, s45
	s_branch .LBB15_744
.LBB15_714:
	s_mov_b32 s30, -1
	s_mov_b32 s29, 0
	s_mov_b32 s0, s45
	s_branch .LBB15_727
.LBB15_715:
	s_mov_b32 s30, -1
	s_mov_b32 s29, 0
	s_mov_b32 s0, s45
	s_branch .LBB15_723
.LBB15_716:
	s_mov_b32 s30, -1
	s_mov_b32 s29, 0
	s_mov_b32 s0, s45
.LBB15_717:
	s_and_b32 vcc_lo, exec_lo, s30
	s_cbranch_vccz .LBB15_722
; %bb.718:
	s_cmp_eq_u32 s28, 44
	s_mov_b32 s0, -1
	s_cbranch_scc0 .LBB15_722
; %bb.719:
	v_bfe_u32 v3, v2, 23, 8
	s_wait_xcnt 0x0
	v_mov_b32_e32 v1, 0xff
	s_mov_b32 s29, exec_lo
	s_delay_alu instid0(VALU_DEP_2)
	v_cmpx_ne_u32_e32 0xff, v3
	s_cbranch_execz .LBB15_721
; %bb.720:
	v_and_b32_e32 v1, 0x400000, v2
	v_and_or_b32 v3, 0x3fffff, v2, v3
	s_delay_alu instid0(VALU_DEP_2) | instskip(NEXT) | instid1(VALU_DEP_2)
	v_cmp_ne_u32_e32 vcc_lo, 0, v1
	v_cmp_ne_u32_e64 s0, 0, v3
	v_lshrrev_b32_e32 v1, 23, v2
	s_and_b32 s0, vcc_lo, s0
	s_delay_alu instid0(SALU_CYCLE_1) | instskip(NEXT) | instid1(VALU_DEP_1)
	v_cndmask_b32_e64 v3, 0, 1, s0
	v_add_nc_u32_e32 v1, v1, v3
.LBB15_721:
	s_or_b32 exec_lo, exec_lo, s29
	s_mov_b32 s29, -1
	s_mov_b32 s0, 0
	global_store_b8 v[4:5], v1, off
.LBB15_722:
	s_mov_b32 s30, 0
.LBB15_723:
	s_delay_alu instid0(SALU_CYCLE_1)
	s_and_b32 vcc_lo, exec_lo, s30
	s_cbranch_vccz .LBB15_726
; %bb.724:
	s_cmp_eq_u32 s28, 29
	s_mov_b32 s0, -1
	s_cbranch_scc0 .LBB15_726
; %bb.725:
	s_wait_xcnt 0x0
	v_trunc_f32_e32 v1, v2
	s_mov_b32 s29, -1
	s_mov_b32 s0, 0
	s_mov_b32 s30, 0
	s_delay_alu instid0(VALU_DEP_1) | instskip(NEXT) | instid1(VALU_DEP_1)
	v_mul_f32_e32 v3, 0x2f800000, v1
	v_floor_f32_e32 v3, v3
	s_delay_alu instid0(VALU_DEP_1) | instskip(SKIP_1) | instid1(VALU_DEP_2)
	v_fmamk_f32 v1, v3, 0xcf800000, v1
	v_cvt_u32_f32_e32 v7, v3
	v_cvt_u32_f32_e32 v6, v1
	global_store_b64 v[4:5], v[6:7], off
	s_branch .LBB15_727
.LBB15_726:
	s_mov_b32 s30, 0
.LBB15_727:
	s_delay_alu instid0(SALU_CYCLE_1)
	s_and_b32 vcc_lo, exec_lo, s30
	s_cbranch_vccz .LBB15_743
; %bb.728:
	s_cmp_lt_i32 s28, 27
	s_mov_b32 s29, -1
	s_cbranch_scc1 .LBB15_734
; %bb.729:
	s_wait_xcnt 0x0
	v_cvt_u32_f32_e32 v1, v2
	s_cmp_gt_i32 s28, 27
	s_cbranch_scc0 .LBB15_731
; %bb.730:
	s_mov_b32 s29, 0
	global_store_b32 v[4:5], v1, off
.LBB15_731:
	s_and_not1_b32 vcc_lo, exec_lo, s29
	s_cbranch_vccnz .LBB15_733
; %bb.732:
	global_store_b16 v[4:5], v1, off
.LBB15_733:
	s_mov_b32 s29, 0
.LBB15_734:
	s_delay_alu instid0(SALU_CYCLE_1)
	s_and_not1_b32 vcc_lo, exec_lo, s29
	s_cbranch_vccnz .LBB15_742
; %bb.735:
	s_wait_xcnt 0x0
	v_and_b32_e32 v1, 0x7fffffff, v2
	v_mov_b32_e32 v3, 0x80
	s_mov_b32 s29, exec_lo
	s_delay_alu instid0(VALU_DEP_2)
	v_cmpx_gt_u32_e32 0x43800000, v1
	s_cbranch_execz .LBB15_741
; %bb.736:
	v_cmp_lt_u32_e32 vcc_lo, 0x3bffffff, v1
	s_mov_b32 s30, 0
                                        ; implicit-def: $vgpr1
	s_and_saveexec_b32 s31, vcc_lo
	s_delay_alu instid0(SALU_CYCLE_1)
	s_xor_b32 s31, exec_lo, s31
	s_cbranch_execz .LBB15_860
; %bb.737:
	v_bfe_u32 v1, v2, 20, 1
	s_mov_b32 s30, exec_lo
	s_delay_alu instid0(VALU_DEP_1) | instskip(NEXT) | instid1(VALU_DEP_1)
	v_add3_u32 v1, v2, v1, 0x487ffff
	v_lshrrev_b32_e32 v1, 20, v1
	s_and_not1_saveexec_b32 s31, s31
	s_cbranch_execnz .LBB15_861
.LBB15_738:
	s_or_b32 exec_lo, exec_lo, s31
	v_mov_b32_e32 v3, 0
	s_and_saveexec_b32 s31, s30
.LBB15_739:
	v_lshrrev_b32_e32 v3, 24, v2
	s_delay_alu instid0(VALU_DEP_1)
	v_and_or_b32 v3, 0x80, v3, v1
.LBB15_740:
	s_or_b32 exec_lo, exec_lo, s31
.LBB15_741:
	s_delay_alu instid0(SALU_CYCLE_1)
	s_or_b32 exec_lo, exec_lo, s29
	global_store_b8 v[4:5], v3, off
.LBB15_742:
	s_mov_b32 s29, -1
.LBB15_743:
	s_mov_b32 s30, 0
.LBB15_744:
	s_delay_alu instid0(SALU_CYCLE_1)
	s_and_b32 vcc_lo, exec_lo, s30
	s_cbranch_vccz .LBB15_785
; %bb.745:
	s_cmp_gt_i32 s28, 22
	s_mov_b32 s30, -1
	s_cbranch_scc0 .LBB15_777
; %bb.746:
	s_cmp_lt_i32 s28, 24
	s_mov_b32 s29, -1
	s_cbranch_scc1 .LBB15_766
; %bb.747:
	s_cmp_gt_i32 s28, 24
	s_cbranch_scc0 .LBB15_755
; %bb.748:
	s_wait_xcnt 0x0
	v_and_b32_e32 v1, 0x7fffffff, v2
	v_mov_b32_e32 v3, 0x80
	s_mov_b32 s29, exec_lo
	s_delay_alu instid0(VALU_DEP_2)
	v_cmpx_gt_u32_e32 0x47800000, v1
	s_cbranch_execz .LBB15_754
; %bb.749:
	v_cmp_lt_u32_e32 vcc_lo, 0x37ffffff, v1
	s_mov_b32 s30, 0
                                        ; implicit-def: $vgpr1
	s_and_saveexec_b32 s31, vcc_lo
	s_delay_alu instid0(SALU_CYCLE_1)
	s_xor_b32 s31, exec_lo, s31
	s_cbranch_execz .LBB15_863
; %bb.750:
	v_bfe_u32 v1, v2, 21, 1
	s_mov_b32 s30, exec_lo
	s_delay_alu instid0(VALU_DEP_1) | instskip(NEXT) | instid1(VALU_DEP_1)
	v_add3_u32 v1, v2, v1, 0x88fffff
	v_lshrrev_b32_e32 v1, 21, v1
	s_and_not1_saveexec_b32 s31, s31
	s_cbranch_execnz .LBB15_864
.LBB15_751:
	s_or_b32 exec_lo, exec_lo, s31
	v_mov_b32_e32 v3, 0
	s_and_saveexec_b32 s31, s30
.LBB15_752:
	v_lshrrev_b32_e32 v3, 24, v2
	s_delay_alu instid0(VALU_DEP_1)
	v_and_or_b32 v3, 0x80, v3, v1
.LBB15_753:
	s_or_b32 exec_lo, exec_lo, s31
.LBB15_754:
	s_delay_alu instid0(SALU_CYCLE_1)
	s_or_b32 exec_lo, exec_lo, s29
	s_mov_b32 s29, 0
	global_store_b8 v[4:5], v3, off
.LBB15_755:
	s_and_b32 vcc_lo, exec_lo, s29
	s_cbranch_vccz .LBB15_765
; %bb.756:
	s_wait_xcnt 0x0
	v_and_b32_e32 v3, 0x7fffffff, v2
	s_mov_b32 s29, exec_lo
                                        ; implicit-def: $vgpr1
	s_delay_alu instid0(VALU_DEP_1)
	v_cmpx_gt_u32_e32 0x43f00000, v3
	s_xor_b32 s29, exec_lo, s29
	s_cbranch_execz .LBB15_762
; %bb.757:
	s_mov_b32 s30, exec_lo
                                        ; implicit-def: $vgpr1
	v_cmpx_lt_u32_e32 0x3c7fffff, v3
	s_xor_b32 s30, exec_lo, s30
; %bb.758:
	v_bfe_u32 v1, v2, 20, 1
	s_delay_alu instid0(VALU_DEP_1) | instskip(NEXT) | instid1(VALU_DEP_1)
	v_add3_u32 v1, v2, v1, 0x407ffff
	v_and_b32_e32 v3, 0xff00000, v1
	v_lshrrev_b32_e32 v1, 20, v1
	s_delay_alu instid0(VALU_DEP_2) | instskip(NEXT) | instid1(VALU_DEP_2)
	v_cmp_ne_u32_e32 vcc_lo, 0x7f00000, v3
	v_cndmask_b32_e32 v1, 0x7e, v1, vcc_lo
; %bb.759:
	s_and_not1_saveexec_b32 s30, s30
; %bb.760:
	v_add_f32_e64 v1, 0x46800000, |v2|
; %bb.761:
	s_or_b32 exec_lo, exec_lo, s30
                                        ; implicit-def: $vgpr3
.LBB15_762:
	s_and_not1_saveexec_b32 s29, s29
; %bb.763:
	v_mov_b32_e32 v1, 0x7f
	v_cmp_lt_u32_e32 vcc_lo, 0x7f800000, v3
	s_delay_alu instid0(VALU_DEP_2)
	v_cndmask_b32_e32 v1, 0x7e, v1, vcc_lo
; %bb.764:
	s_or_b32 exec_lo, exec_lo, s29
	v_lshrrev_b32_e32 v3, 24, v2
	s_delay_alu instid0(VALU_DEP_1)
	v_and_or_b32 v1, 0x80, v3, v1
	global_store_b8 v[4:5], v1, off
.LBB15_765:
	s_mov_b32 s29, 0
.LBB15_766:
	s_delay_alu instid0(SALU_CYCLE_1)
	s_and_not1_b32 vcc_lo, exec_lo, s29
	s_cbranch_vccnz .LBB15_776
; %bb.767:
	s_wait_xcnt 0x0
	v_and_b32_e32 v3, 0x7fffffff, v2
	s_mov_b32 s29, exec_lo
                                        ; implicit-def: $vgpr1
	s_delay_alu instid0(VALU_DEP_1)
	v_cmpx_gt_u32_e32 0x47800000, v3
	s_xor_b32 s29, exec_lo, s29
	s_cbranch_execz .LBB15_773
; %bb.768:
	s_mov_b32 s30, exec_lo
                                        ; implicit-def: $vgpr1
	v_cmpx_lt_u32_e32 0x387fffff, v3
	s_xor_b32 s30, exec_lo, s30
; %bb.769:
	v_bfe_u32 v1, v2, 21, 1
	s_delay_alu instid0(VALU_DEP_1) | instskip(NEXT) | instid1(VALU_DEP_1)
	v_add3_u32 v1, v2, v1, 0x80fffff
	v_lshrrev_b32_e32 v1, 21, v1
; %bb.770:
	s_and_not1_saveexec_b32 s30, s30
; %bb.771:
	v_add_f32_e64 v1, 0x43000000, |v2|
; %bb.772:
	s_or_b32 exec_lo, exec_lo, s30
                                        ; implicit-def: $vgpr3
.LBB15_773:
	s_and_not1_saveexec_b32 s29, s29
; %bb.774:
	v_mov_b32_e32 v1, 0x7f
	v_cmp_lt_u32_e32 vcc_lo, 0x7f800000, v3
	s_delay_alu instid0(VALU_DEP_2)
	v_cndmask_b32_e32 v1, 0x7c, v1, vcc_lo
; %bb.775:
	s_or_b32 exec_lo, exec_lo, s29
	v_lshrrev_b32_e32 v3, 24, v2
	s_delay_alu instid0(VALU_DEP_1)
	v_and_or_b32 v1, 0x80, v3, v1
	global_store_b8 v[4:5], v1, off
.LBB15_776:
	s_mov_b32 s30, 0
	s_mov_b32 s29, -1
.LBB15_777:
	s_and_not1_b32 vcc_lo, exec_lo, s30
	s_cbranch_vccnz .LBB15_785
; %bb.778:
	s_cmp_gt_i32 s28, 14
	s_mov_b32 s30, -1
	s_cbranch_scc0 .LBB15_782
; %bb.779:
	s_cmp_eq_u32 s28, 15
	s_mov_b32 s0, -1
	s_cbranch_scc0 .LBB15_781
; %bb.780:
	s_wait_xcnt 0x0
	v_bfe_u32 v1, v2, 16, 1
	v_cmp_o_f32_e32 vcc_lo, v2, v2
	s_mov_b32 s29, -1
	s_mov_b32 s0, 0
	s_delay_alu instid0(VALU_DEP_2) | instskip(NEXT) | instid1(VALU_DEP_1)
	v_add3_u32 v1, v2, v1, 0x7fff
	v_lshrrev_b32_e32 v1, 16, v1
	s_delay_alu instid0(VALU_DEP_1)
	v_cndmask_b32_e32 v1, 0x7fc0, v1, vcc_lo
	global_store_b16 v[4:5], v1, off
.LBB15_781:
	s_mov_b32 s30, 0
.LBB15_782:
	s_delay_alu instid0(SALU_CYCLE_1)
	s_and_b32 vcc_lo, exec_lo, s30
	s_cbranch_vccz .LBB15_785
; %bb.783:
	s_cmp_eq_u32 s28, 11
	s_mov_b32 s0, -1
	s_cbranch_scc0 .LBB15_785
; %bb.784:
	v_cmp_neq_f32_e32 vcc_lo, 0, v2
	s_mov_b32 s0, 0
	s_mov_b32 s29, -1
	s_wait_xcnt 0x0
	v_cndmask_b32_e64 v1, 0, 1, vcc_lo
	global_store_b8 v[4:5], v1, off
.LBB15_785:
	s_mov_b32 s28, 0
.LBB15_786:
	s_delay_alu instid0(SALU_CYCLE_1)
	s_and_b32 vcc_lo, exec_lo, s28
	s_cbranch_vccz .LBB15_825
; %bb.787:
	s_and_b32 s27, 0xffff, s27
	s_mov_b32 s28, -1
	s_cmp_lt_i32 s27, 5
	s_cbranch_scc1 .LBB15_808
; %bb.788:
	s_cmp_lt_i32 s27, 8
	s_cbranch_scc1 .LBB15_798
; %bb.789:
	;; [unrolled: 3-line block ×3, first 2 shown]
	s_cmp_gt_i32 s27, 9
	s_cbranch_scc0 .LBB15_792
; %bb.791:
	s_wait_xcnt 0x0
	v_cvt_f64_f32_e32 v[6:7], v2
	v_mov_b32_e32 v8, 0
	s_mov_b32 s28, 0
	s_delay_alu instid0(VALU_DEP_1)
	v_mov_b32_e32 v9, v8
	global_store_b128 v[4:5], v[6:9], off
.LBB15_792:
	s_and_not1_b32 vcc_lo, exec_lo, s28
	s_cbranch_vccnz .LBB15_794
; %bb.793:
	s_wait_xcnt 0x0
	v_mov_b32_e32 v3, 0
	global_store_b64 v[4:5], v[2:3], off
.LBB15_794:
	s_mov_b32 s28, 0
.LBB15_795:
	s_delay_alu instid0(SALU_CYCLE_1)
	s_and_not1_b32 vcc_lo, exec_lo, s28
	s_cbranch_vccnz .LBB15_797
; %bb.796:
	s_wait_xcnt 0x0
	v_cvt_f16_f32_e32 v1, v2
	s_delay_alu instid0(VALU_DEP_1)
	v_and_b32_e32 v1, 0xffff, v1
	global_store_b32 v[4:5], v1, off
.LBB15_797:
	s_mov_b32 s28, 0
.LBB15_798:
	s_delay_alu instid0(SALU_CYCLE_1)
	s_and_not1_b32 vcc_lo, exec_lo, s28
	s_cbranch_vccnz .LBB15_807
; %bb.799:
	s_cmp_lt_i32 s27, 6
	s_mov_b32 s28, -1
	s_cbranch_scc1 .LBB15_805
; %bb.800:
	s_cmp_gt_i32 s27, 6
	s_cbranch_scc0 .LBB15_802
; %bb.801:
	s_wait_xcnt 0x0
	v_cvt_f64_f32_e32 v[6:7], v2
	s_mov_b32 s28, 0
	global_store_b64 v[4:5], v[6:7], off
.LBB15_802:
	s_and_not1_b32 vcc_lo, exec_lo, s28
	s_cbranch_vccnz .LBB15_804
; %bb.803:
	global_store_b32 v[4:5], v2, off
.LBB15_804:
	s_mov_b32 s28, 0
.LBB15_805:
	s_delay_alu instid0(SALU_CYCLE_1)
	s_and_not1_b32 vcc_lo, exec_lo, s28
	s_cbranch_vccnz .LBB15_807
; %bb.806:
	s_wait_xcnt 0x0
	v_cvt_f16_f32_e32 v1, v2
	global_store_b16 v[4:5], v1, off
.LBB15_807:
	s_mov_b32 s28, 0
.LBB15_808:
	s_delay_alu instid0(SALU_CYCLE_1)
	s_and_not1_b32 vcc_lo, exec_lo, s28
	s_cbranch_vccnz .LBB15_824
; %bb.809:
	s_cmp_lt_i32 s27, 2
	s_mov_b32 s28, -1
	s_cbranch_scc1 .LBB15_819
; %bb.810:
	s_cmp_lt_i32 s27, 3
	s_cbranch_scc1 .LBB15_816
; %bb.811:
	s_cmp_gt_i32 s27, 3
	s_cbranch_scc0 .LBB15_813
; %bb.812:
	s_wait_xcnt 0x0
	v_trunc_f32_e32 v1, v2
	s_mov_b32 s28, 0
	s_delay_alu instid0(VALU_DEP_1) | instskip(SKIP_1) | instid1(VALU_DEP_2)
	v_mul_f32_e64 v3, 0x2f800000, |v1|
	v_ashrrev_i32_e32 v6, 31, v1
	v_floor_f32_e32 v3, v3
	s_delay_alu instid0(VALU_DEP_1) | instskip(SKIP_1) | instid1(VALU_DEP_2)
	v_fma_f32 v7, 0xcf800000, v3, |v1|
	v_cvt_u32_f32_e32 v1, v3
	v_cvt_u32_f32_e32 v3, v7
	s_delay_alu instid0(VALU_DEP_2) | instskip(NEXT) | instid1(VALU_DEP_2)
	v_dual_mov_b32 v7, v6 :: v_dual_bitop2_b32 v9, v1, v6 bitop3:0x14
	v_xor_b32_e32 v8, v3, v6
	s_delay_alu instid0(VALU_DEP_1)
	v_sub_nc_u64_e32 v[6:7], v[8:9], v[6:7]
	global_store_b64 v[4:5], v[6:7], off
.LBB15_813:
	s_and_not1_b32 vcc_lo, exec_lo, s28
	s_cbranch_vccnz .LBB15_815
; %bb.814:
	s_wait_xcnt 0x0
	v_cvt_i32_f32_e32 v1, v2
	global_store_b32 v[4:5], v1, off
.LBB15_815:
	s_mov_b32 s28, 0
.LBB15_816:
	s_delay_alu instid0(SALU_CYCLE_1)
	s_and_not1_b32 vcc_lo, exec_lo, s28
	s_cbranch_vccnz .LBB15_818
; %bb.817:
	s_wait_xcnt 0x0
	v_cvt_i32_f32_e32 v1, v2
	global_store_b16 v[4:5], v1, off
.LBB15_818:
	s_mov_b32 s28, 0
.LBB15_819:
	s_delay_alu instid0(SALU_CYCLE_1)
	s_and_not1_b32 vcc_lo, exec_lo, s28
	s_cbranch_vccnz .LBB15_824
; %bb.820:
	s_cmp_gt_i32 s27, 0
	s_mov_b32 s27, -1
	s_cbranch_scc0 .LBB15_822
; %bb.821:
	s_wait_xcnt 0x0
	v_cvt_i32_f32_e32 v1, v2
	s_mov_b32 s27, 0
	global_store_b8 v[4:5], v1, off
.LBB15_822:
	s_and_not1_b32 vcc_lo, exec_lo, s27
	s_cbranch_vccnz .LBB15_824
; %bb.823:
	s_wait_xcnt 0x0
	v_trunc_f32_e32 v1, v2
	s_delay_alu instid0(VALU_DEP_1) | instskip(NEXT) | instid1(VALU_DEP_1)
	v_mul_f32_e64 v2, 0x2f800000, |v1|
	v_floor_f32_e32 v2, v2
	s_delay_alu instid0(VALU_DEP_1) | instskip(SKIP_1) | instid1(VALU_DEP_2)
	v_fma_f32 v2, 0xcf800000, v2, |v1|
	v_ashrrev_i32_e32 v1, 31, v1
	v_cvt_u32_f32_e32 v2, v2
	s_delay_alu instid0(VALU_DEP_1) | instskip(NEXT) | instid1(VALU_DEP_1)
	v_xor_b32_e32 v2, v2, v1
	v_sub_nc_u32_e32 v1, v2, v1
	global_store_b8 v[4:5], v1, off
.LBB15_824:
	s_mov_b32 s29, -1
.LBB15_825:
	s_delay_alu instid0(SALU_CYCLE_1)
	s_and_not1_b32 vcc_lo, exec_lo, s29
	s_cbranch_vccnz .LBB15_827
; %bb.826:
	v_add_nc_u32_e32 v0, 0x80, v0
	s_mov_b32 s27, -1
	s_branch .LBB15_829
.LBB15_827:
	s_mov_b32 s27, 0
.LBB15_828:
                                        ; implicit-def: $vgpr0
.LBB15_829:
	s_and_not1_b32 s28, s45, exec_lo
	s_and_b32 s0, s0, exec_lo
	s_and_not1_b32 s29, s44, exec_lo
	s_and_b32 s26, s26, exec_lo
	s_or_b32 s30, s28, s0
	s_or_b32 s0, s29, s26
	s_or_not1_b32 s29, s27, exec_lo
.LBB15_830:
	s_wait_xcnt 0x0
	s_or_b32 exec_lo, exec_lo, s47
	s_mov_b32 s27, 0
	s_mov_b32 s26, 0
	;; [unrolled: 1-line block ×3, first 2 shown]
                                        ; implicit-def: $vgpr6_vgpr7
                                        ; implicit-def: $vgpr4
                                        ; implicit-def: $vgpr2
	s_and_saveexec_b32 s31, s29
	s_cbranch_execz .LBB15_932
; %bb.831:
	v_cmp_gt_i32_e32 vcc_lo, s38, v0
	s_mov_b32 s29, s0
                                        ; implicit-def: $vgpr6_vgpr7
                                        ; implicit-def: $vgpr4
                                        ; implicit-def: $vgpr2
	s_and_saveexec_b32 s38, vcc_lo
	s_cbranch_execz .LBB15_931
; %bb.832:
	s_and_not1_b32 vcc_lo, exec_lo, s35
	s_cbranch_vccnz .LBB15_838
; %bb.833:
	s_and_not1_b32 vcc_lo, exec_lo, s40
	s_cbranch_vccnz .LBB15_839
; %bb.834:
	s_add_co_i32 s39, s39, 1
	s_cmp_eq_u32 s33, 2
	s_cbranch_scc1 .LBB15_840
; %bb.835:
	s_wait_loadcnt 0x0
	v_dual_mov_b32 v4, 0 :: v_dual_mov_b32 v2, 0
	v_mov_b32_e32 v1, v0
	s_and_b32 s26, s39, 28
	s_mov_b64 s[28:29], s[2:3]
.LBB15_836:                             ; =>This Inner Loop Header: Depth=1
	s_clause 0x1
	s_load_b256 s[48:55], s[28:29], 0x4
	s_load_b128 s[64:67], s[28:29], 0x24
	s_load_b256 s[56:63], s[24:25], 0x0
	s_add_co_i32 s27, s27, 4
	s_wait_xcnt 0x0
	s_add_nc_u64 s[28:29], s[28:29], 48
	s_cmp_eq_u32 s26, s27
	s_add_nc_u64 s[24:25], s[24:25], 32
	s_wait_kmcnt 0x0
	v_mul_hi_u32 v3, s49, v1
	s_delay_alu instid0(VALU_DEP_1) | instskip(NEXT) | instid1(VALU_DEP_1)
	v_add_nc_u32_e32 v3, v1, v3
	v_lshrrev_b32_e32 v3, s50, v3
	s_delay_alu instid0(VALU_DEP_1) | instskip(NEXT) | instid1(VALU_DEP_1)
	v_mul_hi_u32 v5, s52, v3
	v_add_nc_u32_e32 v5, v3, v5
	s_delay_alu instid0(VALU_DEP_1) | instskip(NEXT) | instid1(VALU_DEP_1)
	v_lshrrev_b32_e32 v5, s53, v5
	v_mul_hi_u32 v6, s55, v5
	s_delay_alu instid0(VALU_DEP_1) | instskip(SKIP_1) | instid1(VALU_DEP_1)
	v_add_nc_u32_e32 v6, v5, v6
	v_mul_lo_u32 v7, v3, s48
	v_sub_nc_u32_e32 v1, v1, v7
	v_mul_lo_u32 v7, v5, s51
	s_delay_alu instid0(VALU_DEP_4) | instskip(NEXT) | instid1(VALU_DEP_3)
	v_lshrrev_b32_e32 v6, s64, v6
	v_mad_u32 v2, v1, s57, v2
	v_mad_u32 v1, v1, s56, v4
	s_delay_alu instid0(VALU_DEP_4) | instskip(NEXT) | instid1(VALU_DEP_4)
	v_sub_nc_u32_e32 v3, v3, v7
	v_mul_hi_u32 v8, s66, v6
	v_mul_lo_u32 v4, v6, s54
	s_delay_alu instid0(VALU_DEP_3) | instskip(SKIP_1) | instid1(VALU_DEP_4)
	v_mad_u32 v2, v3, s59, v2
	v_mad_u32 v3, v3, s58, v1
	v_add_nc_u32_e32 v7, v6, v8
	s_delay_alu instid0(VALU_DEP_1) | instskip(NEXT) | instid1(VALU_DEP_1)
	v_dual_sub_nc_u32 v4, v5, v4 :: v_dual_lshrrev_b32 v1, s67, v7
	v_mad_u32 v2, v4, s61, v2
	s_delay_alu instid0(VALU_DEP_4) | instskip(NEXT) | instid1(VALU_DEP_3)
	v_mad_u32 v3, v4, s60, v3
	v_mul_lo_u32 v5, v1, s65
	s_delay_alu instid0(VALU_DEP_1) | instskip(NEXT) | instid1(VALU_DEP_1)
	v_sub_nc_u32_e32 v4, v6, v5
	v_mad_u32 v2, v4, s63, v2
	s_delay_alu instid0(VALU_DEP_4)
	v_mad_u32 v4, v4, s62, v3
	s_cbranch_scc0 .LBB15_836
; %bb.837:
	s_delay_alu instid0(VALU_DEP_2)
	v_mov_b32_e32 v5, v2
	s_branch .LBB15_841
.LBB15_838:
	s_mov_b32 s24, -1
                                        ; implicit-def: $vgpr2
                                        ; implicit-def: $vgpr4
	s_branch .LBB15_846
.LBB15_839:
	s_wait_loadcnt 0x0
	v_dual_mov_b32 v2, 0 :: v_dual_mov_b32 v4, 0
	s_branch .LBB15_845
.LBB15_840:
	v_mov_b64_e32 v[4:5], 0
	v_mov_b32_e32 v1, v0
                                        ; implicit-def: $vgpr2
.LBB15_841:
	s_and_b32 s28, s39, 3
	s_mov_b32 s27, 0
	s_cmp_eq_u32 s28, 0
	s_cbranch_scc1 .LBB15_845
; %bb.842:
	s_lshl_b32 s24, s26, 3
	s_mov_b32 s25, s27
	s_mul_u64 s[26:27], s[26:27], 12
	s_add_nc_u64 s[24:25], s[2:3], s[24:25]
	s_add_nc_u64 s[26:27], s[2:3], s[26:27]
	;; [unrolled: 1-line block ×3, first 2 shown]
.LBB15_843:                             ; =>This Inner Loop Header: Depth=1
	s_load_b96 s[48:50], s[26:27], 0x4
	s_add_co_i32 s28, s28, -1
	s_wait_xcnt 0x0
	s_add_nc_u64 s[26:27], s[26:27], 12
	s_cmp_lg_u32 s28, 0
	s_wait_loadcnt 0x0
	s_wait_kmcnt 0x0
	v_mul_hi_u32 v2, s49, v1
	s_delay_alu instid0(VALU_DEP_1) | instskip(NEXT) | instid1(VALU_DEP_1)
	v_add_nc_u32_e32 v2, v1, v2
	v_lshrrev_b32_e32 v2, s50, v2
	s_load_b64 s[50:51], s[24:25], 0x0
	s_wait_xcnt 0x0
	s_add_nc_u64 s[24:25], s[24:25], 8
	s_delay_alu instid0(VALU_DEP_1) | instskip(NEXT) | instid1(VALU_DEP_1)
	v_mul_lo_u32 v3, v2, s48
	v_sub_nc_u32_e32 v1, v1, v3
	s_wait_kmcnt 0x0
	s_delay_alu instid0(VALU_DEP_1)
	v_mad_u32 v5, v1, s51, v5
	v_mad_u32 v4, v1, s50, v4
	v_mov_b32_e32 v1, v2
	s_cbranch_scc1 .LBB15_843
; %bb.844:
	s_delay_alu instid0(VALU_DEP_3)
	v_mov_b32_e32 v2, v5
.LBB15_845:
	s_mov_b32 s24, 0
.LBB15_846:
	s_delay_alu instid0(SALU_CYCLE_1)
	s_and_not1_b32 vcc_lo, exec_lo, s24
	s_cbranch_vccnz .LBB15_849
; %bb.847:
	v_mov_b32_e32 v1, 0
	s_and_not1_b32 vcc_lo, exec_lo, s37
	s_wait_loadcnt 0x0
	s_delay_alu instid0(VALU_DEP_1) | instskip(NEXT) | instid1(VALU_DEP_1)
	v_mul_u64_e32 v[2:3], s[20:21], v[0:1]
	v_add_nc_u32_e32 v2, v0, v3
	s_delay_alu instid0(VALU_DEP_1) | instskip(NEXT) | instid1(VALU_DEP_1)
	v_lshrrev_b32_e32 v6, s10, v2
	v_mul_lo_u32 v2, v6, s8
	s_delay_alu instid0(VALU_DEP_1) | instskip(NEXT) | instid1(VALU_DEP_1)
	v_sub_nc_u32_e32 v0, v0, v2
	v_mul_lo_u32 v2, v0, s13
	v_mul_lo_u32 v4, v0, s12
	s_cbranch_vccnz .LBB15_849
; %bb.848:
	v_mov_b32_e32 v7, v1
	s_delay_alu instid0(VALU_DEP_1) | instskip(NEXT) | instid1(VALU_DEP_1)
	v_mul_u64_e32 v[0:1], s[22:23], v[6:7]
	v_add_nc_u32_e32 v0, v6, v1
	s_delay_alu instid0(VALU_DEP_1) | instskip(NEXT) | instid1(VALU_DEP_1)
	v_lshrrev_b32_e32 v0, s1, v0
	v_mul_lo_u32 v0, v0, s11
	s_delay_alu instid0(VALU_DEP_1) | instskip(NEXT) | instid1(VALU_DEP_1)
	v_sub_nc_u32_e32 v0, v6, v0
	v_mad_u32 v4, v0, s14, v4
	v_mad_u32 v2, v0, s15, v2
.LBB15_849:
	v_mov_b32_e32 v3, 0
	s_and_b32 s1, 0xffff, s9
	s_delay_alu instid0(SALU_CYCLE_1) | instskip(SKIP_1) | instid1(VALU_DEP_1)
	s_cmp_lt_i32 s1, 11
	s_wait_loadcnt 0x0
	v_add_nc_u64_e32 v[6:7], s[6:7], v[2:3]
	s_cbranch_scc1 .LBB15_856
; %bb.850:
	s_cmp_gt_i32 s1, 25
	s_mov_b32 s7, 0
	s_cbranch_scc0 .LBB15_857
; %bb.851:
	s_cmp_gt_i32 s1, 28
	s_cbranch_scc0 .LBB15_858
; %bb.852:
	s_cmp_gt_i32 s1, 43
	;; [unrolled: 3-line block ×3, first 2 shown]
	s_cbranch_scc0 .LBB15_862
; %bb.854:
	s_cmp_eq_u32 s1, 46
	s_mov_b32 s10, 0
	s_cbranch_scc0 .LBB15_865
; %bb.855:
	global_load_b32 v0, v[6:7], off
	s_mov_b32 s6, 0
	s_mov_b32 s8, -1
	s_wait_loadcnt 0x0
	v_lshlrev_b32_e32 v2, 16, v0
	s_branch .LBB15_867
.LBB15_856:
	s_mov_b32 s1, -1
	s_mov_b32 s8, 0
	s_mov_b32 s7, 0
	;; [unrolled: 1-line block ×3, first 2 shown]
                                        ; implicit-def: $vgpr2
	s_branch .LBB15_930
.LBB15_857:
	s_mov_b32 s10, -1
	s_mov_b32 s8, 0
	s_mov_b32 s6, s0
                                        ; implicit-def: $vgpr2
	s_branch .LBB15_896
.LBB15_858:
	s_mov_b32 s10, -1
	s_mov_b32 s8, 0
	s_mov_b32 s6, s0
                                        ; implicit-def: $vgpr2
	s_branch .LBB15_877
.LBB15_859:
	s_mov_b32 s10, -1
	s_mov_b32 s8, 0
	s_mov_b32 s6, s0
                                        ; implicit-def: $vgpr2
	s_branch .LBB15_872
.LBB15_860:
	s_and_not1_saveexec_b32 s31, s31
	s_cbranch_execz .LBB15_738
.LBB15_861:
	v_add_f32_e64 v1, 0x46000000, |v2|
	s_and_not1_b32 s30, s30, exec_lo
	s_delay_alu instid0(VALU_DEP_1) | instskip(NEXT) | instid1(VALU_DEP_1)
	v_and_b32_e32 v1, 0xff, v1
	v_cmp_ne_u32_e32 vcc_lo, 0, v1
	s_and_b32 s48, vcc_lo, exec_lo
	s_delay_alu instid0(SALU_CYCLE_1)
	s_or_b32 s30, s30, s48
	s_or_b32 exec_lo, exec_lo, s31
	v_mov_b32_e32 v3, 0
	s_and_saveexec_b32 s31, s30
	s_cbranch_execnz .LBB15_739
	s_branch .LBB15_740
.LBB15_862:
	s_mov_b32 s10, -1
	s_mov_b32 s8, 0
	s_mov_b32 s6, s0
	s_branch .LBB15_866
.LBB15_863:
	s_and_not1_saveexec_b32 s31, s31
	s_cbranch_execz .LBB15_751
.LBB15_864:
	v_add_f32_e64 v1, 0x42800000, |v2|
	s_and_not1_b32 s30, s30, exec_lo
	s_delay_alu instid0(VALU_DEP_1) | instskip(NEXT) | instid1(VALU_DEP_1)
	v_and_b32_e32 v1, 0xff, v1
	v_cmp_ne_u32_e32 vcc_lo, 0, v1
	s_and_b32 s48, vcc_lo, exec_lo
	s_delay_alu instid0(SALU_CYCLE_1)
	s_or_b32 s30, s30, s48
	s_or_b32 exec_lo, exec_lo, s31
	v_mov_b32_e32 v3, 0
	s_and_saveexec_b32 s31, s30
	s_cbranch_execnz .LBB15_752
	s_branch .LBB15_753
.LBB15_865:
	s_mov_b32 s6, -1
	s_mov_b32 s8, 0
.LBB15_866:
                                        ; implicit-def: $vgpr2
.LBB15_867:
	s_and_b32 vcc_lo, exec_lo, s10
	s_cbranch_vccz .LBB15_871
; %bb.868:
	s_cmp_eq_u32 s1, 44
	s_cbranch_scc0 .LBB15_870
; %bb.869:
	global_load_u8 v0, v[6:7], off
	s_mov_b32 s6, 0
	s_mov_b32 s8, -1
	s_wait_loadcnt 0x0
	v_lshlrev_b32_e32 v1, 23, v0
	v_cmp_ne_u32_e32 vcc_lo, 0xff, v0
	s_delay_alu instid0(VALU_DEP_2) | instskip(SKIP_1) | instid1(VALU_DEP_2)
	v_cndmask_b32_e32 v1, 0x7f800001, v1, vcc_lo
	v_cmp_ne_u32_e32 vcc_lo, 0, v0
	v_cndmask_b32_e32 v2, 0x400000, v1, vcc_lo
	s_branch .LBB15_871
.LBB15_870:
	s_mov_b32 s6, -1
                                        ; implicit-def: $vgpr2
.LBB15_871:
	s_mov_b32 s10, 0
.LBB15_872:
	s_delay_alu instid0(SALU_CYCLE_1)
	s_and_b32 vcc_lo, exec_lo, s10
	s_cbranch_vccz .LBB15_876
; %bb.873:
	s_cmp_eq_u32 s1, 29
	s_cbranch_scc0 .LBB15_875
; %bb.874:
	global_load_b64 v[0:1], v[6:7], off
	s_mov_b32 s6, 0
	s_mov_b32 s8, -1
	s_mov_b32 s10, 0
	s_wait_loadcnt 0x0
	v_clz_i32_u32_e32 v2, v1
	s_delay_alu instid0(VALU_DEP_1) | instskip(NEXT) | instid1(VALU_DEP_1)
	v_min_u32_e32 v2, 32, v2
	v_lshlrev_b64_e32 v[0:1], v2, v[0:1]
	s_delay_alu instid0(VALU_DEP_1) | instskip(NEXT) | instid1(VALU_DEP_1)
	v_min_u32_e32 v0, 1, v0
	v_dual_sub_nc_u32 v1, 32, v2 :: v_dual_bitop2_b32 v0, v1, v0 bitop3:0x54
	s_delay_alu instid0(VALU_DEP_1) | instskip(NEXT) | instid1(VALU_DEP_1)
	v_cvt_f32_u32_e32 v0, v0
	v_ldexp_f32 v2, v0, v1
	s_branch .LBB15_877
.LBB15_875:
	s_mov_b32 s6, -1
                                        ; implicit-def: $vgpr2
.LBB15_876:
	s_mov_b32 s10, 0
.LBB15_877:
	s_delay_alu instid0(SALU_CYCLE_1)
	s_and_b32 vcc_lo, exec_lo, s10
	s_cbranch_vccz .LBB15_895
; %bb.878:
	s_cmp_lt_i32 s1, 27
	s_cbranch_scc1 .LBB15_881
; %bb.879:
	s_cmp_gt_i32 s1, 27
	s_cbranch_scc0 .LBB15_882
; %bb.880:
	global_load_b32 v0, v[6:7], off
	s_mov_b32 s8, 0
	s_wait_loadcnt 0x0
	v_cvt_f32_u32_e32 v2, v0
	s_branch .LBB15_883
.LBB15_881:
	s_mov_b32 s8, -1
                                        ; implicit-def: $vgpr2
	s_branch .LBB15_886
.LBB15_882:
	s_mov_b32 s8, -1
                                        ; implicit-def: $vgpr2
.LBB15_883:
	s_delay_alu instid0(SALU_CYCLE_1)
	s_and_not1_b32 vcc_lo, exec_lo, s8
	s_cbranch_vccnz .LBB15_885
; %bb.884:
	global_load_u16 v0, v[6:7], off
	s_wait_loadcnt 0x0
	v_cvt_f32_u32_e32 v2, v0
.LBB15_885:
	s_mov_b32 s8, 0
.LBB15_886:
	s_delay_alu instid0(SALU_CYCLE_1)
	s_and_not1_b32 vcc_lo, exec_lo, s8
	s_cbranch_vccnz .LBB15_894
; %bb.887:
	global_load_u8 v0, v[6:7], off
	s_mov_b32 s8, 0
	s_mov_b32 s10, exec_lo
	s_wait_loadcnt 0x0
	v_cmpx_lt_i16_e32 0x7f, v0
	s_xor_b32 s10, exec_lo, s10
	s_cbranch_execz .LBB15_908
; %bb.888:
	s_mov_b32 s8, -1
	s_mov_b32 s11, exec_lo
	v_cmpx_eq_u16_e32 0x80, v0
; %bb.889:
	s_xor_b32 s8, exec_lo, -1
; %bb.890:
	s_or_b32 exec_lo, exec_lo, s11
	s_delay_alu instid0(SALU_CYCLE_1)
	s_and_b32 s8, s8, exec_lo
	s_or_saveexec_b32 s10, s10
	v_mov_b32_e32 v2, 0x7f800001
	s_xor_b32 exec_lo, exec_lo, s10
	s_cbranch_execnz .LBB15_909
.LBB15_891:
	s_or_b32 exec_lo, exec_lo, s10
	s_and_saveexec_b32 s10, s8
	s_cbranch_execz .LBB15_893
.LBB15_892:
	v_and_b32_e32 v1, 0xffff, v0
	s_delay_alu instid0(VALU_DEP_1) | instskip(SKIP_1) | instid1(VALU_DEP_2)
	v_and_b32_e32 v2, 7, v1
	v_bfe_u32 v8, v1, 3, 4
	v_clz_i32_u32_e32 v3, v2
	s_delay_alu instid0(VALU_DEP_2) | instskip(NEXT) | instid1(VALU_DEP_2)
	v_cmp_eq_u32_e32 vcc_lo, 0, v8
	v_min_u32_e32 v3, 32, v3
	s_delay_alu instid0(VALU_DEP_1) | instskip(NEXT) | instid1(VALU_DEP_1)
	v_subrev_nc_u32_e32 v5, 28, v3
	v_dual_lshlrev_b32 v1, v5, v1 :: v_dual_sub_nc_u32 v3, 29, v3
	s_delay_alu instid0(VALU_DEP_1) | instskip(NEXT) | instid1(VALU_DEP_1)
	v_dual_lshlrev_b32 v0, 24, v0 :: v_dual_bitop2_b32 v1, 7, v1 bitop3:0x40
	v_dual_cndmask_b32 v3, v8, v3, vcc_lo :: v_dual_cndmask_b32 v1, v2, v1, vcc_lo
	s_delay_alu instid0(VALU_DEP_2) | instskip(NEXT) | instid1(VALU_DEP_2)
	v_and_b32_e32 v0, 0x80000000, v0
	v_lshl_add_u32 v2, v3, 23, 0x3b800000
	s_delay_alu instid0(VALU_DEP_3) | instskip(NEXT) | instid1(VALU_DEP_1)
	v_lshlrev_b32_e32 v1, 20, v1
	v_or3_b32 v2, v0, v2, v1
.LBB15_893:
	s_or_b32 exec_lo, exec_lo, s10
.LBB15_894:
	s_mov_b32 s8, -1
.LBB15_895:
	s_mov_b32 s10, 0
.LBB15_896:
	s_delay_alu instid0(SALU_CYCLE_1)
	s_and_b32 vcc_lo, exec_lo, s10
	s_cbranch_vccz .LBB15_929
; %bb.897:
	s_cmp_gt_i32 s1, 22
	s_cbranch_scc0 .LBB15_907
; %bb.898:
	s_cmp_lt_i32 s1, 24
	s_cbranch_scc1 .LBB15_910
; %bb.899:
	s_cmp_gt_i32 s1, 24
	s_cbranch_scc0 .LBB15_911
; %bb.900:
	global_load_u8 v0, v[6:7], off
	s_mov_b32 s8, exec_lo
	s_wait_loadcnt 0x0
	v_cmpx_lt_i16_e32 0x7f, v0
	s_xor_b32 s8, exec_lo, s8
	s_cbranch_execz .LBB15_923
; %bb.901:
	s_mov_b32 s7, -1
	s_mov_b32 s10, exec_lo
	v_cmpx_eq_u16_e32 0x80, v0
; %bb.902:
	s_xor_b32 s7, exec_lo, -1
; %bb.903:
	s_or_b32 exec_lo, exec_lo, s10
	s_delay_alu instid0(SALU_CYCLE_1)
	s_and_b32 s7, s7, exec_lo
	s_or_saveexec_b32 s8, s8
	v_mov_b32_e32 v2, 0x7f800001
	s_xor_b32 exec_lo, exec_lo, s8
	s_cbranch_execnz .LBB15_924
.LBB15_904:
	s_or_b32 exec_lo, exec_lo, s8
	s_and_saveexec_b32 s8, s7
	s_cbranch_execz .LBB15_906
.LBB15_905:
	v_and_b32_e32 v1, 0xffff, v0
	s_delay_alu instid0(VALU_DEP_1) | instskip(SKIP_1) | instid1(VALU_DEP_2)
	v_and_b32_e32 v2, 3, v1
	v_bfe_u32 v8, v1, 2, 5
	v_clz_i32_u32_e32 v3, v2
	s_delay_alu instid0(VALU_DEP_2) | instskip(NEXT) | instid1(VALU_DEP_2)
	v_cmp_eq_u32_e32 vcc_lo, 0, v8
	v_min_u32_e32 v3, 32, v3
	s_delay_alu instid0(VALU_DEP_1) | instskip(NEXT) | instid1(VALU_DEP_1)
	v_subrev_nc_u32_e32 v5, 29, v3
	v_dual_lshlrev_b32 v1, v5, v1 :: v_dual_sub_nc_u32 v3, 30, v3
	s_delay_alu instid0(VALU_DEP_1) | instskip(NEXT) | instid1(VALU_DEP_1)
	v_dual_lshlrev_b32 v0, 24, v0 :: v_dual_bitop2_b32 v1, 3, v1 bitop3:0x40
	v_dual_cndmask_b32 v3, v8, v3, vcc_lo :: v_dual_cndmask_b32 v1, v2, v1, vcc_lo
	s_delay_alu instid0(VALU_DEP_2) | instskip(NEXT) | instid1(VALU_DEP_2)
	v_and_b32_e32 v0, 0x80000000, v0
	v_lshl_add_u32 v2, v3, 23, 0x37800000
	s_delay_alu instid0(VALU_DEP_3) | instskip(NEXT) | instid1(VALU_DEP_1)
	v_lshlrev_b32_e32 v1, 21, v1
	v_or3_b32 v2, v0, v2, v1
.LBB15_906:
	s_or_b32 exec_lo, exec_lo, s8
	s_mov_b32 s7, 0
	s_branch .LBB15_912
.LBB15_907:
	s_mov_b32 s7, -1
                                        ; implicit-def: $vgpr2
	s_branch .LBB15_918
.LBB15_908:
	s_or_saveexec_b32 s10, s10
	v_mov_b32_e32 v2, 0x7f800001
	s_xor_b32 exec_lo, exec_lo, s10
	s_cbranch_execz .LBB15_891
.LBB15_909:
	v_cmp_ne_u16_e32 vcc_lo, 0, v0
	v_mov_b32_e32 v2, 0
	s_and_not1_b32 s8, s8, exec_lo
	s_and_b32 s11, vcc_lo, exec_lo
	s_delay_alu instid0(SALU_CYCLE_1)
	s_or_b32 s8, s8, s11
	s_or_b32 exec_lo, exec_lo, s10
	s_and_saveexec_b32 s10, s8
	s_cbranch_execnz .LBB15_892
	s_branch .LBB15_893
.LBB15_910:
	s_mov_b32 s7, -1
                                        ; implicit-def: $vgpr2
	s_branch .LBB15_915
.LBB15_911:
	s_mov_b32 s7, -1
                                        ; implicit-def: $vgpr2
.LBB15_912:
	s_delay_alu instid0(SALU_CYCLE_1)
	s_and_b32 vcc_lo, exec_lo, s7
	s_cbranch_vccz .LBB15_914
; %bb.913:
	global_load_u8 v0, v[6:7], off
	s_wait_loadcnt 0x0
	v_lshlrev_b32_e32 v0, 24, v0
	s_delay_alu instid0(VALU_DEP_1) | instskip(NEXT) | instid1(VALU_DEP_1)
	v_and_b32_e32 v1, 0x7f000000, v0
	v_clz_i32_u32_e32 v2, v1
	v_add_nc_u32_e32 v5, 0x1000000, v1
	v_cmp_ne_u32_e32 vcc_lo, 0, v1
	s_delay_alu instid0(VALU_DEP_3) | instskip(NEXT) | instid1(VALU_DEP_1)
	v_min_u32_e32 v2, 32, v2
	v_sub_nc_u32_e64 v2, v2, 4 clamp
	s_delay_alu instid0(VALU_DEP_1) | instskip(NEXT) | instid1(VALU_DEP_1)
	v_dual_lshlrev_b32 v3, v2, v1 :: v_dual_lshlrev_b32 v2, 23, v2
	v_lshrrev_b32_e32 v3, 4, v3
	s_delay_alu instid0(VALU_DEP_1) | instskip(NEXT) | instid1(VALU_DEP_1)
	v_dual_sub_nc_u32 v2, v3, v2 :: v_dual_ashrrev_i32 v3, 8, v5
	v_add_nc_u32_e32 v2, 0x3c000000, v2
	s_delay_alu instid0(VALU_DEP_1) | instskip(NEXT) | instid1(VALU_DEP_1)
	v_and_or_b32 v2, 0x7f800000, v3, v2
	v_cndmask_b32_e32 v1, 0, v2, vcc_lo
	s_delay_alu instid0(VALU_DEP_1)
	v_and_or_b32 v2, 0x80000000, v0, v1
.LBB15_914:
	s_mov_b32 s7, 0
.LBB15_915:
	s_delay_alu instid0(SALU_CYCLE_1)
	s_and_not1_b32 vcc_lo, exec_lo, s7
	s_cbranch_vccnz .LBB15_917
; %bb.916:
	global_load_u8 v0, v[6:7], off
	s_wait_loadcnt 0x0
	v_lshlrev_b32_e32 v1, 25, v0
	v_lshlrev_b16 v0, 8, v0
	s_delay_alu instid0(VALU_DEP_1) | instskip(SKIP_1) | instid1(VALU_DEP_2)
	v_and_or_b32 v3, 0x7f00, v0, 0.5
	v_bfe_i32 v0, v0, 0, 16
	v_dual_add_f32 v3, -0.5, v3 :: v_dual_lshrrev_b32 v2, 4, v1
	v_cmp_gt_u32_e32 vcc_lo, 0x8000000, v1
	s_delay_alu instid0(VALU_DEP_2) | instskip(NEXT) | instid1(VALU_DEP_1)
	v_or_b32_e32 v2, 0x70000000, v2
	v_mul_f32_e32 v2, 0x7800000, v2
	s_delay_alu instid0(VALU_DEP_1) | instskip(NEXT) | instid1(VALU_DEP_1)
	v_cndmask_b32_e32 v1, v2, v3, vcc_lo
	v_and_or_b32 v2, 0x80000000, v0, v1
.LBB15_917:
	s_mov_b32 s7, 0
	s_mov_b32 s8, -1
.LBB15_918:
	s_and_not1_b32 vcc_lo, exec_lo, s7
	s_mov_b32 s7, 0
	s_cbranch_vccnz .LBB15_929
; %bb.919:
	s_cmp_gt_i32 s1, 14
	s_cbranch_scc0 .LBB15_922
; %bb.920:
	s_cmp_eq_u32 s1, 15
	s_cbranch_scc0 .LBB15_925
; %bb.921:
	global_load_u16 v0, v[6:7], off
	s_mov_b32 s6, 0
	s_mov_b32 s8, -1
	s_wait_loadcnt 0x0
	v_lshlrev_b32_e32 v2, 16, v0
	s_branch .LBB15_927
.LBB15_922:
	s_mov_b32 s7, -1
	s_branch .LBB15_926
.LBB15_923:
	s_or_saveexec_b32 s8, s8
	v_mov_b32_e32 v2, 0x7f800001
	s_xor_b32 exec_lo, exec_lo, s8
	s_cbranch_execz .LBB15_904
.LBB15_924:
	v_cmp_ne_u16_e32 vcc_lo, 0, v0
	v_mov_b32_e32 v2, 0
	s_and_not1_b32 s7, s7, exec_lo
	s_and_b32 s10, vcc_lo, exec_lo
	s_delay_alu instid0(SALU_CYCLE_1)
	s_or_b32 s7, s7, s10
	s_or_b32 exec_lo, exec_lo, s8
	s_and_saveexec_b32 s8, s7
	s_cbranch_execnz .LBB15_905
	s_branch .LBB15_906
.LBB15_925:
	s_mov_b32 s6, -1
.LBB15_926:
                                        ; implicit-def: $vgpr2
.LBB15_927:
	s_and_b32 vcc_lo, exec_lo, s7
	s_mov_b32 s7, 0
	s_cbranch_vccz .LBB15_929
; %bb.928:
	s_cmp_lg_u32 s1, 11
	s_mov_b32 s7, -1
	s_cselect_b32 s1, -1, 0
	s_and_not1_b32 s6, s6, exec_lo
	s_and_b32 s1, s1, exec_lo
	s_delay_alu instid0(SALU_CYCLE_1)
	s_or_b32 s6, s6, s1
.LBB15_929:
	s_mov_b32 s1, 0
.LBB15_930:
	s_delay_alu instid0(SALU_CYCLE_1)
	s_and_b32 s26, s1, exec_lo
	s_and_not1_b32 s1, s0, exec_lo
	s_and_b32 s6, s6, exec_lo
	s_and_b32 s28, s8, exec_lo
	;; [unrolled: 1-line block ×3, first 2 shown]
	s_or_b32 s29, s1, s6
.LBB15_931:
	s_wait_xcnt 0x0
	s_or_b32 exec_lo, exec_lo, s38
	s_delay_alu instid0(SALU_CYCLE_1)
	s_and_not1_b32 s0, s0, exec_lo
	s_and_b32 s1, s29, exec_lo
	s_and_b32 s28, s28, exec_lo
	;; [unrolled: 1-line block ×4, first 2 shown]
	s_or_b32 s0, s0, s1
.LBB15_932:
	s_or_b32 exec_lo, exec_lo, s31
	s_delay_alu instid0(SALU_CYCLE_1)
	s_and_not1_b32 s1, s45, exec_lo
	s_and_b32 s6, s30, exec_lo
	s_and_b32 s0, s0, exec_lo
	s_or_b32 s45, s1, s6
	s_and_not1_b32 s1, s44, exec_lo
	s_and_b32 s28, s28, exec_lo
	s_and_b32 s26, s26, exec_lo
	;; [unrolled: 1-line block ×3, first 2 shown]
	s_or_b32 s44, s1, s0
.LBB15_933:
	s_or_b32 exec_lo, exec_lo, s46
	s_delay_alu instid0(SALU_CYCLE_1)
	s_and_not1_b32 s0, s41, exec_lo
	s_and_b32 s1, s45, exec_lo
	s_and_b32 s6, s44, exec_lo
	s_or_b32 s41, s0, s1
	s_and_not1_b32 s1, s42, exec_lo
	s_and_b32 s0, s28, exec_lo
	s_and_b32 s26, s26, exec_lo
	;; [unrolled: 1-line block ×3, first 2 shown]
	s_or_b32 s42, s1, s6
	s_or_b32 exec_lo, exec_lo, s43
	s_mov_b32 s1, 0
	s_and_saveexec_b32 s6, s42
	s_cbranch_execz .LBB15_278
.LBB15_934:
	s_mov_b32 s1, exec_lo
	s_and_not1_b32 s21, s21, exec_lo
	s_trap 2
	s_or_b32 exec_lo, exec_lo, s6
	s_and_saveexec_b32 s6, s21
	s_delay_alu instid0(SALU_CYCLE_1)
	s_xor_b32 s6, exec_lo, s6
	s_cbranch_execnz .LBB15_279
.LBB15_935:
	s_or_b32 exec_lo, exec_lo, s6
	s_and_saveexec_b32 s6, s26
	s_cbranch_execz .LBB15_981
.LBB15_936:
	s_sext_i32_i16 s7, s9
	s_delay_alu instid0(SALU_CYCLE_1)
	s_cmp_lt_i32 s7, 5
	s_cbranch_scc1 .LBB15_941
; %bb.937:
	s_cmp_lt_i32 s7, 8
	s_cbranch_scc1 .LBB15_942
; %bb.938:
	;; [unrolled: 3-line block ×3, first 2 shown]
	s_cmp_gt_i32 s7, 9
	s_cbranch_scc0 .LBB15_944
; %bb.940:
	global_load_b64 v[0:1], v[6:7], off
	s_mov_b32 s7, 0
	s_wait_loadcnt 0x0
	v_cvt_f32_f64_e32 v2, v[0:1]
	s_branch .LBB15_945
.LBB15_941:
                                        ; implicit-def: $vgpr2
	s_branch .LBB15_962
.LBB15_942:
                                        ; implicit-def: $vgpr2
	s_branch .LBB15_951
.LBB15_943:
	s_mov_b32 s7, -1
                                        ; implicit-def: $vgpr2
	s_branch .LBB15_948
.LBB15_944:
	s_mov_b32 s7, -1
                                        ; implicit-def: $vgpr2
.LBB15_945:
	s_delay_alu instid0(SALU_CYCLE_1)
	s_and_not1_b32 vcc_lo, exec_lo, s7
	s_cbranch_vccnz .LBB15_947
; %bb.946:
	s_wait_loadcnt 0x0
	global_load_b32 v2, v[6:7], off
.LBB15_947:
	s_mov_b32 s7, 0
.LBB15_948:
	s_delay_alu instid0(SALU_CYCLE_1)
	s_and_not1_b32 vcc_lo, exec_lo, s7
	s_cbranch_vccnz .LBB15_950
; %bb.949:
	global_load_b32 v0, v[6:7], off
	s_wait_loadcnt 0x0
	v_cvt_f32_f16_e32 v2, v0
.LBB15_950:
	s_cbranch_execnz .LBB15_961
.LBB15_951:
	s_sext_i32_i16 s7, s9
	s_delay_alu instid0(SALU_CYCLE_1)
	s_cmp_lt_i32 s7, 6
	s_cbranch_scc1 .LBB15_954
; %bb.952:
	s_cmp_gt_i32 s7, 6
	s_cbranch_scc0 .LBB15_955
; %bb.953:
	global_load_b64 v[0:1], v[6:7], off
	s_mov_b32 s7, 0
	s_wait_loadcnt 0x0
	v_cvt_f32_f64_e32 v2, v[0:1]
	s_branch .LBB15_956
.LBB15_954:
	s_mov_b32 s7, -1
                                        ; implicit-def: $vgpr2
	s_branch .LBB15_959
.LBB15_955:
	s_mov_b32 s7, -1
                                        ; implicit-def: $vgpr2
.LBB15_956:
	s_delay_alu instid0(SALU_CYCLE_1)
	s_and_not1_b32 vcc_lo, exec_lo, s7
	s_cbranch_vccnz .LBB15_958
; %bb.957:
	s_wait_loadcnt 0x0
	global_load_b32 v2, v[6:7], off
.LBB15_958:
	s_mov_b32 s7, 0
.LBB15_959:
	s_delay_alu instid0(SALU_CYCLE_1)
	s_and_not1_b32 vcc_lo, exec_lo, s7
	s_cbranch_vccnz .LBB15_961
; %bb.960:
	global_load_u16 v0, v[6:7], off
	s_wait_loadcnt 0x0
	v_cvt_f32_f16_e32 v2, v0
.LBB15_961:
	s_cbranch_execnz .LBB15_980
.LBB15_962:
	s_sext_i32_i16 s7, s9
	s_delay_alu instid0(SALU_CYCLE_1)
	s_cmp_lt_i32 s7, 2
	s_cbranch_scc1 .LBB15_966
; %bb.963:
	s_cmp_lt_i32 s7, 3
	s_cbranch_scc1 .LBB15_967
; %bb.964:
	s_cmp_gt_i32 s7, 3
	s_cbranch_scc0 .LBB15_968
; %bb.965:
	global_load_b64 v[0:1], v[6:7], off
	s_mov_b32 s7, 0
	s_wait_loadcnt 0x0
	v_xor_b32_e32 v2, v0, v1
	v_cls_i32_e32 v3, v1
	s_delay_alu instid0(VALU_DEP_2) | instskip(NEXT) | instid1(VALU_DEP_1)
	v_ashrrev_i32_e32 v2, 31, v2
	v_add_nc_u32_e32 v2, 32, v2
	s_delay_alu instid0(VALU_DEP_1) | instskip(NEXT) | instid1(VALU_DEP_1)
	v_add_min_u32_e64 v2, v3, -1, v2
	v_lshlrev_b64_e32 v[0:1], v2, v[0:1]
	s_delay_alu instid0(VALU_DEP_1) | instskip(NEXT) | instid1(VALU_DEP_1)
	v_min_u32_e32 v0, 1, v0
	v_dual_sub_nc_u32 v1, 32, v2 :: v_dual_bitop2_b32 v0, v1, v0 bitop3:0x54
	s_delay_alu instid0(VALU_DEP_1) | instskip(NEXT) | instid1(VALU_DEP_1)
	v_cvt_f32_i32_e32 v0, v0
	v_ldexp_f32 v2, v0, v1
	s_branch .LBB15_969
.LBB15_966:
                                        ; implicit-def: $vgpr2
	s_branch .LBB15_975
.LBB15_967:
	s_mov_b32 s7, -1
                                        ; implicit-def: $vgpr2
	s_branch .LBB15_972
.LBB15_968:
	s_mov_b32 s7, -1
                                        ; implicit-def: $vgpr2
.LBB15_969:
	s_delay_alu instid0(SALU_CYCLE_1)
	s_and_not1_b32 vcc_lo, exec_lo, s7
	s_cbranch_vccnz .LBB15_971
; %bb.970:
	global_load_b32 v0, v[6:7], off
	s_wait_loadcnt 0x0
	v_cvt_f32_i32_e32 v2, v0
.LBB15_971:
	s_mov_b32 s7, 0
.LBB15_972:
	s_delay_alu instid0(SALU_CYCLE_1)
	s_and_not1_b32 vcc_lo, exec_lo, s7
	s_cbranch_vccnz .LBB15_974
; %bb.973:
	global_load_i16 v0, v[6:7], off
	s_wait_loadcnt 0x0
	v_cvt_f32_i32_e32 v2, v0
.LBB15_974:
	s_cbranch_execnz .LBB15_980
.LBB15_975:
	s_sext_i32_i16 s7, s9
	s_delay_alu instid0(SALU_CYCLE_1)
	s_cmp_gt_i32 s7, 0
	s_mov_b32 s7, 0
	s_cbranch_scc0 .LBB15_977
; %bb.976:
	global_load_i8 v0, v[6:7], off
	s_wait_loadcnt 0x0
	v_cvt_f32_i32_e32 v2, v0
	s_branch .LBB15_978
.LBB15_977:
	s_mov_b32 s7, -1
                                        ; implicit-def: $vgpr2
.LBB15_978:
	s_delay_alu instid0(SALU_CYCLE_1)
	s_and_not1_b32 vcc_lo, exec_lo, s7
	s_cbranch_vccnz .LBB15_980
; %bb.979:
	global_load_u8 v0, v[6:7], off
	s_wait_loadcnt 0x0
	v_cvt_f32_ubyte0_e32 v2, v0
.LBB15_980:
	s_or_b32 s0, s0, exec_lo
.LBB15_981:
	s_wait_xcnt 0x0
	s_or_b32 exec_lo, exec_lo, s6
	s_mov_b32 s9, 0
	s_mov_b32 s8, 0
                                        ; implicit-def: $sgpr6
                                        ; implicit-def: $vgpr0_vgpr1
	s_and_saveexec_b32 s7, s0
	s_cbranch_execz .LBB15_991
; %bb.982:
	s_wait_loadcnt 0x0
	s_delay_alu instid0(VALU_DEP_1) | instskip(SKIP_1) | instid1(VALU_DEP_1)
	v_mul_f32_e32 v0, s16, v2
	s_mov_b32 s0, exec_lo
	v_cmpx_nlt_f32_e32 s17, v0
	s_cbranch_execz .LBB15_984
; %bb.983:
	v_mul_f32_e32 v1, 0x3fb8aa3b, v0
	v_cmp_ngt_f32_e32 vcc_lo, 0xc2ce8ed0, v0
	s_mov_b32 s6, 0x3e9b6dac
	s_delay_alu instid0(VALU_DEP_2) | instskip(SKIP_1) | instid1(VALU_DEP_2)
	v_rndne_f32_e32 v2, v1
	v_fma_f32 v3, 0x3fb8aa3b, v0, -v1
	v_sub_f32_e32 v1, v1, v2
	s_delay_alu instid0(VALU_DEP_2) | instskip(SKIP_1) | instid1(VALU_DEP_2)
	v_fmamk_f32 v3, v0, 0x32a5705f, v3
	v_cvt_i32_f32_e32 v2, v2
	v_add_f32_e32 v1, v1, v3
	s_delay_alu instid0(VALU_DEP_1) | instskip(SKIP_1) | instid1(TRANS32_DEP_1)
	v_exp_f32_e32 v1, v1
	v_nop
	v_ldexp_f32 v1, v1, v2
	s_delay_alu instid0(VALU_DEP_1) | instskip(SKIP_1) | instid1(VALU_DEP_2)
	v_cndmask_b32_e32 v1, 0, v1, vcc_lo
	v_cmp_nlt_f32_e32 vcc_lo, 0x42b17218, v0
	v_cndmask_b32_e32 v18, 0x7f800000, v1, vcc_lo
	s_delay_alu instid0(VALU_DEP_1) | instskip(NEXT) | instid1(VALU_DEP_1)
	v_add_f32_e32 v2, 1.0, v18
	v_cvt_f64_f32_e32 v[0:1], v2
	s_delay_alu instid0(VALU_DEP_1) | instskip(SKIP_1) | instid1(VALU_DEP_1)
	v_frexp_exp_i32_f64_e32 v0, v[0:1]
	v_frexp_mant_f32_e32 v1, v2
	v_cmp_gt_f32_e32 vcc_lo, 0x3f2aaaab, v1
	s_delay_alu instid0(VALU_DEP_3) | instskip(NEXT) | instid1(VALU_DEP_1)
	v_subrev_co_ci_u32_e64 v5, null, 0, v0, vcc_lo
	v_dual_add_f32 v0, -1.0, v2 :: v_dual_sub_nc_u32 v1, 0, v5
	s_delay_alu instid0(VALU_DEP_1) | instskip(NEXT) | instid1(VALU_DEP_2)
	v_dual_sub_f32 v3, v0, v2 :: v_dual_sub_f32 v0, v18, v0
	v_ldexp_f32 v2, v2, v1
	s_delay_alu instid0(VALU_DEP_1) | instskip(NEXT) | instid1(VALU_DEP_1)
	v_dual_add_f32 v3, 1.0, v3 :: v_dual_add_f32 v6, 1.0, v2
	v_dual_add_f32 v7, -1.0, v2 :: v_dual_add_f32 v0, v0, v3
	s_delay_alu instid0(VALU_DEP_2) | instskip(SKIP_1) | instid1(VALU_DEP_3)
	v_add_f32_e32 v3, -1.0, v6
	v_cmp_neq_f32_e32 vcc_lo, 0x7f800000, v18
	v_ldexp_f32 v0, v0, v1
	s_delay_alu instid0(VALU_DEP_3) | instskip(NEXT) | instid1(VALU_DEP_1)
	v_sub_f32_e32 v1, v2, v3
	v_dual_add_f32 v3, 1.0, v7 :: v_dual_add_f32 v8, v0, v1
	s_delay_alu instid0(VALU_DEP_1) | instskip(NEXT) | instid1(VALU_DEP_1)
	v_sub_f32_e32 v1, v2, v3
	v_dual_add_f32 v9, v6, v8 :: v_dual_add_f32 v10, v0, v1
	s_delay_alu instid0(VALU_DEP_1) | instskip(NEXT) | instid1(VALU_DEP_1)
	v_rcp_f32_e32 v11, v9
	v_dual_add_f32 v1, v7, v10 :: v_dual_sub_f32 v0, v6, v9
	s_delay_alu instid0(TRANS32_DEP_1) | instid1(VALU_DEP_1)
	v_dual_sub_f32 v13, v7, v1 :: v_dual_mul_f32 v12, v1, v11
	s_delay_alu instid0(VALU_DEP_2) | instskip(NEXT) | instid1(VALU_DEP_2)
	v_add_f32_e32 v8, v8, v0
	v_mul_f32_e32 v2, v9, v12
	s_delay_alu instid0(VALU_DEP_1) | instskip(NEXT) | instid1(VALU_DEP_1)
	v_fma_f32 v6, v12, v9, -v2
	v_fmac_f32_e32 v6, v12, v8
	s_delay_alu instid0(VALU_DEP_1) | instskip(NEXT) | instid1(VALU_DEP_1)
	v_add_f32_e32 v0, v2, v6
	v_dual_sub_f32 v3, v1, v0 :: v_dual_mov_b32 v7, v0
	s_delay_alu instid0(VALU_DEP_1) | instskip(SKIP_1) | instid1(VALU_DEP_2)
	v_pk_add_f32 v[0:1], v[0:1], v[2:3] neg_lo:[0,1] neg_hi:[0,1]
	v_add_f32_e32 v2, v10, v13
	v_pk_add_f32 v[0:1], v[0:1], v[6:7] neg_lo:[0,1] neg_hi:[0,1]
	s_delay_alu instid0(VALU_DEP_1) | instskip(NEXT) | instid1(VALU_DEP_1)
	v_add_f32_e32 v1, v2, v1
	v_add_f32_e32 v10, v0, v1
	s_delay_alu instid0(VALU_DEP_1) | instskip(NEXT) | instid1(VALU_DEP_1)
	v_add_f32_e32 v1, v3, v10
	v_mul_f32_e32 v13, v11, v1
	s_delay_alu instid0(VALU_DEP_1) | instskip(NEXT) | instid1(VALU_DEP_1)
	v_mul_f32_e32 v6, v9, v13
	v_fma_f32 v2, v13, v9, -v6
	s_delay_alu instid0(VALU_DEP_1) | instskip(NEXT) | instid1(VALU_DEP_1)
	v_dual_fmac_f32 v2, v13, v8 :: v_dual_sub_f32 v8, v3, v1
	v_add_f32_e32 v0, v6, v2
	s_delay_alu instid0(VALU_DEP_1) | instskip(NEXT) | instid1(VALU_DEP_1)
	v_dual_sub_f32 v7, v1, v0 :: v_dual_mov_b32 v3, v0
	v_pk_add_f32 v[0:1], v[0:1], v[6:7] neg_lo:[0,1] neg_hi:[0,1]
	s_delay_alu instid0(VALU_DEP_1) | instskip(SKIP_2) | instid1(VALU_DEP_2)
	v_pk_add_f32 v[0:1], v[0:1], v[2:3] neg_lo:[0,1] neg_hi:[0,1]
	v_add_f32_e32 v6, v10, v8
	v_cvt_f32_i32_e32 v2, v5
	v_add_f32_e32 v1, v6, v1
	s_delay_alu instid0(VALU_DEP_1) | instskip(NEXT) | instid1(VALU_DEP_1)
	v_add_f32_e32 v0, v0, v1
	v_dual_add_f32 v6, v12, v13 :: v_dual_add_f32 v0, v7, v0
	s_delay_alu instid0(VALU_DEP_1) | instskip(NEXT) | instid1(VALU_DEP_1)
	v_sub_f32_e32 v1, v6, v12
	v_dual_mul_f32 v0, v11, v0 :: v_dual_sub_f32 v1, v13, v1
	s_delay_alu instid0(VALU_DEP_1) | instskip(NEXT) | instid1(VALU_DEP_1)
	v_add_f32_e32 v8, v1, v0
	v_dual_mov_b32 v0, 0x3f317218 :: v_dual_add_f32 v7, v6, v8
	s_delay_alu instid0(VALU_DEP_1) | instskip(NEXT) | instid1(VALU_DEP_1)
	v_mul_f32_e32 v1, v7, v7
	v_fmaak_f32 v9, s6, v1, 0x3ecc95a3
	v_mul_f32_e32 v3, v7, v1
	s_delay_alu instid0(VALU_DEP_2) | instskip(NEXT) | instid1(VALU_DEP_1)
	v_fmaak_f32 v1, v1, v9, 0x3f2aaada
	v_pk_mul_f32 v[0:1], v[2:3], v[0:1]
	s_delay_alu instid0(VALU_DEP_1) | instskip(NEXT) | instid1(VALU_DEP_1)
	v_fma_f32 v5, 0x3f317218, v2, -v0
	v_dual_fmamk_f32 v2, v2, 0xb102e308, v5 :: v_dual_sub_f32 v5, v7, v6
	s_delay_alu instid0(VALU_DEP_1) | instskip(SKIP_2) | instid1(VALU_DEP_3)
	v_sub_f32_e32 v5, v8, v5
	v_ldexp_f32 v3, v7, 1
	v_mov_b32_e32 v8, v0
	v_ldexp_f32 v5, v5, 1
	s_delay_alu instid0(VALU_DEP_3) | instskip(NEXT) | instid1(VALU_DEP_1)
	v_pk_add_f32 v[6:7], v[0:1], v[2:3]
	v_dual_sub_f32 v3, v7, v3 :: v_dual_mov_b32 v16, v7
	s_delay_alu instid0(VALU_DEP_1) | instskip(NEXT) | instid1(VALU_DEP_3)
	v_sub_f32_e32 v3, v1, v3
	v_pk_add_f32 v[0:1], v[6:7], v[0:1] neg_lo:[0,1] neg_hi:[0,1]
	s_delay_alu instid0(VALU_DEP_2) | instskip(NEXT) | instid1(VALU_DEP_1)
	v_dual_add_f32 v9, v5, v3 :: v_dual_mov_b32 v3, v6
	v_pk_add_f32 v[10:11], v[6:7], v[8:9]
	s_delay_alu instid0(VALU_DEP_1) | instskip(NEXT) | instid1(VALU_DEP_1)
	v_mov_b32_e32 v1, v11
	v_pk_add_f32 v[12:13], v[2:3], v[0:1]
	v_mov_b32_e32 v12, v11
	v_pk_add_f32 v[0:1], v[2:3], v[0:1] neg_lo:[0,1] neg_hi:[0,1]
	s_delay_alu instid0(VALU_DEP_3) | instskip(NEXT) | instid1(VALU_DEP_1)
	v_dual_mov_b32 v8, v13 :: v_dual_mov_b32 v1, v13
	v_pk_add_f32 v[14:15], v[8:9], v[6:7] neg_lo:[0,1] neg_hi:[0,1]
	v_dual_mov_b32 v7, v6 :: v_dual_mov_b32 v6, v9
	s_delay_alu instid0(VALU_DEP_2) | instskip(NEXT) | instid1(VALU_DEP_1)
	v_dual_mov_b32 v5, v14 :: v_dual_mov_b32 v17, v14
	v_pk_add_f32 v[10:11], v[10:11], v[4:5] neg_lo:[0,1] neg_hi:[0,1]
	s_delay_alu instid0(VALU_DEP_2) | instskip(SKIP_1) | instid1(VALU_DEP_2)
	v_pk_add_f32 v[2:3], v[12:13], v[16:17] neg_lo:[0,1] neg_hi:[0,1]
	v_mov_b32_e32 v10, v0
	v_pk_add_f32 v[2:3], v[6:7], v[2:3] neg_lo:[0,1] neg_hi:[0,1]
	s_delay_alu instid0(VALU_DEP_1) | instskip(NEXT) | instid1(VALU_DEP_1)
	v_pk_add_f32 v[6:7], v[10:11], v[2:3]
	v_mov_b32_e32 v10, v7
	s_delay_alu instid0(VALU_DEP_1) | instskip(NEXT) | instid1(VALU_DEP_1)
	v_pk_add_f32 v[10:11], v[6:7], v[10:11]
	v_pk_add_f32 v[8:9], v[8:9], v[10:11]
	s_delay_alu instid0(VALU_DEP_1) | instskip(NEXT) | instid1(VALU_DEP_1)
	v_mov_b32_e32 v7, v8
	v_pk_add_f32 v[12:13], v[6:7], v[0:1] neg_lo:[0,1] neg_hi:[0,1]
	s_delay_alu instid0(VALU_DEP_1) | instskip(NEXT) | instid1(VALU_DEP_1)
	v_sub_f32_e32 v1, v6, v12
	v_dual_mov_b32 v3, v10 :: v_dual_sub_f32 v0, v0, v1
	s_delay_alu instid0(VALU_DEP_1) | instskip(NEXT) | instid1(VALU_DEP_1)
	v_pk_add_f32 v[2:3], v[2:3], v[12:13] neg_lo:[0,1] neg_hi:[0,1]
	v_add_f32_e32 v0, v2, v0
	s_delay_alu instid0(VALU_DEP_1) | instskip(NEXT) | instid1(VALU_DEP_1)
	v_add_f32_e32 v0, v0, v3
	v_add_f32_e32 v0, v8, v0
	s_delay_alu instid0(VALU_DEP_1) | instskip(SKIP_1) | instid1(VALU_DEP_2)
	v_cndmask_b32_e32 v0, 0x7f800000, v0, vcc_lo
	v_cmp_gt_f32_e64 vcc_lo, 0x33800000, |v18|
	v_cndmask_b32_e32 v0, v0, v18, vcc_lo
	s_delay_alu instid0(VALU_DEP_1) | instskip(NEXT) | instid1(VALU_DEP_1)
	v_div_scale_f32 v1, null, s16, s16, v0
	v_rcp_f32_e32 v2, v1
	v_nop
	s_delay_alu instid0(TRANS32_DEP_1) | instskip(NEXT) | instid1(VALU_DEP_1)
	v_fma_f32 v3, -v1, v2, 1.0
	v_fmac_f32_e32 v2, v3, v2
	v_div_scale_f32 v3, vcc_lo, v0, s16, v0
	s_delay_alu instid0(VALU_DEP_1) | instskip(NEXT) | instid1(VALU_DEP_1)
	v_mul_f32_e32 v5, v3, v2
	v_fma_f32 v6, -v1, v5, v3
	s_delay_alu instid0(VALU_DEP_1) | instskip(NEXT) | instid1(VALU_DEP_1)
	v_fmac_f32_e32 v5, v6, v2
	v_fma_f32 v1, -v1, v5, v3
	s_delay_alu instid0(VALU_DEP_1) | instskip(NEXT) | instid1(VALU_DEP_1)
	v_div_fmas_f32 v1, v1, v2, v5
	v_div_fixup_f32 v2, v1, s16, v0
.LBB15_984:
	s_or_b32 exec_lo, exec_lo, s0
	v_mov_b32_e32 v5, 0
	s_and_b32 s6, s18, 0xff
	s_delay_alu instid0(SALU_CYCLE_1) | instskip(NEXT) | instid1(VALU_DEP_1)
	s_cmp_lt_i32 s6, 11
	v_add_nc_u64_e32 v[0:1], s[4:5], v[4:5]
	s_cbranch_scc1 .LBB15_994
; %bb.985:
	s_and_b32 s4, 0xffff, s6
	s_mov_b32 s5, -1
	s_cmp_gt_i32 s4, 25
	s_mov_b32 s0, s41
	s_cbranch_scc0 .LBB15_1022
; %bb.986:
	s_cmp_gt_i32 s4, 28
	s_mov_b32 s0, s41
	s_cbranch_scc0 .LBB15_1006
; %bb.987:
	s_cmp_gt_i32 s4, 43
	s_mov_b32 s0, s41
	s_cbranch_scc0 .LBB15_1002
; %bb.988:
	s_cmp_gt_i32 s4, 45
	s_mov_b32 s0, s41
	s_cbranch_scc0 .LBB15_996
; %bb.989:
	s_cmp_eq_u32 s4, 46
	s_mov_b32 s0, -1
	s_cbranch_scc0 .LBB15_995
; %bb.990:
	v_bfe_u32 v3, v2, 16, 1
	v_cmp_o_f32_e32 vcc_lo, v2, v2
	s_mov_b32 s0, 0
	s_mov_b32 s5, 0
	s_delay_alu instid0(VALU_DEP_2) | instskip(NEXT) | instid1(VALU_DEP_1)
	v_add3_u32 v3, v2, v3, 0x7fff
	v_lshrrev_b32_e32 v3, 16, v3
	s_delay_alu instid0(VALU_DEP_1)
	v_cndmask_b32_e32 v3, 0x7fc0, v3, vcc_lo
	global_store_b32 v[0:1], v3, off
	s_branch .LBB15_996
.LBB15_991:
	s_or_b32 exec_lo, exec_lo, s7
	s_and_saveexec_b32 s0, s41
	s_cbranch_execnz .LBB15_1064
.LBB15_992:
	s_or_b32 exec_lo, exec_lo, s0
	s_and_saveexec_b32 s0, s9
	s_delay_alu instid0(SALU_CYCLE_1)
	s_xor_b32 s0, exec_lo, s0
	s_cbranch_execz .LBB15_1065
.LBB15_993:
	s_wait_loadcnt 0x0
	s_delay_alu instid0(VALU_DEP_1)
	v_cmp_neq_f32_e32 vcc_lo, 0, v2
	v_cndmask_b32_e64 v3, 0, 1, vcc_lo
	global_store_b8 v[0:1], v3, off
	s_wait_xcnt 0x0
	s_or_b32 exec_lo, exec_lo, s0
	s_and_saveexec_b32 s0, s8
	s_delay_alu instid0(SALU_CYCLE_1)
	s_xor_b32 s0, exec_lo, s0
	s_cbranch_execz .LBB15_1103
	s_branch .LBB15_1066
.LBB15_994:
	s_mov_b32 s5, -1
	s_mov_b32 s0, s41
	s_branch .LBB15_1063
.LBB15_995:
	s_mov_b32 s5, 0
.LBB15_996:
	s_delay_alu instid0(SALU_CYCLE_1)
	s_and_b32 vcc_lo, exec_lo, s5
	s_cbranch_vccz .LBB15_1001
; %bb.997:
	s_cmp_eq_u32 s4, 44
	s_mov_b32 s0, -1
	s_cbranch_scc0 .LBB15_1001
; %bb.998:
	v_bfe_u32 v4, v2, 23, 8
	s_wait_xcnt 0x0
	v_mov_b32_e32 v3, 0xff
	s_mov_b32 s5, exec_lo
	s_delay_alu instid0(VALU_DEP_2)
	v_cmpx_ne_u32_e32 0xff, v4
	s_cbranch_execz .LBB15_1000
; %bb.999:
	v_and_b32_e32 v3, 0x400000, v2
	v_and_or_b32 v4, 0x3fffff, v2, v4
	s_delay_alu instid0(VALU_DEP_2) | instskip(NEXT) | instid1(VALU_DEP_2)
	v_cmp_ne_u32_e32 vcc_lo, 0, v3
	v_cmp_ne_u32_e64 s0, 0, v4
	v_lshrrev_b32_e32 v3, 23, v2
	s_and_b32 s0, vcc_lo, s0
	s_delay_alu instid0(SALU_CYCLE_1) | instskip(NEXT) | instid1(VALU_DEP_1)
	v_cndmask_b32_e64 v4, 0, 1, s0
	v_add_nc_u32_e32 v3, v3, v4
.LBB15_1000:
	s_or_b32 exec_lo, exec_lo, s5
	s_mov_b32 s0, 0
	global_store_b8 v[0:1], v3, off
.LBB15_1001:
	s_mov_b32 s5, 0
.LBB15_1002:
	s_delay_alu instid0(SALU_CYCLE_1)
	s_and_b32 vcc_lo, exec_lo, s5
	s_cbranch_vccz .LBB15_1005
; %bb.1003:
	s_cmp_eq_u32 s4, 29
	s_mov_b32 s0, -1
	s_cbranch_scc0 .LBB15_1005
; %bb.1004:
	s_wait_xcnt 0x0
	v_trunc_f32_e32 v3, v2
	s_mov_b32 s0, 0
	s_mov_b32 s5, 0
	s_delay_alu instid0(VALU_DEP_1) | instskip(NEXT) | instid1(VALU_DEP_1)
	v_mul_f32_e32 v4, 0x2f800000, v3
	v_floor_f32_e32 v4, v4
	s_delay_alu instid0(VALU_DEP_1) | instskip(SKIP_1) | instid1(VALU_DEP_2)
	v_fmamk_f32 v3, v4, 0xcf800000, v3
	v_cvt_u32_f32_e32 v5, v4
	v_cvt_u32_f32_e32 v4, v3
	global_store_b64 v[0:1], v[4:5], off
	s_branch .LBB15_1006
.LBB15_1005:
	s_mov_b32 s5, 0
.LBB15_1006:
	s_delay_alu instid0(SALU_CYCLE_1)
	s_and_b32 vcc_lo, exec_lo, s5
	s_cbranch_vccz .LBB15_1021
; %bb.1007:
	s_cmp_lt_i32 s4, 27
	s_mov_b32 s5, -1
	s_cbranch_scc1 .LBB15_1013
; %bb.1008:
	s_cmp_gt_i32 s4, 27
	s_cbranch_scc0 .LBB15_1010
; %bb.1009:
	s_wait_xcnt 0x0
	v_cvt_u32_f32_e32 v3, v2
	s_mov_b32 s5, 0
	global_store_b32 v[0:1], v3, off
.LBB15_1010:
	s_and_not1_b32 vcc_lo, exec_lo, s5
	s_cbranch_vccnz .LBB15_1012
; %bb.1011:
	s_wait_xcnt 0x0
	v_cvt_u32_f32_e32 v3, v2
	global_store_b16 v[0:1], v3, off
.LBB15_1012:
	s_mov_b32 s5, 0
.LBB15_1013:
	s_delay_alu instid0(SALU_CYCLE_1)
	s_and_not1_b32 vcc_lo, exec_lo, s5
	s_cbranch_vccnz .LBB15_1021
; %bb.1014:
	s_wait_xcnt 0x0
	v_and_b32_e32 v3, 0x7fffffff, v2
	v_mov_b32_e32 v4, 0x80
	s_mov_b32 s5, exec_lo
	s_delay_alu instid0(VALU_DEP_2)
	v_cmpx_gt_u32_e32 0x43800000, v3
	s_cbranch_execz .LBB15_1020
; %bb.1015:
	v_cmp_lt_u32_e32 vcc_lo, 0x3bffffff, v3
                                        ; implicit-def: $vgpr3
	s_and_saveexec_b32 s9, vcc_lo
	s_delay_alu instid0(SALU_CYCLE_1)
	s_xor_b32 s9, exec_lo, s9
	s_cbranch_execz .LBB15_1178
; %bb.1016:
	v_bfe_u32 v3, v2, 20, 1
	s_mov_b32 s8, exec_lo
	s_delay_alu instid0(VALU_DEP_1) | instskip(NEXT) | instid1(VALU_DEP_1)
	v_add3_u32 v3, v2, v3, 0x487ffff
	v_lshrrev_b32_e32 v3, 20, v3
	s_and_not1_saveexec_b32 s9, s9
	s_cbranch_execnz .LBB15_1179
.LBB15_1017:
	s_or_b32 exec_lo, exec_lo, s9
	v_mov_b32_e32 v4, 0
	s_and_saveexec_b32 s9, s8
.LBB15_1018:
	v_lshrrev_b32_e32 v4, 24, v2
	s_delay_alu instid0(VALU_DEP_1)
	v_and_or_b32 v4, 0x80, v4, v3
.LBB15_1019:
	s_or_b32 exec_lo, exec_lo, s9
.LBB15_1020:
	s_delay_alu instid0(SALU_CYCLE_1)
	s_or_b32 exec_lo, exec_lo, s5
	global_store_b8 v[0:1], v4, off
.LBB15_1021:
	s_mov_b32 s5, 0
.LBB15_1022:
	s_delay_alu instid0(SALU_CYCLE_1)
	s_and_b32 vcc_lo, exec_lo, s5
	s_mov_b32 s5, 0
	s_cbranch_vccz .LBB15_1062
; %bb.1023:
	s_cmp_gt_i32 s4, 22
	s_mov_b32 s8, -1
	s_cbranch_scc0 .LBB15_1055
; %bb.1024:
	s_cmp_lt_i32 s4, 24
	s_cbranch_scc1 .LBB15_1044
; %bb.1025:
	s_cmp_gt_i32 s4, 24
	s_cbranch_scc0 .LBB15_1033
; %bb.1026:
	s_wait_xcnt 0x0
	v_and_b32_e32 v3, 0x7fffffff, v2
	v_mov_b32_e32 v4, 0x80
	s_mov_b32 s8, exec_lo
	s_delay_alu instid0(VALU_DEP_2)
	v_cmpx_gt_u32_e32 0x47800000, v3
	s_cbranch_execz .LBB15_1032
; %bb.1027:
	v_cmp_lt_u32_e32 vcc_lo, 0x37ffffff, v3
	s_mov_b32 s9, 0
                                        ; implicit-def: $vgpr3
	s_and_saveexec_b32 s10, vcc_lo
	s_delay_alu instid0(SALU_CYCLE_1)
	s_xor_b32 s10, exec_lo, s10
	s_cbranch_execz .LBB15_1306
; %bb.1028:
	v_bfe_u32 v3, v2, 21, 1
	s_mov_b32 s9, exec_lo
	s_delay_alu instid0(VALU_DEP_1) | instskip(NEXT) | instid1(VALU_DEP_1)
	v_add3_u32 v3, v2, v3, 0x88fffff
	v_lshrrev_b32_e32 v3, 21, v3
	s_and_not1_saveexec_b32 s10, s10
	s_cbranch_execnz .LBB15_1307
.LBB15_1029:
	s_or_b32 exec_lo, exec_lo, s10
	v_mov_b32_e32 v4, 0
	s_and_saveexec_b32 s10, s9
.LBB15_1030:
	v_lshrrev_b32_e32 v4, 24, v2
	s_delay_alu instid0(VALU_DEP_1)
	v_and_or_b32 v4, 0x80, v4, v3
.LBB15_1031:
	s_or_b32 exec_lo, exec_lo, s10
.LBB15_1032:
	s_delay_alu instid0(SALU_CYCLE_1)
	s_or_b32 exec_lo, exec_lo, s8
	s_mov_b32 s8, 0
	global_store_b8 v[0:1], v4, off
.LBB15_1033:
	s_and_b32 vcc_lo, exec_lo, s8
	s_cbranch_vccz .LBB15_1043
; %bb.1034:
	s_wait_xcnt 0x0
	v_and_b32_e32 v4, 0x7fffffff, v2
	s_mov_b32 s8, exec_lo
                                        ; implicit-def: $vgpr3
	s_delay_alu instid0(VALU_DEP_1)
	v_cmpx_gt_u32_e32 0x43f00000, v4
	s_xor_b32 s8, exec_lo, s8
	s_cbranch_execz .LBB15_1040
; %bb.1035:
	s_mov_b32 s9, exec_lo
                                        ; implicit-def: $vgpr3
	v_cmpx_lt_u32_e32 0x3c7fffff, v4
	s_xor_b32 s9, exec_lo, s9
; %bb.1036:
	v_bfe_u32 v3, v2, 20, 1
	s_delay_alu instid0(VALU_DEP_1) | instskip(NEXT) | instid1(VALU_DEP_1)
	v_add3_u32 v3, v2, v3, 0x407ffff
	v_and_b32_e32 v4, 0xff00000, v3
	v_lshrrev_b32_e32 v3, 20, v3
	s_delay_alu instid0(VALU_DEP_2) | instskip(NEXT) | instid1(VALU_DEP_2)
	v_cmp_ne_u32_e32 vcc_lo, 0x7f00000, v4
	v_cndmask_b32_e32 v3, 0x7e, v3, vcc_lo
; %bb.1037:
	s_and_not1_saveexec_b32 s9, s9
; %bb.1038:
	v_add_f32_e64 v3, 0x46800000, |v2|
; %bb.1039:
	s_or_b32 exec_lo, exec_lo, s9
                                        ; implicit-def: $vgpr4
.LBB15_1040:
	s_and_not1_saveexec_b32 s8, s8
; %bb.1041:
	v_mov_b32_e32 v3, 0x7f
	v_cmp_lt_u32_e32 vcc_lo, 0x7f800000, v4
	s_delay_alu instid0(VALU_DEP_2)
	v_cndmask_b32_e32 v3, 0x7e, v3, vcc_lo
; %bb.1042:
	s_or_b32 exec_lo, exec_lo, s8
	v_lshrrev_b32_e32 v4, 24, v2
	s_delay_alu instid0(VALU_DEP_1)
	v_and_or_b32 v3, 0x80, v4, v3
	global_store_b8 v[0:1], v3, off
.LBB15_1043:
	s_mov_b32 s8, 0
.LBB15_1044:
	s_delay_alu instid0(SALU_CYCLE_1)
	s_and_not1_b32 vcc_lo, exec_lo, s8
	s_cbranch_vccnz .LBB15_1054
; %bb.1045:
	s_wait_xcnt 0x0
	v_and_b32_e32 v4, 0x7fffffff, v2
	s_mov_b32 s8, exec_lo
                                        ; implicit-def: $vgpr3
	s_delay_alu instid0(VALU_DEP_1)
	v_cmpx_gt_u32_e32 0x47800000, v4
	s_xor_b32 s8, exec_lo, s8
	s_cbranch_execz .LBB15_1051
; %bb.1046:
	s_mov_b32 s9, exec_lo
                                        ; implicit-def: $vgpr3
	v_cmpx_lt_u32_e32 0x387fffff, v4
	s_xor_b32 s9, exec_lo, s9
; %bb.1047:
	v_bfe_u32 v3, v2, 21, 1
	s_delay_alu instid0(VALU_DEP_1) | instskip(NEXT) | instid1(VALU_DEP_1)
	v_add3_u32 v3, v2, v3, 0x80fffff
	v_lshrrev_b32_e32 v3, 21, v3
; %bb.1048:
	s_and_not1_saveexec_b32 s9, s9
; %bb.1049:
	v_add_f32_e64 v3, 0x43000000, |v2|
; %bb.1050:
	s_or_b32 exec_lo, exec_lo, s9
                                        ; implicit-def: $vgpr4
.LBB15_1051:
	s_and_not1_saveexec_b32 s8, s8
; %bb.1052:
	v_mov_b32_e32 v3, 0x7f
	v_cmp_lt_u32_e32 vcc_lo, 0x7f800000, v4
	s_delay_alu instid0(VALU_DEP_2)
	v_cndmask_b32_e32 v3, 0x7c, v3, vcc_lo
; %bb.1053:
	s_or_b32 exec_lo, exec_lo, s8
	v_lshrrev_b32_e32 v4, 24, v2
	s_delay_alu instid0(VALU_DEP_1)
	v_and_or_b32 v3, 0x80, v4, v3
	global_store_b8 v[0:1], v3, off
.LBB15_1054:
	s_mov_b32 s8, 0
.LBB15_1055:
	s_delay_alu instid0(SALU_CYCLE_1)
	s_and_not1_b32 vcc_lo, exec_lo, s8
	s_mov_b32 s9, 0
	s_cbranch_vccnz .LBB15_1063
; %bb.1056:
	s_cmp_gt_i32 s4, 14
	s_mov_b32 s8, -1
	s_cbranch_scc0 .LBB15_1060
; %bb.1057:
	s_cmp_eq_u32 s4, 15
	s_mov_b32 s0, -1
	s_cbranch_scc0 .LBB15_1059
; %bb.1058:
	s_wait_xcnt 0x0
	v_bfe_u32 v3, v2, 16, 1
	v_cmp_o_f32_e32 vcc_lo, v2, v2
	s_mov_b32 s0, 0
	s_delay_alu instid0(VALU_DEP_2) | instskip(NEXT) | instid1(VALU_DEP_1)
	v_add3_u32 v3, v2, v3, 0x7fff
	v_lshrrev_b32_e32 v3, 16, v3
	s_delay_alu instid0(VALU_DEP_1)
	v_cndmask_b32_e32 v3, 0x7fc0, v3, vcc_lo
	global_store_b16 v[0:1], v3, off
.LBB15_1059:
	s_mov_b32 s8, 0
.LBB15_1060:
	s_delay_alu instid0(SALU_CYCLE_1)
	s_and_b32 vcc_lo, exec_lo, s8
	s_cbranch_vccz .LBB15_1063
; %bb.1061:
	s_cmp_lg_u32 s4, 11
	s_mov_b32 s9, -1
	s_cselect_b32 s4, -1, 0
	s_and_not1_b32 s0, s0, exec_lo
	s_and_b32 s4, s4, exec_lo
	s_delay_alu instid0(SALU_CYCLE_1)
	s_or_b32 s0, s0, s4
	s_branch .LBB15_1063
.LBB15_1062:
	s_mov_b32 s9, 0
.LBB15_1063:
	s_and_not1_b32 s4, s41, exec_lo
	s_and_b32 s0, s0, exec_lo
	s_and_b32 s8, s5, exec_lo
	;; [unrolled: 1-line block ×3, first 2 shown]
	s_or_b32 s41, s4, s0
	s_wait_xcnt 0x0
	s_or_b32 exec_lo, exec_lo, s7
	s_and_saveexec_b32 s0, s41
	s_cbranch_execz .LBB15_992
.LBB15_1064:
	s_or_b32 s1, s1, exec_lo
	s_and_not1_b32 s9, s9, exec_lo
	s_trap 2
	s_or_b32 exec_lo, exec_lo, s0
	s_and_saveexec_b32 s0, s9
	s_delay_alu instid0(SALU_CYCLE_1)
	s_xor_b32 s0, exec_lo, s0
	s_cbranch_execnz .LBB15_993
.LBB15_1065:
	s_or_b32 exec_lo, exec_lo, s0
	s_and_saveexec_b32 s0, s8
	s_delay_alu instid0(SALU_CYCLE_1)
	s_xor_b32 s0, exec_lo, s0
	s_cbranch_execz .LBB15_1103
.LBB15_1066:
	s_sext_i32_i16 s5, s6
	s_mov_b32 s4, -1
	s_cmp_lt_i32 s5, 5
	s_cbranch_scc1 .LBB15_1087
; %bb.1067:
	s_cmp_lt_i32 s5, 8
	s_cbranch_scc1 .LBB15_1077
; %bb.1068:
	;; [unrolled: 3-line block ×3, first 2 shown]
	s_cmp_gt_i32 s5, 9
	s_cbranch_scc0 .LBB15_1071
; %bb.1070:
	s_wait_loadcnt 0x0
	v_cvt_f64_f32_e32 v[4:5], v2
	v_mov_b32_e32 v6, 0
	s_mov_b32 s4, 0
	s_delay_alu instid0(VALU_DEP_1)
	v_mov_b32_e32 v7, v6
	global_store_b128 v[0:1], v[4:7], off
.LBB15_1071:
	s_and_not1_b32 vcc_lo, exec_lo, s4
	s_cbranch_vccnz .LBB15_1073
; %bb.1072:
	v_mov_b32_e32 v3, 0
	s_wait_loadcnt 0x0
	global_store_b64 v[0:1], v[2:3], off
.LBB15_1073:
	s_mov_b32 s4, 0
.LBB15_1074:
	s_delay_alu instid0(SALU_CYCLE_1)
	s_and_not1_b32 vcc_lo, exec_lo, s4
	s_cbranch_vccnz .LBB15_1076
; %bb.1075:
	s_wait_loadcnt 0x0
	v_cvt_f16_f32_e32 v3, v2
	s_delay_alu instid0(VALU_DEP_1)
	v_and_b32_e32 v3, 0xffff, v3
	global_store_b32 v[0:1], v3, off
.LBB15_1076:
	s_mov_b32 s4, 0
.LBB15_1077:
	s_delay_alu instid0(SALU_CYCLE_1)
	s_and_not1_b32 vcc_lo, exec_lo, s4
	s_cbranch_vccnz .LBB15_1086
; %bb.1078:
	s_sext_i32_i16 s5, s6
	s_mov_b32 s4, -1
	s_cmp_lt_i32 s5, 6
	s_cbranch_scc1 .LBB15_1084
; %bb.1079:
	s_cmp_gt_i32 s5, 6
	s_cbranch_scc0 .LBB15_1081
; %bb.1080:
	s_wait_loadcnt 0x0
	v_cvt_f64_f32_e32 v[4:5], v2
	s_mov_b32 s4, 0
	global_store_b64 v[0:1], v[4:5], off
.LBB15_1081:
	s_and_not1_b32 vcc_lo, exec_lo, s4
	s_cbranch_vccnz .LBB15_1083
; %bb.1082:
	s_wait_loadcnt 0x0
	global_store_b32 v[0:1], v2, off
.LBB15_1083:
	s_mov_b32 s4, 0
.LBB15_1084:
	s_delay_alu instid0(SALU_CYCLE_1)
	s_and_not1_b32 vcc_lo, exec_lo, s4
	s_cbranch_vccnz .LBB15_1086
; %bb.1085:
	s_wait_loadcnt 0x0
	v_cvt_f16_f32_e32 v3, v2
	global_store_b16 v[0:1], v3, off
.LBB15_1086:
	s_mov_b32 s4, 0
.LBB15_1087:
	s_delay_alu instid0(SALU_CYCLE_1)
	s_and_not1_b32 vcc_lo, exec_lo, s4
	s_cbranch_vccnz .LBB15_1103
; %bb.1088:
	s_sext_i32_i16 s5, s6
	s_mov_b32 s4, -1
	s_cmp_lt_i32 s5, 2
	s_cbranch_scc1 .LBB15_1098
; %bb.1089:
	s_cmp_lt_i32 s5, 3
	s_cbranch_scc1 .LBB15_1095
; %bb.1090:
	s_cmp_gt_i32 s5, 3
	s_cbranch_scc0 .LBB15_1092
; %bb.1091:
	s_wait_loadcnt 0x0
	v_trunc_f32_e32 v3, v2
	s_mov_b32 s4, 0
	s_delay_alu instid0(VALU_DEP_1) | instskip(NEXT) | instid1(VALU_DEP_1)
	v_mul_f32_e64 v4, 0x2f800000, |v3|
	v_floor_f32_e32 v5, v4
	v_ashrrev_i32_e32 v4, 31, v3
	s_delay_alu instid0(VALU_DEP_2) | instskip(SKIP_1) | instid1(VALU_DEP_3)
	v_fma_f32 v6, 0xcf800000, v5, |v3|
	v_cvt_u32_f32_e32 v3, v5
	v_mov_b32_e32 v5, v4
	s_delay_alu instid0(VALU_DEP_3) | instskip(NEXT) | instid1(VALU_DEP_3)
	v_cvt_u32_f32_e32 v6, v6
	v_xor_b32_e32 v7, v3, v4
	s_delay_alu instid0(VALU_DEP_2) | instskip(NEXT) | instid1(VALU_DEP_1)
	v_xor_b32_e32 v6, v6, v4
	v_sub_nc_u64_e32 v[4:5], v[6:7], v[4:5]
	global_store_b64 v[0:1], v[4:5], off
.LBB15_1092:
	s_and_not1_b32 vcc_lo, exec_lo, s4
	s_cbranch_vccnz .LBB15_1094
; %bb.1093:
	s_wait_loadcnt 0x0
	v_cvt_i32_f32_e32 v3, v2
	global_store_b32 v[0:1], v3, off
.LBB15_1094:
	s_mov_b32 s4, 0
.LBB15_1095:
	s_delay_alu instid0(SALU_CYCLE_1)
	s_and_not1_b32 vcc_lo, exec_lo, s4
	s_cbranch_vccnz .LBB15_1097
; %bb.1096:
	s_wait_loadcnt 0x0
	v_cvt_i32_f32_e32 v3, v2
	global_store_b16 v[0:1], v3, off
.LBB15_1097:
	s_mov_b32 s4, 0
.LBB15_1098:
	s_delay_alu instid0(SALU_CYCLE_1)
	s_and_not1_b32 vcc_lo, exec_lo, s4
	s_cbranch_vccnz .LBB15_1103
; %bb.1099:
	s_sext_i32_i16 s4, s6
	s_delay_alu instid0(SALU_CYCLE_1)
	s_cmp_gt_i32 s4, 0
	s_mov_b32 s4, -1
	s_cbranch_scc0 .LBB15_1101
; %bb.1100:
	s_wait_loadcnt 0x0
	v_cvt_i32_f32_e32 v3, v2
	s_mov_b32 s4, 0
	global_store_b8 v[0:1], v3, off
.LBB15_1101:
	s_and_not1_b32 vcc_lo, exec_lo, s4
	s_cbranch_vccnz .LBB15_1103
; %bb.1102:
	s_wait_loadcnt 0x0
	v_trunc_f32_e32 v2, v2
	s_delay_alu instid0(VALU_DEP_1) | instskip(NEXT) | instid1(VALU_DEP_1)
	v_mul_f32_e64 v3, 0x2f800000, |v2|
	v_floor_f32_e32 v3, v3
	s_delay_alu instid0(VALU_DEP_1) | instskip(SKIP_1) | instid1(VALU_DEP_2)
	v_fma_f32 v3, 0xcf800000, v3, |v2|
	v_ashrrev_i32_e32 v2, 31, v2
	v_cvt_u32_f32_e32 v3, v3
	s_delay_alu instid0(VALU_DEP_1) | instskip(NEXT) | instid1(VALU_DEP_1)
	v_xor_b32_e32 v3, v3, v2
	v_sub_nc_u32_e32 v2, v3, v2
	global_store_b8 v[0:1], v2, off
.LBB15_1103:
	s_wait_xcnt 0x0
	s_or_b32 exec_lo, exec_lo, s0
	s_delay_alu instid0(SALU_CYCLE_1)
	s_and_b32 s8, s1, exec_lo
                                        ; implicit-def: $vgpr9
                                        ; implicit-def: $vgpr0
.LBB15_1104:
	s_or_saveexec_b32 s9, s36
	s_mov_b32 s0, 0
                                        ; implicit-def: $vgpr2_vgpr3
                                        ; implicit-def: $sgpr1
                                        ; implicit-def: $vgpr14
	s_xor_b32 exec_lo, exec_lo, s9
	s_cbranch_execz .LBB15_1769
; %bb.1105:
	v_cndmask_b32_e64 v1, 0, 1, s35
	s_and_not1_b32 vcc_lo, exec_lo, s35
	s_cbranch_vccnz .LBB15_1111
; %bb.1106:
	s_cmp_lg_u32 s19, 0
	s_mov_b32 s10, 0
	s_cbranch_scc0 .LBB15_1112
; %bb.1107:
	s_min_u32 s1, s33, 15
	s_delay_alu instid0(SALU_CYCLE_1)
	s_add_co_i32 s1, s1, 1
	s_cmp_eq_u32 s33, 2
	s_cbranch_scc1 .LBB15_1113
; %bb.1108:
	v_dual_mov_b32 v6, 0 :: v_dual_mov_b32 v8, 0
	s_wait_loadcnt 0x0
	v_mov_b32_e32 v2, v0
	s_and_b32 s0, s1, 28
	s_add_nc_u64 s[4:5], s[2:3], 0xc4
	s_mov_b32 s11, 0
	s_mov_b64 s[6:7], s[2:3]
.LBB15_1109:                            ; =>This Inner Loop Header: Depth=1
	s_clause 0x1
	s_load_b256 s[20:27], s[6:7], 0x4
	s_load_b128 s[12:15], s[6:7], 0x24
	s_load_b256 s[36:43], s[4:5], 0x0
	s_add_co_i32 s11, s11, 4
	s_wait_xcnt 0x0
	s_add_nc_u64 s[6:7], s[6:7], 48
	s_cmp_lg_u32 s0, s11
	s_add_nc_u64 s[4:5], s[4:5], 32
	s_wait_kmcnt 0x0
	v_mul_hi_u32 v3, s21, v2
	s_delay_alu instid0(VALU_DEP_1) | instskip(NEXT) | instid1(VALU_DEP_1)
	v_add_nc_u32_e32 v3, v2, v3
	v_lshrrev_b32_e32 v3, s22, v3
	s_delay_alu instid0(VALU_DEP_1) | instskip(NEXT) | instid1(VALU_DEP_1)
	v_mul_hi_u32 v4, s24, v3
	v_add_nc_u32_e32 v4, v3, v4
	s_delay_alu instid0(VALU_DEP_1) | instskip(NEXT) | instid1(VALU_DEP_1)
	v_lshrrev_b32_e32 v4, s25, v4
	v_mul_hi_u32 v5, s27, v4
	s_delay_alu instid0(VALU_DEP_1) | instskip(SKIP_1) | instid1(VALU_DEP_1)
	v_add_nc_u32_e32 v5, v4, v5
	v_mul_lo_u32 v7, v3, s20
	v_sub_nc_u32_e32 v2, v2, v7
	v_mul_lo_u32 v7, v4, s23
	s_delay_alu instid0(VALU_DEP_4) | instskip(NEXT) | instid1(VALU_DEP_3)
	v_lshrrev_b32_e32 v5, s12, v5
	v_mad_u32 v8, v2, s37, v8
	v_mad_u32 v2, v2, s36, v6
	s_delay_alu instid0(VALU_DEP_4) | instskip(NEXT) | instid1(VALU_DEP_4)
	v_sub_nc_u32_e32 v3, v3, v7
	v_mul_hi_u32 v10, s14, v5
	v_mul_lo_u32 v6, v5, s26
	s_delay_alu instid0(VALU_DEP_3) | instskip(SKIP_1) | instid1(VALU_DEP_4)
	v_mad_u32 v8, v3, s39, v8
	v_mad_u32 v3, v3, s38, v2
	v_add_nc_u32_e32 v7, v5, v10
	s_delay_alu instid0(VALU_DEP_1) | instskip(NEXT) | instid1(VALU_DEP_1)
	v_dual_sub_nc_u32 v4, v4, v6 :: v_dual_lshrrev_b32 v2, s15, v7
	v_mad_u32 v7, v4, s41, v8
	s_delay_alu instid0(VALU_DEP_4) | instskip(NEXT) | instid1(VALU_DEP_3)
	v_mad_u32 v3, v4, s40, v3
	v_mul_lo_u32 v6, v2, s13
	s_delay_alu instid0(VALU_DEP_1) | instskip(NEXT) | instid1(VALU_DEP_1)
	v_sub_nc_u32_e32 v4, v5, v6
	v_mad_u32 v8, v4, s43, v7
	s_delay_alu instid0(VALU_DEP_4)
	v_mad_u32 v6, v4, s42, v3
	s_cbranch_scc1 .LBB15_1109
; %bb.1110:
	s_delay_alu instid0(VALU_DEP_2)
	v_mov_b32_e32 v7, v8
	s_and_b32 s6, s1, 3
	s_mov_b32 s1, 0
	s_cmp_eq_u32 s6, 0
	s_cbranch_scc0 .LBB15_1114
	s_branch .LBB15_1117
.LBB15_1111:
	s_mov_b32 s10, -1
                                        ; implicit-def: $vgpr8
                                        ; implicit-def: $vgpr6
	s_branch .LBB15_1117
.LBB15_1112:
	v_dual_mov_b32 v8, 0 :: v_dual_mov_b32 v6, 0
	s_branch .LBB15_1117
.LBB15_1113:
	v_mov_b64_e32 v[6:7], 0
	s_wait_loadcnt 0x0
	v_mov_b32_e32 v2, v0
                                        ; implicit-def: $vgpr8
	s_and_b32 s6, s1, 3
	s_mov_b32 s1, 0
	s_cmp_eq_u32 s6, 0
	s_cbranch_scc1 .LBB15_1117
.LBB15_1114:
	s_lshl_b32 s4, s0, 3
	s_mov_b32 s5, s1
	s_mul_u64 s[12:13], s[0:1], 12
	s_add_nc_u64 s[4:5], s[2:3], s[4:5]
	s_delay_alu instid0(SALU_CYCLE_1)
	s_add_nc_u64 s[0:1], s[4:5], 0xc4
	s_add_nc_u64 s[4:5], s[2:3], s[12:13]
.LBB15_1115:                            ; =>This Inner Loop Header: Depth=1
	s_load_b96 s[12:14], s[4:5], 0x4
	s_add_co_i32 s6, s6, -1
	s_wait_xcnt 0x0
	s_add_nc_u64 s[4:5], s[4:5], 12
	s_cmp_lg_u32 s6, 0
	s_wait_kmcnt 0x0
	v_mul_hi_u32 v3, s13, v2
	s_delay_alu instid0(VALU_DEP_1) | instskip(NEXT) | instid1(VALU_DEP_1)
	v_add_nc_u32_e32 v3, v2, v3
	v_lshrrev_b32_e32 v3, s14, v3
	s_load_b64 s[14:15], s[0:1], 0x0
	s_wait_xcnt 0x0
	s_add_nc_u64 s[0:1], s[0:1], 8
	s_delay_alu instid0(VALU_DEP_1) | instskip(NEXT) | instid1(VALU_DEP_1)
	v_mul_lo_u32 v4, v3, s12
	v_sub_nc_u32_e32 v2, v2, v4
	s_wait_kmcnt 0x0
	s_delay_alu instid0(VALU_DEP_1)
	v_mad_u32 v7, v2, s15, v7
	v_mad_u32 v6, v2, s14, v6
	v_mov_b32_e32 v2, v3
	s_cbranch_scc1 .LBB15_1115
; %bb.1116:
	s_delay_alu instid0(VALU_DEP_3)
	v_mov_b32_e32 v8, v7
.LBB15_1117:
	s_and_not1_b32 vcc_lo, exec_lo, s10
	s_cbranch_vccnz .LBB15_1120
; %bb.1118:
	s_clause 0x1
	s_load_b96 s[4:6], s[2:3], 0x4
	s_load_b64 s[0:1], s[2:3], 0xc4
	s_cmp_lt_u32 s19, 2
	s_wait_loadcnt 0x0
	s_wait_kmcnt 0x0
	v_mul_hi_u32 v2, s5, v0
	s_delay_alu instid0(VALU_DEP_1) | instskip(NEXT) | instid1(VALU_DEP_1)
	v_add_nc_u32_e32 v2, v0, v2
	v_lshrrev_b32_e32 v2, s6, v2
	s_delay_alu instid0(VALU_DEP_1) | instskip(NEXT) | instid1(VALU_DEP_1)
	v_mul_lo_u32 v3, v2, s4
	v_sub_nc_u32_e32 v3, v0, v3
	s_delay_alu instid0(VALU_DEP_1)
	v_mul_lo_u32 v8, v3, s1
	v_mul_lo_u32 v6, v3, s0
	s_cbranch_scc1 .LBB15_1120
; %bb.1119:
	s_clause 0x1
	s_load_b96 s[4:6], s[2:3], 0x10
	s_load_b64 s[0:1], s[2:3], 0xcc
	s_wait_kmcnt 0x0
	v_mul_hi_u32 v3, s5, v2
	s_delay_alu instid0(VALU_DEP_1) | instskip(NEXT) | instid1(VALU_DEP_1)
	v_add_nc_u32_e32 v3, v2, v3
	v_lshrrev_b32_e32 v3, s6, v3
	s_delay_alu instid0(VALU_DEP_1) | instskip(NEXT) | instid1(VALU_DEP_1)
	v_mul_lo_u32 v3, v3, s4
	v_sub_nc_u32_e32 v2, v2, v3
	s_delay_alu instid0(VALU_DEP_1)
	v_mad_u32 v6, v2, s0, v6
	v_mad_u32 v8, v2, s1, v8
.LBB15_1120:
	v_cmp_ne_u32_e32 vcc_lo, 1, v1
	s_wait_loadcnt 0x0
	v_add_nc_u32_e32 v2, 0x80, v0
	s_cbranch_vccnz .LBB15_1126
; %bb.1121:
	s_cmp_lg_u32 s19, 0
	s_mov_b32 s10, 0
	s_cbranch_scc0 .LBB15_1127
; %bb.1122:
	s_min_u32 s1, s33, 15
	s_delay_alu instid0(SALU_CYCLE_1)
	s_add_co_i32 s1, s1, 1
	s_cmp_eq_u32 s33, 2
	s_cbranch_scc1 .LBB15_1128
; %bb.1123:
	v_dual_mov_b32 v4, 0 :: v_dual_mov_b32 v10, 0
	v_mov_b32_e32 v3, v2
	s_and_b32 s0, s1, 28
	s_add_nc_u64 s[4:5], s[2:3], 0xc4
	s_mov_b32 s11, 0
	s_mov_b64 s[6:7], s[2:3]
.LBB15_1124:                            ; =>This Inner Loop Header: Depth=1
	s_clause 0x1
	s_load_b256 s[20:27], s[6:7], 0x4
	s_load_b128 s[12:15], s[6:7], 0x24
	s_load_b256 s[36:43], s[4:5], 0x0
	s_add_co_i32 s11, s11, 4
	s_wait_xcnt 0x0
	s_add_nc_u64 s[6:7], s[6:7], 48
	s_cmp_lg_u32 s0, s11
	s_add_nc_u64 s[4:5], s[4:5], 32
	s_wait_kmcnt 0x0
	v_mul_hi_u32 v5, s21, v3
	s_delay_alu instid0(VALU_DEP_1) | instskip(NEXT) | instid1(VALU_DEP_1)
	v_add_nc_u32_e32 v5, v3, v5
	v_lshrrev_b32_e32 v5, s22, v5
	s_delay_alu instid0(VALU_DEP_1) | instskip(NEXT) | instid1(VALU_DEP_1)
	v_mul_hi_u32 v7, s24, v5
	v_add_nc_u32_e32 v7, v5, v7
	s_delay_alu instid0(VALU_DEP_1) | instskip(NEXT) | instid1(VALU_DEP_1)
	v_lshrrev_b32_e32 v7, s25, v7
	v_mul_hi_u32 v11, s27, v7
	s_delay_alu instid0(VALU_DEP_1) | instskip(SKIP_1) | instid1(VALU_DEP_1)
	v_add_nc_u32_e32 v11, v7, v11
	v_mul_lo_u32 v12, v5, s20
	v_sub_nc_u32_e32 v3, v3, v12
	v_mul_lo_u32 v12, v7, s23
	s_delay_alu instid0(VALU_DEP_4) | instskip(NEXT) | instid1(VALU_DEP_3)
	v_lshrrev_b32_e32 v11, s12, v11
	v_mad_u32 v10, v3, s37, v10
	v_mad_u32 v3, v3, s36, v4
	s_delay_alu instid0(VALU_DEP_4) | instskip(NEXT) | instid1(VALU_DEP_4)
	v_sub_nc_u32_e32 v4, v5, v12
	v_mul_hi_u32 v13, s14, v11
	v_mul_lo_u32 v5, v11, s26
	s_delay_alu instid0(VALU_DEP_3) | instskip(SKIP_1) | instid1(VALU_DEP_4)
	v_mad_u32 v10, v4, s39, v10
	v_mad_u32 v4, v4, s38, v3
	v_add_nc_u32_e32 v12, v11, v13
	s_delay_alu instid0(VALU_DEP_1) | instskip(NEXT) | instid1(VALU_DEP_1)
	v_dual_sub_nc_u32 v5, v7, v5 :: v_dual_lshrrev_b32 v3, s15, v12
	v_mad_u32 v10, v5, s41, v10
	s_delay_alu instid0(VALU_DEP_4) | instskip(NEXT) | instid1(VALU_DEP_3)
	v_mad_u32 v4, v5, s40, v4
	v_mul_lo_u32 v7, v3, s13
	s_delay_alu instid0(VALU_DEP_1) | instskip(NEXT) | instid1(VALU_DEP_1)
	v_sub_nc_u32_e32 v5, v11, v7
	v_mad_u32 v10, v5, s43, v10
	s_delay_alu instid0(VALU_DEP_4)
	v_mad_u32 v4, v5, s42, v4
	s_cbranch_scc1 .LBB15_1124
; %bb.1125:
	s_delay_alu instid0(VALU_DEP_2)
	v_mov_b32_e32 v5, v10
	s_and_b32 s6, s1, 3
	s_mov_b32 s1, 0
	s_cmp_eq_u32 s6, 0
	s_cbranch_scc0 .LBB15_1129
	s_branch .LBB15_1132
.LBB15_1126:
	s_mov_b32 s10, -1
                                        ; implicit-def: $vgpr10
                                        ; implicit-def: $vgpr4
	s_branch .LBB15_1132
.LBB15_1127:
	v_dual_mov_b32 v10, 0 :: v_dual_mov_b32 v4, 0
	s_branch .LBB15_1132
.LBB15_1128:
	v_mov_b64_e32 v[4:5], 0
	v_mov_b32_e32 v3, v2
	s_mov_b32 s0, 0
                                        ; implicit-def: $vgpr10
	s_and_b32 s6, s1, 3
	s_mov_b32 s1, 0
	s_cmp_eq_u32 s6, 0
	s_cbranch_scc1 .LBB15_1132
.LBB15_1129:
	s_lshl_b32 s4, s0, 3
	s_mov_b32 s5, s1
	s_mul_u64 s[12:13], s[0:1], 12
	s_add_nc_u64 s[4:5], s[2:3], s[4:5]
	s_delay_alu instid0(SALU_CYCLE_1)
	s_add_nc_u64 s[0:1], s[4:5], 0xc4
	s_add_nc_u64 s[4:5], s[2:3], s[12:13]
.LBB15_1130:                            ; =>This Inner Loop Header: Depth=1
	s_load_b96 s[12:14], s[4:5], 0x4
	s_add_co_i32 s6, s6, -1
	s_wait_xcnt 0x0
	s_add_nc_u64 s[4:5], s[4:5], 12
	s_cmp_lg_u32 s6, 0
	s_wait_kmcnt 0x0
	v_mul_hi_u32 v7, s13, v3
	s_delay_alu instid0(VALU_DEP_1) | instskip(NEXT) | instid1(VALU_DEP_1)
	v_add_nc_u32_e32 v7, v3, v7
	v_lshrrev_b32_e32 v7, s14, v7
	s_load_b64 s[14:15], s[0:1], 0x0
	s_wait_xcnt 0x0
	s_add_nc_u64 s[0:1], s[0:1], 8
	s_delay_alu instid0(VALU_DEP_1) | instskip(NEXT) | instid1(VALU_DEP_1)
	v_mul_lo_u32 v10, v7, s12
	v_sub_nc_u32_e32 v3, v3, v10
	s_wait_kmcnt 0x0
	s_delay_alu instid0(VALU_DEP_1)
	v_mad_u32 v5, v3, s15, v5
	v_mad_u32 v4, v3, s14, v4
	v_mov_b32_e32 v3, v7
	s_cbranch_scc1 .LBB15_1130
; %bb.1131:
	s_delay_alu instid0(VALU_DEP_3)
	v_mov_b32_e32 v10, v5
.LBB15_1132:
	s_and_not1_b32 vcc_lo, exec_lo, s10
	s_cbranch_vccnz .LBB15_1135
; %bb.1133:
	s_clause 0x1
	s_load_b96 s[4:6], s[2:3], 0x4
	s_load_b64 s[0:1], s[2:3], 0xc4
	s_cmp_lt_u32 s19, 2
	s_wait_kmcnt 0x0
	v_mul_hi_u32 v3, s5, v2
	s_delay_alu instid0(VALU_DEP_1) | instskip(NEXT) | instid1(VALU_DEP_1)
	v_add_nc_u32_e32 v3, v2, v3
	v_lshrrev_b32_e32 v3, s6, v3
	s_delay_alu instid0(VALU_DEP_1) | instskip(NEXT) | instid1(VALU_DEP_1)
	v_mul_lo_u32 v4, v3, s4
	v_sub_nc_u32_e32 v2, v2, v4
	s_delay_alu instid0(VALU_DEP_1)
	v_mul_lo_u32 v10, v2, s1
	v_mul_lo_u32 v4, v2, s0
	s_cbranch_scc1 .LBB15_1135
; %bb.1134:
	s_clause 0x1
	s_load_b96 s[4:6], s[2:3], 0x10
	s_load_b64 s[0:1], s[2:3], 0xcc
	s_wait_kmcnt 0x0
	v_mul_hi_u32 v2, s5, v3
	s_delay_alu instid0(VALU_DEP_1) | instskip(NEXT) | instid1(VALU_DEP_1)
	v_add_nc_u32_e32 v2, v3, v2
	v_lshrrev_b32_e32 v2, s6, v2
	s_delay_alu instid0(VALU_DEP_1) | instskip(NEXT) | instid1(VALU_DEP_1)
	v_mul_lo_u32 v2, v2, s4
	v_sub_nc_u32_e32 v2, v3, v2
	s_delay_alu instid0(VALU_DEP_1)
	v_mad_u32 v4, v2, s0, v4
	v_mad_u32 v10, v2, s1, v10
.LBB15_1135:
	v_cmp_ne_u32_e32 vcc_lo, 1, v1
	v_add_nc_u32_e32 v0, 0x100, v0
	s_cbranch_vccnz .LBB15_1141
; %bb.1136:
	s_cmp_lg_u32 s19, 0
	s_mov_b32 s10, 0
	s_cbranch_scc0 .LBB15_1142
; %bb.1137:
	s_min_u32 s1, s33, 15
	s_delay_alu instid0(SALU_CYCLE_1)
	s_add_co_i32 s1, s1, 1
	s_cmp_eq_u32 s33, 2
	s_cbranch_scc1 .LBB15_1143
; %bb.1138:
	v_dual_mov_b32 v2, 0 :: v_dual_mov_b32 v12, 0
	v_mov_b32_e32 v5, v0
	s_and_b32 s0, s1, 28
	s_add_nc_u64 s[4:5], s[2:3], 0xc4
	s_mov_b32 s11, 0
	s_mov_b64 s[6:7], s[2:3]
.LBB15_1139:                            ; =>This Inner Loop Header: Depth=1
	s_clause 0x1
	s_load_b256 s[20:27], s[6:7], 0x4
	s_load_b128 s[12:15], s[6:7], 0x24
	s_load_b256 s[36:43], s[4:5], 0x0
	s_add_co_i32 s11, s11, 4
	s_wait_xcnt 0x0
	s_add_nc_u64 s[6:7], s[6:7], 48
	s_cmp_lg_u32 s0, s11
	s_add_nc_u64 s[4:5], s[4:5], 32
	s_wait_kmcnt 0x0
	v_mul_hi_u32 v3, s21, v5
	s_delay_alu instid0(VALU_DEP_1) | instskip(NEXT) | instid1(VALU_DEP_1)
	v_add_nc_u32_e32 v3, v5, v3
	v_lshrrev_b32_e32 v3, s22, v3
	s_delay_alu instid0(VALU_DEP_1) | instskip(SKIP_1) | instid1(VALU_DEP_1)
	v_mul_hi_u32 v7, s24, v3
	v_mul_lo_u32 v13, v3, s20
	v_dual_add_nc_u32 v7, v3, v7 :: v_dual_sub_nc_u32 v5, v5, v13
	s_delay_alu instid0(VALU_DEP_1) | instskip(NEXT) | instid1(VALU_DEP_2)
	v_lshrrev_b32_e32 v7, s25, v7
	v_mad_u32 v12, v5, s37, v12
	v_mad_u32 v2, v5, s36, v2
	s_delay_alu instid0(VALU_DEP_3) | instskip(NEXT) | instid1(VALU_DEP_1)
	v_mul_hi_u32 v11, s27, v7
	v_add_nc_u32_e32 v11, v7, v11
	s_delay_alu instid0(VALU_DEP_1) | instskip(NEXT) | instid1(VALU_DEP_1)
	v_lshrrev_b32_e32 v11, s12, v11
	v_mul_hi_u32 v14, s14, v11
	s_delay_alu instid0(VALU_DEP_1) | instskip(NEXT) | instid1(VALU_DEP_1)
	v_add_nc_u32_e32 v5, v11, v14
	v_lshrrev_b32_e32 v5, s15, v5
	v_mul_lo_u32 v13, v7, s23
	s_delay_alu instid0(VALU_DEP_1) | instskip(SKIP_1) | instid1(VALU_DEP_2)
	v_sub_nc_u32_e32 v3, v3, v13
	v_mul_lo_u32 v13, v11, s26
	v_mad_u32 v12, v3, s39, v12
	v_mad_u32 v2, v3, s38, v2
	s_delay_alu instid0(VALU_DEP_3) | instskip(SKIP_1) | instid1(VALU_DEP_2)
	v_sub_nc_u32_e32 v3, v7, v13
	v_mul_lo_u32 v7, v5, s13
	v_mad_u32 v12, v3, s41, v12
	s_delay_alu instid0(VALU_DEP_4) | instskip(NEXT) | instid1(VALU_DEP_3)
	v_mad_u32 v2, v3, s40, v2
	v_sub_nc_u32_e32 v3, v11, v7
	s_delay_alu instid0(VALU_DEP_1) | instskip(NEXT) | instid1(VALU_DEP_3)
	v_mad_u32 v12, v3, s43, v12
	v_mad_u32 v2, v3, s42, v2
	s_cbranch_scc1 .LBB15_1139
; %bb.1140:
	s_delay_alu instid0(VALU_DEP_2)
	v_mov_b32_e32 v3, v12
	s_and_b32 s6, s1, 3
	s_mov_b32 s1, 0
	s_cmp_eq_u32 s6, 0
	s_cbranch_scc0 .LBB15_1144
	s_branch .LBB15_1147
.LBB15_1141:
	s_mov_b32 s10, -1
                                        ; implicit-def: $vgpr12
                                        ; implicit-def: $vgpr2
	s_branch .LBB15_1147
.LBB15_1142:
	v_dual_mov_b32 v12, 0 :: v_dual_mov_b32 v2, 0
	s_branch .LBB15_1147
.LBB15_1143:
	v_mov_b64_e32 v[2:3], 0
	v_mov_b32_e32 v5, v0
	s_mov_b32 s0, 0
                                        ; implicit-def: $vgpr12
	s_and_b32 s6, s1, 3
	s_mov_b32 s1, 0
	s_cmp_eq_u32 s6, 0
	s_cbranch_scc1 .LBB15_1147
.LBB15_1144:
	s_lshl_b32 s4, s0, 3
	s_mov_b32 s5, s1
	s_mul_u64 s[12:13], s[0:1], 12
	s_add_nc_u64 s[4:5], s[2:3], s[4:5]
	s_delay_alu instid0(SALU_CYCLE_1)
	s_add_nc_u64 s[0:1], s[4:5], 0xc4
	s_add_nc_u64 s[4:5], s[2:3], s[12:13]
.LBB15_1145:                            ; =>This Inner Loop Header: Depth=1
	s_load_b96 s[12:14], s[4:5], 0x4
	s_add_co_i32 s6, s6, -1
	s_wait_xcnt 0x0
	s_add_nc_u64 s[4:5], s[4:5], 12
	s_cmp_lg_u32 s6, 0
	s_wait_kmcnt 0x0
	v_mul_hi_u32 v7, s13, v5
	s_delay_alu instid0(VALU_DEP_1) | instskip(NEXT) | instid1(VALU_DEP_1)
	v_add_nc_u32_e32 v7, v5, v7
	v_lshrrev_b32_e32 v7, s14, v7
	s_load_b64 s[14:15], s[0:1], 0x0
	s_wait_xcnt 0x0
	s_add_nc_u64 s[0:1], s[0:1], 8
	s_delay_alu instid0(VALU_DEP_1) | instskip(NEXT) | instid1(VALU_DEP_1)
	v_mul_lo_u32 v11, v7, s12
	v_sub_nc_u32_e32 v5, v5, v11
	s_wait_kmcnt 0x0
	s_delay_alu instid0(VALU_DEP_1)
	v_mad_u32 v3, v5, s15, v3
	v_mad_u32 v2, v5, s14, v2
	v_mov_b32_e32 v5, v7
	s_cbranch_scc1 .LBB15_1145
; %bb.1146:
	s_delay_alu instid0(VALU_DEP_3)
	v_mov_b32_e32 v12, v3
.LBB15_1147:
	s_and_not1_b32 vcc_lo, exec_lo, s10
	s_cbranch_vccnz .LBB15_1150
; %bb.1148:
	s_clause 0x1
	s_load_b96 s[4:6], s[2:3], 0x4
	s_load_b64 s[0:1], s[2:3], 0xc4
	s_cmp_lt_u32 s19, 2
	s_wait_kmcnt 0x0
	v_mul_hi_u32 v2, s5, v0
	s_delay_alu instid0(VALU_DEP_1) | instskip(NEXT) | instid1(VALU_DEP_1)
	v_add_nc_u32_e32 v2, v0, v2
	v_lshrrev_b32_e32 v3, s6, v2
	s_delay_alu instid0(VALU_DEP_1) | instskip(NEXT) | instid1(VALU_DEP_1)
	v_mul_lo_u32 v2, v3, s4
	v_sub_nc_u32_e32 v0, v0, v2
	s_delay_alu instid0(VALU_DEP_1)
	v_mul_lo_u32 v12, v0, s1
	v_mul_lo_u32 v2, v0, s0
	s_cbranch_scc1 .LBB15_1150
; %bb.1149:
	s_clause 0x1
	s_load_b96 s[4:6], s[2:3], 0x10
	s_load_b64 s[0:1], s[2:3], 0xcc
	s_wait_kmcnt 0x0
	v_mul_hi_u32 v0, s5, v3
	s_delay_alu instid0(VALU_DEP_1) | instskip(NEXT) | instid1(VALU_DEP_1)
	v_add_nc_u32_e32 v0, v3, v0
	v_lshrrev_b32_e32 v0, s6, v0
	s_delay_alu instid0(VALU_DEP_1) | instskip(NEXT) | instid1(VALU_DEP_1)
	v_mul_lo_u32 v0, v0, s4
	v_sub_nc_u32_e32 v0, v3, v0
	s_delay_alu instid0(VALU_DEP_1)
	v_mad_u32 v2, v0, s0, v2
	v_mad_u32 v12, v0, s1, v12
.LBB15_1150:
	v_cmp_ne_u32_e32 vcc_lo, 1, v1
	s_cbranch_vccnz .LBB15_1156
; %bb.1151:
	s_cmp_lg_u32 s19, 0
	s_mov_b32 s10, 0
	s_cbranch_scc0 .LBB15_1157
; %bb.1152:
	s_min_u32 s1, s33, 15
	s_delay_alu instid0(SALU_CYCLE_1)
	s_add_co_i32 s1, s1, 1
	s_cmp_eq_u32 s33, 2
	s_cbranch_scc1 .LBB15_1158
; %bb.1153:
	v_dual_mov_b32 v0, 0 :: v_dual_mov_b32 v14, 0
	v_mov_b32_e32 v3, v9
	s_and_b32 s0, s1, 28
	s_add_nc_u64 s[4:5], s[2:3], 0xc4
	s_mov_b32 s11, 0
	s_mov_b64 s[6:7], s[2:3]
.LBB15_1154:                            ; =>This Inner Loop Header: Depth=1
	s_clause 0x1
	s_load_b256 s[20:27], s[6:7], 0x4
	s_load_b128 s[12:15], s[6:7], 0x24
	s_load_b256 s[36:43], s[4:5], 0x0
	s_add_co_i32 s11, s11, 4
	s_wait_xcnt 0x0
	s_add_nc_u64 s[6:7], s[6:7], 48
	s_cmp_lg_u32 s0, s11
	s_add_nc_u64 s[4:5], s[4:5], 32
	s_wait_kmcnt 0x0
	v_mul_hi_u32 v1, s21, v3
	s_delay_alu instid0(VALU_DEP_1) | instskip(NEXT) | instid1(VALU_DEP_1)
	v_add_nc_u32_e32 v1, v3, v1
	v_lshrrev_b32_e32 v1, s22, v1
	s_delay_alu instid0(VALU_DEP_1) | instskip(NEXT) | instid1(VALU_DEP_1)
	v_mul_lo_u32 v11, v1, s20
	v_sub_nc_u32_e32 v3, v3, v11
	v_mul_hi_u32 v5, s24, v1
	s_delay_alu instid0(VALU_DEP_2) | instskip(SKIP_1) | instid1(VALU_DEP_3)
	v_mad_u32 v14, v3, s37, v14
	v_mad_u32 v0, v3, s36, v0
	v_add_nc_u32_e32 v5, v1, v5
	s_delay_alu instid0(VALU_DEP_1) | instskip(NEXT) | instid1(VALU_DEP_1)
	v_lshrrev_b32_e32 v5, s25, v5
	v_mul_lo_u32 v11, v5, s23
	s_delay_alu instid0(VALU_DEP_1) | instskip(SKIP_1) | instid1(VALU_DEP_2)
	v_sub_nc_u32_e32 v1, v1, v11
	v_mul_hi_u32 v7, s27, v5
	v_mad_u32 v0, v1, s38, v0
	s_delay_alu instid0(VALU_DEP_2) | instskip(NEXT) | instid1(VALU_DEP_1)
	v_add_nc_u32_e32 v7, v5, v7
	v_lshrrev_b32_e32 v7, s12, v7
	s_delay_alu instid0(VALU_DEP_1) | instskip(SKIP_1) | instid1(VALU_DEP_2)
	v_mul_hi_u32 v13, s14, v7
	v_mul_lo_u32 v11, v7, s26
	v_add_nc_u32_e32 v3, v7, v13
	v_mad_u32 v13, v1, s39, v14
	s_delay_alu instid0(VALU_DEP_3) | instskip(NEXT) | instid1(VALU_DEP_3)
	v_sub_nc_u32_e32 v1, v5, v11
	v_lshrrev_b32_e32 v3, s15, v3
	s_delay_alu instid0(VALU_DEP_2) | instskip(NEXT) | instid1(VALU_DEP_2)
	v_mad_u32 v0, v1, s40, v0
	v_mul_lo_u32 v5, v3, s13
	v_mad_u32 v11, v1, s41, v13
	s_delay_alu instid0(VALU_DEP_2) | instskip(NEXT) | instid1(VALU_DEP_1)
	v_sub_nc_u32_e32 v1, v7, v5
	v_mad_u32 v14, v1, s43, v11
	v_mad_u32 v0, v1, s42, v0
	s_cbranch_scc1 .LBB15_1154
; %bb.1155:
	s_delay_alu instid0(VALU_DEP_2)
	v_mov_b32_e32 v1, v14
	s_and_b32 s6, s1, 3
	s_mov_b32 s1, 0
	s_cmp_eq_u32 s6, 0
	s_cbranch_scc0 .LBB15_1159
	s_branch .LBB15_1162
.LBB15_1156:
	s_mov_b32 s10, -1
                                        ; implicit-def: $vgpr14
                                        ; implicit-def: $vgpr0
	s_branch .LBB15_1162
.LBB15_1157:
	v_dual_mov_b32 v14, 0 :: v_dual_mov_b32 v0, 0
	s_branch .LBB15_1162
.LBB15_1158:
	v_mov_b64_e32 v[0:1], 0
	v_mov_b32_e32 v3, v9
	s_mov_b32 s0, 0
                                        ; implicit-def: $vgpr14
	s_and_b32 s6, s1, 3
	s_mov_b32 s1, 0
	s_cmp_eq_u32 s6, 0
	s_cbranch_scc1 .LBB15_1162
.LBB15_1159:
	s_lshl_b32 s4, s0, 3
	s_mov_b32 s5, s1
	s_mul_u64 s[12:13], s[0:1], 12
	s_add_nc_u64 s[4:5], s[2:3], s[4:5]
	s_delay_alu instid0(SALU_CYCLE_1)
	s_add_nc_u64 s[0:1], s[4:5], 0xc4
	s_add_nc_u64 s[4:5], s[2:3], s[12:13]
.LBB15_1160:                            ; =>This Inner Loop Header: Depth=1
	s_load_b96 s[12:14], s[4:5], 0x4
	s_add_co_i32 s6, s6, -1
	s_wait_xcnt 0x0
	s_add_nc_u64 s[4:5], s[4:5], 12
	s_cmp_lg_u32 s6, 0
	s_wait_kmcnt 0x0
	v_mul_hi_u32 v5, s13, v3
	s_delay_alu instid0(VALU_DEP_1) | instskip(NEXT) | instid1(VALU_DEP_1)
	v_add_nc_u32_e32 v5, v3, v5
	v_lshrrev_b32_e32 v5, s14, v5
	s_load_b64 s[14:15], s[0:1], 0x0
	s_wait_xcnt 0x0
	s_add_nc_u64 s[0:1], s[0:1], 8
	s_delay_alu instid0(VALU_DEP_1) | instskip(NEXT) | instid1(VALU_DEP_1)
	v_mul_lo_u32 v7, v5, s12
	v_sub_nc_u32_e32 v3, v3, v7
	s_wait_kmcnt 0x0
	s_delay_alu instid0(VALU_DEP_1)
	v_mad_u32 v1, v3, s15, v1
	v_mad_u32 v0, v3, s14, v0
	v_mov_b32_e32 v3, v5
	s_cbranch_scc1 .LBB15_1160
; %bb.1161:
	s_delay_alu instid0(VALU_DEP_3)
	v_mov_b32_e32 v14, v1
.LBB15_1162:
	s_and_not1_b32 vcc_lo, exec_lo, s10
	s_cbranch_vccnz .LBB15_1165
; %bb.1163:
	s_clause 0x1
	s_load_b96 s[4:6], s[2:3], 0x4
	s_load_b64 s[0:1], s[2:3], 0xc4
	s_cmp_lt_u32 s19, 2
	s_wait_kmcnt 0x0
	v_mul_hi_u32 v0, s5, v9
	s_delay_alu instid0(VALU_DEP_1) | instskip(NEXT) | instid1(VALU_DEP_1)
	v_add_nc_u32_e32 v0, v9, v0
	v_lshrrev_b32_e32 v1, s6, v0
	s_delay_alu instid0(VALU_DEP_1) | instskip(NEXT) | instid1(VALU_DEP_1)
	v_mul_lo_u32 v0, v1, s4
	v_sub_nc_u32_e32 v0, v9, v0
	s_delay_alu instid0(VALU_DEP_1)
	v_mul_lo_u32 v14, v0, s1
	v_mul_lo_u32 v0, v0, s0
	s_cbranch_scc1 .LBB15_1165
; %bb.1164:
	s_clause 0x1
	s_load_b96 s[4:6], s[2:3], 0x10
	s_load_b64 s[0:1], s[2:3], 0xcc
	s_wait_kmcnt 0x0
	v_mul_hi_u32 v3, s5, v1
	s_delay_alu instid0(VALU_DEP_1) | instskip(NEXT) | instid1(VALU_DEP_1)
	v_add_nc_u32_e32 v3, v1, v3
	v_lshrrev_b32_e32 v3, s6, v3
	s_delay_alu instid0(VALU_DEP_1) | instskip(NEXT) | instid1(VALU_DEP_1)
	v_mul_lo_u32 v3, v3, s4
	v_sub_nc_u32_e32 v1, v1, v3
	s_delay_alu instid0(VALU_DEP_1)
	v_mad_u32 v0, v1, s0, v0
	v_mad_u32 v14, v1, s1, v14
.LBB15_1165:
	v_mov_b32_e32 v9, 0
	s_load_b128 s[4:7], s[2:3], 0x148
	global_load_u8 v1, v9, s[2:3] offset:353
	s_wait_kmcnt 0x0
	v_add_nc_u64_e32 v[16:17], s[6:7], v[8:9]
	s_wait_loadcnt 0x0
	v_and_b32_e32 v3, 0xffff, v1
	v_readfirstlane_b32 s11, v1
	s_delay_alu instid0(VALU_DEP_2)
	v_cmp_gt_i32_e32 vcc_lo, 11, v3
	s_cbranch_vccnz .LBB15_1172
; %bb.1166:
	s_and_b32 s0, 0xffff, s11
	s_mov_b32 s12, 0
	s_cmp_gt_i32 s0, 25
	s_cbranch_scc0 .LBB15_1174
; %bb.1167:
	s_cmp_gt_i32 s0, 28
	s_cbranch_scc0 .LBB15_1175
; %bb.1168:
	;; [unrolled: 3-line block ×4, first 2 shown]
	s_cmp_eq_u32 s0, 46
	s_mov_b32 s10, 0
	s_cbranch_scc0 .LBB15_1180
; %bb.1171:
	global_load_b32 v1, v[16:17], off
	s_mov_b32 s1, 0
	s_mov_b32 s13, -1
	s_wait_loadcnt 0x0
	v_lshlrev_b32_e32 v8, 16, v1
	s_branch .LBB15_1182
.LBB15_1172:
	s_mov_b32 s13, 0
	s_mov_b32 s10, s8
                                        ; implicit-def: $vgpr8
	s_cbranch_execnz .LBB15_1245
.LBB15_1173:
	s_and_not1_b32 vcc_lo, exec_lo, s13
	s_cbranch_vccz .LBB15_1290
	s_branch .LBB15_1767
.LBB15_1174:
	s_mov_b32 s13, 0
	s_mov_b32 s1, 0
                                        ; implicit-def: $vgpr8
	s_cbranch_execnz .LBB15_1210
	s_branch .LBB15_1241
.LBB15_1175:
	s_mov_b32 s10, -1
	s_mov_b32 s13, 0
	s_mov_b32 s1, 0
                                        ; implicit-def: $vgpr8
	s_branch .LBB15_1191
.LBB15_1176:
	s_mov_b32 s13, 0
	s_mov_b32 s1, 0
                                        ; implicit-def: $vgpr8
	s_cbranch_execnz .LBB15_1187
	s_branch .LBB15_1190
.LBB15_1177:
	s_mov_b32 s10, -1
	s_mov_b32 s13, 0
	s_mov_b32 s1, 0
	s_branch .LBB15_1181
.LBB15_1178:
	s_and_not1_saveexec_b32 s9, s9
	s_cbranch_execz .LBB15_1017
.LBB15_1179:
	v_add_f32_e64 v3, 0x46000000, |v2|
	s_and_not1_b32 s8, s8, exec_lo
	s_delay_alu instid0(VALU_DEP_1) | instskip(NEXT) | instid1(VALU_DEP_1)
	v_and_b32_e32 v3, 0xff, v3
	v_cmp_ne_u32_e32 vcc_lo, 0, v3
	s_and_b32 s10, vcc_lo, exec_lo
	s_delay_alu instid0(SALU_CYCLE_1)
	s_or_b32 s8, s8, s10
	s_or_b32 exec_lo, exec_lo, s9
	v_mov_b32_e32 v4, 0
	s_and_saveexec_b32 s9, s8
	s_cbranch_execnz .LBB15_1018
	s_branch .LBB15_1019
.LBB15_1180:
	s_mov_b32 s1, -1
	s_mov_b32 s13, 0
.LBB15_1181:
                                        ; implicit-def: $vgpr8
.LBB15_1182:
	s_and_b32 vcc_lo, exec_lo, s10
	s_cbranch_vccz .LBB15_1185
; %bb.1183:
	s_cmp_eq_u32 s0, 44
	s_cbranch_scc0 .LBB15_1186
; %bb.1184:
	global_load_u8 v1, v[16:17], off
	s_mov_b32 s1, 0
	s_mov_b32 s13, -1
	s_wait_loadcnt 0x0
	v_lshlrev_b32_e32 v3, 23, v1
	v_cmp_ne_u32_e32 vcc_lo, 0xff, v1
	s_delay_alu instid0(VALU_DEP_2) | instskip(SKIP_1) | instid1(VALU_DEP_2)
	v_cndmask_b32_e32 v3, 0x7f800001, v3, vcc_lo
	v_cmp_ne_u32_e32 vcc_lo, 0, v1
	v_cndmask_b32_e32 v8, 0x400000, v3, vcc_lo
.LBB15_1185:
	s_branch .LBB15_1190
.LBB15_1186:
	s_mov_b32 s1, -1
                                        ; implicit-def: $vgpr8
	s_branch .LBB15_1190
.LBB15_1187:
	s_cmp_eq_u32 s0, 29
	s_cbranch_scc0 .LBB15_1189
; %bb.1188:
	global_load_b64 v[8:9], v[16:17], off
	s_mov_b32 s1, 0
	s_mov_b32 s13, -1
	s_mov_b32 s10, 0
	s_wait_loadcnt 0x0
	v_clz_i32_u32_e32 v1, v9
	s_delay_alu instid0(VALU_DEP_1) | instskip(NEXT) | instid1(VALU_DEP_1)
	v_min_u32_e32 v1, 32, v1
	v_lshlrev_b64_e32 v[8:9], v1, v[8:9]
	v_sub_nc_u32_e32 v1, 32, v1
	s_delay_alu instid0(VALU_DEP_2) | instskip(NEXT) | instid1(VALU_DEP_1)
	v_min_u32_e32 v3, 1, v8
	v_or_b32_e32 v3, v9, v3
	s_delay_alu instid0(VALU_DEP_1) | instskip(NEXT) | instid1(VALU_DEP_1)
	v_cvt_f32_u32_e32 v3, v3
	v_ldexp_f32 v8, v3, v1
	s_branch .LBB15_1191
.LBB15_1189:
	s_mov_b32 s1, -1
                                        ; implicit-def: $vgpr8
.LBB15_1190:
	s_mov_b32 s10, 0
.LBB15_1191:
	s_delay_alu instid0(SALU_CYCLE_1)
	s_and_b32 vcc_lo, exec_lo, s10
	s_cbranch_vccz .LBB15_1209
; %bb.1192:
	s_cmp_lt_i32 s0, 27
	s_cbranch_scc1 .LBB15_1195
; %bb.1193:
	s_cmp_gt_i32 s0, 27
	s_cbranch_scc0 .LBB15_1196
; %bb.1194:
	global_load_b32 v1, v[16:17], off
	s_mov_b32 s10, 0
	s_wait_loadcnt 0x0
	v_cvt_f32_u32_e32 v8, v1
	s_branch .LBB15_1197
.LBB15_1195:
	s_mov_b32 s10, -1
                                        ; implicit-def: $vgpr8
	s_branch .LBB15_1200
.LBB15_1196:
	s_mov_b32 s10, -1
                                        ; implicit-def: $vgpr8
.LBB15_1197:
	s_delay_alu instid0(SALU_CYCLE_1)
	s_and_not1_b32 vcc_lo, exec_lo, s10
	s_cbranch_vccnz .LBB15_1199
; %bb.1198:
	global_load_u16 v1, v[16:17], off
	s_wait_loadcnt 0x0
	v_cvt_f32_u32_e32 v8, v1
.LBB15_1199:
	s_mov_b32 s10, 0
.LBB15_1200:
	s_delay_alu instid0(SALU_CYCLE_1)
	s_and_not1_b32 vcc_lo, exec_lo, s10
	s_cbranch_vccnz .LBB15_1208
; %bb.1201:
	global_load_u8 v1, v[16:17], off
	s_mov_b32 s10, 0
	s_mov_b32 s13, exec_lo
	s_wait_loadcnt 0x0
	v_cmpx_lt_i16_e32 0x7f, v1
	s_xor_b32 s13, exec_lo, s13
	s_cbranch_execz .LBB15_1221
; %bb.1202:
	s_mov_b32 s10, -1
	s_mov_b32 s14, exec_lo
	v_cmpx_eq_u16_e32 0x80, v1
; %bb.1203:
	s_xor_b32 s10, exec_lo, -1
; %bb.1204:
	s_or_b32 exec_lo, exec_lo, s14
	s_delay_alu instid0(SALU_CYCLE_1)
	s_and_b32 s10, s10, exec_lo
	s_or_saveexec_b32 s13, s13
	v_mov_b32_e32 v8, 0x7f800001
	s_xor_b32 exec_lo, exec_lo, s13
	s_cbranch_execnz .LBB15_1222
.LBB15_1205:
	s_or_b32 exec_lo, exec_lo, s13
	s_and_saveexec_b32 s13, s10
	s_cbranch_execz .LBB15_1207
.LBB15_1206:
	v_and_b32_e32 v3, 0xffff, v1
	s_delay_alu instid0(VALU_DEP_1) | instskip(SKIP_1) | instid1(VALU_DEP_2)
	v_dual_lshlrev_b32 v1, 24, v1 :: v_dual_bitop2_b32 v5, 7, v3 bitop3:0x40
	v_bfe_u32 v9, v3, 3, 4
	v_and_b32_e32 v1, 0x80000000, v1
	s_delay_alu instid0(VALU_DEP_3) | instskip(NEXT) | instid1(VALU_DEP_3)
	v_clz_i32_u32_e32 v7, v5
	v_cmp_eq_u32_e32 vcc_lo, 0, v9
	s_delay_alu instid0(VALU_DEP_2) | instskip(NEXT) | instid1(VALU_DEP_1)
	v_min_u32_e32 v7, 32, v7
	v_subrev_nc_u32_e32 v8, 28, v7
	v_sub_nc_u32_e32 v7, 29, v7
	s_delay_alu instid0(VALU_DEP_2) | instskip(NEXT) | instid1(VALU_DEP_2)
	v_lshlrev_b32_e32 v3, v8, v3
	v_cndmask_b32_e32 v7, v9, v7, vcc_lo
	s_delay_alu instid0(VALU_DEP_2) | instskip(NEXT) | instid1(VALU_DEP_1)
	v_and_b32_e32 v3, 7, v3
	v_cndmask_b32_e32 v3, v5, v3, vcc_lo
	s_delay_alu instid0(VALU_DEP_3) | instskip(NEXT) | instid1(VALU_DEP_2)
	v_lshl_add_u32 v5, v7, 23, 0x3b800000
	v_lshlrev_b32_e32 v3, 20, v3
	s_delay_alu instid0(VALU_DEP_1)
	v_or3_b32 v8, v1, v5, v3
.LBB15_1207:
	s_or_b32 exec_lo, exec_lo, s13
.LBB15_1208:
	s_mov_b32 s13, -1
.LBB15_1209:
	s_branch .LBB15_1241
.LBB15_1210:
	s_cmp_gt_i32 s0, 22
	s_cbranch_scc0 .LBB15_1220
; %bb.1211:
	s_cmp_lt_i32 s0, 24
	s_cbranch_scc1 .LBB15_1223
; %bb.1212:
	s_cmp_gt_i32 s0, 24
	s_cbranch_scc0 .LBB15_1224
; %bb.1213:
	global_load_u8 v1, v[16:17], off
	s_mov_b32 s10, 0
	s_mov_b32 s12, exec_lo
	s_wait_loadcnt 0x0
	v_cmpx_lt_i16_e32 0x7f, v1
	s_xor_b32 s12, exec_lo, s12
	s_cbranch_execz .LBB15_1235
; %bb.1214:
	s_mov_b32 s10, -1
	s_mov_b32 s13, exec_lo
	v_cmpx_eq_u16_e32 0x80, v1
; %bb.1215:
	s_xor_b32 s10, exec_lo, -1
; %bb.1216:
	s_or_b32 exec_lo, exec_lo, s13
	s_delay_alu instid0(SALU_CYCLE_1)
	s_and_b32 s10, s10, exec_lo
	s_or_saveexec_b32 s12, s12
	v_mov_b32_e32 v8, 0x7f800001
	s_xor_b32 exec_lo, exec_lo, s12
	s_cbranch_execnz .LBB15_1236
.LBB15_1217:
	s_or_b32 exec_lo, exec_lo, s12
	s_and_saveexec_b32 s12, s10
	s_cbranch_execz .LBB15_1219
.LBB15_1218:
	v_and_b32_e32 v3, 0xffff, v1
	s_delay_alu instid0(VALU_DEP_1) | instskip(SKIP_1) | instid1(VALU_DEP_2)
	v_dual_lshlrev_b32 v1, 24, v1 :: v_dual_bitop2_b32 v5, 3, v3 bitop3:0x40
	v_bfe_u32 v9, v3, 2, 5
	v_and_b32_e32 v1, 0x80000000, v1
	s_delay_alu instid0(VALU_DEP_3) | instskip(NEXT) | instid1(VALU_DEP_3)
	v_clz_i32_u32_e32 v7, v5
	v_cmp_eq_u32_e32 vcc_lo, 0, v9
	s_delay_alu instid0(VALU_DEP_2) | instskip(NEXT) | instid1(VALU_DEP_1)
	v_min_u32_e32 v7, 32, v7
	v_subrev_nc_u32_e32 v8, 29, v7
	v_sub_nc_u32_e32 v7, 30, v7
	s_delay_alu instid0(VALU_DEP_2) | instskip(NEXT) | instid1(VALU_DEP_2)
	v_lshlrev_b32_e32 v3, v8, v3
	v_cndmask_b32_e32 v7, v9, v7, vcc_lo
	s_delay_alu instid0(VALU_DEP_2) | instskip(NEXT) | instid1(VALU_DEP_1)
	v_and_b32_e32 v3, 3, v3
	v_cndmask_b32_e32 v3, v5, v3, vcc_lo
	s_delay_alu instid0(VALU_DEP_3) | instskip(NEXT) | instid1(VALU_DEP_2)
	v_lshl_add_u32 v5, v7, 23, 0x37800000
	v_lshlrev_b32_e32 v3, 21, v3
	s_delay_alu instid0(VALU_DEP_1)
	v_or3_b32 v8, v1, v5, v3
.LBB15_1219:
	s_or_b32 exec_lo, exec_lo, s12
	s_mov_b32 s10, 0
	s_branch .LBB15_1225
.LBB15_1220:
                                        ; implicit-def: $vgpr8
	s_mov_b32 s12, 0
	s_branch .LBB15_1231
.LBB15_1221:
	s_or_saveexec_b32 s13, s13
	v_mov_b32_e32 v8, 0x7f800001
	s_xor_b32 exec_lo, exec_lo, s13
	s_cbranch_execz .LBB15_1205
.LBB15_1222:
	v_cmp_ne_u16_e32 vcc_lo, 0, v1
	v_mov_b32_e32 v8, 0
	s_and_not1_b32 s10, s10, exec_lo
	s_and_b32 s14, vcc_lo, exec_lo
	s_delay_alu instid0(SALU_CYCLE_1)
	s_or_b32 s10, s10, s14
	s_or_b32 exec_lo, exec_lo, s13
	s_and_saveexec_b32 s13, s10
	s_cbranch_execnz .LBB15_1206
	s_branch .LBB15_1207
.LBB15_1223:
	s_mov_b32 s10, -1
                                        ; implicit-def: $vgpr8
	s_branch .LBB15_1228
.LBB15_1224:
	s_mov_b32 s10, -1
                                        ; implicit-def: $vgpr8
.LBB15_1225:
	s_delay_alu instid0(SALU_CYCLE_1)
	s_and_b32 vcc_lo, exec_lo, s10
	s_cbranch_vccz .LBB15_1227
; %bb.1226:
	global_load_u8 v1, v[16:17], off
	s_wait_loadcnt 0x0
	v_lshlrev_b32_e32 v1, 24, v1
	s_delay_alu instid0(VALU_DEP_1) | instskip(NEXT) | instid1(VALU_DEP_1)
	v_and_b32_e32 v3, 0x7f000000, v1
	v_clz_i32_u32_e32 v5, v3
	v_cmp_ne_u32_e32 vcc_lo, 0, v3
	v_add_nc_u32_e32 v8, 0x1000000, v3
	s_delay_alu instid0(VALU_DEP_3) | instskip(NEXT) | instid1(VALU_DEP_1)
	v_min_u32_e32 v5, 32, v5
	v_sub_nc_u32_e64 v5, v5, 4 clamp
	s_delay_alu instid0(VALU_DEP_1) | instskip(NEXT) | instid1(VALU_DEP_1)
	v_dual_lshlrev_b32 v7, v5, v3 :: v_dual_lshlrev_b32 v5, 23, v5
	v_lshrrev_b32_e32 v7, 4, v7
	s_delay_alu instid0(VALU_DEP_1) | instskip(NEXT) | instid1(VALU_DEP_1)
	v_dual_sub_nc_u32 v5, v7, v5 :: v_dual_ashrrev_i32 v7, 8, v8
	v_add_nc_u32_e32 v5, 0x3c000000, v5
	s_delay_alu instid0(VALU_DEP_1) | instskip(NEXT) | instid1(VALU_DEP_1)
	v_and_or_b32 v5, 0x7f800000, v7, v5
	v_cndmask_b32_e32 v3, 0, v5, vcc_lo
	s_delay_alu instid0(VALU_DEP_1)
	v_and_or_b32 v8, 0x80000000, v1, v3
.LBB15_1227:
	s_mov_b32 s10, 0
.LBB15_1228:
	s_delay_alu instid0(SALU_CYCLE_1)
	s_and_not1_b32 vcc_lo, exec_lo, s10
	s_cbranch_vccnz .LBB15_1230
; %bb.1229:
	global_load_u8 v1, v[16:17], off
	s_wait_loadcnt 0x0
	v_lshlrev_b32_e32 v3, 25, v1
	v_lshlrev_b16 v1, 8, v1
	s_delay_alu instid0(VALU_DEP_1) | instskip(SKIP_1) | instid1(VALU_DEP_2)
	v_and_or_b32 v7, 0x7f00, v1, 0.5
	v_bfe_i32 v1, v1, 0, 16
	v_add_f32_e32 v7, -0.5, v7
	v_lshrrev_b32_e32 v5, 4, v3
	v_cmp_gt_u32_e32 vcc_lo, 0x8000000, v3
	s_delay_alu instid0(VALU_DEP_2) | instskip(NEXT) | instid1(VALU_DEP_1)
	v_or_b32_e32 v5, 0x70000000, v5
	v_mul_f32_e32 v5, 0x7800000, v5
	s_delay_alu instid0(VALU_DEP_1) | instskip(NEXT) | instid1(VALU_DEP_1)
	v_cndmask_b32_e32 v3, v5, v7, vcc_lo
	v_and_or_b32 v8, 0x80000000, v1, v3
.LBB15_1230:
	s_mov_b32 s13, -1
	s_mov_b32 s12, 0
	s_cbranch_execnz .LBB15_1241
.LBB15_1231:
	s_cmp_gt_i32 s0, 14
	s_cbranch_scc0 .LBB15_1234
; %bb.1232:
	s_cmp_eq_u32 s0, 15
	s_cbranch_scc0 .LBB15_1237
; %bb.1233:
	global_load_u16 v1, v[16:17], off
	s_mov_b32 s1, 0
	s_mov_b32 s13, -1
	s_wait_loadcnt 0x0
	v_lshlrev_b32_e32 v8, 16, v1
	s_branch .LBB15_1238
.LBB15_1234:
	s_mov_b32 s10, -1
                                        ; implicit-def: $vgpr8
	s_branch .LBB15_1239
.LBB15_1235:
	s_or_saveexec_b32 s12, s12
	v_mov_b32_e32 v8, 0x7f800001
	s_xor_b32 exec_lo, exec_lo, s12
	s_cbranch_execz .LBB15_1217
.LBB15_1236:
	v_cmp_ne_u16_e32 vcc_lo, 0, v1
	v_mov_b32_e32 v8, 0
	s_and_not1_b32 s10, s10, exec_lo
	s_and_b32 s13, vcc_lo, exec_lo
	s_delay_alu instid0(SALU_CYCLE_1)
	s_or_b32 s10, s10, s13
	s_or_b32 exec_lo, exec_lo, s12
	s_and_saveexec_b32 s12, s10
	s_cbranch_execnz .LBB15_1218
	s_branch .LBB15_1219
.LBB15_1237:
	s_mov_b32 s1, -1
                                        ; implicit-def: $vgpr8
.LBB15_1238:
	s_mov_b32 s10, 0
.LBB15_1239:
	s_delay_alu instid0(SALU_CYCLE_1)
	s_and_b32 vcc_lo, exec_lo, s10
	s_cbranch_vccz .LBB15_1241
; %bb.1240:
	s_cmp_lg_u32 s0, 11
	s_mov_b32 s12, -1
	s_cselect_b32 s1, -1, 0
.LBB15_1241:
	s_delay_alu instid0(SALU_CYCLE_1)
	s_and_b32 vcc_lo, exec_lo, s1
	s_mov_b32 s10, s8
	s_cbranch_vccnz .LBB15_1304
; %bb.1242:
	s_and_not1_b32 vcc_lo, exec_lo, s12
	s_cbranch_vccnz .LBB15_1244
.LBB15_1243:
	global_load_u8 v1, v[16:17], off
	s_mov_b32 s13, -1
	s_wait_loadcnt 0x0
	v_cmp_ne_u16_e32 vcc_lo, 0, v1
	v_cndmask_b32_e64 v8, 0, 1.0, vcc_lo
.LBB15_1244:
	s_branch .LBB15_1173
.LBB15_1245:
	s_and_b32 s0, 0xffff, s11
	s_delay_alu instid0(SALU_CYCLE_1)
	s_cmp_lt_i32 s0, 5
	s_cbranch_scc1 .LBB15_1250
; %bb.1246:
	s_cmp_lt_i32 s0, 8
	s_cbranch_scc1 .LBB15_1251
; %bb.1247:
	s_cmp_lt_i32 s0, 9
	s_cbranch_scc1 .LBB15_1252
; %bb.1248:
	s_cmp_gt_i32 s0, 9
	s_cbranch_scc0 .LBB15_1253
; %bb.1249:
	global_load_b64 v[8:9], v[16:17], off
	s_mov_b32 s1, 0
	s_wait_loadcnt 0x0
	v_cvt_f32_f64_e32 v8, v[8:9]
	s_branch .LBB15_1254
.LBB15_1250:
                                        ; implicit-def: $vgpr8
	s_branch .LBB15_1271
.LBB15_1251:
                                        ; implicit-def: $vgpr8
	s_branch .LBB15_1260
.LBB15_1252:
	s_mov_b32 s1, -1
                                        ; implicit-def: $vgpr8
	s_branch .LBB15_1257
.LBB15_1253:
	s_mov_b32 s1, -1
                                        ; implicit-def: $vgpr8
.LBB15_1254:
	s_delay_alu instid0(SALU_CYCLE_1)
	s_and_not1_b32 vcc_lo, exec_lo, s1
	s_cbranch_vccnz .LBB15_1256
; %bb.1255:
	global_load_b32 v8, v[16:17], off
.LBB15_1256:
	s_mov_b32 s1, 0
.LBB15_1257:
	s_delay_alu instid0(SALU_CYCLE_1)
	s_and_not1_b32 vcc_lo, exec_lo, s1
	s_cbranch_vccnz .LBB15_1259
; %bb.1258:
	global_load_b32 v1, v[16:17], off
	s_wait_loadcnt 0x0
	v_cvt_f32_f16_e32 v8, v1
.LBB15_1259:
	s_cbranch_execnz .LBB15_1270
.LBB15_1260:
	s_cmp_lt_i32 s0, 6
	s_cbranch_scc1 .LBB15_1263
; %bb.1261:
	s_cmp_gt_i32 s0, 6
	s_cbranch_scc0 .LBB15_1264
; %bb.1262:
	s_wait_loadcnt 0x0
	global_load_b64 v[8:9], v[16:17], off
	s_mov_b32 s1, 0
	s_wait_loadcnt 0x0
	v_cvt_f32_f64_e32 v8, v[8:9]
	s_branch .LBB15_1265
.LBB15_1263:
	s_mov_b32 s1, -1
                                        ; implicit-def: $vgpr8
	s_branch .LBB15_1268
.LBB15_1264:
	s_mov_b32 s1, -1
                                        ; implicit-def: $vgpr8
.LBB15_1265:
	s_delay_alu instid0(SALU_CYCLE_1)
	s_and_not1_b32 vcc_lo, exec_lo, s1
	s_cbranch_vccnz .LBB15_1267
; %bb.1266:
	s_wait_loadcnt 0x0
	global_load_b32 v8, v[16:17], off
.LBB15_1267:
	s_mov_b32 s1, 0
.LBB15_1268:
	s_delay_alu instid0(SALU_CYCLE_1)
	s_and_not1_b32 vcc_lo, exec_lo, s1
	s_cbranch_vccnz .LBB15_1270
; %bb.1269:
	global_load_u16 v1, v[16:17], off
	s_wait_loadcnt 0x0
	v_cvt_f32_f16_e32 v8, v1
.LBB15_1270:
	s_cbranch_execnz .LBB15_1289
.LBB15_1271:
	s_cmp_lt_i32 s0, 2
	s_cbranch_scc1 .LBB15_1275
; %bb.1272:
	s_cmp_lt_i32 s0, 3
	s_cbranch_scc1 .LBB15_1276
; %bb.1273:
	s_cmp_gt_i32 s0, 3
	s_cbranch_scc0 .LBB15_1277
; %bb.1274:
	s_wait_loadcnt 0x0
	global_load_b64 v[8:9], v[16:17], off
	s_mov_b32 s1, 0
	s_wait_loadcnt 0x0
	v_xor_b32_e32 v1, v8, v9
	v_cls_i32_e32 v3, v9
	s_delay_alu instid0(VALU_DEP_2) | instskip(NEXT) | instid1(VALU_DEP_1)
	v_ashrrev_i32_e32 v1, 31, v1
	v_add_nc_u32_e32 v1, 32, v1
	s_delay_alu instid0(VALU_DEP_1) | instskip(NEXT) | instid1(VALU_DEP_1)
	v_add_min_u32_e64 v1, v3, -1, v1
	v_lshlrev_b64_e32 v[8:9], v1, v[8:9]
	v_sub_nc_u32_e32 v1, 32, v1
	s_delay_alu instid0(VALU_DEP_2) | instskip(NEXT) | instid1(VALU_DEP_1)
	v_min_u32_e32 v3, 1, v8
	v_or_b32_e32 v3, v9, v3
	s_delay_alu instid0(VALU_DEP_1) | instskip(NEXT) | instid1(VALU_DEP_1)
	v_cvt_f32_i32_e32 v3, v3
	v_ldexp_f32 v8, v3, v1
	s_branch .LBB15_1278
.LBB15_1275:
                                        ; implicit-def: $vgpr8
	s_branch .LBB15_1284
.LBB15_1276:
	s_mov_b32 s1, -1
                                        ; implicit-def: $vgpr8
	s_branch .LBB15_1281
.LBB15_1277:
	s_mov_b32 s1, -1
                                        ; implicit-def: $vgpr8
.LBB15_1278:
	s_delay_alu instid0(SALU_CYCLE_1)
	s_and_not1_b32 vcc_lo, exec_lo, s1
	s_cbranch_vccnz .LBB15_1280
; %bb.1279:
	global_load_b32 v1, v[16:17], off
	s_wait_loadcnt 0x0
	v_cvt_f32_i32_e32 v8, v1
.LBB15_1280:
	s_mov_b32 s1, 0
.LBB15_1281:
	s_delay_alu instid0(SALU_CYCLE_1)
	s_and_not1_b32 vcc_lo, exec_lo, s1
	s_cbranch_vccnz .LBB15_1283
; %bb.1282:
	global_load_i16 v1, v[16:17], off
	s_wait_loadcnt 0x0
	v_cvt_f32_i32_e32 v8, v1
.LBB15_1283:
	s_cbranch_execnz .LBB15_1289
.LBB15_1284:
	s_cmp_gt_i32 s0, 0
	s_mov_b32 s0, 0
	s_cbranch_scc0 .LBB15_1286
; %bb.1285:
	global_load_i8 v1, v[16:17], off
	s_wait_loadcnt 0x0
	v_cvt_f32_i32_e32 v8, v1
	s_branch .LBB15_1287
.LBB15_1286:
	s_mov_b32 s0, -1
                                        ; implicit-def: $vgpr8
.LBB15_1287:
	s_delay_alu instid0(SALU_CYCLE_1)
	s_and_not1_b32 vcc_lo, exec_lo, s0
	s_cbranch_vccnz .LBB15_1289
; %bb.1288:
	global_load_u8 v1, v[16:17], off
	s_wait_loadcnt 0x0
	v_cvt_f32_ubyte0_e32 v8, v1
.LBB15_1289:
.LBB15_1290:
	s_load_b64 s[0:1], s[2:3], 0x158
	s_mov_b32 s12, exec_lo
	s_wait_loadcnt 0x0
	s_wait_kmcnt 0x0
	s_delay_alu instid0(VALU_DEP_1) | instskip(NEXT) | instid1(VALU_DEP_1)
	v_mul_f32_e32 v1, s0, v8
	v_cmpx_nlt_f32_e32 s1, v1
	s_cbranch_execz .LBB15_1292
; %bb.1291:
	v_mul_f32_e32 v3, 0x3fb8aa3b, v1
	v_cmp_ngt_f32_e32 vcc_lo, 0xc2ce8ed0, v1
	s_mov_b32 s13, 0x3e9b6dac
	s_delay_alu instid0(VALU_DEP_2) | instskip(SKIP_1) | instid1(VALU_DEP_2)
	v_rndne_f32_e32 v5, v3
	v_fma_f32 v7, 0x3fb8aa3b, v1, -v3
	v_sub_f32_e32 v3, v3, v5
	s_delay_alu instid0(VALU_DEP_2) | instskip(SKIP_1) | instid1(VALU_DEP_2)
	v_fmamk_f32 v7, v1, 0x32a5705f, v7
	v_cvt_i32_f32_e32 v5, v5
	v_add_f32_e32 v3, v3, v7
	s_delay_alu instid0(VALU_DEP_1) | instskip(SKIP_1) | instid1(TRANS32_DEP_1)
	v_exp_f32_e32 v3, v3
	v_nop
	v_ldexp_f32 v3, v3, v5
	s_delay_alu instid0(VALU_DEP_1) | instskip(SKIP_1) | instid1(VALU_DEP_2)
	v_cndmask_b32_e32 v3, 0, v3, vcc_lo
	v_cmp_nlt_f32_e32 vcc_lo, 0x42b17218, v1
	v_cndmask_b32_e32 v3, 0x7f800000, v3, vcc_lo
	s_delay_alu instid0(VALU_DEP_1) | instskip(NEXT) | instid1(VALU_DEP_1)
	v_add_f32_e32 v1, 1.0, v3
	v_cvt_f64_f32_e32 v[8:9], v1
	v_frexp_mant_f32_e32 v7, v1
	s_delay_alu instid0(VALU_DEP_1) | instskip(SKIP_1) | instid1(VALU_DEP_4)
	v_cmp_gt_f32_e32 vcc_lo, 0x3f2aaaab, v7
	v_add_f32_e32 v7, -1.0, v1
	v_frexp_exp_i32_f64_e32 v5, v[8:9]
	s_delay_alu instid0(VALU_DEP_2) | instskip(NEXT) | instid1(VALU_DEP_1)
	v_sub_f32_e32 v9, v7, v1
	v_add_f32_e32 v9, 1.0, v9
	s_delay_alu instid0(VALU_DEP_3) | instskip(NEXT) | instid1(VALU_DEP_1)
	v_subrev_co_ci_u32_e64 v5, null, 0, v5, vcc_lo
	v_sub_nc_u32_e32 v8, 0, v5
	s_delay_alu instid0(VALU_DEP_1) | instskip(NEXT) | instid1(VALU_DEP_1)
	v_ldexp_f32 v1, v1, v8
	v_dual_sub_f32 v7, v3, v7 :: v_dual_add_f32 v11, 1.0, v1
	s_delay_alu instid0(VALU_DEP_1) | instskip(NEXT) | instid1(VALU_DEP_1)
	v_dual_add_f32 v7, v7, v9 :: v_dual_add_f32 v9, -1.0, v11
	v_ldexp_f32 v7, v7, v8
	s_delay_alu instid0(VALU_DEP_2) | instskip(NEXT) | instid1(VALU_DEP_1)
	v_sub_f32_e32 v8, v1, v9
	v_dual_add_f32 v8, v7, v8 :: v_dual_add_f32 v13, -1.0, v1
	s_delay_alu instid0(VALU_DEP_1) | instskip(NEXT) | instid1(VALU_DEP_1)
	v_dual_add_f32 v15, v11, v8 :: v_dual_add_f32 v9, 1.0, v13
	v_dual_sub_f32 v11, v11, v15 :: v_dual_sub_f32 v1, v1, v9
	s_delay_alu instid0(VALU_DEP_1) | instskip(SKIP_1) | instid1(VALU_DEP_1)
	v_dual_add_f32 v11, v8, v11 :: v_dual_add_f32 v1, v7, v1
	v_rcp_f32_e32 v7, v15
	v_add_f32_e32 v9, v13, v1
	s_delay_alu instid0(TRANS32_DEP_1) | instid1(VALU_DEP_1)
	v_mul_f32_e32 v20, v9, v7
	s_delay_alu instid0(VALU_DEP_1) | instskip(SKIP_1) | instid1(VALU_DEP_2)
	v_mul_f32_e32 v16, v15, v20
	v_cmp_neq_f32_e32 vcc_lo, 0x7f800000, v3
	v_dual_fma_f32 v18, v20, v15, -v16 :: v_dual_sub_f32 v13, v13, v9
	s_delay_alu instid0(VALU_DEP_1) | instskip(NEXT) | instid1(VALU_DEP_1)
	v_dual_fmac_f32 v18, v20, v11 :: v_dual_add_f32 v1, v1, v13
	v_add_f32_e32 v8, v16, v18
	s_delay_alu instid0(VALU_DEP_1) | instskip(NEXT) | instid1(VALU_DEP_1)
	v_dual_sub_f32 v17, v9, v8 :: v_dual_mov_b32 v19, v8
	v_pk_add_f32 v[8:9], v[8:9], v[16:17] neg_lo:[0,1] neg_hi:[0,1]
	s_delay_alu instid0(VALU_DEP_1) | instskip(NEXT) | instid1(VALU_DEP_1)
	v_pk_add_f32 v[8:9], v[8:9], v[18:19] neg_lo:[0,1] neg_hi:[0,1]
	v_add_f32_e32 v1, v1, v9
	s_delay_alu instid0(VALU_DEP_1) | instskip(NEXT) | instid1(VALU_DEP_1)
	v_add_f32_e32 v1, v8, v1
	v_add_f32_e32 v9, v17, v1
	s_delay_alu instid0(VALU_DEP_1) | instskip(NEXT) | instid1(VALU_DEP_1)
	v_mul_f32_e32 v13, v7, v9
	v_mul_f32_e32 v18, v15, v13
	s_delay_alu instid0(VALU_DEP_1) | instskip(NEXT) | instid1(VALU_DEP_1)
	v_fma_f32 v16, v13, v15, -v18
	v_fmac_f32_e32 v16, v13, v11
	s_delay_alu instid0(VALU_DEP_1) | instskip(NEXT) | instid1(VALU_DEP_1)
	v_dual_add_f32 v8, v18, v16 :: v_dual_sub_f32 v11, v17, v9
	v_dual_sub_f32 v19, v9, v8 :: v_dual_mov_b32 v17, v8
	s_delay_alu instid0(VALU_DEP_2) | instskip(NEXT) | instid1(VALU_DEP_2)
	v_dual_add_f32 v1, v1, v11 :: v_dual_add_f32 v11, v20, v13
	v_pk_add_f32 v[8:9], v[8:9], v[18:19] neg_lo:[0,1] neg_hi:[0,1]
	s_delay_alu instid0(VALU_DEP_1) | instskip(SKIP_1) | instid1(VALU_DEP_2)
	v_pk_add_f32 v[8:9], v[8:9], v[16:17] neg_lo:[0,1] neg_hi:[0,1]
	v_cvt_f32_i32_e32 v16, v5
	v_add_f32_e32 v1, v1, v9
	s_delay_alu instid0(VALU_DEP_1) | instskip(NEXT) | instid1(VALU_DEP_1)
	v_dual_add_f32 v1, v8, v1 :: v_dual_sub_f32 v8, v11, v20
	v_dual_sub_f32 v8, v13, v8 :: v_dual_add_f32 v1, v19, v1
	s_delay_alu instid0(VALU_DEP_1) | instskip(NEXT) | instid1(VALU_DEP_1)
	v_mul_f32_e32 v1, v7, v1
	v_dual_add_f32 v1, v8, v1 :: v_dual_mov_b32 v8, 0x3f317218
	s_delay_alu instid0(VALU_DEP_1) | instskip(NEXT) | instid1(VALU_DEP_1)
	v_add_f32_e32 v7, v11, v1
	v_mul_f32_e32 v9, v7, v7
	s_delay_alu instid0(VALU_DEP_1) | instskip(SKIP_1) | instid1(VALU_DEP_2)
	v_fmaak_f32 v13, s13, v9, 0x3ecc95a3
	v_mul_f32_e32 v17, v7, v9
	v_fmaak_f32 v9, v9, v13, 0x3f2aaada
	s_delay_alu instid0(VALU_DEP_1) | instskip(NEXT) | instid1(VALU_DEP_1)
	v_pk_mul_f32 v[8:9], v[16:17], v[8:9]
	v_fma_f32 v5, 0x3f317218, v16, -v8
	v_mov_b32_e32 v20, v8
	v_ldexp_f32 v17, v7, 1
	s_delay_alu instid0(VALU_DEP_3) | instskip(NEXT) | instid1(VALU_DEP_1)
	v_dual_fmamk_f32 v16, v16, 0xb102e308, v5 :: v_dual_sub_f32 v5, v7, v11
	v_pk_add_f32 v[18:19], v[8:9], v[16:17]
	s_delay_alu instid0(VALU_DEP_2) | instskip(NEXT) | instid1(VALU_DEP_2)
	v_sub_f32_e32 v1, v1, v5
	v_dual_sub_f32 v5, v19, v17 :: v_dual_mov_b32 v17, v18
	s_delay_alu instid0(VALU_DEP_2) | instskip(NEXT) | instid1(VALU_DEP_2)
	v_ldexp_f32 v1, v1, 1
	v_dual_mov_b32 v28, v19 :: v_dual_sub_f32 v5, v9, v5
	v_pk_add_f32 v[8:9], v[18:19], v[8:9] neg_lo:[0,1] neg_hi:[0,1]
	s_delay_alu instid0(VALU_DEP_2) | instskip(NEXT) | instid1(VALU_DEP_1)
	v_add_f32_e32 v21, v1, v5
	v_pk_add_f32 v[22:23], v[18:19], v[20:21]
	s_delay_alu instid0(VALU_DEP_1) | instskip(NEXT) | instid1(VALU_DEP_1)
	v_mov_b32_e32 v9, v23
	v_pk_add_f32 v[24:25], v[16:17], v[8:9]
	v_mov_b32_e32 v24, v23
	v_pk_add_f32 v[8:9], v[16:17], v[8:9] neg_lo:[0,1] neg_hi:[0,1]
	s_delay_alu instid0(VALU_DEP_3) | instskip(NEXT) | instid1(VALU_DEP_1)
	v_dual_mov_b32 v20, v25 :: v_dual_mov_b32 v9, v25
	v_pk_add_f32 v[26:27], v[20:21], v[18:19] neg_lo:[0,1] neg_hi:[0,1]
	v_dual_mov_b32 v19, v18 :: v_dual_mov_b32 v18, v21
	s_delay_alu instid0(VALU_DEP_2) | instskip(NEXT) | instid1(VALU_DEP_1)
	v_dual_mov_b32 v1, v26 :: v_dual_mov_b32 v29, v26
	v_pk_add_f32 v[22:23], v[22:23], v[0:1] neg_lo:[0,1] neg_hi:[0,1]
	s_delay_alu instid0(VALU_DEP_2) | instskip(SKIP_1) | instid1(VALU_DEP_2)
	v_pk_add_f32 v[16:17], v[24:25], v[28:29] neg_lo:[0,1] neg_hi:[0,1]
	v_mov_b32_e32 v22, v8
	v_pk_add_f32 v[16:17], v[18:19], v[16:17] neg_lo:[0,1] neg_hi:[0,1]
	s_delay_alu instid0(VALU_DEP_1) | instskip(NEXT) | instid1(VALU_DEP_1)
	v_pk_add_f32 v[18:19], v[22:23], v[16:17]
	v_mov_b32_e32 v22, v19
	s_delay_alu instid0(VALU_DEP_1) | instskip(NEXT) | instid1(VALU_DEP_1)
	v_pk_add_f32 v[22:23], v[18:19], v[22:23]
	v_pk_add_f32 v[20:21], v[20:21], v[22:23]
	s_delay_alu instid0(VALU_DEP_1) | instskip(NEXT) | instid1(VALU_DEP_1)
	v_mov_b32_e32 v19, v20
	v_pk_add_f32 v[24:25], v[18:19], v[8:9] neg_lo:[0,1] neg_hi:[0,1]
	s_delay_alu instid0(VALU_DEP_1) | instskip(NEXT) | instid1(VALU_DEP_1)
	v_sub_f32_e32 v1, v18, v24
	v_dual_mov_b32 v17, v22 :: v_dual_sub_f32 v1, v8, v1
	s_delay_alu instid0(VALU_DEP_1) | instskip(NEXT) | instid1(VALU_DEP_1)
	v_pk_add_f32 v[16:17], v[16:17], v[24:25] neg_lo:[0,1] neg_hi:[0,1]
	v_add_f32_e32 v1, v16, v1
	s_delay_alu instid0(VALU_DEP_1) | instskip(NEXT) | instid1(VALU_DEP_1)
	v_add_f32_e32 v1, v1, v17
	v_add_f32_e32 v1, v20, v1
	s_delay_alu instid0(VALU_DEP_1) | instskip(SKIP_1) | instid1(VALU_DEP_2)
	v_cndmask_b32_e32 v1, 0x7f800000, v1, vcc_lo
	v_cmp_gt_f32_e64 vcc_lo, 0x33800000, |v3|
	v_cndmask_b32_e32 v1, v1, v3, vcc_lo
	s_delay_alu instid0(VALU_DEP_1) | instskip(NEXT) | instid1(VALU_DEP_1)
	v_div_scale_f32 v3, null, s0, s0, v1
	v_rcp_f32_e32 v5, v3
	v_nop
	s_delay_alu instid0(TRANS32_DEP_1) | instskip(NEXT) | instid1(VALU_DEP_1)
	v_fma_f32 v7, -v3, v5, 1.0
	v_fmac_f32_e32 v5, v7, v5
	v_div_scale_f32 v7, vcc_lo, v1, s0, v1
	s_delay_alu instid0(VALU_DEP_1) | instskip(NEXT) | instid1(VALU_DEP_1)
	v_mul_f32_e32 v8, v7, v5
	v_fma_f32 v9, -v3, v8, v7
	s_delay_alu instid0(VALU_DEP_1) | instskip(NEXT) | instid1(VALU_DEP_1)
	v_fmac_f32_e32 v8, v9, v5
	v_fma_f32 v3, -v3, v8, v7
	s_delay_alu instid0(VALU_DEP_1) | instskip(NEXT) | instid1(VALU_DEP_1)
	v_div_fmas_f32 v3, v3, v5, v8
	v_div_fixup_f32 v8, v3, s0, v1
.LBB15_1292:
	s_or_b32 exec_lo, exec_lo, s12
	v_mov_b32_e32 v11, 0
	s_and_b32 s11, 0xffff, s11
	s_delay_alu instid0(SALU_CYCLE_1) | instskip(NEXT) | instid1(VALU_DEP_1)
	s_cmp_lt_i32 s11, 11
	v_add_nc_u64_e32 v[16:17], s[6:7], v[10:11]
	s_cbranch_scc1 .LBB15_1299
; %bb.1293:
	s_cmp_gt_i32 s11, 25
	s_mov_b32 s13, 0
	s_cbranch_scc0 .LBB15_1301
; %bb.1294:
	s_cmp_gt_i32 s11, 28
	s_cbranch_scc0 .LBB15_1302
; %bb.1295:
	s_cmp_gt_i32 s11, 43
	;; [unrolled: 3-line block ×3, first 2 shown]
	s_cbranch_scc0 .LBB15_1305
; %bb.1297:
	s_cmp_eq_u32 s11, 46
	s_mov_b32 s15, 0
	s_cbranch_scc0 .LBB15_1308
; %bb.1298:
	global_load_b32 v1, v[16:17], off
	s_mov_b32 s12, 0
	s_mov_b32 s14, -1
	s_wait_loadcnt 0x0
	v_lshlrev_b32_e32 v10, 16, v1
	s_branch .LBB15_1310
.LBB15_1299:
	s_mov_b32 s14, 0
                                        ; implicit-def: $vgpr10
	s_cbranch_execnz .LBB15_1375
.LBB15_1300:
	s_and_not1_b32 vcc_lo, exec_lo, s14
	s_cbranch_vccnz .LBB15_1767
	s_branch .LBB15_1422
.LBB15_1301:
	s_mov_b32 s14, 0
	s_mov_b32 s12, 0
                                        ; implicit-def: $vgpr10
	s_cbranch_execnz .LBB15_1339
	s_branch .LBB15_1371
.LBB15_1302:
	s_mov_b32 s15, -1
	s_mov_b32 s14, 0
	s_mov_b32 s12, 0
                                        ; implicit-def: $vgpr10
	s_branch .LBB15_1320
.LBB15_1303:
	s_mov_b32 s15, -1
	s_mov_b32 s14, 0
	s_mov_b32 s12, 0
                                        ; implicit-def: $vgpr10
	s_branch .LBB15_1315
.LBB15_1304:
	s_or_b32 s10, s8, exec_lo
	s_trap 2
	s_cbranch_execz .LBB15_1243
	s_branch .LBB15_1244
.LBB15_1305:
	s_mov_b32 s15, -1
	s_mov_b32 s14, 0
	s_mov_b32 s12, 0
	s_branch .LBB15_1309
.LBB15_1306:
	s_and_not1_saveexec_b32 s10, s10
	s_cbranch_execz .LBB15_1029
.LBB15_1307:
	v_add_f32_e64 v3, 0x42800000, |v2|
	s_and_not1_b32 s9, s9, exec_lo
	s_delay_alu instid0(VALU_DEP_1) | instskip(NEXT) | instid1(VALU_DEP_1)
	v_and_b32_e32 v3, 0xff, v3
	v_cmp_ne_u32_e32 vcc_lo, 0, v3
	s_and_b32 s11, vcc_lo, exec_lo
	s_delay_alu instid0(SALU_CYCLE_1)
	s_or_b32 s9, s9, s11
	s_or_b32 exec_lo, exec_lo, s10
	v_mov_b32_e32 v4, 0
	s_and_saveexec_b32 s10, s9
	s_cbranch_execnz .LBB15_1030
	s_branch .LBB15_1031
.LBB15_1308:
	s_mov_b32 s12, -1
	s_mov_b32 s14, 0
.LBB15_1309:
                                        ; implicit-def: $vgpr10
.LBB15_1310:
	s_and_b32 vcc_lo, exec_lo, s15
	s_cbranch_vccz .LBB15_1314
; %bb.1311:
	s_cmp_eq_u32 s11, 44
	s_cbranch_scc0 .LBB15_1313
; %bb.1312:
	global_load_u8 v1, v[16:17], off
	s_mov_b32 s12, 0
	s_mov_b32 s14, -1
	s_wait_loadcnt 0x0
	v_lshlrev_b32_e32 v3, 23, v1
	v_cmp_ne_u32_e32 vcc_lo, 0xff, v1
	s_delay_alu instid0(VALU_DEP_2) | instskip(SKIP_1) | instid1(VALU_DEP_2)
	v_cndmask_b32_e32 v3, 0x7f800001, v3, vcc_lo
	v_cmp_ne_u32_e32 vcc_lo, 0, v1
	v_cndmask_b32_e32 v10, 0x400000, v3, vcc_lo
	s_branch .LBB15_1314
.LBB15_1313:
	s_mov_b32 s12, -1
                                        ; implicit-def: $vgpr10
.LBB15_1314:
	s_mov_b32 s15, 0
.LBB15_1315:
	s_delay_alu instid0(SALU_CYCLE_1)
	s_and_b32 vcc_lo, exec_lo, s15
	s_cbranch_vccz .LBB15_1319
; %bb.1316:
	s_cmp_eq_u32 s11, 29
	s_cbranch_scc0 .LBB15_1318
; %bb.1317:
	global_load_b64 v[10:11], v[16:17], off
	s_mov_b32 s12, 0
	s_mov_b32 s14, -1
	s_mov_b32 s15, 0
	s_wait_loadcnt 0x0
	v_clz_i32_u32_e32 v1, v11
	s_delay_alu instid0(VALU_DEP_1) | instskip(NEXT) | instid1(VALU_DEP_1)
	v_min_u32_e32 v1, 32, v1
	v_lshlrev_b64_e32 v[10:11], v1, v[10:11]
	v_sub_nc_u32_e32 v1, 32, v1
	s_delay_alu instid0(VALU_DEP_2) | instskip(NEXT) | instid1(VALU_DEP_1)
	v_min_u32_e32 v3, 1, v10
	v_or_b32_e32 v3, v11, v3
	s_delay_alu instid0(VALU_DEP_1) | instskip(NEXT) | instid1(VALU_DEP_1)
	v_cvt_f32_u32_e32 v3, v3
	v_ldexp_f32 v10, v3, v1
	s_branch .LBB15_1320
.LBB15_1318:
	s_mov_b32 s12, -1
                                        ; implicit-def: $vgpr10
.LBB15_1319:
	s_mov_b32 s15, 0
.LBB15_1320:
	s_delay_alu instid0(SALU_CYCLE_1)
	s_and_b32 vcc_lo, exec_lo, s15
	s_cbranch_vccz .LBB15_1338
; %bb.1321:
	s_cmp_lt_i32 s11, 27
	s_cbranch_scc1 .LBB15_1324
; %bb.1322:
	s_cmp_gt_i32 s11, 27
	s_cbranch_scc0 .LBB15_1325
; %bb.1323:
	global_load_b32 v1, v[16:17], off
	s_mov_b32 s14, 0
	s_wait_loadcnt 0x0
	v_cvt_f32_u32_e32 v10, v1
	s_branch .LBB15_1326
.LBB15_1324:
	s_mov_b32 s14, -1
                                        ; implicit-def: $vgpr10
	s_branch .LBB15_1329
.LBB15_1325:
	s_mov_b32 s14, -1
                                        ; implicit-def: $vgpr10
.LBB15_1326:
	s_delay_alu instid0(SALU_CYCLE_1)
	s_and_not1_b32 vcc_lo, exec_lo, s14
	s_cbranch_vccnz .LBB15_1328
; %bb.1327:
	global_load_u16 v1, v[16:17], off
	s_wait_loadcnt 0x0
	v_cvt_f32_u32_e32 v10, v1
.LBB15_1328:
	s_mov_b32 s14, 0
.LBB15_1329:
	s_delay_alu instid0(SALU_CYCLE_1)
	s_and_not1_b32 vcc_lo, exec_lo, s14
	s_cbranch_vccnz .LBB15_1337
; %bb.1330:
	global_load_u8 v1, v[16:17], off
	s_mov_b32 s14, 0
	s_mov_b32 s15, exec_lo
	s_wait_loadcnt 0x0
	v_cmpx_lt_i16_e32 0x7f, v1
	s_xor_b32 s15, exec_lo, s15
	s_cbranch_execz .LBB15_1350
; %bb.1331:
	s_mov_b32 s14, -1
	s_mov_b32 s16, exec_lo
	v_cmpx_eq_u16_e32 0x80, v1
; %bb.1332:
	s_xor_b32 s14, exec_lo, -1
; %bb.1333:
	s_or_b32 exec_lo, exec_lo, s16
	s_delay_alu instid0(SALU_CYCLE_1)
	s_and_b32 s14, s14, exec_lo
	s_or_saveexec_b32 s15, s15
	v_mov_b32_e32 v10, 0x7f800001
	s_xor_b32 exec_lo, exec_lo, s15
	s_cbranch_execnz .LBB15_1351
.LBB15_1334:
	s_or_b32 exec_lo, exec_lo, s15
	s_and_saveexec_b32 s15, s14
	s_cbranch_execz .LBB15_1336
.LBB15_1335:
	v_and_b32_e32 v3, 0xffff, v1
	s_delay_alu instid0(VALU_DEP_1) | instskip(SKIP_1) | instid1(VALU_DEP_2)
	v_dual_lshlrev_b32 v1, 24, v1 :: v_dual_bitop2_b32 v5, 7, v3 bitop3:0x40
	v_bfe_u32 v10, v3, 3, 4
	v_and_b32_e32 v1, 0x80000000, v1
	s_delay_alu instid0(VALU_DEP_3) | instskip(NEXT) | instid1(VALU_DEP_3)
	v_clz_i32_u32_e32 v7, v5
	v_cmp_eq_u32_e32 vcc_lo, 0, v10
	s_delay_alu instid0(VALU_DEP_2) | instskip(NEXT) | instid1(VALU_DEP_1)
	v_min_u32_e32 v7, 32, v7
	v_subrev_nc_u32_e32 v9, 28, v7
	v_sub_nc_u32_e32 v7, 29, v7
	s_delay_alu instid0(VALU_DEP_2) | instskip(NEXT) | instid1(VALU_DEP_2)
	v_lshlrev_b32_e32 v3, v9, v3
	v_cndmask_b32_e32 v7, v10, v7, vcc_lo
	s_delay_alu instid0(VALU_DEP_2) | instskip(NEXT) | instid1(VALU_DEP_1)
	v_and_b32_e32 v3, 7, v3
	v_cndmask_b32_e32 v3, v5, v3, vcc_lo
	s_delay_alu instid0(VALU_DEP_3) | instskip(NEXT) | instid1(VALU_DEP_2)
	v_lshl_add_u32 v5, v7, 23, 0x3b800000
	v_lshlrev_b32_e32 v3, 20, v3
	s_delay_alu instid0(VALU_DEP_1)
	v_or3_b32 v10, v1, v5, v3
.LBB15_1336:
	s_or_b32 exec_lo, exec_lo, s15
.LBB15_1337:
	s_mov_b32 s14, -1
.LBB15_1338:
	s_branch .LBB15_1371
.LBB15_1339:
	s_cmp_gt_i32 s11, 22
	s_cbranch_scc0 .LBB15_1349
; %bb.1340:
	s_cmp_lt_i32 s11, 24
	s_cbranch_scc1 .LBB15_1352
; %bb.1341:
	s_cmp_gt_i32 s11, 24
	s_cbranch_scc0 .LBB15_1353
; %bb.1342:
	global_load_u8 v1, v[16:17], off
	s_mov_b32 s14, exec_lo
	s_wait_loadcnt 0x0
	v_cmpx_lt_i16_e32 0x7f, v1
	s_xor_b32 s14, exec_lo, s14
	s_cbranch_execz .LBB15_1365
; %bb.1343:
	s_mov_b32 s13, -1
	s_mov_b32 s15, exec_lo
	v_cmpx_eq_u16_e32 0x80, v1
; %bb.1344:
	s_xor_b32 s13, exec_lo, -1
; %bb.1345:
	s_or_b32 exec_lo, exec_lo, s15
	s_delay_alu instid0(SALU_CYCLE_1)
	s_and_b32 s13, s13, exec_lo
	s_or_saveexec_b32 s14, s14
	v_mov_b32_e32 v10, 0x7f800001
	s_xor_b32 exec_lo, exec_lo, s14
	s_cbranch_execnz .LBB15_1366
.LBB15_1346:
	s_or_b32 exec_lo, exec_lo, s14
	s_and_saveexec_b32 s14, s13
	s_cbranch_execz .LBB15_1348
.LBB15_1347:
	v_and_b32_e32 v3, 0xffff, v1
	s_delay_alu instid0(VALU_DEP_1) | instskip(SKIP_1) | instid1(VALU_DEP_2)
	v_dual_lshlrev_b32 v1, 24, v1 :: v_dual_bitop2_b32 v5, 3, v3 bitop3:0x40
	v_bfe_u32 v10, v3, 2, 5
	v_and_b32_e32 v1, 0x80000000, v1
	s_delay_alu instid0(VALU_DEP_3) | instskip(NEXT) | instid1(VALU_DEP_3)
	v_clz_i32_u32_e32 v7, v5
	v_cmp_eq_u32_e32 vcc_lo, 0, v10
	s_delay_alu instid0(VALU_DEP_2) | instskip(NEXT) | instid1(VALU_DEP_1)
	v_min_u32_e32 v7, 32, v7
	v_subrev_nc_u32_e32 v9, 29, v7
	v_sub_nc_u32_e32 v7, 30, v7
	s_delay_alu instid0(VALU_DEP_2) | instskip(NEXT) | instid1(VALU_DEP_2)
	v_lshlrev_b32_e32 v3, v9, v3
	v_cndmask_b32_e32 v7, v10, v7, vcc_lo
	s_delay_alu instid0(VALU_DEP_2) | instskip(NEXT) | instid1(VALU_DEP_1)
	v_and_b32_e32 v3, 3, v3
	v_cndmask_b32_e32 v3, v5, v3, vcc_lo
	s_delay_alu instid0(VALU_DEP_3) | instskip(NEXT) | instid1(VALU_DEP_2)
	v_lshl_add_u32 v5, v7, 23, 0x37800000
	v_lshlrev_b32_e32 v3, 21, v3
	s_delay_alu instid0(VALU_DEP_1)
	v_or3_b32 v10, v1, v5, v3
.LBB15_1348:
	s_or_b32 exec_lo, exec_lo, s14
	s_mov_b32 s13, 0
	s_branch .LBB15_1354
.LBB15_1349:
	s_mov_b32 s13, -1
                                        ; implicit-def: $vgpr10
	s_branch .LBB15_1360
.LBB15_1350:
	s_or_saveexec_b32 s15, s15
	v_mov_b32_e32 v10, 0x7f800001
	s_xor_b32 exec_lo, exec_lo, s15
	s_cbranch_execz .LBB15_1334
.LBB15_1351:
	v_cmp_ne_u16_e32 vcc_lo, 0, v1
	v_mov_b32_e32 v10, 0
	s_and_not1_b32 s14, s14, exec_lo
	s_and_b32 s16, vcc_lo, exec_lo
	s_delay_alu instid0(SALU_CYCLE_1)
	s_or_b32 s14, s14, s16
	s_or_b32 exec_lo, exec_lo, s15
	s_and_saveexec_b32 s15, s14
	s_cbranch_execnz .LBB15_1335
	s_branch .LBB15_1336
.LBB15_1352:
	s_mov_b32 s13, -1
                                        ; implicit-def: $vgpr10
	s_branch .LBB15_1357
.LBB15_1353:
	s_mov_b32 s13, -1
                                        ; implicit-def: $vgpr10
.LBB15_1354:
	s_delay_alu instid0(SALU_CYCLE_1)
	s_and_b32 vcc_lo, exec_lo, s13
	s_cbranch_vccz .LBB15_1356
; %bb.1355:
	global_load_u8 v1, v[16:17], off
	s_wait_loadcnt 0x0
	v_lshlrev_b32_e32 v1, 24, v1
	s_delay_alu instid0(VALU_DEP_1) | instskip(NEXT) | instid1(VALU_DEP_1)
	v_and_b32_e32 v3, 0x7f000000, v1
	v_clz_i32_u32_e32 v5, v3
	v_add_nc_u32_e32 v9, 0x1000000, v3
	v_cmp_ne_u32_e32 vcc_lo, 0, v3
	s_delay_alu instid0(VALU_DEP_3) | instskip(NEXT) | instid1(VALU_DEP_1)
	v_min_u32_e32 v5, 32, v5
	v_sub_nc_u32_e64 v5, v5, 4 clamp
	s_delay_alu instid0(VALU_DEP_1) | instskip(NEXT) | instid1(VALU_DEP_1)
	v_dual_lshlrev_b32 v7, v5, v3 :: v_dual_lshlrev_b32 v5, 23, v5
	v_lshrrev_b32_e32 v7, 4, v7
	s_delay_alu instid0(VALU_DEP_1) | instskip(SKIP_1) | instid1(VALU_DEP_2)
	v_sub_nc_u32_e32 v5, v7, v5
	v_ashrrev_i32_e32 v7, 8, v9
	v_add_nc_u32_e32 v5, 0x3c000000, v5
	s_delay_alu instid0(VALU_DEP_1) | instskip(NEXT) | instid1(VALU_DEP_1)
	v_and_or_b32 v5, 0x7f800000, v7, v5
	v_cndmask_b32_e32 v3, 0, v5, vcc_lo
	s_delay_alu instid0(VALU_DEP_1)
	v_and_or_b32 v10, 0x80000000, v1, v3
.LBB15_1356:
	s_mov_b32 s13, 0
.LBB15_1357:
	s_delay_alu instid0(SALU_CYCLE_1)
	s_and_not1_b32 vcc_lo, exec_lo, s13
	s_cbranch_vccnz .LBB15_1359
; %bb.1358:
	global_load_u8 v1, v[16:17], off
	s_wait_loadcnt 0x0
	v_lshlrev_b32_e32 v3, 25, v1
	v_lshlrev_b16 v1, 8, v1
	s_delay_alu instid0(VALU_DEP_1) | instskip(SKIP_1) | instid1(VALU_DEP_2)
	v_and_or_b32 v7, 0x7f00, v1, 0.5
	v_bfe_i32 v1, v1, 0, 16
	v_add_f32_e32 v7, -0.5, v7
	v_lshrrev_b32_e32 v5, 4, v3
	v_cmp_gt_u32_e32 vcc_lo, 0x8000000, v3
	s_delay_alu instid0(VALU_DEP_2) | instskip(NEXT) | instid1(VALU_DEP_1)
	v_or_b32_e32 v5, 0x70000000, v5
	v_mul_f32_e32 v5, 0x7800000, v5
	s_delay_alu instid0(VALU_DEP_1) | instskip(NEXT) | instid1(VALU_DEP_1)
	v_cndmask_b32_e32 v3, v5, v7, vcc_lo
	v_and_or_b32 v10, 0x80000000, v1, v3
.LBB15_1359:
	s_mov_b32 s13, 0
	s_mov_b32 s14, -1
.LBB15_1360:
	s_and_not1_b32 vcc_lo, exec_lo, s13
	s_mov_b32 s13, 0
	s_cbranch_vccnz .LBB15_1371
; %bb.1361:
	s_cmp_gt_i32 s11, 14
	s_cbranch_scc0 .LBB15_1364
; %bb.1362:
	s_cmp_eq_u32 s11, 15
	s_cbranch_scc0 .LBB15_1367
; %bb.1363:
	global_load_u16 v1, v[16:17], off
	s_mov_b32 s12, 0
	s_mov_b32 s14, -1
	s_wait_loadcnt 0x0
	v_lshlrev_b32_e32 v10, 16, v1
	s_branch .LBB15_1369
.LBB15_1364:
	s_mov_b32 s13, -1
	s_branch .LBB15_1368
.LBB15_1365:
	s_or_saveexec_b32 s14, s14
	v_mov_b32_e32 v10, 0x7f800001
	s_xor_b32 exec_lo, exec_lo, s14
	s_cbranch_execz .LBB15_1346
.LBB15_1366:
	v_cmp_ne_u16_e32 vcc_lo, 0, v1
	v_mov_b32_e32 v10, 0
	s_and_not1_b32 s13, s13, exec_lo
	s_and_b32 s15, vcc_lo, exec_lo
	s_delay_alu instid0(SALU_CYCLE_1)
	s_or_b32 s13, s13, s15
	s_or_b32 exec_lo, exec_lo, s14
	s_and_saveexec_b32 s14, s13
	s_cbranch_execnz .LBB15_1347
	s_branch .LBB15_1348
.LBB15_1367:
	s_mov_b32 s12, -1
.LBB15_1368:
                                        ; implicit-def: $vgpr10
.LBB15_1369:
	s_and_b32 vcc_lo, exec_lo, s13
	s_mov_b32 s13, 0
	s_cbranch_vccz .LBB15_1371
; %bb.1370:
	s_cmp_lg_u32 s11, 11
	s_mov_b32 s13, -1
	s_cselect_b32 s12, -1, 0
.LBB15_1371:
	s_delay_alu instid0(SALU_CYCLE_1)
	s_and_b32 vcc_lo, exec_lo, s12
	s_cbranch_vccnz .LBB15_1436
; %bb.1372:
	s_and_not1_b32 vcc_lo, exec_lo, s13
	s_cbranch_vccnz .LBB15_1374
.LBB15_1373:
	global_load_u8 v1, v[16:17], off
	s_mov_b32 s14, -1
	s_wait_loadcnt 0x0
	v_cmp_ne_u16_e32 vcc_lo, 0, v1
	v_cndmask_b32_e64 v10, 0, 1.0, vcc_lo
.LBB15_1374:
	s_branch .LBB15_1300
.LBB15_1375:
	s_cmp_lt_i32 s11, 5
	s_cbranch_scc1 .LBB15_1380
; %bb.1376:
	s_cmp_lt_i32 s11, 8
	s_cbranch_scc1 .LBB15_1381
; %bb.1377:
	;; [unrolled: 3-line block ×3, first 2 shown]
	s_cmp_gt_i32 s11, 9
	s_cbranch_scc0 .LBB15_1383
; %bb.1379:
	global_load_b64 v[10:11], v[16:17], off
	s_mov_b32 s12, 0
	s_wait_loadcnt 0x0
	v_cvt_f32_f64_e32 v10, v[10:11]
	s_branch .LBB15_1384
.LBB15_1380:
                                        ; implicit-def: $vgpr10
	s_branch .LBB15_1402
.LBB15_1381:
	s_mov_b32 s12, -1
                                        ; implicit-def: $vgpr10
	s_branch .LBB15_1390
.LBB15_1382:
	s_mov_b32 s12, -1
                                        ; implicit-def: $vgpr10
	s_branch .LBB15_1387
.LBB15_1383:
	s_mov_b32 s12, -1
                                        ; implicit-def: $vgpr10
.LBB15_1384:
	s_delay_alu instid0(SALU_CYCLE_1)
	s_and_not1_b32 vcc_lo, exec_lo, s12
	s_cbranch_vccnz .LBB15_1386
; %bb.1385:
	global_load_b32 v10, v[16:17], off
.LBB15_1386:
	s_mov_b32 s12, 0
.LBB15_1387:
	s_delay_alu instid0(SALU_CYCLE_1)
	s_and_not1_b32 vcc_lo, exec_lo, s12
	s_cbranch_vccnz .LBB15_1389
; %bb.1388:
	global_load_b32 v1, v[16:17], off
	s_wait_loadcnt 0x0
	v_cvt_f32_f16_e32 v10, v1
.LBB15_1389:
	s_mov_b32 s12, 0
.LBB15_1390:
	s_delay_alu instid0(SALU_CYCLE_1)
	s_and_not1_b32 vcc_lo, exec_lo, s12
	s_cbranch_vccnz .LBB15_1401
; %bb.1391:
	s_cmp_lt_i32 s11, 6
	s_cbranch_scc1 .LBB15_1394
; %bb.1392:
	s_cmp_gt_i32 s11, 6
	s_cbranch_scc0 .LBB15_1395
; %bb.1393:
	s_wait_loadcnt 0x0
	global_load_b64 v[10:11], v[16:17], off
	s_mov_b32 s12, 0
	s_wait_loadcnt 0x0
	v_cvt_f32_f64_e32 v10, v[10:11]
	s_branch .LBB15_1396
.LBB15_1394:
	s_mov_b32 s12, -1
                                        ; implicit-def: $vgpr10
	s_branch .LBB15_1399
.LBB15_1395:
	s_mov_b32 s12, -1
                                        ; implicit-def: $vgpr10
.LBB15_1396:
	s_delay_alu instid0(SALU_CYCLE_1)
	s_and_not1_b32 vcc_lo, exec_lo, s12
	s_cbranch_vccnz .LBB15_1398
; %bb.1397:
	s_wait_loadcnt 0x0
	global_load_b32 v10, v[16:17], off
.LBB15_1398:
	s_mov_b32 s12, 0
.LBB15_1399:
	s_delay_alu instid0(SALU_CYCLE_1)
	s_and_not1_b32 vcc_lo, exec_lo, s12
	s_cbranch_vccnz .LBB15_1401
; %bb.1400:
	global_load_u16 v1, v[16:17], off
	s_wait_loadcnt 0x0
	v_cvt_f32_f16_e32 v10, v1
.LBB15_1401:
	s_cbranch_execnz .LBB15_1421
.LBB15_1402:
	s_cmp_lt_i32 s11, 2
	s_cbranch_scc1 .LBB15_1406
; %bb.1403:
	s_cmp_lt_i32 s11, 3
	s_cbranch_scc1 .LBB15_1407
; %bb.1404:
	s_cmp_gt_i32 s11, 3
	s_cbranch_scc0 .LBB15_1408
; %bb.1405:
	s_wait_loadcnt 0x0
	global_load_b64 v[10:11], v[16:17], off
	s_mov_b32 s12, 0
	s_wait_loadcnt 0x0
	v_xor_b32_e32 v1, v10, v11
	v_cls_i32_e32 v3, v11
	s_delay_alu instid0(VALU_DEP_2) | instskip(NEXT) | instid1(VALU_DEP_1)
	v_ashrrev_i32_e32 v1, 31, v1
	v_add_nc_u32_e32 v1, 32, v1
	s_delay_alu instid0(VALU_DEP_1) | instskip(NEXT) | instid1(VALU_DEP_1)
	v_add_min_u32_e64 v1, v3, -1, v1
	v_lshlrev_b64_e32 v[10:11], v1, v[10:11]
	v_sub_nc_u32_e32 v1, 32, v1
	s_delay_alu instid0(VALU_DEP_2) | instskip(NEXT) | instid1(VALU_DEP_1)
	v_min_u32_e32 v3, 1, v10
	v_or_b32_e32 v3, v11, v3
	s_delay_alu instid0(VALU_DEP_1) | instskip(NEXT) | instid1(VALU_DEP_1)
	v_cvt_f32_i32_e32 v3, v3
	v_ldexp_f32 v10, v3, v1
	s_branch .LBB15_1409
.LBB15_1406:
	s_mov_b32 s12, -1
                                        ; implicit-def: $vgpr10
	s_branch .LBB15_1415
.LBB15_1407:
	s_mov_b32 s12, -1
                                        ; implicit-def: $vgpr10
	s_branch .LBB15_1412
.LBB15_1408:
	s_mov_b32 s12, -1
                                        ; implicit-def: $vgpr10
.LBB15_1409:
	s_delay_alu instid0(SALU_CYCLE_1)
	s_and_not1_b32 vcc_lo, exec_lo, s12
	s_cbranch_vccnz .LBB15_1411
; %bb.1410:
	global_load_b32 v1, v[16:17], off
	s_wait_loadcnt 0x0
	v_cvt_f32_i32_e32 v10, v1
.LBB15_1411:
	s_mov_b32 s12, 0
.LBB15_1412:
	s_delay_alu instid0(SALU_CYCLE_1)
	s_and_not1_b32 vcc_lo, exec_lo, s12
	s_cbranch_vccnz .LBB15_1414
; %bb.1413:
	global_load_i16 v1, v[16:17], off
	s_wait_loadcnt 0x0
	v_cvt_f32_i32_e32 v10, v1
.LBB15_1414:
	s_mov_b32 s12, 0
.LBB15_1415:
	s_delay_alu instid0(SALU_CYCLE_1)
	s_and_not1_b32 vcc_lo, exec_lo, s12
	s_cbranch_vccnz .LBB15_1421
; %bb.1416:
	s_cmp_gt_i32 s11, 0
	s_mov_b32 s12, 0
	s_cbranch_scc0 .LBB15_1418
; %bb.1417:
	global_load_i8 v1, v[16:17], off
	s_wait_loadcnt 0x0
	v_cvt_f32_i32_e32 v10, v1
	s_branch .LBB15_1419
.LBB15_1418:
	s_mov_b32 s12, -1
                                        ; implicit-def: $vgpr10
.LBB15_1419:
	s_delay_alu instid0(SALU_CYCLE_1)
	s_and_not1_b32 vcc_lo, exec_lo, s12
	s_cbranch_vccnz .LBB15_1421
; %bb.1420:
	global_load_u8 v1, v[16:17], off
	s_wait_loadcnt 0x0
	v_cvt_f32_ubyte0_e32 v10, v1
.LBB15_1421:
.LBB15_1422:
	s_wait_loadcnt 0x0
	s_delay_alu instid0(VALU_DEP_1) | instskip(SKIP_2) | instid1(VALU_DEP_1)
	v_mul_f32_e32 v1, s0, v10
	s_mov_b32 s12, exec_lo
	s_wait_xcnt 0x0
	v_cmpx_nlt_f32_e32 s1, v1
	s_cbranch_execz .LBB15_1424
; %bb.1423:
	v_mul_f32_e32 v3, 0x3fb8aa3b, v1
	v_cmp_ngt_f32_e32 vcc_lo, 0xc2ce8ed0, v1
	s_mov_b32 s13, 0x3e9b6dac
	s_delay_alu instid0(VALU_DEP_2) | instskip(SKIP_1) | instid1(VALU_DEP_2)
	v_rndne_f32_e32 v5, v3
	v_fma_f32 v7, 0x3fb8aa3b, v1, -v3
	v_sub_f32_e32 v3, v3, v5
	s_delay_alu instid0(VALU_DEP_2) | instskip(SKIP_1) | instid1(VALU_DEP_2)
	v_fmamk_f32 v7, v1, 0x32a5705f, v7
	v_cvt_i32_f32_e32 v5, v5
	v_add_f32_e32 v3, v3, v7
	s_delay_alu instid0(VALU_DEP_1) | instskip(SKIP_1) | instid1(TRANS32_DEP_1)
	v_exp_f32_e32 v3, v3
	v_nop
	v_ldexp_f32 v3, v3, v5
	s_delay_alu instid0(VALU_DEP_1) | instskip(SKIP_1) | instid1(VALU_DEP_2)
	v_cndmask_b32_e32 v3, 0, v3, vcc_lo
	v_cmp_nlt_f32_e32 vcc_lo, 0x42b17218, v1
	v_cndmask_b32_e32 v3, 0x7f800000, v3, vcc_lo
	s_delay_alu instid0(VALU_DEP_1) | instskip(NEXT) | instid1(VALU_DEP_1)
	v_add_f32_e32 v1, 1.0, v3
	v_cvt_f64_f32_e32 v[10:11], v1
	v_frexp_mant_f32_e32 v7, v1
	s_delay_alu instid0(VALU_DEP_1) | instskip(SKIP_1) | instid1(VALU_DEP_4)
	v_cmp_gt_f32_e32 vcc_lo, 0x3f2aaaab, v7
	v_add_f32_e32 v7, -1.0, v1
	v_frexp_exp_i32_f64_e32 v5, v[10:11]
	s_delay_alu instid0(VALU_DEP_2) | instskip(NEXT) | instid1(VALU_DEP_1)
	v_sub_f32_e32 v10, v7, v1
	v_dual_sub_f32 v7, v3, v7 :: v_dual_add_f32 v10, 1.0, v10
	s_delay_alu instid0(VALU_DEP_1) | instskip(NEXT) | instid1(VALU_DEP_4)
	v_add_f32_e32 v7, v7, v10
	v_subrev_co_ci_u32_e64 v5, null, 0, v5, vcc_lo
	s_delay_alu instid0(VALU_DEP_1) | instskip(NEXT) | instid1(VALU_DEP_1)
	v_sub_nc_u32_e32 v9, 0, v5
	v_ldexp_f32 v1, v1, v9
	s_delay_alu instid0(VALU_DEP_4) | instskip(NEXT) | instid1(VALU_DEP_2)
	v_ldexp_f32 v7, v7, v9
	v_dual_add_f32 v13, 1.0, v1 :: v_dual_add_f32 v15, -1.0, v1
	s_delay_alu instid0(VALU_DEP_1) | instskip(SKIP_1) | instid1(VALU_DEP_2)
	v_add_f32_e32 v10, -1.0, v13
	v_cmp_neq_f32_e32 vcc_lo, 0x7f800000, v3
	v_dual_sub_f32 v9, v1, v10 :: v_dual_add_f32 v10, 1.0, v15
	s_delay_alu instid0(VALU_DEP_1) | instskip(NEXT) | instid1(VALU_DEP_1)
	v_dual_add_f32 v9, v7, v9 :: v_dual_sub_f32 v1, v1, v10
	v_add_f32_e32 v1, v7, v1
	s_delay_alu instid0(VALU_DEP_1) | instskip(NEXT) | instid1(VALU_DEP_3)
	v_add_f32_e32 v11, v15, v1
	v_add_f32_e32 v20, v13, v9
	s_delay_alu instid0(VALU_DEP_1) | instskip(SKIP_1) | instid1(TRANS32_DEP_1)
	v_rcp_f32_e32 v7, v20
	v_nop
	v_dual_mul_f32 v21, v11, v7 :: v_dual_sub_f32 v10, v13, v20
	s_delay_alu instid0(VALU_DEP_1) | instskip(NEXT) | instid1(VALU_DEP_1)
	v_dual_add_f32 v9, v9, v10 :: v_dual_mul_f32 v16, v20, v21
	v_dual_sub_f32 v13, v15, v11 :: v_dual_fma_f32 v18, v21, v20, -v16
	s_delay_alu instid0(VALU_DEP_1) | instskip(NEXT) | instid1(VALU_DEP_2)
	v_add_f32_e32 v1, v1, v13
	v_fmac_f32_e32 v18, v21, v9
	s_delay_alu instid0(VALU_DEP_1) | instskip(NEXT) | instid1(VALU_DEP_1)
	v_add_f32_e32 v10, v16, v18
	v_dual_sub_f32 v17, v11, v10 :: v_dual_mov_b32 v19, v10
	s_delay_alu instid0(VALU_DEP_1) | instskip(NEXT) | instid1(VALU_DEP_1)
	v_pk_add_f32 v[10:11], v[10:11], v[16:17] neg_lo:[0,1] neg_hi:[0,1]
	v_pk_add_f32 v[10:11], v[10:11], v[18:19] neg_lo:[0,1] neg_hi:[0,1]
	s_delay_alu instid0(VALU_DEP_1) | instskip(NEXT) | instid1(VALU_DEP_1)
	v_add_f32_e32 v1, v1, v11
	v_add_f32_e32 v1, v10, v1
	s_delay_alu instid0(VALU_DEP_1) | instskip(NEXT) | instid1(VALU_DEP_1)
	v_add_f32_e32 v11, v17, v1
	v_mul_f32_e32 v13, v7, v11
	s_delay_alu instid0(VALU_DEP_1) | instskip(NEXT) | instid1(VALU_DEP_1)
	v_mul_f32_e32 v18, v20, v13
	v_fma_f32 v16, v13, v20, -v18
	s_delay_alu instid0(VALU_DEP_1) | instskip(NEXT) | instid1(VALU_DEP_1)
	v_fmac_f32_e32 v16, v13, v9
	v_dual_add_f32 v10, v18, v16 :: v_dual_sub_f32 v9, v17, v11
	s_delay_alu instid0(VALU_DEP_1) | instskip(NEXT) | instid1(VALU_DEP_2)
	v_dual_sub_f32 v19, v11, v10 :: v_dual_mov_b32 v17, v10
	v_add_f32_e32 v1, v1, v9
	v_add_f32_e32 v9, v21, v13
	s_delay_alu instid0(VALU_DEP_3) | instskip(NEXT) | instid1(VALU_DEP_1)
	v_pk_add_f32 v[10:11], v[10:11], v[18:19] neg_lo:[0,1] neg_hi:[0,1]
	v_pk_add_f32 v[10:11], v[10:11], v[16:17] neg_lo:[0,1] neg_hi:[0,1]
	v_cvt_f32_i32_e32 v16, v5
	s_delay_alu instid0(VALU_DEP_2) | instskip(NEXT) | instid1(VALU_DEP_1)
	v_add_f32_e32 v1, v1, v11
	v_add_f32_e32 v1, v10, v1
	v_sub_f32_e32 v10, v9, v21
	s_delay_alu instid0(VALU_DEP_1) | instskip(NEXT) | instid1(VALU_DEP_1)
	v_dual_add_f32 v1, v19, v1 :: v_dual_sub_f32 v10, v13, v10
	v_mul_f32_e32 v1, v7, v1
	s_delay_alu instid0(VALU_DEP_1) | instskip(NEXT) | instid1(VALU_DEP_1)
	v_dual_add_f32 v1, v10, v1 :: v_dual_mov_b32 v10, 0x3f317218
	v_add_f32_e32 v7, v9, v1
	s_delay_alu instid0(VALU_DEP_1) | instskip(NEXT) | instid1(VALU_DEP_1)
	v_mul_f32_e32 v11, v7, v7
	v_fmaak_f32 v13, s13, v11, 0x3ecc95a3
	v_mul_f32_e32 v17, v7, v11
	s_delay_alu instid0(VALU_DEP_2) | instskip(NEXT) | instid1(VALU_DEP_1)
	v_fmaak_f32 v11, v11, v13, 0x3f2aaada
	v_pk_mul_f32 v[10:11], v[16:17], v[10:11]
	v_ldexp_f32 v17, v7, 1
	s_delay_alu instid0(VALU_DEP_2) | instskip(SKIP_1) | instid1(VALU_DEP_2)
	v_fma_f32 v5, 0x3f317218, v16, -v10
	v_mov_b32_e32 v20, v10
	v_dual_fmamk_f32 v16, v16, 0xb102e308, v5 :: v_dual_sub_f32 v5, v7, v9
	s_delay_alu instid0(VALU_DEP_1) | instskip(NEXT) | instid1(VALU_DEP_2)
	v_pk_add_f32 v[18:19], v[10:11], v[16:17]
	v_sub_f32_e32 v1, v1, v5
	s_delay_alu instid0(VALU_DEP_2) | instskip(NEXT) | instid1(VALU_DEP_1)
	v_dual_sub_f32 v5, v19, v17 :: v_dual_mov_b32 v28, v19
	v_dual_mov_b32 v17, v18 :: v_dual_sub_f32 v5, v11, v5
	s_delay_alu instid0(VALU_DEP_3) | instskip(SKIP_1) | instid1(VALU_DEP_2)
	v_ldexp_f32 v1, v1, 1
	v_pk_add_f32 v[10:11], v[18:19], v[10:11] neg_lo:[0,1] neg_hi:[0,1]
	v_add_f32_e32 v21, v1, v5
	s_delay_alu instid0(VALU_DEP_1) | instskip(NEXT) | instid1(VALU_DEP_1)
	v_pk_add_f32 v[22:23], v[18:19], v[20:21]
	v_mov_b32_e32 v11, v23
	s_delay_alu instid0(VALU_DEP_1) | instskip(SKIP_2) | instid1(VALU_DEP_3)
	v_pk_add_f32 v[24:25], v[16:17], v[10:11]
	v_mov_b32_e32 v24, v23
	v_pk_add_f32 v[10:11], v[16:17], v[10:11] neg_lo:[0,1] neg_hi:[0,1]
	v_dual_mov_b32 v20, v25 :: v_dual_mov_b32 v11, v25
	s_delay_alu instid0(VALU_DEP_1) | instskip(SKIP_1) | instid1(VALU_DEP_2)
	v_pk_add_f32 v[26:27], v[20:21], v[18:19] neg_lo:[0,1] neg_hi:[0,1]
	v_dual_mov_b32 v19, v18 :: v_dual_mov_b32 v18, v21
	v_dual_mov_b32 v1, v26 :: v_dual_mov_b32 v29, v26
	s_delay_alu instid0(VALU_DEP_1) | instskip(NEXT) | instid1(VALU_DEP_2)
	v_pk_add_f32 v[22:23], v[22:23], v[0:1] neg_lo:[0,1] neg_hi:[0,1]
	v_pk_add_f32 v[16:17], v[24:25], v[28:29] neg_lo:[0,1] neg_hi:[0,1]
	v_mov_b32_e32 v22, v10
	s_delay_alu instid0(VALU_DEP_2) | instskip(NEXT) | instid1(VALU_DEP_1)
	v_pk_add_f32 v[16:17], v[18:19], v[16:17] neg_lo:[0,1] neg_hi:[0,1]
	v_pk_add_f32 v[18:19], v[22:23], v[16:17]
	s_delay_alu instid0(VALU_DEP_1) | instskip(NEXT) | instid1(VALU_DEP_1)
	v_mov_b32_e32 v22, v19
	v_pk_add_f32 v[22:23], v[18:19], v[22:23]
	s_delay_alu instid0(VALU_DEP_1) | instskip(NEXT) | instid1(VALU_DEP_1)
	v_pk_add_f32 v[20:21], v[20:21], v[22:23]
	v_mov_b32_e32 v19, v20
	s_delay_alu instid0(VALU_DEP_1) | instskip(NEXT) | instid1(VALU_DEP_1)
	v_pk_add_f32 v[24:25], v[18:19], v[10:11] neg_lo:[0,1] neg_hi:[0,1]
	v_sub_f32_e32 v1, v18, v24
	s_delay_alu instid0(VALU_DEP_1) | instskip(SKIP_1) | instid1(VALU_DEP_1)
	v_sub_f32_e32 v1, v10, v1
	v_mov_b32_e32 v17, v22
	v_pk_add_f32 v[16:17], v[16:17], v[24:25] neg_lo:[0,1] neg_hi:[0,1]
	s_delay_alu instid0(VALU_DEP_1) | instskip(NEXT) | instid1(VALU_DEP_1)
	v_add_f32_e32 v1, v16, v1
	v_add_f32_e32 v1, v1, v17
	s_delay_alu instid0(VALU_DEP_1) | instskip(NEXT) | instid1(VALU_DEP_1)
	v_add_f32_e32 v1, v20, v1
	v_cndmask_b32_e32 v1, 0x7f800000, v1, vcc_lo
	v_cmp_gt_f32_e64 vcc_lo, 0x33800000, |v3|
	s_delay_alu instid0(VALU_DEP_2) | instskip(NEXT) | instid1(VALU_DEP_1)
	v_cndmask_b32_e32 v1, v1, v3, vcc_lo
	v_div_scale_f32 v3, null, s0, s0, v1
	s_delay_alu instid0(VALU_DEP_1) | instskip(SKIP_1) | instid1(TRANS32_DEP_1)
	v_rcp_f32_e32 v5, v3
	v_nop
	v_fma_f32 v7, -v3, v5, 1.0
	s_delay_alu instid0(VALU_DEP_1) | instskip(SKIP_1) | instid1(VALU_DEP_1)
	v_fmac_f32_e32 v5, v7, v5
	v_div_scale_f32 v7, vcc_lo, v1, s0, v1
	v_mul_f32_e32 v9, v7, v5
	s_delay_alu instid0(VALU_DEP_1) | instskip(NEXT) | instid1(VALU_DEP_1)
	v_fma_f32 v10, -v3, v9, v7
	v_fmac_f32_e32 v9, v10, v5
	s_delay_alu instid0(VALU_DEP_1) | instskip(NEXT) | instid1(VALU_DEP_1)
	v_fma_f32 v3, -v3, v9, v7
	v_div_fmas_f32 v3, v3, v5, v9
	s_delay_alu instid0(VALU_DEP_1)
	v_div_fixup_f32 v10, v3, s0, v1
.LBB15_1424:
	s_or_b32 exec_lo, exec_lo, s12
	v_mov_b32_e32 v13, 0
	s_cmp_lt_i32 s11, 11
	s_delay_alu instid0(VALU_DEP_1)
	v_add_nc_u64_e32 v[16:17], s[6:7], v[12:13]
	s_cbranch_scc1 .LBB15_1431
; %bb.1425:
	s_cmp_gt_i32 s11, 25
	s_mov_b32 s13, 0
	s_cbranch_scc0 .LBB15_1433
; %bb.1426:
	s_cmp_gt_i32 s11, 28
	s_cbranch_scc0 .LBB15_1434
; %bb.1427:
	s_cmp_gt_i32 s11, 43
	;; [unrolled: 3-line block ×3, first 2 shown]
	s_cbranch_scc0 .LBB15_1437
; %bb.1429:
	s_cmp_eq_u32 s11, 46
	s_mov_b32 s15, 0
	s_cbranch_scc0 .LBB15_1438
; %bb.1430:
	global_load_b32 v1, v[16:17], off
	s_mov_b32 s12, 0
	s_mov_b32 s14, -1
	s_wait_loadcnt 0x0
	v_lshlrev_b32_e32 v12, 16, v1
	s_branch .LBB15_1440
.LBB15_1431:
	s_mov_b32 s14, 0
                                        ; implicit-def: $vgpr12
	s_cbranch_execnz .LBB15_1506
.LBB15_1432:
	s_and_not1_b32 vcc_lo, exec_lo, s14
	s_cbranch_vccnz .LBB15_1767
	s_branch .LBB15_1554
.LBB15_1433:
	s_mov_b32 s15, -1
	s_mov_b32 s14, 0
	s_mov_b32 s12, 0
                                        ; implicit-def: $vgpr12
	s_branch .LBB15_1469
.LBB15_1434:
	s_mov_b32 s15, -1
	s_mov_b32 s14, 0
	s_mov_b32 s12, 0
                                        ; implicit-def: $vgpr12
	s_branch .LBB15_1450
.LBB15_1435:
	s_mov_b32 s15, -1
	s_mov_b32 s14, 0
	s_mov_b32 s12, 0
                                        ; implicit-def: $vgpr12
	s_branch .LBB15_1445
.LBB15_1436:
	s_or_b32 s10, s10, exec_lo
	s_trap 2
	s_cbranch_execz .LBB15_1373
	s_branch .LBB15_1374
.LBB15_1437:
	s_mov_b32 s15, -1
	s_mov_b32 s14, 0
	s_mov_b32 s12, 0
	s_branch .LBB15_1439
.LBB15_1438:
	s_mov_b32 s12, -1
	s_mov_b32 s14, 0
.LBB15_1439:
                                        ; implicit-def: $vgpr12
.LBB15_1440:
	s_and_b32 vcc_lo, exec_lo, s15
	s_cbranch_vccz .LBB15_1444
; %bb.1441:
	s_cmp_eq_u32 s11, 44
	s_cbranch_scc0 .LBB15_1443
; %bb.1442:
	global_load_u8 v1, v[16:17], off
	s_mov_b32 s12, 0
	s_mov_b32 s14, -1
	s_wait_loadcnt 0x0
	v_lshlrev_b32_e32 v3, 23, v1
	v_cmp_ne_u32_e32 vcc_lo, 0xff, v1
	s_delay_alu instid0(VALU_DEP_2) | instskip(SKIP_1) | instid1(VALU_DEP_2)
	v_cndmask_b32_e32 v3, 0x7f800001, v3, vcc_lo
	v_cmp_ne_u32_e32 vcc_lo, 0, v1
	v_cndmask_b32_e32 v12, 0x400000, v3, vcc_lo
	s_branch .LBB15_1444
.LBB15_1443:
	s_mov_b32 s12, -1
                                        ; implicit-def: $vgpr12
.LBB15_1444:
	s_mov_b32 s15, 0
.LBB15_1445:
	s_delay_alu instid0(SALU_CYCLE_1)
	s_and_b32 vcc_lo, exec_lo, s15
	s_cbranch_vccz .LBB15_1449
; %bb.1446:
	s_cmp_eq_u32 s11, 29
	s_cbranch_scc0 .LBB15_1448
; %bb.1447:
	global_load_b64 v[12:13], v[16:17], off
	s_mov_b32 s12, 0
	s_mov_b32 s14, -1
	s_mov_b32 s15, 0
	s_wait_loadcnt 0x0
	v_clz_i32_u32_e32 v1, v13
	s_delay_alu instid0(VALU_DEP_1) | instskip(NEXT) | instid1(VALU_DEP_1)
	v_min_u32_e32 v1, 32, v1
	v_lshlrev_b64_e32 v[12:13], v1, v[12:13]
	v_sub_nc_u32_e32 v1, 32, v1
	s_delay_alu instid0(VALU_DEP_2) | instskip(NEXT) | instid1(VALU_DEP_1)
	v_min_u32_e32 v3, 1, v12
	v_or_b32_e32 v3, v13, v3
	s_delay_alu instid0(VALU_DEP_1) | instskip(NEXT) | instid1(VALU_DEP_1)
	v_cvt_f32_u32_e32 v3, v3
	v_ldexp_f32 v12, v3, v1
	s_branch .LBB15_1450
.LBB15_1448:
	s_mov_b32 s12, -1
                                        ; implicit-def: $vgpr12
.LBB15_1449:
	s_mov_b32 s15, 0
.LBB15_1450:
	s_delay_alu instid0(SALU_CYCLE_1)
	s_and_b32 vcc_lo, exec_lo, s15
	s_cbranch_vccz .LBB15_1468
; %bb.1451:
	s_cmp_lt_i32 s11, 27
	s_cbranch_scc1 .LBB15_1454
; %bb.1452:
	s_cmp_gt_i32 s11, 27
	s_cbranch_scc0 .LBB15_1455
; %bb.1453:
	global_load_b32 v1, v[16:17], off
	s_mov_b32 s14, 0
	s_wait_loadcnt 0x0
	v_cvt_f32_u32_e32 v12, v1
	s_branch .LBB15_1456
.LBB15_1454:
	s_mov_b32 s14, -1
                                        ; implicit-def: $vgpr12
	s_branch .LBB15_1459
.LBB15_1455:
	s_mov_b32 s14, -1
                                        ; implicit-def: $vgpr12
.LBB15_1456:
	s_delay_alu instid0(SALU_CYCLE_1)
	s_and_not1_b32 vcc_lo, exec_lo, s14
	s_cbranch_vccnz .LBB15_1458
; %bb.1457:
	global_load_u16 v1, v[16:17], off
	s_wait_loadcnt 0x0
	v_cvt_f32_u32_e32 v12, v1
.LBB15_1458:
	s_mov_b32 s14, 0
.LBB15_1459:
	s_delay_alu instid0(SALU_CYCLE_1)
	s_and_not1_b32 vcc_lo, exec_lo, s14
	s_cbranch_vccnz .LBB15_1467
; %bb.1460:
	global_load_u8 v1, v[16:17], off
	s_mov_b32 s14, 0
	s_mov_b32 s15, exec_lo
	s_wait_loadcnt 0x0
	v_cmpx_lt_i16_e32 0x7f, v1
	s_xor_b32 s15, exec_lo, s15
	s_cbranch_execz .LBB15_1481
; %bb.1461:
	s_mov_b32 s14, -1
	s_mov_b32 s16, exec_lo
	v_cmpx_eq_u16_e32 0x80, v1
; %bb.1462:
	s_xor_b32 s14, exec_lo, -1
; %bb.1463:
	s_or_b32 exec_lo, exec_lo, s16
	s_delay_alu instid0(SALU_CYCLE_1)
	s_and_b32 s14, s14, exec_lo
	s_or_saveexec_b32 s15, s15
	v_mov_b32_e32 v12, 0x7f800001
	s_xor_b32 exec_lo, exec_lo, s15
	s_cbranch_execnz .LBB15_1482
.LBB15_1464:
	s_or_b32 exec_lo, exec_lo, s15
	s_and_saveexec_b32 s15, s14
	s_cbranch_execz .LBB15_1466
.LBB15_1465:
	v_and_b32_e32 v3, 0xffff, v1
	s_delay_alu instid0(VALU_DEP_1) | instskip(SKIP_1) | instid1(VALU_DEP_2)
	v_dual_lshlrev_b32 v1, 24, v1 :: v_dual_bitop2_b32 v5, 7, v3 bitop3:0x40
	v_bfe_u32 v11, v3, 3, 4
	v_and_b32_e32 v1, 0x80000000, v1
	s_delay_alu instid0(VALU_DEP_3) | instskip(NEXT) | instid1(VALU_DEP_3)
	v_clz_i32_u32_e32 v7, v5
	v_cmp_eq_u32_e32 vcc_lo, 0, v11
	s_delay_alu instid0(VALU_DEP_2) | instskip(NEXT) | instid1(VALU_DEP_1)
	v_min_u32_e32 v7, 32, v7
	v_subrev_nc_u32_e32 v9, 28, v7
	v_sub_nc_u32_e32 v7, 29, v7
	s_delay_alu instid0(VALU_DEP_2) | instskip(NEXT) | instid1(VALU_DEP_2)
	v_lshlrev_b32_e32 v3, v9, v3
	v_cndmask_b32_e32 v7, v11, v7, vcc_lo
	s_delay_alu instid0(VALU_DEP_2) | instskip(NEXT) | instid1(VALU_DEP_1)
	v_and_b32_e32 v3, 7, v3
	v_cndmask_b32_e32 v3, v5, v3, vcc_lo
	s_delay_alu instid0(VALU_DEP_3) | instskip(NEXT) | instid1(VALU_DEP_2)
	v_lshl_add_u32 v5, v7, 23, 0x3b800000
	v_lshlrev_b32_e32 v3, 20, v3
	s_delay_alu instid0(VALU_DEP_1)
	v_or3_b32 v12, v1, v5, v3
.LBB15_1466:
	s_or_b32 exec_lo, exec_lo, s15
.LBB15_1467:
	s_mov_b32 s14, -1
.LBB15_1468:
	s_mov_b32 s15, 0
.LBB15_1469:
	s_delay_alu instid0(SALU_CYCLE_1)
	s_and_b32 vcc_lo, exec_lo, s15
	s_cbranch_vccz .LBB15_1502
; %bb.1470:
	s_cmp_gt_i32 s11, 22
	s_cbranch_scc0 .LBB15_1480
; %bb.1471:
	s_cmp_lt_i32 s11, 24
	s_cbranch_scc1 .LBB15_1483
; %bb.1472:
	s_cmp_gt_i32 s11, 24
	s_cbranch_scc0 .LBB15_1484
; %bb.1473:
	global_load_u8 v1, v[16:17], off
	s_mov_b32 s14, exec_lo
	s_wait_loadcnt 0x0
	v_cmpx_lt_i16_e32 0x7f, v1
	s_xor_b32 s14, exec_lo, s14
	s_cbranch_execz .LBB15_1496
; %bb.1474:
	s_mov_b32 s13, -1
	s_mov_b32 s15, exec_lo
	v_cmpx_eq_u16_e32 0x80, v1
; %bb.1475:
	s_xor_b32 s13, exec_lo, -1
; %bb.1476:
	s_or_b32 exec_lo, exec_lo, s15
	s_delay_alu instid0(SALU_CYCLE_1)
	s_and_b32 s13, s13, exec_lo
	s_or_saveexec_b32 s14, s14
	v_mov_b32_e32 v12, 0x7f800001
	s_xor_b32 exec_lo, exec_lo, s14
	s_cbranch_execnz .LBB15_1497
.LBB15_1477:
	s_or_b32 exec_lo, exec_lo, s14
	s_and_saveexec_b32 s14, s13
	s_cbranch_execz .LBB15_1479
.LBB15_1478:
	v_and_b32_e32 v3, 0xffff, v1
	s_delay_alu instid0(VALU_DEP_1) | instskip(SKIP_1) | instid1(VALU_DEP_2)
	v_dual_lshlrev_b32 v1, 24, v1 :: v_dual_bitop2_b32 v5, 3, v3 bitop3:0x40
	v_bfe_u32 v11, v3, 2, 5
	v_and_b32_e32 v1, 0x80000000, v1
	s_delay_alu instid0(VALU_DEP_3) | instskip(NEXT) | instid1(VALU_DEP_3)
	v_clz_i32_u32_e32 v7, v5
	v_cmp_eq_u32_e32 vcc_lo, 0, v11
	s_delay_alu instid0(VALU_DEP_2) | instskip(NEXT) | instid1(VALU_DEP_1)
	v_min_u32_e32 v7, 32, v7
	v_subrev_nc_u32_e32 v9, 29, v7
	v_sub_nc_u32_e32 v7, 30, v7
	s_delay_alu instid0(VALU_DEP_2) | instskip(NEXT) | instid1(VALU_DEP_2)
	v_lshlrev_b32_e32 v3, v9, v3
	v_cndmask_b32_e32 v7, v11, v7, vcc_lo
	s_delay_alu instid0(VALU_DEP_2) | instskip(NEXT) | instid1(VALU_DEP_1)
	v_and_b32_e32 v3, 3, v3
	v_cndmask_b32_e32 v3, v5, v3, vcc_lo
	s_delay_alu instid0(VALU_DEP_3) | instskip(NEXT) | instid1(VALU_DEP_2)
	v_lshl_add_u32 v5, v7, 23, 0x37800000
	v_lshlrev_b32_e32 v3, 21, v3
	s_delay_alu instid0(VALU_DEP_1)
	v_or3_b32 v12, v1, v5, v3
.LBB15_1479:
	s_or_b32 exec_lo, exec_lo, s14
	s_mov_b32 s13, 0
	s_branch .LBB15_1485
.LBB15_1480:
	s_mov_b32 s13, -1
                                        ; implicit-def: $vgpr12
	s_branch .LBB15_1491
.LBB15_1481:
	s_or_saveexec_b32 s15, s15
	v_mov_b32_e32 v12, 0x7f800001
	s_xor_b32 exec_lo, exec_lo, s15
	s_cbranch_execz .LBB15_1464
.LBB15_1482:
	v_cmp_ne_u16_e32 vcc_lo, 0, v1
	v_mov_b32_e32 v12, 0
	s_and_not1_b32 s14, s14, exec_lo
	s_and_b32 s16, vcc_lo, exec_lo
	s_delay_alu instid0(SALU_CYCLE_1)
	s_or_b32 s14, s14, s16
	s_or_b32 exec_lo, exec_lo, s15
	s_and_saveexec_b32 s15, s14
	s_cbranch_execnz .LBB15_1465
	s_branch .LBB15_1466
.LBB15_1483:
	s_mov_b32 s13, -1
                                        ; implicit-def: $vgpr12
	s_branch .LBB15_1488
.LBB15_1484:
	s_mov_b32 s13, -1
                                        ; implicit-def: $vgpr12
.LBB15_1485:
	s_delay_alu instid0(SALU_CYCLE_1)
	s_and_b32 vcc_lo, exec_lo, s13
	s_cbranch_vccz .LBB15_1487
; %bb.1486:
	global_load_u8 v1, v[16:17], off
	s_wait_loadcnt 0x0
	v_lshlrev_b32_e32 v1, 24, v1
	s_delay_alu instid0(VALU_DEP_1) | instskip(NEXT) | instid1(VALU_DEP_1)
	v_and_b32_e32 v3, 0x7f000000, v1
	v_clz_i32_u32_e32 v5, v3
	v_add_nc_u32_e32 v9, 0x1000000, v3
	v_cmp_ne_u32_e32 vcc_lo, 0, v3
	s_delay_alu instid0(VALU_DEP_3) | instskip(NEXT) | instid1(VALU_DEP_1)
	v_min_u32_e32 v5, 32, v5
	v_sub_nc_u32_e64 v5, v5, 4 clamp
	s_delay_alu instid0(VALU_DEP_1) | instskip(NEXT) | instid1(VALU_DEP_1)
	v_dual_lshlrev_b32 v7, v5, v3 :: v_dual_lshlrev_b32 v5, 23, v5
	v_lshrrev_b32_e32 v7, 4, v7
	s_delay_alu instid0(VALU_DEP_1) | instskip(SKIP_1) | instid1(VALU_DEP_2)
	v_sub_nc_u32_e32 v5, v7, v5
	v_ashrrev_i32_e32 v7, 8, v9
	v_add_nc_u32_e32 v5, 0x3c000000, v5
	s_delay_alu instid0(VALU_DEP_1) | instskip(NEXT) | instid1(VALU_DEP_1)
	v_and_or_b32 v5, 0x7f800000, v7, v5
	v_cndmask_b32_e32 v3, 0, v5, vcc_lo
	s_delay_alu instid0(VALU_DEP_1)
	v_and_or_b32 v12, 0x80000000, v1, v3
.LBB15_1487:
	s_mov_b32 s13, 0
.LBB15_1488:
	s_delay_alu instid0(SALU_CYCLE_1)
	s_and_not1_b32 vcc_lo, exec_lo, s13
	s_cbranch_vccnz .LBB15_1490
; %bb.1489:
	global_load_u8 v1, v[16:17], off
	s_wait_loadcnt 0x0
	v_lshlrev_b32_e32 v3, 25, v1
	v_lshlrev_b16 v1, 8, v1
	s_delay_alu instid0(VALU_DEP_1) | instskip(SKIP_1) | instid1(VALU_DEP_2)
	v_and_or_b32 v7, 0x7f00, v1, 0.5
	v_bfe_i32 v1, v1, 0, 16
	v_add_f32_e32 v7, -0.5, v7
	v_lshrrev_b32_e32 v5, 4, v3
	v_cmp_gt_u32_e32 vcc_lo, 0x8000000, v3
	s_delay_alu instid0(VALU_DEP_2) | instskip(NEXT) | instid1(VALU_DEP_1)
	v_or_b32_e32 v5, 0x70000000, v5
	v_mul_f32_e32 v5, 0x7800000, v5
	s_delay_alu instid0(VALU_DEP_1) | instskip(NEXT) | instid1(VALU_DEP_1)
	v_cndmask_b32_e32 v3, v5, v7, vcc_lo
	v_and_or_b32 v12, 0x80000000, v1, v3
.LBB15_1490:
	s_mov_b32 s13, 0
	s_mov_b32 s14, -1
.LBB15_1491:
	s_and_not1_b32 vcc_lo, exec_lo, s13
	s_mov_b32 s13, 0
	s_cbranch_vccnz .LBB15_1502
; %bb.1492:
	s_cmp_gt_i32 s11, 14
	s_cbranch_scc0 .LBB15_1495
; %bb.1493:
	s_cmp_eq_u32 s11, 15
	s_cbranch_scc0 .LBB15_1498
; %bb.1494:
	global_load_u16 v1, v[16:17], off
	s_mov_b32 s12, 0
	s_mov_b32 s14, -1
	s_wait_loadcnt 0x0
	v_lshlrev_b32_e32 v12, 16, v1
	s_branch .LBB15_1500
.LBB15_1495:
	s_mov_b32 s13, -1
	s_branch .LBB15_1499
.LBB15_1496:
	s_or_saveexec_b32 s14, s14
	v_mov_b32_e32 v12, 0x7f800001
	s_xor_b32 exec_lo, exec_lo, s14
	s_cbranch_execz .LBB15_1477
.LBB15_1497:
	v_cmp_ne_u16_e32 vcc_lo, 0, v1
	v_mov_b32_e32 v12, 0
	s_and_not1_b32 s13, s13, exec_lo
	s_and_b32 s15, vcc_lo, exec_lo
	s_delay_alu instid0(SALU_CYCLE_1)
	s_or_b32 s13, s13, s15
	s_or_b32 exec_lo, exec_lo, s14
	s_and_saveexec_b32 s14, s13
	s_cbranch_execnz .LBB15_1478
	s_branch .LBB15_1479
.LBB15_1498:
	s_mov_b32 s12, -1
.LBB15_1499:
                                        ; implicit-def: $vgpr12
.LBB15_1500:
	s_and_b32 vcc_lo, exec_lo, s13
	s_mov_b32 s13, 0
	s_cbranch_vccz .LBB15_1502
; %bb.1501:
	s_cmp_lg_u32 s11, 11
	s_mov_b32 s13, -1
	s_cselect_b32 s12, -1, 0
.LBB15_1502:
	s_delay_alu instid0(SALU_CYCLE_1)
	s_and_b32 vcc_lo, exec_lo, s12
	s_cbranch_vccnz .LBB15_1567
; %bb.1503:
	s_and_not1_b32 vcc_lo, exec_lo, s13
	s_cbranch_vccnz .LBB15_1505
.LBB15_1504:
	global_load_u8 v1, v[16:17], off
	s_mov_b32 s14, -1
	s_wait_loadcnt 0x0
	v_cmp_ne_u16_e32 vcc_lo, 0, v1
	v_cndmask_b32_e64 v12, 0, 1.0, vcc_lo
.LBB15_1505:
	s_branch .LBB15_1432
.LBB15_1506:
	s_cmp_lt_i32 s11, 5
	s_cbranch_scc1 .LBB15_1511
; %bb.1507:
	s_cmp_lt_i32 s11, 8
	s_cbranch_scc1 .LBB15_1512
; %bb.1508:
	;; [unrolled: 3-line block ×3, first 2 shown]
	s_cmp_gt_i32 s11, 9
	s_cbranch_scc0 .LBB15_1514
; %bb.1510:
	global_load_b64 v[12:13], v[16:17], off
	s_mov_b32 s12, 0
	s_wait_loadcnt 0x0
	v_cvt_f32_f64_e32 v12, v[12:13]
	s_branch .LBB15_1515
.LBB15_1511:
	s_mov_b32 s12, -1
                                        ; implicit-def: $vgpr12
	s_branch .LBB15_1533
.LBB15_1512:
	s_mov_b32 s12, -1
                                        ; implicit-def: $vgpr12
	s_branch .LBB15_1521
.LBB15_1513:
	s_mov_b32 s12, -1
                                        ; implicit-def: $vgpr12
	s_branch .LBB15_1518
.LBB15_1514:
	s_mov_b32 s12, -1
                                        ; implicit-def: $vgpr12
.LBB15_1515:
	s_delay_alu instid0(SALU_CYCLE_1)
	s_and_not1_b32 vcc_lo, exec_lo, s12
	s_cbranch_vccnz .LBB15_1517
; %bb.1516:
	global_load_b32 v12, v[16:17], off
.LBB15_1517:
	s_mov_b32 s12, 0
.LBB15_1518:
	s_delay_alu instid0(SALU_CYCLE_1)
	s_and_not1_b32 vcc_lo, exec_lo, s12
	s_cbranch_vccnz .LBB15_1520
; %bb.1519:
	global_load_b32 v1, v[16:17], off
	s_wait_loadcnt 0x0
	v_cvt_f32_f16_e32 v12, v1
.LBB15_1520:
	s_mov_b32 s12, 0
.LBB15_1521:
	s_delay_alu instid0(SALU_CYCLE_1)
	s_and_not1_b32 vcc_lo, exec_lo, s12
	s_cbranch_vccnz .LBB15_1532
; %bb.1522:
	s_cmp_lt_i32 s11, 6
	s_cbranch_scc1 .LBB15_1525
; %bb.1523:
	s_cmp_gt_i32 s11, 6
	s_cbranch_scc0 .LBB15_1526
; %bb.1524:
	s_wait_loadcnt 0x0
	global_load_b64 v[12:13], v[16:17], off
	s_mov_b32 s12, 0
	s_wait_loadcnt 0x0
	v_cvt_f32_f64_e32 v12, v[12:13]
	s_branch .LBB15_1527
.LBB15_1525:
	s_mov_b32 s12, -1
                                        ; implicit-def: $vgpr12
	s_branch .LBB15_1530
.LBB15_1526:
	s_mov_b32 s12, -1
                                        ; implicit-def: $vgpr12
.LBB15_1527:
	s_delay_alu instid0(SALU_CYCLE_1)
	s_and_not1_b32 vcc_lo, exec_lo, s12
	s_cbranch_vccnz .LBB15_1529
; %bb.1528:
	s_wait_loadcnt 0x0
	global_load_b32 v12, v[16:17], off
.LBB15_1529:
	s_mov_b32 s12, 0
.LBB15_1530:
	s_delay_alu instid0(SALU_CYCLE_1)
	s_and_not1_b32 vcc_lo, exec_lo, s12
	s_cbranch_vccnz .LBB15_1532
; %bb.1531:
	global_load_u16 v1, v[16:17], off
	s_wait_loadcnt 0x0
	v_cvt_f32_f16_e32 v12, v1
.LBB15_1532:
	s_mov_b32 s12, 0
.LBB15_1533:
	s_delay_alu instid0(SALU_CYCLE_1)
	s_and_not1_b32 vcc_lo, exec_lo, s12
	s_cbranch_vccnz .LBB15_1553
; %bb.1534:
	s_cmp_lt_i32 s11, 2
	s_cbranch_scc1 .LBB15_1538
; %bb.1535:
	s_cmp_lt_i32 s11, 3
	s_cbranch_scc1 .LBB15_1539
; %bb.1536:
	s_cmp_gt_i32 s11, 3
	s_cbranch_scc0 .LBB15_1540
; %bb.1537:
	s_wait_loadcnt 0x0
	global_load_b64 v[12:13], v[16:17], off
	s_mov_b32 s12, 0
	s_wait_loadcnt 0x0
	v_xor_b32_e32 v1, v12, v13
	v_cls_i32_e32 v3, v13
	s_delay_alu instid0(VALU_DEP_2) | instskip(NEXT) | instid1(VALU_DEP_1)
	v_ashrrev_i32_e32 v1, 31, v1
	v_add_nc_u32_e32 v1, 32, v1
	s_delay_alu instid0(VALU_DEP_1) | instskip(NEXT) | instid1(VALU_DEP_1)
	v_add_min_u32_e64 v1, v3, -1, v1
	v_lshlrev_b64_e32 v[12:13], v1, v[12:13]
	v_sub_nc_u32_e32 v1, 32, v1
	s_delay_alu instid0(VALU_DEP_2) | instskip(NEXT) | instid1(VALU_DEP_1)
	v_min_u32_e32 v3, 1, v12
	v_or_b32_e32 v3, v13, v3
	s_delay_alu instid0(VALU_DEP_1) | instskip(NEXT) | instid1(VALU_DEP_1)
	v_cvt_f32_i32_e32 v3, v3
	v_ldexp_f32 v12, v3, v1
	s_branch .LBB15_1541
.LBB15_1538:
	s_mov_b32 s12, -1
                                        ; implicit-def: $vgpr12
	s_branch .LBB15_1547
.LBB15_1539:
	s_mov_b32 s12, -1
                                        ; implicit-def: $vgpr12
	s_branch .LBB15_1544
.LBB15_1540:
	s_mov_b32 s12, -1
                                        ; implicit-def: $vgpr12
.LBB15_1541:
	s_delay_alu instid0(SALU_CYCLE_1)
	s_and_not1_b32 vcc_lo, exec_lo, s12
	s_cbranch_vccnz .LBB15_1543
; %bb.1542:
	global_load_b32 v1, v[16:17], off
	s_wait_loadcnt 0x0
	v_cvt_f32_i32_e32 v12, v1
.LBB15_1543:
	s_mov_b32 s12, 0
.LBB15_1544:
	s_delay_alu instid0(SALU_CYCLE_1)
	s_and_not1_b32 vcc_lo, exec_lo, s12
	s_cbranch_vccnz .LBB15_1546
; %bb.1545:
	global_load_i16 v1, v[16:17], off
	s_wait_loadcnt 0x0
	v_cvt_f32_i32_e32 v12, v1
.LBB15_1546:
	s_mov_b32 s12, 0
.LBB15_1547:
	s_delay_alu instid0(SALU_CYCLE_1)
	s_and_not1_b32 vcc_lo, exec_lo, s12
	s_cbranch_vccnz .LBB15_1553
; %bb.1548:
	s_cmp_gt_i32 s11, 0
	s_mov_b32 s12, 0
	s_cbranch_scc0 .LBB15_1550
; %bb.1549:
	global_load_i8 v1, v[16:17], off
	s_wait_loadcnt 0x0
	v_cvt_f32_i32_e32 v12, v1
	s_branch .LBB15_1551
.LBB15_1550:
	s_mov_b32 s12, -1
                                        ; implicit-def: $vgpr12
.LBB15_1551:
	s_delay_alu instid0(SALU_CYCLE_1)
	s_and_not1_b32 vcc_lo, exec_lo, s12
	s_cbranch_vccnz .LBB15_1553
; %bb.1552:
	global_load_u8 v1, v[16:17], off
	s_wait_loadcnt 0x0
	v_cvt_f32_ubyte0_e32 v12, v1
.LBB15_1553:
.LBB15_1554:
	s_wait_loadcnt 0x0
	s_delay_alu instid0(VALU_DEP_1) | instskip(SKIP_2) | instid1(VALU_DEP_1)
	v_mul_f32_e32 v1, s0, v12
	s_mov_b32 s12, exec_lo
	s_wait_xcnt 0x0
	v_cmpx_nlt_f32_e32 s1, v1
	s_cbranch_execz .LBB15_1556
; %bb.1555:
	v_mul_f32_e32 v3, 0x3fb8aa3b, v1
	v_cmp_ngt_f32_e32 vcc_lo, 0xc2ce8ed0, v1
	s_mov_b32 s13, 0x3e9b6dac
	s_delay_alu instid0(VALU_DEP_2) | instskip(SKIP_1) | instid1(VALU_DEP_2)
	v_rndne_f32_e32 v5, v3
	v_fma_f32 v7, 0x3fb8aa3b, v1, -v3
	v_sub_f32_e32 v3, v3, v5
	s_delay_alu instid0(VALU_DEP_2) | instskip(SKIP_1) | instid1(VALU_DEP_2)
	v_fmamk_f32 v7, v1, 0x32a5705f, v7
	v_cvt_i32_f32_e32 v5, v5
	v_add_f32_e32 v3, v3, v7
	s_delay_alu instid0(VALU_DEP_1) | instskip(SKIP_1) | instid1(TRANS32_DEP_1)
	v_exp_f32_e32 v3, v3
	v_nop
	v_ldexp_f32 v3, v3, v5
	s_delay_alu instid0(VALU_DEP_1) | instskip(SKIP_1) | instid1(VALU_DEP_2)
	v_cndmask_b32_e32 v3, 0, v3, vcc_lo
	v_cmp_nlt_f32_e32 vcc_lo, 0x42b17218, v1
	v_cndmask_b32_e32 v3, 0x7f800000, v3, vcc_lo
	s_delay_alu instid0(VALU_DEP_1) | instskip(NEXT) | instid1(VALU_DEP_1)
	v_add_f32_e32 v1, 1.0, v3
	v_cvt_f64_f32_e32 v[12:13], v1
	v_frexp_mant_f32_e32 v7, v1
	s_delay_alu instid0(VALU_DEP_1) | instskip(SKIP_1) | instid1(VALU_DEP_1)
	v_cmp_gt_f32_e32 vcc_lo, 0x3f2aaaab, v7
	v_add_f32_e32 v7, -1.0, v1
	v_sub_f32_e32 v11, v7, v1
	s_delay_alu instid0(VALU_DEP_1) | instskip(SKIP_1) | instid1(VALU_DEP_1)
	v_add_f32_e32 v11, 1.0, v11
	v_frexp_exp_i32_f64_e32 v5, v[12:13]
	v_subrev_co_ci_u32_e64 v5, null, 0, v5, vcc_lo
	s_delay_alu instid0(VALU_DEP_1) | instskip(NEXT) | instid1(VALU_DEP_1)
	v_sub_nc_u32_e32 v9, 0, v5
	v_ldexp_f32 v1, v1, v9
	s_delay_alu instid0(VALU_DEP_1) | instskip(NEXT) | instid1(VALU_DEP_1)
	v_dual_sub_f32 v7, v3, v7 :: v_dual_add_f32 v15, -1.0, v1
	v_dual_add_f32 v12, 1.0, v1 :: v_dual_add_f32 v7, v7, v11
	s_delay_alu instid0(VALU_DEP_1) | instskip(NEXT) | instid1(VALU_DEP_2)
	v_add_f32_e32 v11, -1.0, v12
	v_ldexp_f32 v7, v7, v9
	s_delay_alu instid0(VALU_DEP_2) | instskip(NEXT) | instid1(VALU_DEP_1)
	v_sub_f32_e32 v9, v1, v11
	v_dual_add_f32 v11, 1.0, v15 :: v_dual_add_f32 v9, v7, v9
	s_delay_alu instid0(VALU_DEP_1) | instskip(NEXT) | instid1(VALU_DEP_1)
	v_dual_sub_f32 v1, v1, v11 :: v_dual_add_f32 v11, v12, v9
	v_add_f32_e32 v1, v7, v1
	s_delay_alu instid0(VALU_DEP_2) | instskip(NEXT) | instid1(VALU_DEP_1)
	v_rcp_f32_e32 v7, v11
	v_dual_sub_f32 v12, v12, v11 :: v_dual_add_f32 v13, v15, v1
	s_delay_alu instid0(VALU_DEP_1)
	v_add_f32_e32 v9, v9, v12
	s_delay_alu instid0(TRANS32_DEP_1) | instid1(VALU_DEP_2)
	v_dual_mul_f32 v20, v13, v7 :: v_dual_sub_f32 v15, v15, v13
	s_delay_alu instid0(VALU_DEP_1) | instskip(SKIP_1) | instid1(VALU_DEP_3)
	v_mul_f32_e32 v16, v11, v20
	v_cmp_neq_f32_e32 vcc_lo, 0x7f800000, v3
	v_add_f32_e32 v1, v1, v15
	s_delay_alu instid0(VALU_DEP_3) | instskip(NEXT) | instid1(VALU_DEP_1)
	v_fma_f32 v18, v20, v11, -v16
	v_fmac_f32_e32 v18, v20, v9
	s_delay_alu instid0(VALU_DEP_1) | instskip(NEXT) | instid1(VALU_DEP_1)
	v_add_f32_e32 v12, v16, v18
	v_dual_sub_f32 v17, v13, v12 :: v_dual_mov_b32 v19, v12
	s_delay_alu instid0(VALU_DEP_1) | instskip(NEXT) | instid1(VALU_DEP_1)
	v_pk_add_f32 v[12:13], v[12:13], v[16:17] neg_lo:[0,1] neg_hi:[0,1]
	v_pk_add_f32 v[12:13], v[12:13], v[18:19] neg_lo:[0,1] neg_hi:[0,1]
	s_delay_alu instid0(VALU_DEP_1) | instskip(NEXT) | instid1(VALU_DEP_1)
	v_add_f32_e32 v1, v1, v13
	v_add_f32_e32 v1, v12, v1
	s_delay_alu instid0(VALU_DEP_1) | instskip(NEXT) | instid1(VALU_DEP_1)
	v_add_f32_e32 v13, v17, v1
	v_mul_f32_e32 v15, v7, v13
	s_delay_alu instid0(VALU_DEP_1) | instskip(NEXT) | instid1(VALU_DEP_1)
	v_mul_f32_e32 v18, v11, v15
	v_fma_f32 v16, v15, v11, -v18
	s_delay_alu instid0(VALU_DEP_1) | instskip(NEXT) | instid1(VALU_DEP_1)
	v_fmac_f32_e32 v16, v15, v9
	v_dual_sub_f32 v9, v17, v13 :: v_dual_add_f32 v12, v18, v16
	s_delay_alu instid0(VALU_DEP_1) | instskip(NEXT) | instid1(VALU_DEP_2)
	v_dual_add_f32 v1, v1, v9 :: v_dual_add_f32 v9, v20, v15
	v_dual_sub_f32 v19, v13, v12 :: v_dual_mov_b32 v17, v12
	s_delay_alu instid0(VALU_DEP_2) | instskip(NEXT) | instid1(VALU_DEP_2)
	v_sub_f32_e32 v11, v9, v20
	v_pk_add_f32 v[12:13], v[12:13], v[18:19] neg_lo:[0,1] neg_hi:[0,1]
	s_delay_alu instid0(VALU_DEP_2) | instskip(NEXT) | instid1(VALU_DEP_2)
	v_sub_f32_e32 v11, v15, v11
	v_pk_add_f32 v[12:13], v[12:13], v[16:17] neg_lo:[0,1] neg_hi:[0,1]
	v_cvt_f32_i32_e32 v16, v5
	s_delay_alu instid0(VALU_DEP_2) | instskip(NEXT) | instid1(VALU_DEP_1)
	v_add_f32_e32 v1, v1, v13
	v_dual_add_f32 v1, v12, v1 :: v_dual_mov_b32 v12, 0x3f317218
	s_delay_alu instid0(VALU_DEP_1) | instskip(NEXT) | instid1(VALU_DEP_1)
	v_add_f32_e32 v1, v19, v1
	v_mul_f32_e32 v1, v7, v1
	s_delay_alu instid0(VALU_DEP_1) | instskip(NEXT) | instid1(VALU_DEP_1)
	v_add_f32_e32 v1, v11, v1
	v_add_f32_e32 v7, v9, v1
	s_delay_alu instid0(VALU_DEP_1) | instskip(NEXT) | instid1(VALU_DEP_1)
	v_mul_f32_e32 v11, v7, v7
	v_fmaak_f32 v13, s13, v11, 0x3ecc95a3
	v_mul_f32_e32 v17, v7, v11
	s_delay_alu instid0(VALU_DEP_2) | instskip(NEXT) | instid1(VALU_DEP_1)
	v_fmaak_f32 v13, v11, v13, 0x3f2aaada
	v_pk_mul_f32 v[12:13], v[16:17], v[12:13]
	v_ldexp_f32 v17, v7, 1
	s_delay_alu instid0(VALU_DEP_2) | instskip(SKIP_1) | instid1(VALU_DEP_2)
	v_fma_f32 v5, 0x3f317218, v16, -v12
	v_mov_b32_e32 v20, v12
	v_dual_fmamk_f32 v16, v16, 0xb102e308, v5 :: v_dual_sub_f32 v5, v7, v9
	s_delay_alu instid0(VALU_DEP_1) | instskip(NEXT) | instid1(VALU_DEP_2)
	v_pk_add_f32 v[18:19], v[12:13], v[16:17]
	v_sub_f32_e32 v1, v1, v5
	s_delay_alu instid0(VALU_DEP_2) | instskip(NEXT) | instid1(VALU_DEP_3)
	v_dual_sub_f32 v5, v19, v17 :: v_dual_mov_b32 v28, v19
	v_mov_b32_e32 v17, v18
	s_delay_alu instid0(VALU_DEP_3) | instskip(NEXT) | instid1(VALU_DEP_3)
	v_ldexp_f32 v1, v1, 1
	v_sub_f32_e32 v5, v13, v5
	v_pk_add_f32 v[12:13], v[18:19], v[12:13] neg_lo:[0,1] neg_hi:[0,1]
	s_delay_alu instid0(VALU_DEP_2) | instskip(NEXT) | instid1(VALU_DEP_1)
	v_add_f32_e32 v21, v1, v5
	v_pk_add_f32 v[22:23], v[18:19], v[20:21]
	s_delay_alu instid0(VALU_DEP_1) | instskip(NEXT) | instid1(VALU_DEP_1)
	v_mov_b32_e32 v13, v23
	v_pk_add_f32 v[24:25], v[16:17], v[12:13]
	v_mov_b32_e32 v24, v23
	v_pk_add_f32 v[12:13], v[16:17], v[12:13] neg_lo:[0,1] neg_hi:[0,1]
	s_delay_alu instid0(VALU_DEP_3) | instskip(NEXT) | instid1(VALU_DEP_1)
	v_dual_mov_b32 v20, v25 :: v_dual_mov_b32 v13, v25
	v_pk_add_f32 v[26:27], v[20:21], v[18:19] neg_lo:[0,1] neg_hi:[0,1]
	v_dual_mov_b32 v19, v18 :: v_dual_mov_b32 v18, v21
	s_delay_alu instid0(VALU_DEP_2) | instskip(NEXT) | instid1(VALU_DEP_1)
	v_dual_mov_b32 v1, v26 :: v_dual_mov_b32 v29, v26
	v_pk_add_f32 v[22:23], v[22:23], v[0:1] neg_lo:[0,1] neg_hi:[0,1]
	s_delay_alu instid0(VALU_DEP_2) | instskip(SKIP_1) | instid1(VALU_DEP_2)
	v_pk_add_f32 v[16:17], v[24:25], v[28:29] neg_lo:[0,1] neg_hi:[0,1]
	v_mov_b32_e32 v22, v12
	v_pk_add_f32 v[16:17], v[18:19], v[16:17] neg_lo:[0,1] neg_hi:[0,1]
	s_delay_alu instid0(VALU_DEP_1) | instskip(NEXT) | instid1(VALU_DEP_1)
	v_pk_add_f32 v[18:19], v[22:23], v[16:17]
	v_mov_b32_e32 v22, v19
	s_delay_alu instid0(VALU_DEP_1) | instskip(NEXT) | instid1(VALU_DEP_1)
	v_pk_add_f32 v[22:23], v[18:19], v[22:23]
	v_pk_add_f32 v[20:21], v[20:21], v[22:23]
	s_delay_alu instid0(VALU_DEP_1) | instskip(NEXT) | instid1(VALU_DEP_1)
	v_mov_b32_e32 v19, v20
	v_pk_add_f32 v[24:25], v[18:19], v[12:13] neg_lo:[0,1] neg_hi:[0,1]
	s_delay_alu instid0(VALU_DEP_1) | instskip(NEXT) | instid1(VALU_DEP_1)
	v_sub_f32_e32 v1, v18, v24
	v_dual_mov_b32 v17, v22 :: v_dual_sub_f32 v1, v12, v1
	s_delay_alu instid0(VALU_DEP_1) | instskip(NEXT) | instid1(VALU_DEP_1)
	v_pk_add_f32 v[16:17], v[16:17], v[24:25] neg_lo:[0,1] neg_hi:[0,1]
	v_add_f32_e32 v1, v16, v1
	s_delay_alu instid0(VALU_DEP_1) | instskip(NEXT) | instid1(VALU_DEP_1)
	v_add_f32_e32 v1, v1, v17
	v_add_f32_e32 v1, v20, v1
	s_delay_alu instid0(VALU_DEP_1) | instskip(SKIP_1) | instid1(VALU_DEP_2)
	v_cndmask_b32_e32 v1, 0x7f800000, v1, vcc_lo
	v_cmp_gt_f32_e64 vcc_lo, 0x33800000, |v3|
	v_cndmask_b32_e32 v1, v1, v3, vcc_lo
	s_delay_alu instid0(VALU_DEP_1) | instskip(NEXT) | instid1(VALU_DEP_1)
	v_div_scale_f32 v3, null, s0, s0, v1
	v_rcp_f32_e32 v5, v3
	v_nop
	s_delay_alu instid0(TRANS32_DEP_1) | instskip(NEXT) | instid1(VALU_DEP_1)
	v_fma_f32 v7, -v3, v5, 1.0
	v_fmac_f32_e32 v5, v7, v5
	v_div_scale_f32 v7, vcc_lo, v1, s0, v1
	s_delay_alu instid0(VALU_DEP_1) | instskip(NEXT) | instid1(VALU_DEP_1)
	v_mul_f32_e32 v9, v7, v5
	v_fma_f32 v11, -v3, v9, v7
	s_delay_alu instid0(VALU_DEP_1) | instskip(NEXT) | instid1(VALU_DEP_1)
	v_fmac_f32_e32 v9, v11, v5
	v_fma_f32 v3, -v3, v9, v7
	s_delay_alu instid0(VALU_DEP_1) | instskip(NEXT) | instid1(VALU_DEP_1)
	v_div_fmas_f32 v3, v3, v5, v9
	v_div_fixup_f32 v12, v3, s0, v1
.LBB15_1556:
	s_or_b32 exec_lo, exec_lo, s12
	v_mov_b32_e32 v15, 0
	s_cmp_lt_i32 s11, 11
	s_delay_alu instid0(VALU_DEP_1)
	v_add_nc_u64_e32 v[16:17], s[6:7], v[14:15]
	s_cbranch_scc1 .LBB15_1563
; %bb.1557:
	s_cmp_gt_i32 s11, 25
	s_mov_b32 s7, 0
	s_cbranch_scc0 .LBB15_1564
; %bb.1558:
	s_cmp_gt_i32 s11, 28
	s_cbranch_scc0 .LBB15_1565
; %bb.1559:
	s_cmp_gt_i32 s11, 43
	;; [unrolled: 3-line block ×3, first 2 shown]
	s_cbranch_scc0 .LBB15_1568
; %bb.1561:
	s_cmp_eq_u32 s11, 46
	s_mov_b32 s13, 0
	s_cbranch_scc0 .LBB15_1569
; %bb.1562:
	global_load_b32 v1, v[16:17], off
	s_mov_b32 s6, 0
	s_mov_b32 s12, -1
	s_wait_loadcnt 0x0
	v_lshlrev_b32_e32 v14, 16, v1
	s_branch .LBB15_1571
.LBB15_1563:
	s_mov_b32 s6, -1
	s_mov_b32 s12, 0
                                        ; implicit-def: $vgpr14
	s_branch .LBB15_1637
.LBB15_1564:
	s_mov_b32 s13, -1
	s_mov_b32 s12, 0
	s_mov_b32 s6, 0
                                        ; implicit-def: $vgpr14
	s_branch .LBB15_1600
.LBB15_1565:
	s_mov_b32 s13, -1
	s_mov_b32 s12, 0
	s_mov_b32 s6, 0
                                        ; implicit-def: $vgpr14
	s_branch .LBB15_1581
.LBB15_1566:
	s_mov_b32 s13, -1
	s_mov_b32 s12, 0
	s_mov_b32 s6, 0
                                        ; implicit-def: $vgpr14
	s_branch .LBB15_1576
.LBB15_1567:
	s_or_b32 s10, s10, exec_lo
	s_trap 2
	s_cbranch_execz .LBB15_1504
	s_branch .LBB15_1505
.LBB15_1568:
	s_mov_b32 s13, -1
	s_mov_b32 s12, 0
	s_mov_b32 s6, 0
	s_branch .LBB15_1570
.LBB15_1569:
	s_mov_b32 s6, -1
	s_mov_b32 s12, 0
.LBB15_1570:
                                        ; implicit-def: $vgpr14
.LBB15_1571:
	s_and_b32 vcc_lo, exec_lo, s13
	s_cbranch_vccz .LBB15_1575
; %bb.1572:
	s_cmp_eq_u32 s11, 44
	s_cbranch_scc0 .LBB15_1574
; %bb.1573:
	global_load_u8 v1, v[16:17], off
	s_mov_b32 s6, 0
	s_mov_b32 s12, -1
	s_wait_loadcnt 0x0
	v_lshlrev_b32_e32 v3, 23, v1
	v_cmp_ne_u32_e32 vcc_lo, 0xff, v1
	s_delay_alu instid0(VALU_DEP_2) | instskip(SKIP_1) | instid1(VALU_DEP_2)
	v_cndmask_b32_e32 v3, 0x7f800001, v3, vcc_lo
	v_cmp_ne_u32_e32 vcc_lo, 0, v1
	v_cndmask_b32_e32 v14, 0x400000, v3, vcc_lo
	s_branch .LBB15_1575
.LBB15_1574:
	s_mov_b32 s6, -1
                                        ; implicit-def: $vgpr14
.LBB15_1575:
	s_mov_b32 s13, 0
.LBB15_1576:
	s_delay_alu instid0(SALU_CYCLE_1)
	s_and_b32 vcc_lo, exec_lo, s13
	s_cbranch_vccz .LBB15_1580
; %bb.1577:
	s_cmp_eq_u32 s11, 29
	s_cbranch_scc0 .LBB15_1579
; %bb.1578:
	global_load_b64 v[14:15], v[16:17], off
	s_mov_b32 s6, 0
	s_mov_b32 s12, -1
	s_mov_b32 s13, 0
	s_wait_loadcnt 0x0
	v_clz_i32_u32_e32 v1, v15
	s_delay_alu instid0(VALU_DEP_1) | instskip(NEXT) | instid1(VALU_DEP_1)
	v_min_u32_e32 v1, 32, v1
	v_lshlrev_b64_e32 v[14:15], v1, v[14:15]
	v_sub_nc_u32_e32 v1, 32, v1
	s_delay_alu instid0(VALU_DEP_2) | instskip(NEXT) | instid1(VALU_DEP_1)
	v_min_u32_e32 v3, 1, v14
	v_or_b32_e32 v3, v15, v3
	s_delay_alu instid0(VALU_DEP_1) | instskip(NEXT) | instid1(VALU_DEP_1)
	v_cvt_f32_u32_e32 v3, v3
	v_ldexp_f32 v14, v3, v1
	s_branch .LBB15_1581
.LBB15_1579:
	s_mov_b32 s6, -1
                                        ; implicit-def: $vgpr14
.LBB15_1580:
	s_mov_b32 s13, 0
.LBB15_1581:
	s_delay_alu instid0(SALU_CYCLE_1)
	s_and_b32 vcc_lo, exec_lo, s13
	s_cbranch_vccz .LBB15_1599
; %bb.1582:
	s_cmp_lt_i32 s11, 27
	s_cbranch_scc1 .LBB15_1585
; %bb.1583:
	s_cmp_gt_i32 s11, 27
	s_cbranch_scc0 .LBB15_1586
; %bb.1584:
	global_load_b32 v1, v[16:17], off
	s_mov_b32 s12, 0
	s_wait_loadcnt 0x0
	v_cvt_f32_u32_e32 v14, v1
	s_branch .LBB15_1587
.LBB15_1585:
	s_mov_b32 s12, -1
                                        ; implicit-def: $vgpr14
	s_branch .LBB15_1590
.LBB15_1586:
	s_mov_b32 s12, -1
                                        ; implicit-def: $vgpr14
.LBB15_1587:
	s_delay_alu instid0(SALU_CYCLE_1)
	s_and_not1_b32 vcc_lo, exec_lo, s12
	s_cbranch_vccnz .LBB15_1589
; %bb.1588:
	global_load_u16 v1, v[16:17], off
	s_wait_loadcnt 0x0
	v_cvt_f32_u32_e32 v14, v1
.LBB15_1589:
	s_mov_b32 s12, 0
.LBB15_1590:
	s_delay_alu instid0(SALU_CYCLE_1)
	s_and_not1_b32 vcc_lo, exec_lo, s12
	s_cbranch_vccnz .LBB15_1598
; %bb.1591:
	global_load_u8 v1, v[16:17], off
	s_mov_b32 s12, 0
	s_mov_b32 s13, exec_lo
	s_wait_loadcnt 0x0
	v_cmpx_lt_i16_e32 0x7f, v1
	s_xor_b32 s13, exec_lo, s13
	s_cbranch_execz .LBB15_1612
; %bb.1592:
	s_mov_b32 s12, -1
	s_mov_b32 s14, exec_lo
	v_cmpx_eq_u16_e32 0x80, v1
; %bb.1593:
	s_xor_b32 s12, exec_lo, -1
; %bb.1594:
	s_or_b32 exec_lo, exec_lo, s14
	s_delay_alu instid0(SALU_CYCLE_1)
	s_and_b32 s12, s12, exec_lo
	s_or_saveexec_b32 s13, s13
	v_mov_b32_e32 v14, 0x7f800001
	s_xor_b32 exec_lo, exec_lo, s13
	s_cbranch_execnz .LBB15_1613
.LBB15_1595:
	s_or_b32 exec_lo, exec_lo, s13
	s_and_saveexec_b32 s13, s12
	s_cbranch_execz .LBB15_1597
.LBB15_1596:
	v_and_b32_e32 v3, 0xffff, v1
	s_delay_alu instid0(VALU_DEP_1) | instskip(SKIP_1) | instid1(VALU_DEP_2)
	v_dual_lshlrev_b32 v1, 24, v1 :: v_dual_bitop2_b32 v5, 7, v3 bitop3:0x40
	v_bfe_u32 v11, v3, 3, 4
	v_and_b32_e32 v1, 0x80000000, v1
	s_delay_alu instid0(VALU_DEP_3) | instskip(NEXT) | instid1(VALU_DEP_3)
	v_clz_i32_u32_e32 v7, v5
	v_cmp_eq_u32_e32 vcc_lo, 0, v11
	s_delay_alu instid0(VALU_DEP_2) | instskip(NEXT) | instid1(VALU_DEP_1)
	v_min_u32_e32 v7, 32, v7
	v_subrev_nc_u32_e32 v9, 28, v7
	v_sub_nc_u32_e32 v7, 29, v7
	s_delay_alu instid0(VALU_DEP_2) | instskip(NEXT) | instid1(VALU_DEP_2)
	v_lshlrev_b32_e32 v3, v9, v3
	v_cndmask_b32_e32 v7, v11, v7, vcc_lo
	s_delay_alu instid0(VALU_DEP_2) | instskip(NEXT) | instid1(VALU_DEP_1)
	v_and_b32_e32 v3, 7, v3
	v_cndmask_b32_e32 v3, v5, v3, vcc_lo
	s_delay_alu instid0(VALU_DEP_3) | instskip(NEXT) | instid1(VALU_DEP_2)
	v_lshl_add_u32 v5, v7, 23, 0x3b800000
	v_lshlrev_b32_e32 v3, 20, v3
	s_delay_alu instid0(VALU_DEP_1)
	v_or3_b32 v14, v1, v5, v3
.LBB15_1597:
	s_or_b32 exec_lo, exec_lo, s13
.LBB15_1598:
	s_mov_b32 s12, -1
.LBB15_1599:
	s_mov_b32 s13, 0
.LBB15_1600:
	s_delay_alu instid0(SALU_CYCLE_1)
	s_and_b32 vcc_lo, exec_lo, s13
	s_cbranch_vccz .LBB15_1633
; %bb.1601:
	s_cmp_gt_i32 s11, 22
	s_cbranch_scc0 .LBB15_1611
; %bb.1602:
	s_cmp_lt_i32 s11, 24
	s_cbranch_scc1 .LBB15_1614
; %bb.1603:
	s_cmp_gt_i32 s11, 24
	s_cbranch_scc0 .LBB15_1615
; %bb.1604:
	global_load_u8 v1, v[16:17], off
	s_mov_b32 s12, exec_lo
	s_wait_loadcnt 0x0
	v_cmpx_lt_i16_e32 0x7f, v1
	s_xor_b32 s12, exec_lo, s12
	s_cbranch_execz .LBB15_1627
; %bb.1605:
	s_mov_b32 s7, -1
	s_mov_b32 s13, exec_lo
	v_cmpx_eq_u16_e32 0x80, v1
; %bb.1606:
	s_xor_b32 s7, exec_lo, -1
; %bb.1607:
	s_or_b32 exec_lo, exec_lo, s13
	s_delay_alu instid0(SALU_CYCLE_1)
	s_and_b32 s7, s7, exec_lo
	s_or_saveexec_b32 s12, s12
	v_mov_b32_e32 v14, 0x7f800001
	s_xor_b32 exec_lo, exec_lo, s12
	s_cbranch_execnz .LBB15_1628
.LBB15_1608:
	s_or_b32 exec_lo, exec_lo, s12
	s_and_saveexec_b32 s12, s7
	s_cbranch_execz .LBB15_1610
.LBB15_1609:
	v_and_b32_e32 v3, 0xffff, v1
	s_delay_alu instid0(VALU_DEP_1) | instskip(SKIP_1) | instid1(VALU_DEP_2)
	v_dual_lshlrev_b32 v1, 24, v1 :: v_dual_bitop2_b32 v5, 3, v3 bitop3:0x40
	v_bfe_u32 v11, v3, 2, 5
	v_and_b32_e32 v1, 0x80000000, v1
	s_delay_alu instid0(VALU_DEP_3) | instskip(NEXT) | instid1(VALU_DEP_3)
	v_clz_i32_u32_e32 v7, v5
	v_cmp_eq_u32_e32 vcc_lo, 0, v11
	s_delay_alu instid0(VALU_DEP_2) | instskip(NEXT) | instid1(VALU_DEP_1)
	v_min_u32_e32 v7, 32, v7
	v_subrev_nc_u32_e32 v9, 29, v7
	v_sub_nc_u32_e32 v7, 30, v7
	s_delay_alu instid0(VALU_DEP_2) | instskip(NEXT) | instid1(VALU_DEP_2)
	v_lshlrev_b32_e32 v3, v9, v3
	v_cndmask_b32_e32 v7, v11, v7, vcc_lo
	s_delay_alu instid0(VALU_DEP_2) | instskip(NEXT) | instid1(VALU_DEP_1)
	v_and_b32_e32 v3, 3, v3
	v_cndmask_b32_e32 v3, v5, v3, vcc_lo
	s_delay_alu instid0(VALU_DEP_3) | instskip(NEXT) | instid1(VALU_DEP_2)
	v_lshl_add_u32 v5, v7, 23, 0x37800000
	v_lshlrev_b32_e32 v3, 21, v3
	s_delay_alu instid0(VALU_DEP_1)
	v_or3_b32 v14, v1, v5, v3
.LBB15_1610:
	s_or_b32 exec_lo, exec_lo, s12
	s_mov_b32 s7, 0
	s_branch .LBB15_1616
.LBB15_1611:
	s_mov_b32 s7, -1
                                        ; implicit-def: $vgpr14
	s_branch .LBB15_1622
.LBB15_1612:
	s_or_saveexec_b32 s13, s13
	v_mov_b32_e32 v14, 0x7f800001
	s_xor_b32 exec_lo, exec_lo, s13
	s_cbranch_execz .LBB15_1595
.LBB15_1613:
	v_cmp_ne_u16_e32 vcc_lo, 0, v1
	v_mov_b32_e32 v14, 0
	s_and_not1_b32 s12, s12, exec_lo
	s_and_b32 s14, vcc_lo, exec_lo
	s_delay_alu instid0(SALU_CYCLE_1)
	s_or_b32 s12, s12, s14
	s_or_b32 exec_lo, exec_lo, s13
	s_and_saveexec_b32 s13, s12
	s_cbranch_execnz .LBB15_1596
	s_branch .LBB15_1597
.LBB15_1614:
	s_mov_b32 s7, -1
                                        ; implicit-def: $vgpr14
	s_branch .LBB15_1619
.LBB15_1615:
	s_mov_b32 s7, -1
                                        ; implicit-def: $vgpr14
.LBB15_1616:
	s_delay_alu instid0(SALU_CYCLE_1)
	s_and_b32 vcc_lo, exec_lo, s7
	s_cbranch_vccz .LBB15_1618
; %bb.1617:
	global_load_u8 v1, v[16:17], off
	s_wait_loadcnt 0x0
	v_lshlrev_b32_e32 v1, 24, v1
	s_delay_alu instid0(VALU_DEP_1) | instskip(NEXT) | instid1(VALU_DEP_1)
	v_and_b32_e32 v3, 0x7f000000, v1
	v_clz_i32_u32_e32 v5, v3
	v_add_nc_u32_e32 v9, 0x1000000, v3
	v_cmp_ne_u32_e32 vcc_lo, 0, v3
	s_delay_alu instid0(VALU_DEP_3) | instskip(NEXT) | instid1(VALU_DEP_1)
	v_min_u32_e32 v5, 32, v5
	v_sub_nc_u32_e64 v5, v5, 4 clamp
	s_delay_alu instid0(VALU_DEP_1) | instskip(NEXT) | instid1(VALU_DEP_1)
	v_dual_lshlrev_b32 v7, v5, v3 :: v_dual_lshlrev_b32 v5, 23, v5
	v_lshrrev_b32_e32 v7, 4, v7
	s_delay_alu instid0(VALU_DEP_1) | instskip(SKIP_1) | instid1(VALU_DEP_2)
	v_sub_nc_u32_e32 v5, v7, v5
	v_ashrrev_i32_e32 v7, 8, v9
	v_add_nc_u32_e32 v5, 0x3c000000, v5
	s_delay_alu instid0(VALU_DEP_1) | instskip(NEXT) | instid1(VALU_DEP_1)
	v_and_or_b32 v5, 0x7f800000, v7, v5
	v_cndmask_b32_e32 v3, 0, v5, vcc_lo
	s_delay_alu instid0(VALU_DEP_1)
	v_and_or_b32 v14, 0x80000000, v1, v3
.LBB15_1618:
	s_mov_b32 s7, 0
.LBB15_1619:
	s_delay_alu instid0(SALU_CYCLE_1)
	s_and_not1_b32 vcc_lo, exec_lo, s7
	s_cbranch_vccnz .LBB15_1621
; %bb.1620:
	global_load_u8 v1, v[16:17], off
	s_wait_loadcnt 0x0
	v_lshlrev_b32_e32 v3, 25, v1
	v_lshlrev_b16 v1, 8, v1
	s_delay_alu instid0(VALU_DEP_1) | instskip(SKIP_1) | instid1(VALU_DEP_2)
	v_and_or_b32 v7, 0x7f00, v1, 0.5
	v_bfe_i32 v1, v1, 0, 16
	v_add_f32_e32 v7, -0.5, v7
	v_lshrrev_b32_e32 v5, 4, v3
	v_cmp_gt_u32_e32 vcc_lo, 0x8000000, v3
	s_delay_alu instid0(VALU_DEP_2) | instskip(NEXT) | instid1(VALU_DEP_1)
	v_or_b32_e32 v5, 0x70000000, v5
	v_mul_f32_e32 v5, 0x7800000, v5
	s_delay_alu instid0(VALU_DEP_1) | instskip(NEXT) | instid1(VALU_DEP_1)
	v_cndmask_b32_e32 v3, v5, v7, vcc_lo
	v_and_or_b32 v14, 0x80000000, v1, v3
.LBB15_1621:
	s_mov_b32 s7, 0
	s_mov_b32 s12, -1
.LBB15_1622:
	s_and_not1_b32 vcc_lo, exec_lo, s7
	s_mov_b32 s7, 0
	s_cbranch_vccnz .LBB15_1633
; %bb.1623:
	s_cmp_gt_i32 s11, 14
	s_cbranch_scc0 .LBB15_1626
; %bb.1624:
	s_cmp_eq_u32 s11, 15
	s_cbranch_scc0 .LBB15_1629
; %bb.1625:
	global_load_u16 v1, v[16:17], off
	s_mov_b32 s6, 0
	s_mov_b32 s12, -1
	s_wait_loadcnt 0x0
	v_lshlrev_b32_e32 v14, 16, v1
	s_branch .LBB15_1631
.LBB15_1626:
	s_mov_b32 s7, -1
	s_branch .LBB15_1630
.LBB15_1627:
	s_or_saveexec_b32 s12, s12
	v_mov_b32_e32 v14, 0x7f800001
	s_xor_b32 exec_lo, exec_lo, s12
	s_cbranch_execz .LBB15_1608
.LBB15_1628:
	v_cmp_ne_u16_e32 vcc_lo, 0, v1
	v_mov_b32_e32 v14, 0
	s_and_not1_b32 s7, s7, exec_lo
	s_and_b32 s13, vcc_lo, exec_lo
	s_delay_alu instid0(SALU_CYCLE_1)
	s_or_b32 s7, s7, s13
	s_or_b32 exec_lo, exec_lo, s12
	s_and_saveexec_b32 s12, s7
	s_cbranch_execnz .LBB15_1609
	s_branch .LBB15_1610
.LBB15_1629:
	s_mov_b32 s6, -1
.LBB15_1630:
                                        ; implicit-def: $vgpr14
.LBB15_1631:
	s_and_b32 vcc_lo, exec_lo, s7
	s_mov_b32 s7, 0
	s_cbranch_vccz .LBB15_1633
; %bb.1632:
	s_cmp_lg_u32 s11, 11
	s_mov_b32 s7, -1
	s_cselect_b32 s6, -1, 0
.LBB15_1633:
	s_delay_alu instid0(SALU_CYCLE_1)
	s_and_b32 vcc_lo, exec_lo, s6
	s_cbranch_vccnz .LBB15_2169
; %bb.1634:
	s_and_not1_b32 vcc_lo, exec_lo, s7
	s_cbranch_vccnz .LBB15_1636
.LBB15_1635:
	global_load_u8 v1, v[16:17], off
	s_mov_b32 s12, -1
	s_wait_loadcnt 0x0
	v_cmp_ne_u16_e32 vcc_lo, 0, v1
	v_cndmask_b32_e64 v14, 0, 1.0, vcc_lo
.LBB15_1636:
	s_mov_b32 s6, 0
.LBB15_1637:
	s_delay_alu instid0(SALU_CYCLE_1)
	s_and_b32 vcc_lo, exec_lo, s6
	s_cbranch_vccz .LBB15_1686
; %bb.1638:
	s_cmp_lt_i32 s11, 5
	s_cbranch_scc1 .LBB15_1643
; %bb.1639:
	s_cmp_lt_i32 s11, 8
	s_cbranch_scc1 .LBB15_1644
	;; [unrolled: 3-line block ×3, first 2 shown]
; %bb.1641:
	s_cmp_gt_i32 s11, 9
	s_cbranch_scc0 .LBB15_1646
; %bb.1642:
	global_load_b64 v[14:15], v[16:17], off
	s_mov_b32 s6, 0
	s_wait_loadcnt 0x0
	v_cvt_f32_f64_e32 v14, v[14:15]
	s_branch .LBB15_1647
.LBB15_1643:
	s_mov_b32 s6, -1
                                        ; implicit-def: $vgpr14
	s_branch .LBB15_1665
.LBB15_1644:
	s_mov_b32 s6, -1
                                        ; implicit-def: $vgpr14
	s_branch .LBB15_1653
.LBB15_1645:
	s_mov_b32 s6, -1
                                        ; implicit-def: $vgpr14
	s_branch .LBB15_1650
.LBB15_1646:
	s_mov_b32 s6, -1
                                        ; implicit-def: $vgpr14
.LBB15_1647:
	s_delay_alu instid0(SALU_CYCLE_1)
	s_and_not1_b32 vcc_lo, exec_lo, s6
	s_cbranch_vccnz .LBB15_1649
; %bb.1648:
	global_load_b32 v14, v[16:17], off
.LBB15_1649:
	s_mov_b32 s6, 0
.LBB15_1650:
	s_delay_alu instid0(SALU_CYCLE_1)
	s_and_not1_b32 vcc_lo, exec_lo, s6
	s_cbranch_vccnz .LBB15_1652
; %bb.1651:
	global_load_b32 v1, v[16:17], off
	s_wait_loadcnt 0x0
	v_cvt_f32_f16_e32 v14, v1
.LBB15_1652:
	s_mov_b32 s6, 0
.LBB15_1653:
	s_delay_alu instid0(SALU_CYCLE_1)
	s_and_not1_b32 vcc_lo, exec_lo, s6
	s_cbranch_vccnz .LBB15_1664
; %bb.1654:
	s_cmp_lt_i32 s11, 6
	s_cbranch_scc1 .LBB15_1657
; %bb.1655:
	s_cmp_gt_i32 s11, 6
	s_cbranch_scc0 .LBB15_1658
; %bb.1656:
	s_wait_loadcnt 0x0
	global_load_b64 v[14:15], v[16:17], off
	s_mov_b32 s6, 0
	s_wait_loadcnt 0x0
	v_cvt_f32_f64_e32 v14, v[14:15]
	s_branch .LBB15_1659
.LBB15_1657:
	s_mov_b32 s6, -1
                                        ; implicit-def: $vgpr14
	s_branch .LBB15_1662
.LBB15_1658:
	s_mov_b32 s6, -1
                                        ; implicit-def: $vgpr14
.LBB15_1659:
	s_delay_alu instid0(SALU_CYCLE_1)
	s_and_not1_b32 vcc_lo, exec_lo, s6
	s_cbranch_vccnz .LBB15_1661
; %bb.1660:
	s_wait_loadcnt 0x0
	global_load_b32 v14, v[16:17], off
.LBB15_1661:
	s_mov_b32 s6, 0
.LBB15_1662:
	s_delay_alu instid0(SALU_CYCLE_1)
	s_and_not1_b32 vcc_lo, exec_lo, s6
	s_cbranch_vccnz .LBB15_1664
; %bb.1663:
	global_load_u16 v1, v[16:17], off
	s_wait_loadcnt 0x0
	v_cvt_f32_f16_e32 v14, v1
.LBB15_1664:
	s_mov_b32 s6, 0
.LBB15_1665:
	s_delay_alu instid0(SALU_CYCLE_1)
	s_and_not1_b32 vcc_lo, exec_lo, s6
	s_cbranch_vccnz .LBB15_1685
; %bb.1666:
	s_cmp_lt_i32 s11, 2
	s_cbranch_scc1 .LBB15_1670
; %bb.1667:
	s_cmp_lt_i32 s11, 3
	s_cbranch_scc1 .LBB15_1671
; %bb.1668:
	s_cmp_gt_i32 s11, 3
	s_cbranch_scc0 .LBB15_1672
; %bb.1669:
	s_wait_loadcnt 0x0
	global_load_b64 v[14:15], v[16:17], off
	s_mov_b32 s6, 0
	s_wait_loadcnt 0x0
	v_xor_b32_e32 v1, v14, v15
	v_cls_i32_e32 v3, v15
	s_delay_alu instid0(VALU_DEP_2) | instskip(NEXT) | instid1(VALU_DEP_1)
	v_ashrrev_i32_e32 v1, 31, v1
	v_add_nc_u32_e32 v1, 32, v1
	s_delay_alu instid0(VALU_DEP_1) | instskip(NEXT) | instid1(VALU_DEP_1)
	v_add_min_u32_e64 v1, v3, -1, v1
	v_lshlrev_b64_e32 v[14:15], v1, v[14:15]
	v_sub_nc_u32_e32 v1, 32, v1
	s_delay_alu instid0(VALU_DEP_2) | instskip(NEXT) | instid1(VALU_DEP_1)
	v_min_u32_e32 v3, 1, v14
	v_or_b32_e32 v3, v15, v3
	s_delay_alu instid0(VALU_DEP_1) | instskip(NEXT) | instid1(VALU_DEP_1)
	v_cvt_f32_i32_e32 v3, v3
	v_ldexp_f32 v14, v3, v1
	s_branch .LBB15_1673
.LBB15_1670:
	s_mov_b32 s6, -1
                                        ; implicit-def: $vgpr14
	s_branch .LBB15_1679
.LBB15_1671:
	s_mov_b32 s6, -1
                                        ; implicit-def: $vgpr14
	s_branch .LBB15_1676
.LBB15_1672:
	s_mov_b32 s6, -1
                                        ; implicit-def: $vgpr14
.LBB15_1673:
	s_delay_alu instid0(SALU_CYCLE_1)
	s_and_not1_b32 vcc_lo, exec_lo, s6
	s_cbranch_vccnz .LBB15_1675
; %bb.1674:
	global_load_b32 v1, v[16:17], off
	s_wait_loadcnt 0x0
	v_cvt_f32_i32_e32 v14, v1
.LBB15_1675:
	s_mov_b32 s6, 0
.LBB15_1676:
	s_delay_alu instid0(SALU_CYCLE_1)
	s_and_not1_b32 vcc_lo, exec_lo, s6
	s_cbranch_vccnz .LBB15_1678
; %bb.1677:
	global_load_i16 v1, v[16:17], off
	s_wait_loadcnt 0x0
	v_cvt_f32_i32_e32 v14, v1
.LBB15_1678:
	s_mov_b32 s6, 0
.LBB15_1679:
	s_delay_alu instid0(SALU_CYCLE_1)
	s_and_not1_b32 vcc_lo, exec_lo, s6
	s_cbranch_vccnz .LBB15_1685
; %bb.1680:
	s_cmp_gt_i32 s11, 0
	s_mov_b32 s6, 0
	s_cbranch_scc0 .LBB15_1682
; %bb.1681:
	global_load_i8 v1, v[16:17], off
	s_wait_loadcnt 0x0
	v_cvt_f32_i32_e32 v14, v1
	s_branch .LBB15_1683
.LBB15_1682:
	s_mov_b32 s6, -1
                                        ; implicit-def: $vgpr14
.LBB15_1683:
	s_delay_alu instid0(SALU_CYCLE_1)
	s_and_not1_b32 vcc_lo, exec_lo, s6
	s_cbranch_vccnz .LBB15_1685
; %bb.1684:
	global_load_u8 v1, v[16:17], off
	s_wait_loadcnt 0x0
	v_cvt_f32_ubyte0_e32 v14, v1
.LBB15_1685:
	s_mov_b32 s12, -1
.LBB15_1686:
	s_delay_alu instid0(SALU_CYCLE_1)
	s_and_not1_b32 vcc_lo, exec_lo, s12
	s_cbranch_vccnz .LBB15_1767
; %bb.1687:
	s_wait_loadcnt 0x0
	s_delay_alu instid0(VALU_DEP_1) | instskip(NEXT) | instid1(VALU_DEP_1)
	v_mul_f32_e32 v1, s0, v14
	v_cmp_nlt_f32_e32 vcc_lo, s1, v1
	s_wait_xcnt 0x0
	s_and_saveexec_b32 s1, vcc_lo
	s_cbranch_execz .LBB15_1689
; %bb.1688:
	v_mul_f32_e32 v3, 0x3fb8aa3b, v1
	v_cmp_ngt_f32_e32 vcc_lo, 0xc2ce8ed0, v1
	s_mov_b32 s6, 0x3e9b6dac
	s_delay_alu instid0(VALU_DEP_2) | instskip(SKIP_1) | instid1(VALU_DEP_2)
	v_rndne_f32_e32 v5, v3
	v_fma_f32 v7, 0x3fb8aa3b, v1, -v3
	v_sub_f32_e32 v3, v3, v5
	s_delay_alu instid0(VALU_DEP_2) | instskip(SKIP_1) | instid1(VALU_DEP_2)
	v_fmamk_f32 v7, v1, 0x32a5705f, v7
	v_cvt_i32_f32_e32 v5, v5
	v_add_f32_e32 v3, v3, v7
	s_delay_alu instid0(VALU_DEP_1) | instskip(SKIP_1) | instid1(TRANS32_DEP_1)
	v_exp_f32_e32 v3, v3
	v_nop
	v_ldexp_f32 v3, v3, v5
	s_delay_alu instid0(VALU_DEP_1) | instskip(SKIP_1) | instid1(VALU_DEP_2)
	v_cndmask_b32_e32 v3, 0, v3, vcc_lo
	v_cmp_nlt_f32_e32 vcc_lo, 0x42b17218, v1
	v_cndmask_b32_e32 v3, 0x7f800000, v3, vcc_lo
	s_delay_alu instid0(VALU_DEP_1) | instskip(NEXT) | instid1(VALU_DEP_1)
	v_add_f32_e32 v1, 1.0, v3
	v_cvt_f64_f32_e32 v[14:15], v1
	v_frexp_mant_f32_e32 v7, v1
	s_delay_alu instid0(VALU_DEP_1) | instskip(SKIP_1) | instid1(VALU_DEP_1)
	v_cmp_gt_f32_e32 vcc_lo, 0x3f2aaaab, v7
	v_add_f32_e32 v7, -1.0, v1
	v_sub_f32_e32 v11, v7, v1
	v_frexp_exp_i32_f64_e32 v5, v[14:15]
	s_delay_alu instid0(VALU_DEP_1) | instskip(NEXT) | instid1(VALU_DEP_1)
	v_subrev_co_ci_u32_e64 v5, null, 0, v5, vcc_lo
	v_sub_nc_u32_e32 v9, 0, v5
	s_delay_alu instid0(VALU_DEP_1) | instskip(SKIP_1) | instid1(VALU_DEP_2)
	v_ldexp_f32 v1, v1, v9
	v_sub_f32_e32 v7, v3, v7
	v_dual_add_f32 v11, 1.0, v11 :: v_dual_add_f32 v19, -1.0, v1
	s_delay_alu instid0(VALU_DEP_1) | instskip(NEXT) | instid1(VALU_DEP_1)
	v_dual_add_f32 v13, 1.0, v1 :: v_dual_add_f32 v7, v7, v11
	v_add_f32_e32 v11, -1.0, v13
	s_delay_alu instid0(VALU_DEP_2) | instskip(NEXT) | instid1(VALU_DEP_2)
	v_ldexp_f32 v7, v7, v9
	v_sub_f32_e32 v9, v1, v11
	s_delay_alu instid0(VALU_DEP_1) | instskip(NEXT) | instid1(VALU_DEP_1)
	v_dual_add_f32 v11, 1.0, v19 :: v_dual_add_f32 v9, v7, v9
	v_sub_f32_e32 v1, v1, v11
	s_delay_alu instid0(VALU_DEP_2) | instskip(NEXT) | instid1(VALU_DEP_1)
	v_add_f32_e32 v11, v13, v9
	v_dual_add_f32 v1, v7, v1 :: v_dual_sub_f32 v13, v13, v11
	v_rcp_f32_e32 v7, v11
	s_delay_alu instid0(VALU_DEP_1) | instskip(NEXT) | instid1(VALU_DEP_1)
	v_add_f32_e32 v15, v19, v1
	v_dual_add_f32 v9, v9, v13 :: v_dual_sub_f32 v13, v19, v15
	s_delay_alu instid0(TRANS32_DEP_1) | instid1(VALU_DEP_1)
	v_dual_mul_f32 v20, v15, v7 :: v_dual_add_f32 v1, v1, v13
	s_delay_alu instid0(VALU_DEP_1) | instskip(NEXT) | instid1(VALU_DEP_1)
	v_mul_f32_e32 v16, v11, v20
	v_fma_f32 v18, v20, v11, -v16
	s_delay_alu instid0(VALU_DEP_1) | instskip(SKIP_1) | instid1(VALU_DEP_2)
	v_fmac_f32_e32 v18, v20, v9
	v_cmp_neq_f32_e32 vcc_lo, 0x7f800000, v3
	v_add_f32_e32 v14, v16, v18
	s_delay_alu instid0(VALU_DEP_1) | instskip(NEXT) | instid1(VALU_DEP_1)
	v_dual_mov_b32 v19, v14 :: v_dual_sub_f32 v17, v15, v14
	v_pk_add_f32 v[14:15], v[14:15], v[16:17] neg_lo:[0,1] neg_hi:[0,1]
	s_delay_alu instid0(VALU_DEP_1) | instskip(NEXT) | instid1(VALU_DEP_1)
	v_pk_add_f32 v[14:15], v[14:15], v[18:19] neg_lo:[0,1] neg_hi:[0,1]
	v_add_f32_e32 v1, v1, v15
	s_delay_alu instid0(VALU_DEP_1) | instskip(NEXT) | instid1(VALU_DEP_1)
	v_add_f32_e32 v1, v14, v1
	v_add_f32_e32 v15, v17, v1
	s_delay_alu instid0(VALU_DEP_1) | instskip(NEXT) | instid1(VALU_DEP_1)
	v_mul_f32_e32 v13, v7, v15
	v_mul_f32_e32 v18, v11, v13
	s_delay_alu instid0(VALU_DEP_1) | instskip(NEXT) | instid1(VALU_DEP_1)
	v_fma_f32 v16, v13, v11, -v18
	v_fmac_f32_e32 v16, v13, v9
	s_delay_alu instid0(VALU_DEP_1) | instskip(NEXT) | instid1(VALU_DEP_1)
	v_dual_add_f32 v14, v18, v16 :: v_dual_sub_f32 v9, v17, v15
	v_dual_sub_f32 v19, v15, v14 :: v_dual_mov_b32 v17, v14
	s_delay_alu instid0(VALU_DEP_2) | instskip(SKIP_1) | instid1(VALU_DEP_3)
	v_add_f32_e32 v1, v1, v9
	v_add_f32_e32 v9, v20, v13
	v_pk_add_f32 v[14:15], v[14:15], v[18:19] neg_lo:[0,1] neg_hi:[0,1]
	s_delay_alu instid0(VALU_DEP_2) | instskip(NEXT) | instid1(VALU_DEP_2)
	v_sub_f32_e32 v11, v9, v20
	v_pk_add_f32 v[14:15], v[14:15], v[16:17] neg_lo:[0,1] neg_hi:[0,1]
	v_cvt_f32_i32_e32 v16, v5
	s_delay_alu instid0(VALU_DEP_3) | instskip(NEXT) | instid1(VALU_DEP_3)
	v_sub_f32_e32 v11, v13, v11
	v_add_f32_e32 v1, v1, v15
	s_delay_alu instid0(VALU_DEP_1) | instskip(NEXT) | instid1(VALU_DEP_1)
	v_dual_add_f32 v1, v14, v1 :: v_dual_mov_b32 v14, 0x3f317218
	v_add_f32_e32 v1, v19, v1
	s_delay_alu instid0(VALU_DEP_1) | instskip(NEXT) | instid1(VALU_DEP_1)
	v_mul_f32_e32 v1, v7, v1
	v_add_f32_e32 v1, v11, v1
	s_delay_alu instid0(VALU_DEP_1) | instskip(NEXT) | instid1(VALU_DEP_1)
	v_add_f32_e32 v7, v9, v1
	v_mul_f32_e32 v11, v7, v7
	s_delay_alu instid0(VALU_DEP_1) | instskip(SKIP_1) | instid1(VALU_DEP_2)
	v_fmaak_f32 v13, s6, v11, 0x3ecc95a3
	v_mul_f32_e32 v17, v7, v11
	v_fmaak_f32 v15, v11, v13, 0x3f2aaada
	s_delay_alu instid0(VALU_DEP_1) | instskip(NEXT) | instid1(VALU_DEP_1)
	v_pk_mul_f32 v[14:15], v[16:17], v[14:15]
	v_fma_f32 v5, 0x3f317218, v16, -v14
	v_mov_b32_e32 v20, v14
	s_delay_alu instid0(VALU_DEP_2) | instskip(SKIP_2) | instid1(VALU_DEP_2)
	v_fmamk_f32 v16, v16, 0xb102e308, v5
	v_ldexp_f32 v17, v7, 1
	v_sub_f32_e32 v5, v7, v9
	v_pk_add_f32 v[18:19], v[14:15], v[16:17]
	s_delay_alu instid0(VALU_DEP_2) | instskip(NEXT) | instid1(VALU_DEP_2)
	v_sub_f32_e32 v1, v1, v5
	v_dual_sub_f32 v5, v19, v17 :: v_dual_mov_b32 v17, v18
	s_delay_alu instid0(VALU_DEP_1) | instskip(NEXT) | instid1(VALU_DEP_3)
	v_sub_f32_e32 v5, v15, v5
	v_ldexp_f32 v1, v1, 1
	v_pk_add_f32 v[14:15], v[18:19], v[14:15] neg_lo:[0,1] neg_hi:[0,1]
	s_delay_alu instid0(VALU_DEP_2) | instskip(NEXT) | instid1(VALU_DEP_1)
	v_add_f32_e32 v21, v1, v5
	v_pk_add_f32 v[22:23], v[18:19], v[20:21]
	s_delay_alu instid0(VALU_DEP_1) | instskip(NEXT) | instid1(VALU_DEP_1)
	v_dual_mov_b32 v28, v19 :: v_dual_mov_b32 v15, v23
	v_pk_add_f32 v[24:25], v[16:17], v[14:15]
	v_mov_b32_e32 v24, v23
	v_pk_add_f32 v[14:15], v[16:17], v[14:15] neg_lo:[0,1] neg_hi:[0,1]
	s_delay_alu instid0(VALU_DEP_3) | instskip(NEXT) | instid1(VALU_DEP_1)
	v_dual_mov_b32 v20, v25 :: v_dual_mov_b32 v15, v25
	v_pk_add_f32 v[26:27], v[20:21], v[18:19] neg_lo:[0,1] neg_hi:[0,1]
	v_dual_mov_b32 v19, v18 :: v_dual_mov_b32 v18, v21
	s_delay_alu instid0(VALU_DEP_2) | instskip(NEXT) | instid1(VALU_DEP_1)
	v_dual_mov_b32 v1, v26 :: v_dual_mov_b32 v29, v26
	v_pk_add_f32 v[22:23], v[22:23], v[0:1] neg_lo:[0,1] neg_hi:[0,1]
	s_delay_alu instid0(VALU_DEP_2) | instskip(SKIP_1) | instid1(VALU_DEP_2)
	v_pk_add_f32 v[16:17], v[24:25], v[28:29] neg_lo:[0,1] neg_hi:[0,1]
	v_mov_b32_e32 v22, v14
	v_pk_add_f32 v[16:17], v[18:19], v[16:17] neg_lo:[0,1] neg_hi:[0,1]
	s_delay_alu instid0(VALU_DEP_1) | instskip(NEXT) | instid1(VALU_DEP_1)
	v_pk_add_f32 v[18:19], v[22:23], v[16:17]
	v_mov_b32_e32 v22, v19
	s_delay_alu instid0(VALU_DEP_1) | instskip(NEXT) | instid1(VALU_DEP_1)
	v_pk_add_f32 v[22:23], v[18:19], v[22:23]
	v_pk_add_f32 v[20:21], v[20:21], v[22:23]
	s_delay_alu instid0(VALU_DEP_1) | instskip(NEXT) | instid1(VALU_DEP_1)
	v_mov_b32_e32 v19, v20
	v_pk_add_f32 v[24:25], v[18:19], v[14:15] neg_lo:[0,1] neg_hi:[0,1]
	s_delay_alu instid0(VALU_DEP_1) | instskip(NEXT) | instid1(VALU_DEP_1)
	v_sub_f32_e32 v1, v18, v24
	v_sub_f32_e32 v1, v14, v1
	v_mov_b32_e32 v17, v22
	s_delay_alu instid0(VALU_DEP_1) | instskip(NEXT) | instid1(VALU_DEP_1)
	v_pk_add_f32 v[16:17], v[16:17], v[24:25] neg_lo:[0,1] neg_hi:[0,1]
	v_add_f32_e32 v1, v16, v1
	s_delay_alu instid0(VALU_DEP_1) | instskip(NEXT) | instid1(VALU_DEP_1)
	v_add_f32_e32 v1, v1, v17
	v_add_f32_e32 v1, v20, v1
	s_delay_alu instid0(VALU_DEP_1) | instskip(SKIP_1) | instid1(VALU_DEP_2)
	v_cndmask_b32_e32 v1, 0x7f800000, v1, vcc_lo
	v_cmp_gt_f32_e64 vcc_lo, 0x33800000, |v3|
	v_cndmask_b32_e32 v1, v1, v3, vcc_lo
	s_delay_alu instid0(VALU_DEP_1) | instskip(NEXT) | instid1(VALU_DEP_1)
	v_div_scale_f32 v3, null, s0, s0, v1
	v_rcp_f32_e32 v5, v3
	v_nop
	s_delay_alu instid0(TRANS32_DEP_1) | instskip(NEXT) | instid1(VALU_DEP_1)
	v_fma_f32 v7, -v3, v5, 1.0
	v_fmac_f32_e32 v5, v7, v5
	v_div_scale_f32 v7, vcc_lo, v1, s0, v1
	s_delay_alu instid0(VALU_DEP_1) | instskip(NEXT) | instid1(VALU_DEP_1)
	v_mul_f32_e32 v9, v7, v5
	v_fma_f32 v11, -v3, v9, v7
	s_delay_alu instid0(VALU_DEP_1) | instskip(NEXT) | instid1(VALU_DEP_1)
	v_fmac_f32_e32 v9, v11, v5
	v_fma_f32 v3, -v3, v9, v7
	s_delay_alu instid0(VALU_DEP_1) | instskip(NEXT) | instid1(VALU_DEP_1)
	v_div_fmas_f32 v3, v3, v5, v9
	v_div_fixup_f32 v14, v3, s0, v1
.LBB15_1689:
	s_or_b32 exec_lo, exec_lo, s1
	s_load_b32 s0, s[2:3], 0x160
	v_mov_b32_e32 v7, 0
	s_delay_alu instid0(VALU_DEP_1) | instskip(SKIP_2) | instid1(SALU_CYCLE_1)
	v_add_nc_u64_e32 v[6:7], s[4:5], v[6:7]
	s_wait_kmcnt 0x0
	s_and_b32 s1, s0, 0xff
	s_cmp_lt_i32 s1, 11
	s_cbranch_scc1 .LBB15_1812
; %bb.1690:
	s_and_b32 s2, 0xffff, s1
	s_mov_b32 s7, -1
	s_mov_b32 s3, 0
	s_cmp_gt_i32 s2, 25
	s_mov_b32 s6, 0
	s_mov_b32 s0, 0
	s_cbranch_scc0 .LBB15_1723
; %bb.1691:
	s_cmp_gt_i32 s2, 28
	s_cbranch_scc0 .LBB15_1706
; %bb.1692:
	s_cmp_gt_i32 s2, 43
	;; [unrolled: 3-line block ×3, first 2 shown]
	s_cbranch_scc0 .LBB15_1696
; %bb.1694:
	s_mov_b32 s0, -1
	s_mov_b32 s7, 0
	s_cmp_eq_u32 s2, 46
	s_cbranch_scc0 .LBB15_1696
; %bb.1695:
	v_bfe_u32 v1, v8, 16, 1
	v_cmp_o_f32_e32 vcc_lo, v8, v8
	s_mov_b32 s0, 0
	s_mov_b32 s6, -1
	s_delay_alu instid0(VALU_DEP_2) | instskip(NEXT) | instid1(VALU_DEP_1)
	v_add3_u32 v1, v8, v1, 0x7fff
	v_lshrrev_b32_e32 v1, 16, v1
	s_delay_alu instid0(VALU_DEP_1)
	v_cndmask_b32_e32 v1, 0x7fc0, v1, vcc_lo
	global_store_b32 v[6:7], v1, off
.LBB15_1696:
	s_and_b32 vcc_lo, exec_lo, s7
	s_cbranch_vccz .LBB15_1701
; %bb.1697:
	s_cmp_eq_u32 s2, 44
	s_mov_b32 s0, -1
	s_cbranch_scc0 .LBB15_1701
; %bb.1698:
	v_bfe_u32 v3, v8, 23, 8
	s_wait_xcnt 0x0
	v_mov_b32_e32 v1, 0xff
	s_mov_b32 s6, exec_lo
	s_delay_alu instid0(VALU_DEP_2)
	v_cmpx_ne_u32_e32 0xff, v3
	s_cbranch_execz .LBB15_1700
; %bb.1699:
	v_and_b32_e32 v1, 0x400000, v8
	v_and_or_b32 v3, 0x3fffff, v8, v3
	s_delay_alu instid0(VALU_DEP_2) | instskip(NEXT) | instid1(VALU_DEP_2)
	v_cmp_ne_u32_e32 vcc_lo, 0, v1
	v_cmp_ne_u32_e64 s0, 0, v3
	v_lshrrev_b32_e32 v1, 23, v8
	s_and_b32 s0, vcc_lo, s0
	s_delay_alu instid0(SALU_CYCLE_1) | instskip(NEXT) | instid1(VALU_DEP_1)
	v_cndmask_b32_e64 v3, 0, 1, s0
	v_add_nc_u32_e32 v1, v1, v3
.LBB15_1700:
	s_or_b32 exec_lo, exec_lo, s6
	s_mov_b32 s0, 0
	s_mov_b32 s6, -1
	global_store_b8 v[6:7], v1, off
.LBB15_1701:
	s_mov_b32 s7, 0
.LBB15_1702:
	s_delay_alu instid0(SALU_CYCLE_1)
	s_and_b32 vcc_lo, exec_lo, s7
	s_cbranch_vccz .LBB15_1705
; %bb.1703:
	s_cmp_eq_u32 s2, 29
	s_mov_b32 s0, -1
	s_cbranch_scc0 .LBB15_1705
; %bb.1704:
	s_wait_xcnt 0x0
	v_trunc_f32_e32 v1, v8
	s_mov_b32 s0, 0
	s_mov_b32 s6, -1
	s_delay_alu instid0(VALU_DEP_1) | instskip(NEXT) | instid1(VALU_DEP_1)
	v_mul_f32_e32 v3, 0x2f800000, v1
	v_floor_f32_e32 v3, v3
	s_delay_alu instid0(VALU_DEP_1) | instskip(SKIP_1) | instid1(VALU_DEP_2)
	v_fmamk_f32 v1, v3, 0xcf800000, v1
	v_cvt_u32_f32_e32 v17, v3
	v_cvt_u32_f32_e32 v16, v1
	global_store_b64 v[6:7], v[16:17], off
.LBB15_1705:
	s_mov_b32 s7, 0
.LBB15_1706:
	s_delay_alu instid0(SALU_CYCLE_1)
	s_and_b32 vcc_lo, exec_lo, s7
	s_cbranch_vccz .LBB15_1722
; %bb.1707:
	s_cmp_lt_i32 s2, 27
	s_mov_b32 s6, -1
	s_cbranch_scc1 .LBB15_1713
; %bb.1708:
	s_wait_xcnt 0x0
	v_cvt_u32_f32_e32 v1, v8
	s_cmp_gt_i32 s2, 27
	s_cbranch_scc0 .LBB15_1710
; %bb.1709:
	s_mov_b32 s6, 0
	global_store_b32 v[6:7], v1, off
.LBB15_1710:
	s_and_not1_b32 vcc_lo, exec_lo, s6
	s_cbranch_vccnz .LBB15_1712
; %bb.1711:
	global_store_b16 v[6:7], v1, off
.LBB15_1712:
	s_mov_b32 s6, 0
.LBB15_1713:
	s_delay_alu instid0(SALU_CYCLE_1)
	s_and_not1_b32 vcc_lo, exec_lo, s6
	s_cbranch_vccnz .LBB15_1721
; %bb.1714:
	s_wait_xcnt 0x0
	v_and_b32_e32 v1, 0x7fffffff, v8
	v_mov_b32_e32 v3, 0x80
	s_mov_b32 s6, exec_lo
	s_delay_alu instid0(VALU_DEP_2)
	v_cmpx_gt_u32_e32 0x43800000, v1
	s_cbranch_execz .LBB15_1720
; %bb.1715:
	v_cmp_lt_u32_e32 vcc_lo, 0x3bffffff, v1
	s_mov_b32 s7, 0
                                        ; implicit-def: $vgpr1
	s_and_saveexec_b32 s11, vcc_lo
	s_delay_alu instid0(SALU_CYCLE_1)
	s_xor_b32 s11, exec_lo, s11
	s_cbranch_execz .LBB15_2170
; %bb.1716:
	v_bfe_u32 v1, v8, 20, 1
	s_mov_b32 s7, exec_lo
	s_delay_alu instid0(VALU_DEP_1) | instskip(NEXT) | instid1(VALU_DEP_1)
	v_add3_u32 v1, v8, v1, 0x487ffff
	v_lshrrev_b32_e32 v1, 20, v1
	s_and_not1_saveexec_b32 s11, s11
	s_cbranch_execnz .LBB15_2171
.LBB15_1717:
	s_or_b32 exec_lo, exec_lo, s11
	v_mov_b32_e32 v3, 0
	s_and_saveexec_b32 s11, s7
.LBB15_1718:
	v_lshrrev_b32_e32 v3, 24, v8
	s_delay_alu instid0(VALU_DEP_1)
	v_and_or_b32 v3, 0x80, v3, v1
.LBB15_1719:
	s_or_b32 exec_lo, exec_lo, s11
.LBB15_1720:
	s_delay_alu instid0(SALU_CYCLE_1)
	s_or_b32 exec_lo, exec_lo, s6
	global_store_b8 v[6:7], v3, off
.LBB15_1721:
	s_mov_b32 s6, -1
.LBB15_1722:
	s_mov_b32 s7, 0
.LBB15_1723:
	s_delay_alu instid0(SALU_CYCLE_1)
	s_and_b32 vcc_lo, exec_lo, s7
	s_cbranch_vccz .LBB15_1763
; %bb.1724:
	s_cmp_gt_i32 s2, 22
	s_mov_b32 s3, -1
	s_cbranch_scc0 .LBB15_1756
; %bb.1725:
	s_cmp_lt_i32 s2, 24
	s_cbranch_scc1 .LBB15_1745
; %bb.1726:
	s_cmp_gt_i32 s2, 24
	s_cbranch_scc0 .LBB15_1734
; %bb.1727:
	s_wait_xcnt 0x0
	v_and_b32_e32 v1, 0x7fffffff, v8
	v_mov_b32_e32 v3, 0x80
	s_mov_b32 s3, exec_lo
	s_delay_alu instid0(VALU_DEP_2)
	v_cmpx_gt_u32_e32 0x47800000, v1
	s_cbranch_execz .LBB15_1733
; %bb.1728:
	v_cmp_lt_u32_e32 vcc_lo, 0x37ffffff, v1
	s_mov_b32 s6, 0
                                        ; implicit-def: $vgpr1
	s_and_saveexec_b32 s7, vcc_lo
	s_delay_alu instid0(SALU_CYCLE_1)
	s_xor_b32 s7, exec_lo, s7
	s_cbranch_execz .LBB15_2173
; %bb.1729:
	v_bfe_u32 v1, v8, 21, 1
	s_mov_b32 s6, exec_lo
	s_delay_alu instid0(VALU_DEP_1) | instskip(NEXT) | instid1(VALU_DEP_1)
	v_add3_u32 v1, v8, v1, 0x88fffff
	v_lshrrev_b32_e32 v1, 21, v1
	s_and_not1_saveexec_b32 s7, s7
	s_cbranch_execnz .LBB15_2174
.LBB15_1730:
	s_or_b32 exec_lo, exec_lo, s7
	v_mov_b32_e32 v3, 0
	s_and_saveexec_b32 s7, s6
.LBB15_1731:
	v_lshrrev_b32_e32 v3, 24, v8
	s_delay_alu instid0(VALU_DEP_1)
	v_and_or_b32 v3, 0x80, v3, v1
.LBB15_1732:
	s_or_b32 exec_lo, exec_lo, s7
.LBB15_1733:
	s_delay_alu instid0(SALU_CYCLE_1)
	s_or_b32 exec_lo, exec_lo, s3
	s_mov_b32 s3, 0
	global_store_b8 v[6:7], v3, off
.LBB15_1734:
	s_and_b32 vcc_lo, exec_lo, s3
	s_cbranch_vccz .LBB15_1744
; %bb.1735:
	s_wait_xcnt 0x0
	v_and_b32_e32 v3, 0x7fffffff, v8
	s_mov_b32 s3, exec_lo
                                        ; implicit-def: $vgpr1
	s_delay_alu instid0(VALU_DEP_1)
	v_cmpx_gt_u32_e32 0x43f00000, v3
	s_xor_b32 s3, exec_lo, s3
	s_cbranch_execz .LBB15_1741
; %bb.1736:
	s_mov_b32 s6, exec_lo
                                        ; implicit-def: $vgpr1
	v_cmpx_lt_u32_e32 0x3c7fffff, v3
	s_xor_b32 s6, exec_lo, s6
; %bb.1737:
	v_bfe_u32 v1, v8, 20, 1
	s_delay_alu instid0(VALU_DEP_1) | instskip(NEXT) | instid1(VALU_DEP_1)
	v_add3_u32 v1, v8, v1, 0x407ffff
	v_and_b32_e32 v3, 0xff00000, v1
	v_lshrrev_b32_e32 v1, 20, v1
	s_delay_alu instid0(VALU_DEP_2) | instskip(NEXT) | instid1(VALU_DEP_2)
	v_cmp_ne_u32_e32 vcc_lo, 0x7f00000, v3
	v_cndmask_b32_e32 v1, 0x7e, v1, vcc_lo
; %bb.1738:
	s_and_not1_saveexec_b32 s6, s6
; %bb.1739:
	v_add_f32_e64 v1, 0x46800000, |v8|
; %bb.1740:
	s_or_b32 exec_lo, exec_lo, s6
                                        ; implicit-def: $vgpr3
.LBB15_1741:
	s_and_not1_saveexec_b32 s3, s3
; %bb.1742:
	v_mov_b32_e32 v1, 0x7f
	v_cmp_lt_u32_e32 vcc_lo, 0x7f800000, v3
	s_delay_alu instid0(VALU_DEP_2)
	v_cndmask_b32_e32 v1, 0x7e, v1, vcc_lo
; %bb.1743:
	s_or_b32 exec_lo, exec_lo, s3
	v_lshrrev_b32_e32 v3, 24, v8
	s_delay_alu instid0(VALU_DEP_1)
	v_and_or_b32 v1, 0x80, v3, v1
	global_store_b8 v[6:7], v1, off
.LBB15_1744:
	s_mov_b32 s3, 0
.LBB15_1745:
	s_delay_alu instid0(SALU_CYCLE_1)
	s_and_not1_b32 vcc_lo, exec_lo, s3
	s_cbranch_vccnz .LBB15_1755
; %bb.1746:
	s_wait_xcnt 0x0
	v_and_b32_e32 v3, 0x7fffffff, v8
	s_mov_b32 s3, exec_lo
                                        ; implicit-def: $vgpr1
	s_delay_alu instid0(VALU_DEP_1)
	v_cmpx_gt_u32_e32 0x47800000, v3
	s_xor_b32 s3, exec_lo, s3
	s_cbranch_execz .LBB15_1752
; %bb.1747:
	s_mov_b32 s6, exec_lo
                                        ; implicit-def: $vgpr1
	v_cmpx_lt_u32_e32 0x387fffff, v3
	s_xor_b32 s6, exec_lo, s6
; %bb.1748:
	v_bfe_u32 v1, v8, 21, 1
	s_delay_alu instid0(VALU_DEP_1) | instskip(NEXT) | instid1(VALU_DEP_1)
	v_add3_u32 v1, v8, v1, 0x80fffff
	v_lshrrev_b32_e32 v1, 21, v1
; %bb.1749:
	s_and_not1_saveexec_b32 s6, s6
; %bb.1750:
	v_add_f32_e64 v1, 0x43000000, |v8|
; %bb.1751:
	s_or_b32 exec_lo, exec_lo, s6
                                        ; implicit-def: $vgpr3
.LBB15_1752:
	s_and_not1_saveexec_b32 s3, s3
; %bb.1753:
	v_mov_b32_e32 v1, 0x7f
	v_cmp_lt_u32_e32 vcc_lo, 0x7f800000, v3
	s_delay_alu instid0(VALU_DEP_2)
	v_cndmask_b32_e32 v1, 0x7c, v1, vcc_lo
; %bb.1754:
	s_or_b32 exec_lo, exec_lo, s3
	v_lshrrev_b32_e32 v3, 24, v8
	s_delay_alu instid0(VALU_DEP_1)
	v_and_or_b32 v1, 0x80, v3, v1
	global_store_b8 v[6:7], v1, off
.LBB15_1755:
	s_mov_b32 s3, 0
	s_mov_b32 s6, -1
.LBB15_1756:
	s_and_not1_b32 vcc_lo, exec_lo, s3
	s_mov_b32 s3, 0
	s_cbranch_vccnz .LBB15_1763
; %bb.1757:
	s_cmp_gt_i32 s2, 14
	s_mov_b32 s3, -1
	s_cbranch_scc0 .LBB15_1761
; %bb.1758:
	s_cmp_eq_u32 s2, 15
	s_mov_b32 s0, -1
	s_cbranch_scc0 .LBB15_1760
; %bb.1759:
	s_wait_xcnt 0x0
	v_bfe_u32 v1, v8, 16, 1
	v_cmp_o_f32_e32 vcc_lo, v8, v8
	s_mov_b32 s0, 0
	s_mov_b32 s6, -1
	s_delay_alu instid0(VALU_DEP_2) | instskip(NEXT) | instid1(VALU_DEP_1)
	v_add3_u32 v1, v8, v1, 0x7fff
	v_lshrrev_b32_e32 v1, 16, v1
	s_delay_alu instid0(VALU_DEP_1)
	v_cndmask_b32_e32 v1, 0x7fc0, v1, vcc_lo
	global_store_b16 v[6:7], v1, off
.LBB15_1760:
	s_mov_b32 s3, 0
.LBB15_1761:
	s_delay_alu instid0(SALU_CYCLE_1)
	s_and_b32 vcc_lo, exec_lo, s3
	s_mov_b32 s3, 0
	s_cbranch_vccz .LBB15_1763
; %bb.1762:
	s_cmp_lg_u32 s2, 11
	s_mov_b32 s3, -1
	s_cselect_b32 s0, -1, 0
.LBB15_1763:
	s_delay_alu instid0(SALU_CYCLE_1)
	s_and_b32 vcc_lo, exec_lo, s0
	s_cbranch_vccnz .LBB15_2172
; %bb.1764:
	s_and_not1_b32 vcc_lo, exec_lo, s3
	s_cbranch_vccnz .LBB15_1766
.LBB15_1765:
	v_cmp_neq_f32_e32 vcc_lo, 0, v8
	s_mov_b32 s6, -1
	s_wait_xcnt 0x0
	v_cndmask_b32_e64 v1, 0, 1, vcc_lo
	global_store_b8 v[6:7], v1, off
.LBB15_1766:
	s_mov_b32 s0, 0
	s_branch .LBB15_1813
.LBB15_1767:
	s_mov_b32 s0, 0
	s_wait_xcnt 0x0
	s_mov_b32 s3, 0
                                        ; implicit-def: $vgpr2_vgpr3
                                        ; implicit-def: $sgpr1
                                        ; implicit-def: $vgpr14
.LBB15_1768:
	s_and_not1_b32 s2, s8, exec_lo
	s_and_b32 s4, s10, exec_lo
	s_and_b32 s0, s0, exec_lo
	;; [unrolled: 1-line block ×3, first 2 shown]
	s_or_b32 s8, s2, s4
.LBB15_1769:
	s_wait_xcnt 0x0
	s_or_b32 exec_lo, exec_lo, s9
	s_and_saveexec_b32 s2, s8
	s_cbranch_execz .LBB15_1772
; %bb.1770:
	; divergent unreachable
	s_or_b32 exec_lo, exec_lo, s2
	s_and_saveexec_b32 s2, s34
	s_delay_alu instid0(SALU_CYCLE_1)
	s_xor_b32 s2, exec_lo, s2
	s_cbranch_execnz .LBB15_1773
.LBB15_1771:
	s_or_b32 exec_lo, exec_lo, s2
	s_and_saveexec_b32 s2, s0
	s_cbranch_execnz .LBB15_1774
	s_branch .LBB15_1811
.LBB15_1772:
	s_or_b32 exec_lo, exec_lo, s2
	s_and_saveexec_b32 s2, s34
	s_delay_alu instid0(SALU_CYCLE_1)
	s_xor_b32 s2, exec_lo, s2
	s_cbranch_execz .LBB15_1771
.LBB15_1773:
	s_wait_loadcnt 0x0
	s_delay_alu instid0(VALU_DEP_1)
	v_cmp_neq_f32_e32 vcc_lo, 0, v14
	v_cndmask_b32_e64 v0, 0, 1, vcc_lo
	global_store_b8 v[2:3], v0, off
	s_wait_xcnt 0x0
	s_or_b32 exec_lo, exec_lo, s2
	s_and_saveexec_b32 s2, s0
	s_cbranch_execz .LBB15_1811
.LBB15_1774:
	s_sext_i32_i16 s2, s1
	s_mov_b32 s0, -1
	s_cmp_lt_i32 s2, 5
	s_cbranch_scc1 .LBB15_1795
; %bb.1775:
	s_cmp_lt_i32 s2, 8
	s_cbranch_scc1 .LBB15_1785
; %bb.1776:
	;; [unrolled: 3-line block ×3, first 2 shown]
	s_cmp_gt_i32 s2, 9
	s_cbranch_scc0 .LBB15_1779
; %bb.1778:
	s_wait_loadcnt 0x0
	v_cvt_f64_f32_e32 v[4:5], v14
	v_mov_b32_e32 v6, 0
	s_mov_b32 s0, 0
	s_delay_alu instid0(VALU_DEP_1)
	v_mov_b32_e32 v7, v6
	global_store_b128 v[2:3], v[4:7], off
.LBB15_1779:
	s_and_not1_b32 vcc_lo, exec_lo, s0
	s_cbranch_vccnz .LBB15_1781
; %bb.1780:
	v_mov_b32_e32 v15, 0
	s_wait_loadcnt 0x0
	global_store_b64 v[2:3], v[14:15], off
.LBB15_1781:
	s_mov_b32 s0, 0
.LBB15_1782:
	s_delay_alu instid0(SALU_CYCLE_1)
	s_and_not1_b32 vcc_lo, exec_lo, s0
	s_cbranch_vccnz .LBB15_1784
; %bb.1783:
	s_wait_loadcnt 0x0
	v_cvt_f16_f32_e32 v0, v14
	s_delay_alu instid0(VALU_DEP_1)
	v_and_b32_e32 v0, 0xffff, v0
	global_store_b32 v[2:3], v0, off
.LBB15_1784:
	s_mov_b32 s0, 0
.LBB15_1785:
	s_delay_alu instid0(SALU_CYCLE_1)
	s_and_not1_b32 vcc_lo, exec_lo, s0
	s_cbranch_vccnz .LBB15_1794
; %bb.1786:
	s_sext_i32_i16 s2, s1
	s_mov_b32 s0, -1
	s_cmp_lt_i32 s2, 6
	s_cbranch_scc1 .LBB15_1792
; %bb.1787:
	s_cmp_gt_i32 s2, 6
	s_cbranch_scc0 .LBB15_1789
; %bb.1788:
	s_wait_loadcnt 0x0
	v_cvt_f64_f32_e32 v[0:1], v14
	s_mov_b32 s0, 0
	global_store_b64 v[2:3], v[0:1], off
.LBB15_1789:
	s_and_not1_b32 vcc_lo, exec_lo, s0
	s_cbranch_vccnz .LBB15_1791
; %bb.1790:
	s_wait_loadcnt 0x0
	global_store_b32 v[2:3], v14, off
.LBB15_1791:
	s_mov_b32 s0, 0
.LBB15_1792:
	s_delay_alu instid0(SALU_CYCLE_1)
	s_and_not1_b32 vcc_lo, exec_lo, s0
	s_cbranch_vccnz .LBB15_1794
; %bb.1793:
	s_wait_loadcnt 0x0
	v_cvt_f16_f32_e32 v0, v14
	global_store_b16 v[2:3], v0, off
.LBB15_1794:
	s_mov_b32 s0, 0
.LBB15_1795:
	s_delay_alu instid0(SALU_CYCLE_1)
	s_and_not1_b32 vcc_lo, exec_lo, s0
	s_cbranch_vccnz .LBB15_1811
; %bb.1796:
	s_sext_i32_i16 s2, s1
	s_mov_b32 s0, -1
	s_cmp_lt_i32 s2, 2
	s_cbranch_scc1 .LBB15_1806
; %bb.1797:
	s_cmp_lt_i32 s2, 3
	s_cbranch_scc1 .LBB15_1803
; %bb.1798:
	s_cmp_gt_i32 s2, 3
	s_cbranch_scc0 .LBB15_1800
; %bb.1799:
	s_wait_loadcnt 0x0
	v_trunc_f32_e32 v0, v14
	s_mov_b32 s0, 0
	s_delay_alu instid0(VALU_DEP_1) | instskip(NEXT) | instid1(VALU_DEP_1)
	v_mul_f32_e64 v1, 0x2f800000, |v0|
	v_floor_f32_e32 v1, v1
	s_delay_alu instid0(VALU_DEP_1) | instskip(SKIP_2) | instid1(VALU_DEP_3)
	v_fma_f32 v4, 0xcf800000, v1, |v0|
	v_ashrrev_i32_e32 v0, 31, v0
	v_cvt_u32_f32_e32 v5, v1
	v_cvt_u32_f32_e32 v4, v4
	s_delay_alu instid0(VALU_DEP_2) | instskip(NEXT) | instid1(VALU_DEP_2)
	v_dual_mov_b32 v1, v0 :: v_dual_bitop2_b32 v5, v5, v0 bitop3:0x14
	v_xor_b32_e32 v4, v4, v0
	s_delay_alu instid0(VALU_DEP_1)
	v_sub_nc_u64_e32 v[0:1], v[4:5], v[0:1]
	global_store_b64 v[2:3], v[0:1], off
.LBB15_1800:
	s_and_not1_b32 vcc_lo, exec_lo, s0
	s_cbranch_vccnz .LBB15_1802
; %bb.1801:
	s_wait_loadcnt 0x0
	v_cvt_i32_f32_e32 v0, v14
	global_store_b32 v[2:3], v0, off
.LBB15_1802:
	s_mov_b32 s0, 0
.LBB15_1803:
	s_delay_alu instid0(SALU_CYCLE_1)
	s_and_not1_b32 vcc_lo, exec_lo, s0
	s_cbranch_vccnz .LBB15_1805
; %bb.1804:
	s_wait_loadcnt 0x0
	v_cvt_i32_f32_e32 v0, v14
	global_store_b16 v[2:3], v0, off
.LBB15_1805:
	s_mov_b32 s0, 0
.LBB15_1806:
	s_delay_alu instid0(SALU_CYCLE_1)
	s_and_not1_b32 vcc_lo, exec_lo, s0
	s_cbranch_vccnz .LBB15_1811
; %bb.1807:
	s_sext_i32_i16 s0, s1
	s_delay_alu instid0(SALU_CYCLE_1)
	s_cmp_gt_i32 s0, 0
	s_mov_b32 s0, -1
	s_cbranch_scc0 .LBB15_1809
; %bb.1808:
	s_wait_loadcnt 0x0
	v_cvt_i32_f32_e32 v0, v14
	s_mov_b32 s0, 0
	global_store_b8 v[2:3], v0, off
.LBB15_1809:
	s_and_not1_b32 vcc_lo, exec_lo, s0
	s_cbranch_vccnz .LBB15_1811
; %bb.1810:
	s_wait_loadcnt 0x0
	v_trunc_f32_e32 v0, v14
	s_delay_alu instid0(VALU_DEP_1) | instskip(NEXT) | instid1(VALU_DEP_1)
	v_mul_f32_e64 v1, 0x2f800000, |v0|
	v_floor_f32_e32 v1, v1
	s_delay_alu instid0(VALU_DEP_1) | instskip(SKIP_1) | instid1(VALU_DEP_2)
	v_fma_f32 v1, 0xcf800000, v1, |v0|
	v_ashrrev_i32_e32 v0, 31, v0
	v_cvt_u32_f32_e32 v1, v1
	s_delay_alu instid0(VALU_DEP_1) | instskip(NEXT) | instid1(VALU_DEP_1)
	v_xor_b32_e32 v1, v1, v0
	v_sub_nc_u32_e32 v0, v1, v0
	global_store_b8 v[2:3], v0, off
	s_endpgm
.LBB15_1811:
	s_endpgm
.LBB15_1812:
	s_mov_b32 s0, -1
	s_mov_b32 s6, 0
.LBB15_1813:
	s_and_b32 vcc_lo, exec_lo, s0
	s_cbranch_vccz .LBB15_1852
; %bb.1814:
	s_and_b32 s0, 0xffff, s1
	s_mov_b32 s2, -1
	s_cmp_lt_i32 s0, 5
	s_cbranch_scc1 .LBB15_1835
; %bb.1815:
	s_cmp_lt_i32 s0, 8
	s_cbranch_scc1 .LBB15_1825
; %bb.1816:
	;; [unrolled: 3-line block ×3, first 2 shown]
	s_cmp_gt_i32 s0, 9
	s_cbranch_scc0 .LBB15_1819
; %bb.1818:
	s_wait_xcnt 0x0
	v_cvt_f64_f32_e32 v[16:17], v8
	v_mov_b32_e32 v18, 0
	s_mov_b32 s2, 0
	s_delay_alu instid0(VALU_DEP_1)
	v_mov_b32_e32 v19, v18
	global_store_b128 v[6:7], v[16:19], off
.LBB15_1819:
	s_and_not1_b32 vcc_lo, exec_lo, s2
	s_cbranch_vccnz .LBB15_1821
; %bb.1820:
	v_mov_b32_e32 v9, 0
	global_store_b64 v[6:7], v[8:9], off
.LBB15_1821:
	s_mov_b32 s2, 0
.LBB15_1822:
	s_delay_alu instid0(SALU_CYCLE_1)
	s_and_not1_b32 vcc_lo, exec_lo, s2
	s_cbranch_vccnz .LBB15_1824
; %bb.1823:
	s_wait_xcnt 0x0
	v_cvt_f16_f32_e32 v1, v8
	s_delay_alu instid0(VALU_DEP_1)
	v_and_b32_e32 v1, 0xffff, v1
	global_store_b32 v[6:7], v1, off
.LBB15_1824:
	s_mov_b32 s2, 0
.LBB15_1825:
	s_delay_alu instid0(SALU_CYCLE_1)
	s_and_not1_b32 vcc_lo, exec_lo, s2
	s_cbranch_vccnz .LBB15_1834
; %bb.1826:
	s_cmp_lt_i32 s0, 6
	s_mov_b32 s2, -1
	s_cbranch_scc1 .LBB15_1832
; %bb.1827:
	s_cmp_gt_i32 s0, 6
	s_cbranch_scc0 .LBB15_1829
; %bb.1828:
	s_wait_xcnt 0x0
	v_cvt_f64_f32_e32 v[16:17], v8
	s_mov_b32 s2, 0
	global_store_b64 v[6:7], v[16:17], off
.LBB15_1829:
	s_and_not1_b32 vcc_lo, exec_lo, s2
	s_cbranch_vccnz .LBB15_1831
; %bb.1830:
	global_store_b32 v[6:7], v8, off
.LBB15_1831:
	s_mov_b32 s2, 0
.LBB15_1832:
	s_delay_alu instid0(SALU_CYCLE_1)
	s_and_not1_b32 vcc_lo, exec_lo, s2
	s_cbranch_vccnz .LBB15_1834
; %bb.1833:
	s_wait_xcnt 0x0
	v_cvt_f16_f32_e32 v1, v8
	global_store_b16 v[6:7], v1, off
.LBB15_1834:
	s_mov_b32 s2, 0
.LBB15_1835:
	s_delay_alu instid0(SALU_CYCLE_1)
	s_and_not1_b32 vcc_lo, exec_lo, s2
	s_cbranch_vccnz .LBB15_1851
; %bb.1836:
	s_cmp_lt_i32 s0, 2
	s_mov_b32 s2, -1
	s_cbranch_scc1 .LBB15_1846
; %bb.1837:
	s_cmp_lt_i32 s0, 3
	s_cbranch_scc1 .LBB15_1843
; %bb.1838:
	s_cmp_gt_i32 s0, 3
	s_cbranch_scc0 .LBB15_1840
; %bb.1839:
	s_wait_xcnt 0x0
	v_trunc_f32_e32 v1, v8
	s_mov_b32 s2, 0
	s_delay_alu instid0(VALU_DEP_1) | instskip(SKIP_1) | instid1(VALU_DEP_2)
	v_mul_f32_e64 v3, 0x2f800000, |v1|
	v_ashrrev_i32_e32 v16, 31, v1
	v_floor_f32_e32 v3, v3
	s_delay_alu instid0(VALU_DEP_1) | instskip(SKIP_1) | instid1(VALU_DEP_4)
	v_fma_f32 v5, 0xcf800000, v3, |v1|
	v_cvt_u32_f32_e32 v1, v3
	v_mov_b32_e32 v17, v16
	s_delay_alu instid0(VALU_DEP_3) | instskip(NEXT) | instid1(VALU_DEP_3)
	v_cvt_u32_f32_e32 v3, v5
	v_xor_b32_e32 v19, v1, v16
	s_delay_alu instid0(VALU_DEP_2) | instskip(NEXT) | instid1(VALU_DEP_1)
	v_xor_b32_e32 v18, v3, v16
	v_sub_nc_u64_e32 v[16:17], v[18:19], v[16:17]
	global_store_b64 v[6:7], v[16:17], off
.LBB15_1840:
	s_and_not1_b32 vcc_lo, exec_lo, s2
	s_cbranch_vccnz .LBB15_1842
; %bb.1841:
	s_wait_xcnt 0x0
	v_cvt_i32_f32_e32 v1, v8
	global_store_b32 v[6:7], v1, off
.LBB15_1842:
	s_mov_b32 s2, 0
.LBB15_1843:
	s_delay_alu instid0(SALU_CYCLE_1)
	s_and_not1_b32 vcc_lo, exec_lo, s2
	s_cbranch_vccnz .LBB15_1845
; %bb.1844:
	s_wait_xcnt 0x0
	v_cvt_i32_f32_e32 v1, v8
	global_store_b16 v[6:7], v1, off
.LBB15_1845:
	s_mov_b32 s2, 0
.LBB15_1846:
	s_delay_alu instid0(SALU_CYCLE_1)
	s_and_not1_b32 vcc_lo, exec_lo, s2
	s_cbranch_vccnz .LBB15_1851
; %bb.1847:
	s_cmp_gt_i32 s0, 0
	s_mov_b32 s0, -1
	s_cbranch_scc0 .LBB15_1849
; %bb.1848:
	s_wait_xcnt 0x0
	v_cvt_i32_f32_e32 v1, v8
	s_mov_b32 s0, 0
	global_store_b8 v[6:7], v1, off
.LBB15_1849:
	s_and_not1_b32 vcc_lo, exec_lo, s0
	s_cbranch_vccnz .LBB15_1851
; %bb.1850:
	s_wait_xcnt 0x0
	v_trunc_f32_e32 v1, v8
	s_delay_alu instid0(VALU_DEP_1) | instskip(NEXT) | instid1(VALU_DEP_1)
	v_mul_f32_e64 v3, 0x2f800000, |v1|
	v_floor_f32_e32 v3, v3
	s_delay_alu instid0(VALU_DEP_1) | instskip(SKIP_1) | instid1(VALU_DEP_2)
	v_fma_f32 v3, 0xcf800000, v3, |v1|
	v_ashrrev_i32_e32 v1, 31, v1
	v_cvt_u32_f32_e32 v3, v3
	s_delay_alu instid0(VALU_DEP_1) | instskip(NEXT) | instid1(VALU_DEP_1)
	v_xor_b32_e32 v3, v3, v1
	v_sub_nc_u32_e32 v1, v3, v1
	global_store_b8 v[6:7], v1, off
.LBB15_1851:
	s_mov_b32 s6, -1
.LBB15_1852:
	s_delay_alu instid0(SALU_CYCLE_1)
	s_and_not1_b32 vcc_lo, exec_lo, s6
	s_cbranch_vccnz .LBB15_2167
; %bb.1853:
	v_mov_b32_e32 v5, 0
	s_and_b32 s2, 0xffff, s1
	s_delay_alu instid0(SALU_CYCLE_1) | instskip(NEXT) | instid1(VALU_DEP_1)
	s_cmp_lt_i32 s2, 11
	v_add_nc_u64_e32 v[4:5], s[4:5], v[4:5]
	s_cbranch_scc1 .LBB15_1931
; %bb.1854:
	s_mov_b32 s7, -1
	s_mov_b32 s3, 0
	s_cmp_gt_i32 s2, 25
	s_mov_b32 s6, 0
	s_mov_b32 s0, 0
	s_cbranch_scc0 .LBB15_1887
; %bb.1855:
	s_cmp_gt_i32 s2, 28
	s_cbranch_scc0 .LBB15_1870
; %bb.1856:
	s_cmp_gt_i32 s2, 43
	;; [unrolled: 3-line block ×3, first 2 shown]
	s_cbranch_scc0 .LBB15_1860
; %bb.1858:
	s_mov_b32 s0, -1
	s_mov_b32 s7, 0
	s_cmp_eq_u32 s2, 46
	s_cbranch_scc0 .LBB15_1860
; %bb.1859:
	s_wait_xcnt 0x0
	v_bfe_u32 v1, v10, 16, 1
	v_cmp_o_f32_e32 vcc_lo, v10, v10
	s_mov_b32 s0, 0
	s_mov_b32 s6, -1
	s_delay_alu instid0(VALU_DEP_2) | instskip(NEXT) | instid1(VALU_DEP_1)
	v_add3_u32 v1, v10, v1, 0x7fff
	v_lshrrev_b32_e32 v1, 16, v1
	s_delay_alu instid0(VALU_DEP_1)
	v_cndmask_b32_e32 v1, 0x7fc0, v1, vcc_lo
	global_store_b32 v[4:5], v1, off
.LBB15_1860:
	s_and_b32 vcc_lo, exec_lo, s7
	s_cbranch_vccz .LBB15_1865
; %bb.1861:
	s_cmp_eq_u32 s2, 44
	s_mov_b32 s0, -1
	s_cbranch_scc0 .LBB15_1865
; %bb.1862:
	s_wait_xcnt 0x0
	v_bfe_u32 v3, v10, 23, 8
	v_mov_b32_e32 v1, 0xff
	s_mov_b32 s6, exec_lo
	s_delay_alu instid0(VALU_DEP_2)
	v_cmpx_ne_u32_e32 0xff, v3
	s_cbranch_execz .LBB15_1864
; %bb.1863:
	v_and_b32_e32 v1, 0x400000, v10
	v_and_or_b32 v3, 0x3fffff, v10, v3
	s_delay_alu instid0(VALU_DEP_2) | instskip(NEXT) | instid1(VALU_DEP_2)
	v_cmp_ne_u32_e32 vcc_lo, 0, v1
	v_cmp_ne_u32_e64 s0, 0, v3
	v_lshrrev_b32_e32 v1, 23, v10
	s_and_b32 s0, vcc_lo, s0
	s_delay_alu instid0(SALU_CYCLE_1) | instskip(NEXT) | instid1(VALU_DEP_1)
	v_cndmask_b32_e64 v3, 0, 1, s0
	v_add_nc_u32_e32 v1, v1, v3
.LBB15_1864:
	s_or_b32 exec_lo, exec_lo, s6
	s_mov_b32 s0, 0
	s_mov_b32 s6, -1
	global_store_b8 v[4:5], v1, off
.LBB15_1865:
	s_mov_b32 s7, 0
.LBB15_1866:
	s_delay_alu instid0(SALU_CYCLE_1)
	s_and_b32 vcc_lo, exec_lo, s7
	s_cbranch_vccz .LBB15_1869
; %bb.1867:
	s_cmp_eq_u32 s2, 29
	s_mov_b32 s0, -1
	s_cbranch_scc0 .LBB15_1869
; %bb.1868:
	s_wait_xcnt 0x0
	v_trunc_f32_e32 v1, v10
	s_mov_b32 s0, 0
	s_mov_b32 s6, -1
	s_delay_alu instid0(VALU_DEP_1) | instskip(NEXT) | instid1(VALU_DEP_1)
	v_mul_f32_e32 v3, 0x2f800000, v1
	v_floor_f32_e32 v3, v3
	s_delay_alu instid0(VALU_DEP_1) | instskip(SKIP_1) | instid1(VALU_DEP_2)
	v_fmamk_f32 v1, v3, 0xcf800000, v1
	v_cvt_u32_f32_e32 v7, v3
	v_cvt_u32_f32_e32 v6, v1
	global_store_b64 v[4:5], v[6:7], off
.LBB15_1869:
	s_mov_b32 s7, 0
.LBB15_1870:
	s_delay_alu instid0(SALU_CYCLE_1)
	s_and_b32 vcc_lo, exec_lo, s7
	s_cbranch_vccz .LBB15_1886
; %bb.1871:
	s_cmp_lt_i32 s2, 27
	s_mov_b32 s6, -1
	s_cbranch_scc1 .LBB15_1877
; %bb.1872:
	s_cmp_gt_i32 s2, 27
	s_cbranch_scc0 .LBB15_1874
; %bb.1873:
	s_wait_xcnt 0x0
	v_cvt_u32_f32_e32 v1, v10
	s_mov_b32 s6, 0
	global_store_b32 v[4:5], v1, off
.LBB15_1874:
	s_and_not1_b32 vcc_lo, exec_lo, s6
	s_cbranch_vccnz .LBB15_1876
; %bb.1875:
	s_wait_xcnt 0x0
	v_cvt_u32_f32_e32 v1, v10
	global_store_b16 v[4:5], v1, off
.LBB15_1876:
	s_mov_b32 s6, 0
.LBB15_1877:
	s_delay_alu instid0(SALU_CYCLE_1)
	s_and_not1_b32 vcc_lo, exec_lo, s6
	s_cbranch_vccnz .LBB15_1885
; %bb.1878:
	s_wait_xcnt 0x0
	v_and_b32_e32 v1, 0x7fffffff, v10
	v_mov_b32_e32 v3, 0x80
	s_mov_b32 s6, exec_lo
	s_delay_alu instid0(VALU_DEP_2)
	v_cmpx_gt_u32_e32 0x43800000, v1
	s_cbranch_execz .LBB15_1884
; %bb.1879:
	v_cmp_lt_u32_e32 vcc_lo, 0x3bffffff, v1
	s_mov_b32 s7, 0
                                        ; implicit-def: $vgpr1
	s_and_saveexec_b32 s11, vcc_lo
	s_delay_alu instid0(SALU_CYCLE_1)
	s_xor_b32 s11, exec_lo, s11
	s_cbranch_execz .LBB15_2175
; %bb.1880:
	v_bfe_u32 v1, v10, 20, 1
	s_mov_b32 s7, exec_lo
	s_delay_alu instid0(VALU_DEP_1) | instskip(NEXT) | instid1(VALU_DEP_1)
	v_add3_u32 v1, v10, v1, 0x487ffff
	v_lshrrev_b32_e32 v1, 20, v1
	s_and_not1_saveexec_b32 s11, s11
	s_cbranch_execnz .LBB15_2176
.LBB15_1881:
	s_or_b32 exec_lo, exec_lo, s11
	v_mov_b32_e32 v3, 0
	s_and_saveexec_b32 s11, s7
.LBB15_1882:
	v_lshrrev_b32_e32 v3, 24, v10
	s_delay_alu instid0(VALU_DEP_1)
	v_and_or_b32 v3, 0x80, v3, v1
.LBB15_1883:
	s_or_b32 exec_lo, exec_lo, s11
.LBB15_1884:
	s_delay_alu instid0(SALU_CYCLE_1)
	s_or_b32 exec_lo, exec_lo, s6
	global_store_b8 v[4:5], v3, off
.LBB15_1885:
	s_mov_b32 s6, -1
.LBB15_1886:
	s_mov_b32 s7, 0
.LBB15_1887:
	s_delay_alu instid0(SALU_CYCLE_1)
	s_and_b32 vcc_lo, exec_lo, s7
	s_cbranch_vccz .LBB15_1927
; %bb.1888:
	s_cmp_gt_i32 s2, 22
	s_mov_b32 s3, -1
	s_cbranch_scc0 .LBB15_1920
; %bb.1889:
	s_cmp_lt_i32 s2, 24
	s_cbranch_scc1 .LBB15_1909
; %bb.1890:
	s_cmp_gt_i32 s2, 24
	s_cbranch_scc0 .LBB15_1898
; %bb.1891:
	s_wait_xcnt 0x0
	v_and_b32_e32 v1, 0x7fffffff, v10
	v_mov_b32_e32 v3, 0x80
	s_mov_b32 s3, exec_lo
	s_delay_alu instid0(VALU_DEP_2)
	v_cmpx_gt_u32_e32 0x47800000, v1
	s_cbranch_execz .LBB15_1897
; %bb.1892:
	v_cmp_lt_u32_e32 vcc_lo, 0x37ffffff, v1
	s_mov_b32 s6, 0
                                        ; implicit-def: $vgpr1
	s_and_saveexec_b32 s7, vcc_lo
	s_delay_alu instid0(SALU_CYCLE_1)
	s_xor_b32 s7, exec_lo, s7
	s_cbranch_execz .LBB15_2178
; %bb.1893:
	v_bfe_u32 v1, v10, 21, 1
	s_mov_b32 s6, exec_lo
	s_delay_alu instid0(VALU_DEP_1) | instskip(NEXT) | instid1(VALU_DEP_1)
	v_add3_u32 v1, v10, v1, 0x88fffff
	v_lshrrev_b32_e32 v1, 21, v1
	s_and_not1_saveexec_b32 s7, s7
	s_cbranch_execnz .LBB15_2179
.LBB15_1894:
	s_or_b32 exec_lo, exec_lo, s7
	v_mov_b32_e32 v3, 0
	s_and_saveexec_b32 s7, s6
.LBB15_1895:
	v_lshrrev_b32_e32 v3, 24, v10
	s_delay_alu instid0(VALU_DEP_1)
	v_and_or_b32 v3, 0x80, v3, v1
.LBB15_1896:
	s_or_b32 exec_lo, exec_lo, s7
.LBB15_1897:
	s_delay_alu instid0(SALU_CYCLE_1)
	s_or_b32 exec_lo, exec_lo, s3
	s_mov_b32 s3, 0
	global_store_b8 v[4:5], v3, off
.LBB15_1898:
	s_and_b32 vcc_lo, exec_lo, s3
	s_cbranch_vccz .LBB15_1908
; %bb.1899:
	s_wait_xcnt 0x0
	v_and_b32_e32 v3, 0x7fffffff, v10
	s_mov_b32 s3, exec_lo
                                        ; implicit-def: $vgpr1
	s_delay_alu instid0(VALU_DEP_1)
	v_cmpx_gt_u32_e32 0x43f00000, v3
	s_xor_b32 s3, exec_lo, s3
	s_cbranch_execz .LBB15_1905
; %bb.1900:
	s_mov_b32 s6, exec_lo
                                        ; implicit-def: $vgpr1
	v_cmpx_lt_u32_e32 0x3c7fffff, v3
	s_xor_b32 s6, exec_lo, s6
; %bb.1901:
	v_bfe_u32 v1, v10, 20, 1
	s_delay_alu instid0(VALU_DEP_1) | instskip(NEXT) | instid1(VALU_DEP_1)
	v_add3_u32 v1, v10, v1, 0x407ffff
	v_and_b32_e32 v3, 0xff00000, v1
	v_lshrrev_b32_e32 v1, 20, v1
	s_delay_alu instid0(VALU_DEP_2) | instskip(NEXT) | instid1(VALU_DEP_2)
	v_cmp_ne_u32_e32 vcc_lo, 0x7f00000, v3
	v_cndmask_b32_e32 v1, 0x7e, v1, vcc_lo
; %bb.1902:
	s_and_not1_saveexec_b32 s6, s6
; %bb.1903:
	v_add_f32_e64 v1, 0x46800000, |v10|
; %bb.1904:
	s_or_b32 exec_lo, exec_lo, s6
                                        ; implicit-def: $vgpr3
.LBB15_1905:
	s_and_not1_saveexec_b32 s3, s3
; %bb.1906:
	v_mov_b32_e32 v1, 0x7f
	v_cmp_lt_u32_e32 vcc_lo, 0x7f800000, v3
	s_delay_alu instid0(VALU_DEP_2)
	v_cndmask_b32_e32 v1, 0x7e, v1, vcc_lo
; %bb.1907:
	s_or_b32 exec_lo, exec_lo, s3
	v_lshrrev_b32_e32 v3, 24, v10
	s_delay_alu instid0(VALU_DEP_1)
	v_and_or_b32 v1, 0x80, v3, v1
	global_store_b8 v[4:5], v1, off
.LBB15_1908:
	s_mov_b32 s3, 0
.LBB15_1909:
	s_delay_alu instid0(SALU_CYCLE_1)
	s_and_not1_b32 vcc_lo, exec_lo, s3
	s_cbranch_vccnz .LBB15_1919
; %bb.1910:
	s_wait_xcnt 0x0
	v_and_b32_e32 v3, 0x7fffffff, v10
	s_mov_b32 s3, exec_lo
                                        ; implicit-def: $vgpr1
	s_delay_alu instid0(VALU_DEP_1)
	v_cmpx_gt_u32_e32 0x47800000, v3
	s_xor_b32 s3, exec_lo, s3
	s_cbranch_execz .LBB15_1916
; %bb.1911:
	s_mov_b32 s6, exec_lo
                                        ; implicit-def: $vgpr1
	v_cmpx_lt_u32_e32 0x387fffff, v3
	s_xor_b32 s6, exec_lo, s6
; %bb.1912:
	v_bfe_u32 v1, v10, 21, 1
	s_delay_alu instid0(VALU_DEP_1) | instskip(NEXT) | instid1(VALU_DEP_1)
	v_add3_u32 v1, v10, v1, 0x80fffff
	v_lshrrev_b32_e32 v1, 21, v1
; %bb.1913:
	s_and_not1_saveexec_b32 s6, s6
; %bb.1914:
	v_add_f32_e64 v1, 0x43000000, |v10|
; %bb.1915:
	s_or_b32 exec_lo, exec_lo, s6
                                        ; implicit-def: $vgpr3
.LBB15_1916:
	s_and_not1_saveexec_b32 s3, s3
; %bb.1917:
	v_mov_b32_e32 v1, 0x7f
	v_cmp_lt_u32_e32 vcc_lo, 0x7f800000, v3
	s_delay_alu instid0(VALU_DEP_2)
	v_cndmask_b32_e32 v1, 0x7c, v1, vcc_lo
; %bb.1918:
	s_or_b32 exec_lo, exec_lo, s3
	v_lshrrev_b32_e32 v3, 24, v10
	s_delay_alu instid0(VALU_DEP_1)
	v_and_or_b32 v1, 0x80, v3, v1
	global_store_b8 v[4:5], v1, off
.LBB15_1919:
	s_mov_b32 s3, 0
	s_mov_b32 s6, -1
.LBB15_1920:
	s_and_not1_b32 vcc_lo, exec_lo, s3
	s_mov_b32 s3, 0
	s_cbranch_vccnz .LBB15_1927
; %bb.1921:
	s_cmp_gt_i32 s2, 14
	s_mov_b32 s3, -1
	s_cbranch_scc0 .LBB15_1925
; %bb.1922:
	s_cmp_eq_u32 s2, 15
	s_mov_b32 s0, -1
	s_cbranch_scc0 .LBB15_1924
; %bb.1923:
	s_wait_xcnt 0x0
	v_bfe_u32 v1, v10, 16, 1
	v_cmp_o_f32_e32 vcc_lo, v10, v10
	s_mov_b32 s0, 0
	s_mov_b32 s6, -1
	s_delay_alu instid0(VALU_DEP_2) | instskip(NEXT) | instid1(VALU_DEP_1)
	v_add3_u32 v1, v10, v1, 0x7fff
	v_lshrrev_b32_e32 v1, 16, v1
	s_delay_alu instid0(VALU_DEP_1)
	v_cndmask_b32_e32 v1, 0x7fc0, v1, vcc_lo
	global_store_b16 v[4:5], v1, off
.LBB15_1924:
	s_mov_b32 s3, 0
.LBB15_1925:
	s_delay_alu instid0(SALU_CYCLE_1)
	s_and_b32 vcc_lo, exec_lo, s3
	s_mov_b32 s3, 0
	s_cbranch_vccz .LBB15_1927
; %bb.1926:
	s_cmp_lg_u32 s2, 11
	s_mov_b32 s3, -1
	s_cselect_b32 s0, -1, 0
.LBB15_1927:
	s_delay_alu instid0(SALU_CYCLE_1)
	s_and_b32 vcc_lo, exec_lo, s0
	s_cbranch_vccnz .LBB15_2177
; %bb.1928:
	s_and_not1_b32 vcc_lo, exec_lo, s3
	s_cbranch_vccnz .LBB15_1930
.LBB15_1929:
	v_cmp_neq_f32_e32 vcc_lo, 0, v10
	s_mov_b32 s6, -1
	s_wait_xcnt 0x0
	v_cndmask_b32_e64 v1, 0, 1, vcc_lo
	global_store_b8 v[4:5], v1, off
.LBB15_1930:
	s_mov_b32 s0, 0
	s_branch .LBB15_1932
.LBB15_1931:
	s_mov_b32 s0, -1
	s_mov_b32 s6, 0
.LBB15_1932:
	s_and_b32 vcc_lo, exec_lo, s0
	s_cbranch_vccz .LBB15_1971
; %bb.1933:
	s_cmp_lt_i32 s2, 5
	s_mov_b32 s0, -1
	s_cbranch_scc1 .LBB15_1954
; %bb.1934:
	s_cmp_lt_i32 s2, 8
	s_cbranch_scc1 .LBB15_1944
; %bb.1935:
	s_cmp_lt_i32 s2, 9
	s_cbranch_scc1 .LBB15_1941
; %bb.1936:
	s_cmp_gt_i32 s2, 9
	s_cbranch_scc0 .LBB15_1938
; %bb.1937:
	s_wait_xcnt 0x0
	v_cvt_f64_f32_e32 v[6:7], v10
	v_mov_b32_e32 v8, 0
	s_mov_b32 s0, 0
	s_delay_alu instid0(VALU_DEP_1)
	v_mov_b32_e32 v9, v8
	global_store_b128 v[4:5], v[6:9], off
.LBB15_1938:
	s_and_not1_b32 vcc_lo, exec_lo, s0
	s_cbranch_vccnz .LBB15_1940
; %bb.1939:
	v_mov_b32_e32 v11, 0
	global_store_b64 v[4:5], v[10:11], off
.LBB15_1940:
	s_mov_b32 s0, 0
.LBB15_1941:
	s_delay_alu instid0(SALU_CYCLE_1)
	s_and_not1_b32 vcc_lo, exec_lo, s0
	s_cbranch_vccnz .LBB15_1943
; %bb.1942:
	s_wait_xcnt 0x0
	v_cvt_f16_f32_e32 v1, v10
	s_delay_alu instid0(VALU_DEP_1)
	v_and_b32_e32 v1, 0xffff, v1
	global_store_b32 v[4:5], v1, off
.LBB15_1943:
	s_mov_b32 s0, 0
.LBB15_1944:
	s_delay_alu instid0(SALU_CYCLE_1)
	s_and_not1_b32 vcc_lo, exec_lo, s0
	s_cbranch_vccnz .LBB15_1953
; %bb.1945:
	s_cmp_lt_i32 s2, 6
	s_mov_b32 s0, -1
	s_cbranch_scc1 .LBB15_1951
; %bb.1946:
	s_cmp_gt_i32 s2, 6
	s_cbranch_scc0 .LBB15_1948
; %bb.1947:
	s_wait_xcnt 0x0
	v_cvt_f64_f32_e32 v[6:7], v10
	s_mov_b32 s0, 0
	global_store_b64 v[4:5], v[6:7], off
.LBB15_1948:
	s_and_not1_b32 vcc_lo, exec_lo, s0
	s_cbranch_vccnz .LBB15_1950
; %bb.1949:
	global_store_b32 v[4:5], v10, off
.LBB15_1950:
	s_mov_b32 s0, 0
.LBB15_1951:
	s_delay_alu instid0(SALU_CYCLE_1)
	s_and_not1_b32 vcc_lo, exec_lo, s0
	s_cbranch_vccnz .LBB15_1953
; %bb.1952:
	s_wait_xcnt 0x0
	v_cvt_f16_f32_e32 v1, v10
	global_store_b16 v[4:5], v1, off
.LBB15_1953:
	s_mov_b32 s0, 0
.LBB15_1954:
	s_delay_alu instid0(SALU_CYCLE_1)
	s_and_not1_b32 vcc_lo, exec_lo, s0
	s_cbranch_vccnz .LBB15_1970
; %bb.1955:
	s_cmp_lt_i32 s2, 2
	s_mov_b32 s0, -1
	s_cbranch_scc1 .LBB15_1965
; %bb.1956:
	s_cmp_lt_i32 s2, 3
	s_cbranch_scc1 .LBB15_1962
; %bb.1957:
	s_cmp_gt_i32 s2, 3
	s_cbranch_scc0 .LBB15_1959
; %bb.1958:
	s_wait_xcnt 0x0
	v_trunc_f32_e32 v1, v10
	s_mov_b32 s0, 0
	s_delay_alu instid0(VALU_DEP_1) | instskip(SKIP_1) | instid1(VALU_DEP_2)
	v_mul_f32_e64 v3, 0x2f800000, |v1|
	v_ashrrev_i32_e32 v6, 31, v1
	v_floor_f32_e32 v3, v3
	s_delay_alu instid0(VALU_DEP_1) | instskip(SKIP_1) | instid1(VALU_DEP_2)
	v_fma_f32 v7, 0xcf800000, v3, |v1|
	v_cvt_u32_f32_e32 v1, v3
	v_cvt_u32_f32_e32 v3, v7
	s_delay_alu instid0(VALU_DEP_2) | instskip(NEXT) | instid1(VALU_DEP_2)
	v_dual_mov_b32 v7, v6 :: v_dual_bitop2_b32 v9, v1, v6 bitop3:0x14
	v_xor_b32_e32 v8, v3, v6
	s_delay_alu instid0(VALU_DEP_1)
	v_sub_nc_u64_e32 v[6:7], v[8:9], v[6:7]
	global_store_b64 v[4:5], v[6:7], off
.LBB15_1959:
	s_and_not1_b32 vcc_lo, exec_lo, s0
	s_cbranch_vccnz .LBB15_1961
; %bb.1960:
	s_wait_xcnt 0x0
	v_cvt_i32_f32_e32 v1, v10
	global_store_b32 v[4:5], v1, off
.LBB15_1961:
	s_mov_b32 s0, 0
.LBB15_1962:
	s_delay_alu instid0(SALU_CYCLE_1)
	s_and_not1_b32 vcc_lo, exec_lo, s0
	s_cbranch_vccnz .LBB15_1964
; %bb.1963:
	s_wait_xcnt 0x0
	v_cvt_i32_f32_e32 v1, v10
	global_store_b16 v[4:5], v1, off
.LBB15_1964:
	s_mov_b32 s0, 0
.LBB15_1965:
	s_delay_alu instid0(SALU_CYCLE_1)
	s_and_not1_b32 vcc_lo, exec_lo, s0
	s_cbranch_vccnz .LBB15_1970
; %bb.1966:
	s_cmp_gt_i32 s2, 0
	s_mov_b32 s0, -1
	s_cbranch_scc0 .LBB15_1968
; %bb.1967:
	s_wait_xcnt 0x0
	v_cvt_i32_f32_e32 v1, v10
	s_mov_b32 s0, 0
	global_store_b8 v[4:5], v1, off
.LBB15_1968:
	s_and_not1_b32 vcc_lo, exec_lo, s0
	s_cbranch_vccnz .LBB15_1970
; %bb.1969:
	s_wait_xcnt 0x0
	v_trunc_f32_e32 v1, v10
	s_delay_alu instid0(VALU_DEP_1) | instskip(NEXT) | instid1(VALU_DEP_1)
	v_mul_f32_e64 v3, 0x2f800000, |v1|
	v_floor_f32_e32 v3, v3
	s_delay_alu instid0(VALU_DEP_1) | instskip(SKIP_1) | instid1(VALU_DEP_2)
	v_fma_f32 v3, 0xcf800000, v3, |v1|
	v_ashrrev_i32_e32 v1, 31, v1
	v_cvt_u32_f32_e32 v3, v3
	s_delay_alu instid0(VALU_DEP_1) | instskip(NEXT) | instid1(VALU_DEP_1)
	v_xor_b32_e32 v3, v3, v1
	v_sub_nc_u32_e32 v1, v3, v1
	global_store_b8 v[4:5], v1, off
.LBB15_1970:
	s_mov_b32 s6, -1
.LBB15_1971:
	s_delay_alu instid0(SALU_CYCLE_1)
	s_and_not1_b32 vcc_lo, exec_lo, s6
	s_cbranch_vccnz .LBB15_2167
; %bb.1972:
	s_wait_xcnt 0x0
	v_mov_b32_e32 v3, 0
	s_cmp_lt_i32 s2, 11
	s_delay_alu instid0(VALU_DEP_1)
	v_add_nc_u64_e32 v[2:3], s[4:5], v[2:3]
	s_cbranch_scc1 .LBB15_2050
; %bb.1973:
	s_mov_b32 s7, -1
	s_mov_b32 s3, 0
	s_cmp_gt_i32 s2, 25
	s_mov_b32 s6, 0
	s_mov_b32 s0, 0
	s_cbranch_scc0 .LBB15_2006
; %bb.1974:
	s_cmp_gt_i32 s2, 28
	s_cbranch_scc0 .LBB15_1989
; %bb.1975:
	s_cmp_gt_i32 s2, 43
	;; [unrolled: 3-line block ×3, first 2 shown]
	s_cbranch_scc0 .LBB15_1979
; %bb.1977:
	s_mov_b32 s0, -1
	s_mov_b32 s7, 0
	s_cmp_eq_u32 s2, 46
	s_cbranch_scc0 .LBB15_1979
; %bb.1978:
	v_bfe_u32 v1, v12, 16, 1
	v_cmp_o_f32_e32 vcc_lo, v12, v12
	s_mov_b32 s0, 0
	s_mov_b32 s6, -1
	s_delay_alu instid0(VALU_DEP_2) | instskip(NEXT) | instid1(VALU_DEP_1)
	v_add3_u32 v1, v12, v1, 0x7fff
	v_lshrrev_b32_e32 v1, 16, v1
	s_delay_alu instid0(VALU_DEP_1)
	v_cndmask_b32_e32 v1, 0x7fc0, v1, vcc_lo
	global_store_b32 v[2:3], v1, off
.LBB15_1979:
	s_and_b32 vcc_lo, exec_lo, s7
	s_cbranch_vccz .LBB15_1984
; %bb.1980:
	s_cmp_eq_u32 s2, 44
	s_mov_b32 s0, -1
	s_cbranch_scc0 .LBB15_1984
; %bb.1981:
	v_bfe_u32 v4, v12, 23, 8
	s_wait_xcnt 0x0
	v_mov_b32_e32 v1, 0xff
	s_mov_b32 s6, exec_lo
	s_delay_alu instid0(VALU_DEP_2)
	v_cmpx_ne_u32_e32 0xff, v4
	s_cbranch_execz .LBB15_1983
; %bb.1982:
	v_and_b32_e32 v1, 0x400000, v12
	v_and_or_b32 v4, 0x3fffff, v12, v4
	s_delay_alu instid0(VALU_DEP_2) | instskip(NEXT) | instid1(VALU_DEP_2)
	v_cmp_ne_u32_e32 vcc_lo, 0, v1
	v_cmp_ne_u32_e64 s0, 0, v4
	v_lshrrev_b32_e32 v1, 23, v12
	s_and_b32 s0, vcc_lo, s0
	s_delay_alu instid0(SALU_CYCLE_1) | instskip(NEXT) | instid1(VALU_DEP_1)
	v_cndmask_b32_e64 v4, 0, 1, s0
	v_add_nc_u32_e32 v1, v1, v4
.LBB15_1983:
	s_or_b32 exec_lo, exec_lo, s6
	s_mov_b32 s0, 0
	s_mov_b32 s6, -1
	global_store_b8 v[2:3], v1, off
.LBB15_1984:
	s_mov_b32 s7, 0
.LBB15_1985:
	s_delay_alu instid0(SALU_CYCLE_1)
	s_and_b32 vcc_lo, exec_lo, s7
	s_cbranch_vccz .LBB15_1988
; %bb.1986:
	s_cmp_eq_u32 s2, 29
	s_mov_b32 s0, -1
	s_cbranch_scc0 .LBB15_1988
; %bb.1987:
	s_wait_xcnt 0x0
	v_trunc_f32_e32 v1, v12
	s_mov_b32 s0, 0
	s_mov_b32 s6, -1
	s_delay_alu instid0(VALU_DEP_1) | instskip(NEXT) | instid1(VALU_DEP_1)
	v_mul_f32_e32 v4, 0x2f800000, v1
	v_floor_f32_e32 v4, v4
	s_delay_alu instid0(VALU_DEP_1) | instskip(SKIP_1) | instid1(VALU_DEP_2)
	v_fmamk_f32 v1, v4, 0xcf800000, v1
	v_cvt_u32_f32_e32 v5, v4
	v_cvt_u32_f32_e32 v4, v1
	global_store_b64 v[2:3], v[4:5], off
.LBB15_1988:
	s_mov_b32 s7, 0
.LBB15_1989:
	s_delay_alu instid0(SALU_CYCLE_1)
	s_and_b32 vcc_lo, exec_lo, s7
	s_cbranch_vccz .LBB15_2005
; %bb.1990:
	s_cmp_lt_i32 s2, 27
	s_mov_b32 s6, -1
	s_cbranch_scc1 .LBB15_1996
; %bb.1991:
	s_wait_xcnt 0x0
	v_cvt_u32_f32_e32 v1, v12
	s_cmp_gt_i32 s2, 27
	s_cbranch_scc0 .LBB15_1993
; %bb.1992:
	s_mov_b32 s6, 0
	global_store_b32 v[2:3], v1, off
.LBB15_1993:
	s_and_not1_b32 vcc_lo, exec_lo, s6
	s_cbranch_vccnz .LBB15_1995
; %bb.1994:
	global_store_b16 v[2:3], v1, off
.LBB15_1995:
	s_mov_b32 s6, 0
.LBB15_1996:
	s_delay_alu instid0(SALU_CYCLE_1)
	s_and_not1_b32 vcc_lo, exec_lo, s6
	s_cbranch_vccnz .LBB15_2004
; %bb.1997:
	s_wait_xcnt 0x0
	v_and_b32_e32 v1, 0x7fffffff, v12
	v_mov_b32_e32 v4, 0x80
	s_mov_b32 s6, exec_lo
	s_delay_alu instid0(VALU_DEP_2)
	v_cmpx_gt_u32_e32 0x43800000, v1
	s_cbranch_execz .LBB15_2003
; %bb.1998:
	v_cmp_lt_u32_e32 vcc_lo, 0x3bffffff, v1
	s_mov_b32 s7, 0
                                        ; implicit-def: $vgpr1
	s_and_saveexec_b32 s11, vcc_lo
	s_delay_alu instid0(SALU_CYCLE_1)
	s_xor_b32 s11, exec_lo, s11
	s_cbranch_execz .LBB15_2180
; %bb.1999:
	v_bfe_u32 v1, v12, 20, 1
	s_mov_b32 s7, exec_lo
	s_delay_alu instid0(VALU_DEP_1) | instskip(NEXT) | instid1(VALU_DEP_1)
	v_add3_u32 v1, v12, v1, 0x487ffff
	v_lshrrev_b32_e32 v1, 20, v1
	s_and_not1_saveexec_b32 s11, s11
	s_cbranch_execnz .LBB15_2181
.LBB15_2000:
	s_or_b32 exec_lo, exec_lo, s11
	v_mov_b32_e32 v4, 0
	s_and_saveexec_b32 s11, s7
.LBB15_2001:
	v_lshrrev_b32_e32 v4, 24, v12
	s_delay_alu instid0(VALU_DEP_1)
	v_and_or_b32 v4, 0x80, v4, v1
.LBB15_2002:
	s_or_b32 exec_lo, exec_lo, s11
.LBB15_2003:
	s_delay_alu instid0(SALU_CYCLE_1)
	s_or_b32 exec_lo, exec_lo, s6
	global_store_b8 v[2:3], v4, off
.LBB15_2004:
	s_mov_b32 s6, -1
.LBB15_2005:
	s_mov_b32 s7, 0
.LBB15_2006:
	s_delay_alu instid0(SALU_CYCLE_1)
	s_and_b32 vcc_lo, exec_lo, s7
	s_cbranch_vccz .LBB15_2046
; %bb.2007:
	s_cmp_gt_i32 s2, 22
	s_mov_b32 s3, -1
	s_cbranch_scc0 .LBB15_2039
; %bb.2008:
	s_cmp_lt_i32 s2, 24
	s_cbranch_scc1 .LBB15_2028
; %bb.2009:
	s_cmp_gt_i32 s2, 24
	s_cbranch_scc0 .LBB15_2017
; %bb.2010:
	s_wait_xcnt 0x0
	v_and_b32_e32 v1, 0x7fffffff, v12
	v_mov_b32_e32 v4, 0x80
	s_mov_b32 s3, exec_lo
	s_delay_alu instid0(VALU_DEP_2)
	v_cmpx_gt_u32_e32 0x47800000, v1
	s_cbranch_execz .LBB15_2016
; %bb.2011:
	v_cmp_lt_u32_e32 vcc_lo, 0x37ffffff, v1
	s_mov_b32 s6, 0
                                        ; implicit-def: $vgpr1
	s_and_saveexec_b32 s7, vcc_lo
	s_delay_alu instid0(SALU_CYCLE_1)
	s_xor_b32 s7, exec_lo, s7
	s_cbranch_execz .LBB15_2183
; %bb.2012:
	v_bfe_u32 v1, v12, 21, 1
	s_mov_b32 s6, exec_lo
	s_delay_alu instid0(VALU_DEP_1) | instskip(NEXT) | instid1(VALU_DEP_1)
	v_add3_u32 v1, v12, v1, 0x88fffff
	v_lshrrev_b32_e32 v1, 21, v1
	s_and_not1_saveexec_b32 s7, s7
	s_cbranch_execnz .LBB15_2184
.LBB15_2013:
	s_or_b32 exec_lo, exec_lo, s7
	v_mov_b32_e32 v4, 0
	s_and_saveexec_b32 s7, s6
.LBB15_2014:
	v_lshrrev_b32_e32 v4, 24, v12
	s_delay_alu instid0(VALU_DEP_1)
	v_and_or_b32 v4, 0x80, v4, v1
.LBB15_2015:
	s_or_b32 exec_lo, exec_lo, s7
.LBB15_2016:
	s_delay_alu instid0(SALU_CYCLE_1)
	s_or_b32 exec_lo, exec_lo, s3
	s_mov_b32 s3, 0
	global_store_b8 v[2:3], v4, off
.LBB15_2017:
	s_and_b32 vcc_lo, exec_lo, s3
	s_cbranch_vccz .LBB15_2027
; %bb.2018:
	s_wait_xcnt 0x0
	v_and_b32_e32 v4, 0x7fffffff, v12
	s_mov_b32 s3, exec_lo
                                        ; implicit-def: $vgpr1
	s_delay_alu instid0(VALU_DEP_1)
	v_cmpx_gt_u32_e32 0x43f00000, v4
	s_xor_b32 s3, exec_lo, s3
	s_cbranch_execz .LBB15_2024
; %bb.2019:
	s_mov_b32 s6, exec_lo
                                        ; implicit-def: $vgpr1
	v_cmpx_lt_u32_e32 0x3c7fffff, v4
	s_xor_b32 s6, exec_lo, s6
; %bb.2020:
	v_bfe_u32 v1, v12, 20, 1
	s_delay_alu instid0(VALU_DEP_1) | instskip(NEXT) | instid1(VALU_DEP_1)
	v_add3_u32 v1, v12, v1, 0x407ffff
	v_and_b32_e32 v4, 0xff00000, v1
	v_lshrrev_b32_e32 v1, 20, v1
	s_delay_alu instid0(VALU_DEP_2) | instskip(NEXT) | instid1(VALU_DEP_2)
	v_cmp_ne_u32_e32 vcc_lo, 0x7f00000, v4
	v_cndmask_b32_e32 v1, 0x7e, v1, vcc_lo
; %bb.2021:
	s_and_not1_saveexec_b32 s6, s6
; %bb.2022:
	v_add_f32_e64 v1, 0x46800000, |v12|
; %bb.2023:
	s_or_b32 exec_lo, exec_lo, s6
                                        ; implicit-def: $vgpr4
.LBB15_2024:
	s_and_not1_saveexec_b32 s3, s3
; %bb.2025:
	v_mov_b32_e32 v1, 0x7f
	v_cmp_lt_u32_e32 vcc_lo, 0x7f800000, v4
	s_delay_alu instid0(VALU_DEP_2)
	v_cndmask_b32_e32 v1, 0x7e, v1, vcc_lo
; %bb.2026:
	s_or_b32 exec_lo, exec_lo, s3
	v_lshrrev_b32_e32 v4, 24, v12
	s_delay_alu instid0(VALU_DEP_1)
	v_and_or_b32 v1, 0x80, v4, v1
	global_store_b8 v[2:3], v1, off
.LBB15_2027:
	s_mov_b32 s3, 0
.LBB15_2028:
	s_delay_alu instid0(SALU_CYCLE_1)
	s_and_not1_b32 vcc_lo, exec_lo, s3
	s_cbranch_vccnz .LBB15_2038
; %bb.2029:
	s_wait_xcnt 0x0
	v_and_b32_e32 v4, 0x7fffffff, v12
	s_mov_b32 s3, exec_lo
                                        ; implicit-def: $vgpr1
	s_delay_alu instid0(VALU_DEP_1)
	v_cmpx_gt_u32_e32 0x47800000, v4
	s_xor_b32 s3, exec_lo, s3
	s_cbranch_execz .LBB15_2035
; %bb.2030:
	s_mov_b32 s6, exec_lo
                                        ; implicit-def: $vgpr1
	v_cmpx_lt_u32_e32 0x387fffff, v4
	s_xor_b32 s6, exec_lo, s6
; %bb.2031:
	v_bfe_u32 v1, v12, 21, 1
	s_delay_alu instid0(VALU_DEP_1) | instskip(NEXT) | instid1(VALU_DEP_1)
	v_add3_u32 v1, v12, v1, 0x80fffff
	v_lshrrev_b32_e32 v1, 21, v1
; %bb.2032:
	s_and_not1_saveexec_b32 s6, s6
; %bb.2033:
	v_add_f32_e64 v1, 0x43000000, |v12|
; %bb.2034:
	s_or_b32 exec_lo, exec_lo, s6
                                        ; implicit-def: $vgpr4
.LBB15_2035:
	s_and_not1_saveexec_b32 s3, s3
; %bb.2036:
	v_mov_b32_e32 v1, 0x7f
	v_cmp_lt_u32_e32 vcc_lo, 0x7f800000, v4
	s_delay_alu instid0(VALU_DEP_2)
	v_cndmask_b32_e32 v1, 0x7c, v1, vcc_lo
; %bb.2037:
	s_or_b32 exec_lo, exec_lo, s3
	v_lshrrev_b32_e32 v4, 24, v12
	s_delay_alu instid0(VALU_DEP_1)
	v_and_or_b32 v1, 0x80, v4, v1
	global_store_b8 v[2:3], v1, off
.LBB15_2038:
	s_mov_b32 s3, 0
	s_mov_b32 s6, -1
.LBB15_2039:
	s_and_not1_b32 vcc_lo, exec_lo, s3
	s_mov_b32 s3, 0
	s_cbranch_vccnz .LBB15_2046
; %bb.2040:
	s_cmp_gt_i32 s2, 14
	s_mov_b32 s3, -1
	s_cbranch_scc0 .LBB15_2044
; %bb.2041:
	s_cmp_eq_u32 s2, 15
	s_mov_b32 s0, -1
	s_cbranch_scc0 .LBB15_2043
; %bb.2042:
	s_wait_xcnt 0x0
	v_bfe_u32 v1, v12, 16, 1
	v_cmp_o_f32_e32 vcc_lo, v12, v12
	s_mov_b32 s0, 0
	s_mov_b32 s6, -1
	s_delay_alu instid0(VALU_DEP_2) | instskip(NEXT) | instid1(VALU_DEP_1)
	v_add3_u32 v1, v12, v1, 0x7fff
	v_lshrrev_b32_e32 v1, 16, v1
	s_delay_alu instid0(VALU_DEP_1)
	v_cndmask_b32_e32 v1, 0x7fc0, v1, vcc_lo
	global_store_b16 v[2:3], v1, off
.LBB15_2043:
	s_mov_b32 s3, 0
.LBB15_2044:
	s_delay_alu instid0(SALU_CYCLE_1)
	s_and_b32 vcc_lo, exec_lo, s3
	s_mov_b32 s3, 0
	s_cbranch_vccz .LBB15_2046
; %bb.2045:
	s_cmp_lg_u32 s2, 11
	s_mov_b32 s3, -1
	s_cselect_b32 s0, -1, 0
.LBB15_2046:
	s_delay_alu instid0(SALU_CYCLE_1)
	s_and_b32 vcc_lo, exec_lo, s0
	s_cbranch_vccnz .LBB15_2182
; %bb.2047:
	s_and_not1_b32 vcc_lo, exec_lo, s3
	s_cbranch_vccnz .LBB15_2049
.LBB15_2048:
	v_cmp_neq_f32_e32 vcc_lo, 0, v12
	s_mov_b32 s6, -1
	s_wait_xcnt 0x0
	v_cndmask_b32_e64 v1, 0, 1, vcc_lo
	global_store_b8 v[2:3], v1, off
.LBB15_2049:
	s_mov_b32 s0, 0
	s_branch .LBB15_2051
.LBB15_2050:
	s_mov_b32 s0, -1
	s_mov_b32 s6, 0
.LBB15_2051:
	s_and_b32 vcc_lo, exec_lo, s0
	s_cbranch_vccz .LBB15_2090
; %bb.2052:
	s_cmp_lt_i32 s2, 5
	s_mov_b32 s0, -1
	s_cbranch_scc1 .LBB15_2073
; %bb.2053:
	s_cmp_lt_i32 s2, 8
	s_cbranch_scc1 .LBB15_2063
; %bb.2054:
	s_cmp_lt_i32 s2, 9
	s_cbranch_scc1 .LBB15_2060
; %bb.2055:
	s_cmp_gt_i32 s2, 9
	s_cbranch_scc0 .LBB15_2057
; %bb.2056:
	s_wait_xcnt 0x0
	v_cvt_f64_f32_e32 v[4:5], v12
	v_mov_b32_e32 v6, 0
	s_mov_b32 s0, 0
	s_delay_alu instid0(VALU_DEP_1)
	v_mov_b32_e32 v7, v6
	global_store_b128 v[2:3], v[4:7], off
.LBB15_2057:
	s_and_not1_b32 vcc_lo, exec_lo, s0
	s_cbranch_vccnz .LBB15_2059
; %bb.2058:
	v_mov_b32_e32 v13, 0
	global_store_b64 v[2:3], v[12:13], off
.LBB15_2059:
	s_mov_b32 s0, 0
.LBB15_2060:
	s_delay_alu instid0(SALU_CYCLE_1)
	s_and_not1_b32 vcc_lo, exec_lo, s0
	s_cbranch_vccnz .LBB15_2062
; %bb.2061:
	s_wait_xcnt 0x0
	v_cvt_f16_f32_e32 v1, v12
	s_delay_alu instid0(VALU_DEP_1)
	v_and_b32_e32 v1, 0xffff, v1
	global_store_b32 v[2:3], v1, off
.LBB15_2062:
	s_mov_b32 s0, 0
.LBB15_2063:
	s_delay_alu instid0(SALU_CYCLE_1)
	s_and_not1_b32 vcc_lo, exec_lo, s0
	s_cbranch_vccnz .LBB15_2072
; %bb.2064:
	s_cmp_lt_i32 s2, 6
	s_mov_b32 s0, -1
	s_cbranch_scc1 .LBB15_2070
; %bb.2065:
	s_cmp_gt_i32 s2, 6
	s_cbranch_scc0 .LBB15_2067
; %bb.2066:
	s_wait_xcnt 0x0
	v_cvt_f64_f32_e32 v[4:5], v12
	s_mov_b32 s0, 0
	global_store_b64 v[2:3], v[4:5], off
.LBB15_2067:
	s_and_not1_b32 vcc_lo, exec_lo, s0
	s_cbranch_vccnz .LBB15_2069
; %bb.2068:
	global_store_b32 v[2:3], v12, off
.LBB15_2069:
	s_mov_b32 s0, 0
.LBB15_2070:
	s_delay_alu instid0(SALU_CYCLE_1)
	s_and_not1_b32 vcc_lo, exec_lo, s0
	s_cbranch_vccnz .LBB15_2072
; %bb.2071:
	s_wait_xcnt 0x0
	v_cvt_f16_f32_e32 v1, v12
	global_store_b16 v[2:3], v1, off
.LBB15_2072:
	s_mov_b32 s0, 0
.LBB15_2073:
	s_delay_alu instid0(SALU_CYCLE_1)
	s_and_not1_b32 vcc_lo, exec_lo, s0
	s_cbranch_vccnz .LBB15_2089
; %bb.2074:
	s_cmp_lt_i32 s2, 2
	s_mov_b32 s0, -1
	s_cbranch_scc1 .LBB15_2084
; %bb.2075:
	s_cmp_lt_i32 s2, 3
	s_cbranch_scc1 .LBB15_2081
; %bb.2076:
	s_cmp_gt_i32 s2, 3
	s_cbranch_scc0 .LBB15_2078
; %bb.2077:
	s_wait_xcnt 0x0
	v_trunc_f32_e32 v1, v12
	s_mov_b32 s0, 0
	s_delay_alu instid0(VALU_DEP_1) | instskip(NEXT) | instid1(VALU_DEP_1)
	v_mul_f32_e64 v4, 0x2f800000, |v1|
	v_floor_f32_e32 v5, v4
	v_ashrrev_i32_e32 v4, 31, v1
	s_delay_alu instid0(VALU_DEP_2) | instskip(SKIP_1) | instid1(VALU_DEP_3)
	v_fma_f32 v6, 0xcf800000, v5, |v1|
	v_cvt_u32_f32_e32 v1, v5
	v_mov_b32_e32 v5, v4
	s_delay_alu instid0(VALU_DEP_3) | instskip(NEXT) | instid1(VALU_DEP_3)
	v_cvt_u32_f32_e32 v6, v6
	v_xor_b32_e32 v7, v1, v4
	s_delay_alu instid0(VALU_DEP_2) | instskip(NEXT) | instid1(VALU_DEP_1)
	v_xor_b32_e32 v6, v6, v4
	v_sub_nc_u64_e32 v[4:5], v[6:7], v[4:5]
	global_store_b64 v[2:3], v[4:5], off
.LBB15_2078:
	s_and_not1_b32 vcc_lo, exec_lo, s0
	s_cbranch_vccnz .LBB15_2080
; %bb.2079:
	s_wait_xcnt 0x0
	v_cvt_i32_f32_e32 v1, v12
	global_store_b32 v[2:3], v1, off
.LBB15_2080:
	s_mov_b32 s0, 0
.LBB15_2081:
	s_delay_alu instid0(SALU_CYCLE_1)
	s_and_not1_b32 vcc_lo, exec_lo, s0
	s_cbranch_vccnz .LBB15_2083
; %bb.2082:
	s_wait_xcnt 0x0
	v_cvt_i32_f32_e32 v1, v12
	global_store_b16 v[2:3], v1, off
.LBB15_2083:
	s_mov_b32 s0, 0
.LBB15_2084:
	s_delay_alu instid0(SALU_CYCLE_1)
	s_and_not1_b32 vcc_lo, exec_lo, s0
	s_cbranch_vccnz .LBB15_2089
; %bb.2085:
	s_cmp_gt_i32 s2, 0
	s_mov_b32 s0, -1
	s_cbranch_scc0 .LBB15_2087
; %bb.2086:
	s_wait_xcnt 0x0
	v_cvt_i32_f32_e32 v1, v12
	s_mov_b32 s0, 0
	global_store_b8 v[2:3], v1, off
.LBB15_2087:
	s_and_not1_b32 vcc_lo, exec_lo, s0
	s_cbranch_vccnz .LBB15_2089
; %bb.2088:
	s_wait_xcnt 0x0
	v_trunc_f32_e32 v1, v12
	s_delay_alu instid0(VALU_DEP_1) | instskip(NEXT) | instid1(VALU_DEP_1)
	v_mul_f32_e64 v4, 0x2f800000, |v1|
	v_floor_f32_e32 v4, v4
	s_delay_alu instid0(VALU_DEP_1) | instskip(SKIP_1) | instid1(VALU_DEP_2)
	v_fma_f32 v4, 0xcf800000, v4, |v1|
	v_ashrrev_i32_e32 v1, 31, v1
	v_cvt_u32_f32_e32 v4, v4
	s_delay_alu instid0(VALU_DEP_1) | instskip(NEXT) | instid1(VALU_DEP_1)
	v_xor_b32_e32 v4, v4, v1
	v_sub_nc_u32_e32 v1, v4, v1
	global_store_b8 v[2:3], v1, off
.LBB15_2089:
	s_mov_b32 s6, -1
.LBB15_2090:
	s_delay_alu instid0(SALU_CYCLE_1)
	s_and_not1_b32 vcc_lo, exec_lo, s6
	s_cbranch_vccnz .LBB15_2167
; %bb.2091:
	s_wait_xcnt 0x0
	v_mov_b32_e32 v1, 0
	s_cmp_lt_i32 s2, 11
	s_delay_alu instid0(VALU_DEP_1)
	v_add_nc_u64_e32 v[2:3], s[4:5], v[0:1]
	s_cbranch_scc1 .LBB15_2168
; %bb.2092:
	s_mov_b32 s4, -1
	s_mov_b32 s3, 0
	s_cmp_gt_i32 s2, 25
	s_mov_b32 s0, 0
	s_cbranch_scc0 .LBB15_2125
; %bb.2093:
	s_cmp_gt_i32 s2, 28
	s_cbranch_scc0 .LBB15_2109
; %bb.2094:
	s_cmp_gt_i32 s2, 43
	;; [unrolled: 3-line block ×3, first 2 shown]
	s_cbranch_scc0 .LBB15_2099
; %bb.2096:
	s_cmp_eq_u32 s2, 46
	s_mov_b32 s0, -1
	s_cbranch_scc0 .LBB15_2098
; %bb.2097:
	v_bfe_u32 v0, v14, 16, 1
	v_cmp_o_f32_e32 vcc_lo, v14, v14
	s_mov_b32 s0, 0
	s_delay_alu instid0(VALU_DEP_2) | instskip(NEXT) | instid1(VALU_DEP_1)
	v_add3_u32 v0, v14, v0, 0x7fff
	v_lshrrev_b32_e32 v0, 16, v0
	s_delay_alu instid0(VALU_DEP_1)
	v_cndmask_b32_e32 v0, 0x7fc0, v0, vcc_lo
	global_store_b32 v[2:3], v0, off
.LBB15_2098:
	s_mov_b32 s4, 0
.LBB15_2099:
	s_delay_alu instid0(SALU_CYCLE_1)
	s_and_b32 vcc_lo, exec_lo, s4
	s_cbranch_vccz .LBB15_2104
; %bb.2100:
	s_cmp_eq_u32 s2, 44
	s_mov_b32 s0, -1
	s_cbranch_scc0 .LBB15_2104
; %bb.2101:
	v_bfe_u32 v1, v14, 23, 8
	s_wait_xcnt 0x0
	v_mov_b32_e32 v0, 0xff
	s_mov_b32 s4, exec_lo
	s_delay_alu instid0(VALU_DEP_2)
	v_cmpx_ne_u32_e32 0xff, v1
	s_cbranch_execz .LBB15_2103
; %bb.2102:
	v_and_b32_e32 v0, 0x400000, v14
	v_and_or_b32 v1, 0x3fffff, v14, v1
	s_delay_alu instid0(VALU_DEP_2) | instskip(NEXT) | instid1(VALU_DEP_2)
	v_cmp_ne_u32_e32 vcc_lo, 0, v0
	v_cmp_ne_u32_e64 s0, 0, v1
	v_lshrrev_b32_e32 v0, 23, v14
	s_and_b32 s0, vcc_lo, s0
	s_delay_alu instid0(SALU_CYCLE_1) | instskip(NEXT) | instid1(VALU_DEP_1)
	v_cndmask_b32_e64 v1, 0, 1, s0
	v_add_nc_u32_e32 v0, v0, v1
.LBB15_2103:
	s_or_b32 exec_lo, exec_lo, s4
	s_mov_b32 s0, 0
	global_store_b8 v[2:3], v0, off
.LBB15_2104:
	s_mov_b32 s4, 0
.LBB15_2105:
	s_delay_alu instid0(SALU_CYCLE_1)
	s_and_b32 vcc_lo, exec_lo, s4
	s_cbranch_vccz .LBB15_2108
; %bb.2106:
	s_cmp_eq_u32 s2, 29
	s_mov_b32 s0, -1
	s_cbranch_scc0 .LBB15_2108
; %bb.2107:
	s_wait_xcnt 0x0
	v_trunc_f32_e32 v0, v14
	s_mov_b32 s0, 0
	s_delay_alu instid0(VALU_DEP_1) | instskip(NEXT) | instid1(VALU_DEP_1)
	v_mul_f32_e32 v1, 0x2f800000, v0
	v_floor_f32_e32 v1, v1
	s_delay_alu instid0(VALU_DEP_1) | instskip(SKIP_1) | instid1(VALU_DEP_2)
	v_fmamk_f32 v0, v1, 0xcf800000, v0
	v_cvt_u32_f32_e32 v1, v1
	v_cvt_u32_f32_e32 v0, v0
	global_store_b64 v[2:3], v[0:1], off
.LBB15_2108:
	s_mov_b32 s4, 0
.LBB15_2109:
	s_delay_alu instid0(SALU_CYCLE_1)
	s_and_b32 vcc_lo, exec_lo, s4
	s_cbranch_vccz .LBB15_2124
; %bb.2110:
	s_cmp_lt_i32 s2, 27
	s_mov_b32 s4, -1
	s_cbranch_scc1 .LBB15_2116
; %bb.2111:
	s_cmp_gt_i32 s2, 27
	s_cbranch_scc0 .LBB15_2113
; %bb.2112:
	s_wait_xcnt 0x0
	v_cvt_u32_f32_e32 v0, v14
	s_mov_b32 s4, 0
	global_store_b32 v[2:3], v0, off
.LBB15_2113:
	s_and_not1_b32 vcc_lo, exec_lo, s4
	s_cbranch_vccnz .LBB15_2115
; %bb.2114:
	s_wait_xcnt 0x0
	v_cvt_u32_f32_e32 v0, v14
	global_store_b16 v[2:3], v0, off
.LBB15_2115:
	s_mov_b32 s4, 0
.LBB15_2116:
	s_delay_alu instid0(SALU_CYCLE_1)
	s_and_not1_b32 vcc_lo, exec_lo, s4
	s_cbranch_vccnz .LBB15_2124
; %bb.2117:
	s_wait_xcnt 0x0
	v_and_b32_e32 v0, 0x7fffffff, v14
	v_mov_b32_e32 v1, 0x80
	s_mov_b32 s4, exec_lo
	s_delay_alu instid0(VALU_DEP_2)
	v_cmpx_gt_u32_e32 0x43800000, v0
	s_cbranch_execz .LBB15_2123
; %bb.2118:
	v_cmp_lt_u32_e32 vcc_lo, 0x3bffffff, v0
	s_mov_b32 s5, 0
                                        ; implicit-def: $vgpr0
	s_and_saveexec_b32 s6, vcc_lo
	s_delay_alu instid0(SALU_CYCLE_1)
	s_xor_b32 s6, exec_lo, s6
	s_cbranch_execz .LBB15_2185
; %bb.2119:
	v_bfe_u32 v0, v14, 20, 1
	s_mov_b32 s5, exec_lo
	s_delay_alu instid0(VALU_DEP_1) | instskip(NEXT) | instid1(VALU_DEP_1)
	v_add3_u32 v0, v14, v0, 0x487ffff
	v_lshrrev_b32_e32 v0, 20, v0
	s_and_not1_saveexec_b32 s6, s6
	s_cbranch_execnz .LBB15_2186
.LBB15_2120:
	s_or_b32 exec_lo, exec_lo, s6
	v_mov_b32_e32 v1, 0
	s_and_saveexec_b32 s6, s5
.LBB15_2121:
	v_lshrrev_b32_e32 v1, 24, v14
	s_delay_alu instid0(VALU_DEP_1)
	v_and_or_b32 v1, 0x80, v1, v0
.LBB15_2122:
	s_or_b32 exec_lo, exec_lo, s6
.LBB15_2123:
	s_delay_alu instid0(SALU_CYCLE_1)
	s_or_b32 exec_lo, exec_lo, s4
	global_store_b8 v[2:3], v1, off
.LBB15_2124:
	s_mov_b32 s4, 0
.LBB15_2125:
	s_delay_alu instid0(SALU_CYCLE_1)
	s_and_b32 vcc_lo, exec_lo, s4
	s_cbranch_vccz .LBB15_2165
; %bb.2126:
	s_cmp_gt_i32 s2, 22
	s_mov_b32 s3, -1
	s_cbranch_scc0 .LBB15_2158
; %bb.2127:
	s_cmp_lt_i32 s2, 24
	s_cbranch_scc1 .LBB15_2147
; %bb.2128:
	s_cmp_gt_i32 s2, 24
	s_cbranch_scc0 .LBB15_2136
; %bb.2129:
	s_wait_xcnt 0x0
	v_and_b32_e32 v0, 0x7fffffff, v14
	v_mov_b32_e32 v1, 0x80
	s_mov_b32 s3, exec_lo
	s_delay_alu instid0(VALU_DEP_2)
	v_cmpx_gt_u32_e32 0x47800000, v0
	s_cbranch_execz .LBB15_2135
; %bb.2130:
	v_cmp_lt_u32_e32 vcc_lo, 0x37ffffff, v0
	s_mov_b32 s4, 0
                                        ; implicit-def: $vgpr0
	s_and_saveexec_b32 s5, vcc_lo
	s_delay_alu instid0(SALU_CYCLE_1)
	s_xor_b32 s5, exec_lo, s5
	s_cbranch_execz .LBB15_2188
; %bb.2131:
	v_bfe_u32 v0, v14, 21, 1
	s_mov_b32 s4, exec_lo
	s_delay_alu instid0(VALU_DEP_1) | instskip(NEXT) | instid1(VALU_DEP_1)
	v_add3_u32 v0, v14, v0, 0x88fffff
	v_lshrrev_b32_e32 v0, 21, v0
	s_and_not1_saveexec_b32 s5, s5
	s_cbranch_execnz .LBB15_2189
.LBB15_2132:
	s_or_b32 exec_lo, exec_lo, s5
	v_mov_b32_e32 v1, 0
	s_and_saveexec_b32 s5, s4
.LBB15_2133:
	v_lshrrev_b32_e32 v1, 24, v14
	s_delay_alu instid0(VALU_DEP_1)
	v_and_or_b32 v1, 0x80, v1, v0
.LBB15_2134:
	s_or_b32 exec_lo, exec_lo, s5
.LBB15_2135:
	s_delay_alu instid0(SALU_CYCLE_1)
	s_or_b32 exec_lo, exec_lo, s3
	s_mov_b32 s3, 0
	global_store_b8 v[2:3], v1, off
.LBB15_2136:
	s_and_b32 vcc_lo, exec_lo, s3
	s_cbranch_vccz .LBB15_2146
; %bb.2137:
	s_wait_xcnt 0x0
	v_and_b32_e32 v1, 0x7fffffff, v14
	s_mov_b32 s3, exec_lo
                                        ; implicit-def: $vgpr0
	s_delay_alu instid0(VALU_DEP_1)
	v_cmpx_gt_u32_e32 0x43f00000, v1
	s_xor_b32 s3, exec_lo, s3
	s_cbranch_execz .LBB15_2143
; %bb.2138:
	s_mov_b32 s4, exec_lo
                                        ; implicit-def: $vgpr0
	v_cmpx_lt_u32_e32 0x3c7fffff, v1
	s_xor_b32 s4, exec_lo, s4
; %bb.2139:
	v_bfe_u32 v0, v14, 20, 1
	s_delay_alu instid0(VALU_DEP_1) | instskip(NEXT) | instid1(VALU_DEP_1)
	v_add3_u32 v0, v14, v0, 0x407ffff
	v_and_b32_e32 v1, 0xff00000, v0
	v_lshrrev_b32_e32 v0, 20, v0
	s_delay_alu instid0(VALU_DEP_2) | instskip(NEXT) | instid1(VALU_DEP_2)
	v_cmp_ne_u32_e32 vcc_lo, 0x7f00000, v1
	v_cndmask_b32_e32 v0, 0x7e, v0, vcc_lo
; %bb.2140:
	s_and_not1_saveexec_b32 s4, s4
; %bb.2141:
	v_add_f32_e64 v0, 0x46800000, |v14|
; %bb.2142:
	s_or_b32 exec_lo, exec_lo, s4
                                        ; implicit-def: $vgpr1
.LBB15_2143:
	s_and_not1_saveexec_b32 s3, s3
; %bb.2144:
	v_mov_b32_e32 v0, 0x7f
	v_cmp_lt_u32_e32 vcc_lo, 0x7f800000, v1
	s_delay_alu instid0(VALU_DEP_2)
	v_cndmask_b32_e32 v0, 0x7e, v0, vcc_lo
; %bb.2145:
	s_or_b32 exec_lo, exec_lo, s3
	v_lshrrev_b32_e32 v1, 24, v14
	s_delay_alu instid0(VALU_DEP_1)
	v_and_or_b32 v0, 0x80, v1, v0
	global_store_b8 v[2:3], v0, off
.LBB15_2146:
	s_mov_b32 s3, 0
.LBB15_2147:
	s_delay_alu instid0(SALU_CYCLE_1)
	s_and_not1_b32 vcc_lo, exec_lo, s3
	s_cbranch_vccnz .LBB15_2157
; %bb.2148:
	s_wait_xcnt 0x0
	v_and_b32_e32 v1, 0x7fffffff, v14
	s_mov_b32 s3, exec_lo
                                        ; implicit-def: $vgpr0
	s_delay_alu instid0(VALU_DEP_1)
	v_cmpx_gt_u32_e32 0x47800000, v1
	s_xor_b32 s3, exec_lo, s3
	s_cbranch_execz .LBB15_2154
; %bb.2149:
	s_mov_b32 s4, exec_lo
                                        ; implicit-def: $vgpr0
	v_cmpx_lt_u32_e32 0x387fffff, v1
	s_xor_b32 s4, exec_lo, s4
; %bb.2150:
	v_bfe_u32 v0, v14, 21, 1
	s_delay_alu instid0(VALU_DEP_1) | instskip(NEXT) | instid1(VALU_DEP_1)
	v_add3_u32 v0, v14, v0, 0x80fffff
	v_lshrrev_b32_e32 v0, 21, v0
; %bb.2151:
	s_and_not1_saveexec_b32 s4, s4
; %bb.2152:
	v_add_f32_e64 v0, 0x43000000, |v14|
; %bb.2153:
	s_or_b32 exec_lo, exec_lo, s4
                                        ; implicit-def: $vgpr1
.LBB15_2154:
	s_and_not1_saveexec_b32 s3, s3
; %bb.2155:
	v_mov_b32_e32 v0, 0x7f
	v_cmp_lt_u32_e32 vcc_lo, 0x7f800000, v1
	s_delay_alu instid0(VALU_DEP_2)
	v_cndmask_b32_e32 v0, 0x7c, v0, vcc_lo
; %bb.2156:
	s_or_b32 exec_lo, exec_lo, s3
	v_lshrrev_b32_e32 v1, 24, v14
	s_delay_alu instid0(VALU_DEP_1)
	v_and_or_b32 v0, 0x80, v1, v0
	global_store_b8 v[2:3], v0, off
.LBB15_2157:
	s_mov_b32 s3, 0
.LBB15_2158:
	s_delay_alu instid0(SALU_CYCLE_1)
	s_and_not1_b32 vcc_lo, exec_lo, s3
	s_mov_b32 s3, 0
	s_cbranch_vccnz .LBB15_2165
; %bb.2159:
	s_cmp_gt_i32 s2, 14
	s_mov_b32 s3, -1
	s_cbranch_scc0 .LBB15_2163
; %bb.2160:
	s_cmp_eq_u32 s2, 15
	s_mov_b32 s0, -1
	s_cbranch_scc0 .LBB15_2162
; %bb.2161:
	s_wait_xcnt 0x0
	v_bfe_u32 v0, v14, 16, 1
	v_cmp_o_f32_e32 vcc_lo, v14, v14
	s_mov_b32 s0, 0
	s_delay_alu instid0(VALU_DEP_2) | instskip(NEXT) | instid1(VALU_DEP_1)
	v_add3_u32 v0, v14, v0, 0x7fff
	v_lshrrev_b32_e32 v0, 16, v0
	s_delay_alu instid0(VALU_DEP_1)
	v_cndmask_b32_e32 v0, 0x7fc0, v0, vcc_lo
	global_store_b16 v[2:3], v0, off
.LBB15_2162:
	s_mov_b32 s3, 0
.LBB15_2163:
	s_delay_alu instid0(SALU_CYCLE_1)
	s_and_b32 vcc_lo, exec_lo, s3
	s_mov_b32 s3, 0
	s_cbranch_vccz .LBB15_2165
; %bb.2164:
	s_cmp_lg_u32 s2, 11
	s_mov_b32 s3, -1
	s_cselect_b32 s0, -1, 0
.LBB15_2165:
	s_delay_alu instid0(SALU_CYCLE_1)
	s_and_b32 vcc_lo, exec_lo, s0
	s_cbranch_vccnz .LBB15_2187
.LBB15_2166:
	s_mov_b32 s0, 0
	s_branch .LBB15_1768
.LBB15_2167:
	s_mov_b32 s0, 0
	s_mov_b32 s3, 0
                                        ; implicit-def: $vgpr2_vgpr3
                                        ; implicit-def: $sgpr1
	s_branch .LBB15_1768
.LBB15_2168:
	s_mov_b32 s3, 0
	s_mov_b32 s0, -1
	s_branch .LBB15_1768
.LBB15_2169:
	s_or_b32 s10, s10, exec_lo
	s_trap 2
	s_cbranch_execz .LBB15_1635
	s_branch .LBB15_1636
.LBB15_2170:
	s_and_not1_saveexec_b32 s11, s11
	s_cbranch_execz .LBB15_1717
.LBB15_2171:
	v_add_f32_e64 v1, 0x46000000, |v8|
	s_and_not1_b32 s7, s7, exec_lo
	s_delay_alu instid0(VALU_DEP_1) | instskip(NEXT) | instid1(VALU_DEP_1)
	v_and_b32_e32 v1, 0xff, v1
	v_cmp_ne_u32_e32 vcc_lo, 0, v1
	s_and_b32 s12, vcc_lo, exec_lo
	s_delay_alu instid0(SALU_CYCLE_1)
	s_or_b32 s7, s7, s12
	s_or_b32 exec_lo, exec_lo, s11
	v_mov_b32_e32 v3, 0
	s_and_saveexec_b32 s11, s7
	s_cbranch_execnz .LBB15_1718
	s_branch .LBB15_1719
.LBB15_2172:
	s_or_b32 s10, s10, exec_lo
	s_trap 2
	s_cbranch_execz .LBB15_1765
	s_branch .LBB15_1766
.LBB15_2173:
	s_and_not1_saveexec_b32 s7, s7
	s_cbranch_execz .LBB15_1730
.LBB15_2174:
	v_add_f32_e64 v1, 0x42800000, |v8|
	s_and_not1_b32 s6, s6, exec_lo
	s_delay_alu instid0(VALU_DEP_1) | instskip(NEXT) | instid1(VALU_DEP_1)
	v_and_b32_e32 v1, 0xff, v1
	v_cmp_ne_u32_e32 vcc_lo, 0, v1
	s_and_b32 s11, vcc_lo, exec_lo
	s_delay_alu instid0(SALU_CYCLE_1)
	s_or_b32 s6, s6, s11
	s_or_b32 exec_lo, exec_lo, s7
	v_mov_b32_e32 v3, 0
	s_and_saveexec_b32 s7, s6
	s_cbranch_execnz .LBB15_1731
	s_branch .LBB15_1732
.LBB15_2175:
	s_and_not1_saveexec_b32 s11, s11
	s_cbranch_execz .LBB15_1881
.LBB15_2176:
	v_add_f32_e64 v1, 0x46000000, |v10|
	s_and_not1_b32 s7, s7, exec_lo
	s_delay_alu instid0(VALU_DEP_1) | instskip(NEXT) | instid1(VALU_DEP_1)
	v_and_b32_e32 v1, 0xff, v1
	v_cmp_ne_u32_e32 vcc_lo, 0, v1
	s_and_b32 s12, vcc_lo, exec_lo
	s_delay_alu instid0(SALU_CYCLE_1)
	s_or_b32 s7, s7, s12
	s_or_b32 exec_lo, exec_lo, s11
	v_mov_b32_e32 v3, 0
	s_and_saveexec_b32 s11, s7
	s_cbranch_execnz .LBB15_1882
	s_branch .LBB15_1883
.LBB15_2177:
	s_or_b32 s10, s10, exec_lo
	s_trap 2
	s_cbranch_execz .LBB15_1929
	s_branch .LBB15_1930
.LBB15_2178:
	s_and_not1_saveexec_b32 s7, s7
	s_cbranch_execz .LBB15_1894
.LBB15_2179:
	v_add_f32_e64 v1, 0x42800000, |v10|
	s_and_not1_b32 s6, s6, exec_lo
	s_delay_alu instid0(VALU_DEP_1) | instskip(NEXT) | instid1(VALU_DEP_1)
	v_and_b32_e32 v1, 0xff, v1
	v_cmp_ne_u32_e32 vcc_lo, 0, v1
	s_and_b32 s11, vcc_lo, exec_lo
	s_delay_alu instid0(SALU_CYCLE_1)
	s_or_b32 s6, s6, s11
	s_or_b32 exec_lo, exec_lo, s7
	v_mov_b32_e32 v3, 0
	s_and_saveexec_b32 s7, s6
	s_cbranch_execnz .LBB15_1895
	s_branch .LBB15_1896
.LBB15_2180:
	s_and_not1_saveexec_b32 s11, s11
	s_cbranch_execz .LBB15_2000
.LBB15_2181:
	v_add_f32_e64 v1, 0x46000000, |v12|
	s_and_not1_b32 s7, s7, exec_lo
	s_delay_alu instid0(VALU_DEP_1) | instskip(NEXT) | instid1(VALU_DEP_1)
	v_and_b32_e32 v1, 0xff, v1
	v_cmp_ne_u32_e32 vcc_lo, 0, v1
	s_and_b32 s12, vcc_lo, exec_lo
	s_delay_alu instid0(SALU_CYCLE_1)
	s_or_b32 s7, s7, s12
	s_or_b32 exec_lo, exec_lo, s11
	v_mov_b32_e32 v4, 0
	s_and_saveexec_b32 s11, s7
	s_cbranch_execnz .LBB15_2001
	s_branch .LBB15_2002
.LBB15_2182:
	s_or_b32 s10, s10, exec_lo
	s_trap 2
	s_cbranch_execz .LBB15_2048
	s_branch .LBB15_2049
.LBB15_2183:
	s_and_not1_saveexec_b32 s7, s7
	s_cbranch_execz .LBB15_2013
.LBB15_2184:
	v_add_f32_e64 v1, 0x42800000, |v12|
	s_and_not1_b32 s6, s6, exec_lo
	s_delay_alu instid0(VALU_DEP_1) | instskip(NEXT) | instid1(VALU_DEP_1)
	v_and_b32_e32 v1, 0xff, v1
	v_cmp_ne_u32_e32 vcc_lo, 0, v1
	s_and_b32 s11, vcc_lo, exec_lo
	s_delay_alu instid0(SALU_CYCLE_1)
	s_or_b32 s6, s6, s11
	s_or_b32 exec_lo, exec_lo, s7
	v_mov_b32_e32 v4, 0
	s_and_saveexec_b32 s7, s6
	s_cbranch_execnz .LBB15_2014
	s_branch .LBB15_2015
.LBB15_2185:
	s_and_not1_saveexec_b32 s6, s6
	s_cbranch_execz .LBB15_2120
.LBB15_2186:
	v_add_f32_e64 v0, 0x46000000, |v14|
	s_and_not1_b32 s5, s5, exec_lo
	s_delay_alu instid0(VALU_DEP_1) | instskip(NEXT) | instid1(VALU_DEP_1)
	v_and_b32_e32 v0, 0xff, v0
	v_cmp_ne_u32_e32 vcc_lo, 0, v0
	s_and_b32 s7, vcc_lo, exec_lo
	s_delay_alu instid0(SALU_CYCLE_1)
	s_or_b32 s5, s5, s7
	s_or_b32 exec_lo, exec_lo, s6
	v_mov_b32_e32 v1, 0
	s_and_saveexec_b32 s6, s5
	s_cbranch_execnz .LBB15_2121
	s_branch .LBB15_2122
.LBB15_2187:
	s_mov_b32 s3, 0
	s_or_b32 s10, s10, exec_lo
	s_trap 2
	s_branch .LBB15_2166
.LBB15_2188:
	s_and_not1_saveexec_b32 s5, s5
	s_cbranch_execz .LBB15_2132
.LBB15_2189:
	v_add_f32_e64 v0, 0x42800000, |v14|
	s_and_not1_b32 s4, s4, exec_lo
	s_delay_alu instid0(VALU_DEP_1) | instskip(NEXT) | instid1(VALU_DEP_1)
	v_and_b32_e32 v0, 0xff, v0
	v_cmp_ne_u32_e32 vcc_lo, 0, v0
	s_and_b32 s6, vcc_lo, exec_lo
	s_delay_alu instid0(SALU_CYCLE_1)
	s_or_b32 s4, s4, s6
	s_or_b32 exec_lo, exec_lo, s5
	v_mov_b32_e32 v1, 0
	s_and_saveexec_b32 s5, s4
	s_cbranch_execnz .LBB15_2133
	s_branch .LBB15_2134
	.section	.rodata,"a",@progbits
	.p2align	6, 0x0
	.amdhsa_kernel _ZN2at6native32elementwise_kernel_manual_unrollILi128ELi4EZNS0_15gpu_kernel_implIZZZNS0_12_GLOBAL__N_115softplus_kernelERNS_18TensorIteratorBaseERKN3c106ScalarES9_ENKUlvE_clEvENKUlvE0_clEvEUlfE_EEvS5_RKT_EUlibE0_EEviT1_
		.amdhsa_group_segment_fixed_size 0
		.amdhsa_private_segment_fixed_size 0
		.amdhsa_kernarg_size 368
		.amdhsa_user_sgpr_count 2
		.amdhsa_user_sgpr_dispatch_ptr 0
		.amdhsa_user_sgpr_queue_ptr 0
		.amdhsa_user_sgpr_kernarg_segment_ptr 1
		.amdhsa_user_sgpr_dispatch_id 0
		.amdhsa_user_sgpr_kernarg_preload_length 0
		.amdhsa_user_sgpr_kernarg_preload_offset 0
		.amdhsa_user_sgpr_private_segment_size 0
		.amdhsa_wavefront_size32 1
		.amdhsa_uses_dynamic_stack 0
		.amdhsa_enable_private_segment 0
		.amdhsa_system_sgpr_workgroup_id_x 1
		.amdhsa_system_sgpr_workgroup_id_y 0
		.amdhsa_system_sgpr_workgroup_id_z 0
		.amdhsa_system_sgpr_workgroup_info 0
		.amdhsa_system_vgpr_workitem_id 0
		.amdhsa_next_free_vgpr 30
		.amdhsa_next_free_sgpr 68
		.amdhsa_named_barrier_count 0
		.amdhsa_reserve_vcc 1
		.amdhsa_float_round_mode_32 0
		.amdhsa_float_round_mode_16_64 0
		.amdhsa_float_denorm_mode_32 3
		.amdhsa_float_denorm_mode_16_64 3
		.amdhsa_fp16_overflow 0
		.amdhsa_memory_ordered 1
		.amdhsa_forward_progress 1
		.amdhsa_inst_pref_size 255
		.amdhsa_round_robin_scheduling 0
		.amdhsa_exception_fp_ieee_invalid_op 0
		.amdhsa_exception_fp_denorm_src 0
		.amdhsa_exception_fp_ieee_div_zero 0
		.amdhsa_exception_fp_ieee_overflow 0
		.amdhsa_exception_fp_ieee_underflow 0
		.amdhsa_exception_fp_ieee_inexact 0
		.amdhsa_exception_int_div_zero 0
	.end_amdhsa_kernel
	.section	.text._ZN2at6native32elementwise_kernel_manual_unrollILi128ELi4EZNS0_15gpu_kernel_implIZZZNS0_12_GLOBAL__N_115softplus_kernelERNS_18TensorIteratorBaseERKN3c106ScalarES9_ENKUlvE_clEvENKUlvE0_clEvEUlfE_EEvS5_RKT_EUlibE0_EEviT1_,"axG",@progbits,_ZN2at6native32elementwise_kernel_manual_unrollILi128ELi4EZNS0_15gpu_kernel_implIZZZNS0_12_GLOBAL__N_115softplus_kernelERNS_18TensorIteratorBaseERKN3c106ScalarES9_ENKUlvE_clEvENKUlvE0_clEvEUlfE_EEvS5_RKT_EUlibE0_EEviT1_,comdat
.Lfunc_end15:
	.size	_ZN2at6native32elementwise_kernel_manual_unrollILi128ELi4EZNS0_15gpu_kernel_implIZZZNS0_12_GLOBAL__N_115softplus_kernelERNS_18TensorIteratorBaseERKN3c106ScalarES9_ENKUlvE_clEvENKUlvE0_clEvEUlfE_EEvS5_RKT_EUlibE0_EEviT1_, .Lfunc_end15-_ZN2at6native32elementwise_kernel_manual_unrollILi128ELi4EZNS0_15gpu_kernel_implIZZZNS0_12_GLOBAL__N_115softplus_kernelERNS_18TensorIteratorBaseERKN3c106ScalarES9_ENKUlvE_clEvENKUlvE0_clEvEUlfE_EEvS5_RKT_EUlibE0_EEviT1_
                                        ; -- End function
	.set _ZN2at6native32elementwise_kernel_manual_unrollILi128ELi4EZNS0_15gpu_kernel_implIZZZNS0_12_GLOBAL__N_115softplus_kernelERNS_18TensorIteratorBaseERKN3c106ScalarES9_ENKUlvE_clEvENKUlvE0_clEvEUlfE_EEvS5_RKT_EUlibE0_EEviT1_.num_vgpr, 30
	.set _ZN2at6native32elementwise_kernel_manual_unrollILi128ELi4EZNS0_15gpu_kernel_implIZZZNS0_12_GLOBAL__N_115softplus_kernelERNS_18TensorIteratorBaseERKN3c106ScalarES9_ENKUlvE_clEvENKUlvE0_clEvEUlfE_EEvS5_RKT_EUlibE0_EEviT1_.num_agpr, 0
	.set _ZN2at6native32elementwise_kernel_manual_unrollILi128ELi4EZNS0_15gpu_kernel_implIZZZNS0_12_GLOBAL__N_115softplus_kernelERNS_18TensorIteratorBaseERKN3c106ScalarES9_ENKUlvE_clEvENKUlvE0_clEvEUlfE_EEvS5_RKT_EUlibE0_EEviT1_.numbered_sgpr, 68
	.set _ZN2at6native32elementwise_kernel_manual_unrollILi128ELi4EZNS0_15gpu_kernel_implIZZZNS0_12_GLOBAL__N_115softplus_kernelERNS_18TensorIteratorBaseERKN3c106ScalarES9_ENKUlvE_clEvENKUlvE0_clEvEUlfE_EEvS5_RKT_EUlibE0_EEviT1_.num_named_barrier, 0
	.set _ZN2at6native32elementwise_kernel_manual_unrollILi128ELi4EZNS0_15gpu_kernel_implIZZZNS0_12_GLOBAL__N_115softplus_kernelERNS_18TensorIteratorBaseERKN3c106ScalarES9_ENKUlvE_clEvENKUlvE0_clEvEUlfE_EEvS5_RKT_EUlibE0_EEviT1_.private_seg_size, 0
	.set _ZN2at6native32elementwise_kernel_manual_unrollILi128ELi4EZNS0_15gpu_kernel_implIZZZNS0_12_GLOBAL__N_115softplus_kernelERNS_18TensorIteratorBaseERKN3c106ScalarES9_ENKUlvE_clEvENKUlvE0_clEvEUlfE_EEvS5_RKT_EUlibE0_EEviT1_.uses_vcc, 1
	.set _ZN2at6native32elementwise_kernel_manual_unrollILi128ELi4EZNS0_15gpu_kernel_implIZZZNS0_12_GLOBAL__N_115softplus_kernelERNS_18TensorIteratorBaseERKN3c106ScalarES9_ENKUlvE_clEvENKUlvE0_clEvEUlfE_EEvS5_RKT_EUlibE0_EEviT1_.uses_flat_scratch, 0
	.set _ZN2at6native32elementwise_kernel_manual_unrollILi128ELi4EZNS0_15gpu_kernel_implIZZZNS0_12_GLOBAL__N_115softplus_kernelERNS_18TensorIteratorBaseERKN3c106ScalarES9_ENKUlvE_clEvENKUlvE0_clEvEUlfE_EEvS5_RKT_EUlibE0_EEviT1_.has_dyn_sized_stack, 0
	.set _ZN2at6native32elementwise_kernel_manual_unrollILi128ELi4EZNS0_15gpu_kernel_implIZZZNS0_12_GLOBAL__N_115softplus_kernelERNS_18TensorIteratorBaseERKN3c106ScalarES9_ENKUlvE_clEvENKUlvE0_clEvEUlfE_EEvS5_RKT_EUlibE0_EEviT1_.has_recursion, 0
	.set _ZN2at6native32elementwise_kernel_manual_unrollILi128ELi4EZNS0_15gpu_kernel_implIZZZNS0_12_GLOBAL__N_115softplus_kernelERNS_18TensorIteratorBaseERKN3c106ScalarES9_ENKUlvE_clEvENKUlvE0_clEvEUlfE_EEvS5_RKT_EUlibE0_EEviT1_.has_indirect_call, 0
	.section	.AMDGPU.csdata,"",@progbits
; Kernel info:
; codeLenInByte = 51188
; TotalNumSgprs: 70
; NumVgprs: 30
; ScratchSize: 0
; MemoryBound: 1
; FloatMode: 240
; IeeeMode: 1
; LDSByteSize: 0 bytes/workgroup (compile time only)
; SGPRBlocks: 0
; VGPRBlocks: 1
; NumSGPRsForWavesPerEU: 70
; NumVGPRsForWavesPerEU: 30
; NamedBarCnt: 0
; Occupancy: 16
; WaveLimiterHint : 1
; COMPUTE_PGM_RSRC2:SCRATCH_EN: 0
; COMPUTE_PGM_RSRC2:USER_SGPR: 2
; COMPUTE_PGM_RSRC2:TRAP_HANDLER: 0
; COMPUTE_PGM_RSRC2:TGID_X_EN: 1
; COMPUTE_PGM_RSRC2:TGID_Y_EN: 0
; COMPUTE_PGM_RSRC2:TGID_Z_EN: 0
; COMPUTE_PGM_RSRC2:TIDIG_COMP_CNT: 0
	.text
	.p2align	2                               ; -- Begin function _ZN2at6native25elementwise_kernel_helperILb0EZZZNS0_12_GLOBAL__N_115softplus_kernelERNS_18TensorIteratorBaseERKN3c106ScalarES8_ENKUlvE_clEvENKUlvE1_clEvEUlNS5_4HalfEE_NS0_6memory8policies11unroll_baseILi256ESt5arrayIPcLm2EE23TrivialOffsetCalculatorILi1EjESK_NSD_15LoadWithoutCastENSD_16StoreWithoutCastELi8ELi1EEEEEvT0_T1_
	.type	_ZN2at6native25elementwise_kernel_helperILb0EZZZNS0_12_GLOBAL__N_115softplus_kernelERNS_18TensorIteratorBaseERKN3c106ScalarES8_ENKUlvE_clEvENKUlvE1_clEvEUlNS5_4HalfEE_NS0_6memory8policies11unroll_baseILi256ESt5arrayIPcLm2EE23TrivialOffsetCalculatorILi1EjESK_NSD_15LoadWithoutCastENSD_16StoreWithoutCastELi8ELi1EEEEEvT0_T1_,@function
_ZN2at6native25elementwise_kernel_helperILb0EZZZNS0_12_GLOBAL__N_115softplus_kernelERNS_18TensorIteratorBaseERKN3c106ScalarES8_ENKUlvE_clEvENKUlvE1_clEvEUlNS5_4HalfEE_NS0_6memory8policies11unroll_baseILi256ESt5arrayIPcLm2EE23TrivialOffsetCalculatorILi1EjESK_NSD_15LoadWithoutCastENSD_16StoreWithoutCastELi8ELi1EEEEEvT0_T1_: ; @_ZN2at6native25elementwise_kernel_helperILb0EZZZNS0_12_GLOBAL__N_115softplus_kernelERNS_18TensorIteratorBaseERKN3c106ScalarES8_ENKUlvE_clEvENKUlvE1_clEvEUlNS5_4HalfEE_NS0_6memory8policies11unroll_baseILi256ESt5arrayIPcLm2EE23TrivialOffsetCalculatorILi1EjESK_NSD_15LoadWithoutCastENSD_16StoreWithoutCastELi8ELi1EEEEEvT0_T1_
; %bb.0:
	s_wait_loadcnt_dscnt 0x0
	s_wait_kmcnt 0x0
	s_bfe_u32 s0, ttmp6, 0x4000c
	s_and_b32 s1, ttmp6, 15
	s_add_co_i32 s0, s0, 1
	s_getreg_b32 s2, hwreg(HW_REG_IB_STS2, 6, 4)
	s_mul_i32 s0, ttmp9, s0
	v_and_b32_e32 v7, 0x3ff, v31
	s_add_co_i32 s1, s1, s0
	s_cmp_eq_u32 s2, 0
	v_mov_b32_e32 v14, 0
	s_cselect_b32 s0, ttmp9, s1
	v_dual_mov_b32 v9, v7 :: v_dual_add_nc_u32 v10, 0x100, v7
	s_lshl_b32 s1, s0, 11
	v_cmp_lt_i32_e64 s0, v7, v6
	v_dual_mov_b32 v11, 0 :: v_dual_bitop2_b32 v8, s1, v7 bitop3:0x54
	s_and_saveexec_b32 s2, s0
	s_cbranch_execz .LBB16_2
; %bb.1:
	v_mov_b32_e32 v9, 0
	s_delay_alu instid0(VALU_DEP_1)
	v_lshl_add_u64 v[12:13], v[8:9], 1, v[4:5]
	v_add_nc_u32_e32 v9, 0x100, v7
	flat_load_u16 v14, v[12:13]
.LBB16_2:
	s_wait_xcnt 0x0
	s_or_b32 exec_lo, exec_lo, s2
	s_delay_alu instid0(SALU_CYCLE_1)
	s_mov_b32 s2, exec_lo
	v_cmpx_lt_i32_e64 v9, v6
	s_cbranch_execz .LBB16_4
; %bb.3:
	v_dual_mov_b32 v13, 0 :: v_dual_add_nc_u32 v12, s1, v9
	v_add_nc_u32_e32 v9, 0x100, v9
	s_delay_alu instid0(VALU_DEP_2)
	v_lshl_add_u64 v[12:13], v[12:13], 1, v[4:5]
	flat_load_u16 v11, v[12:13]
.LBB16_4:
	s_wait_xcnt 0x0
	s_or_b32 exec_lo, exec_lo, s2
	v_dual_mov_b32 v12, 0 :: v_dual_mov_b32 v16, 0
	s_mov_b32 s2, exec_lo
	v_cmpx_lt_i32_e64 v9, v6
	s_cbranch_execz .LBB16_6
; %bb.5:
	v_dual_mov_b32 v17, 0 :: v_dual_add_nc_u32 v16, s1, v9
	v_add_nc_u32_e32 v9, 0x100, v9
	s_delay_alu instid0(VALU_DEP_2)
	v_lshl_add_u64 v[16:17], v[16:17], 1, v[4:5]
	flat_load_u16 v16, v[16:17]
.LBB16_6:
	s_wait_xcnt 0x0
	s_or_b32 exec_lo, exec_lo, s2
	s_delay_alu instid0(SALU_CYCLE_1)
	s_mov_b32 s2, exec_lo
	v_cmpx_lt_i32_e64 v9, v6
	s_cbranch_execz .LBB16_8
; %bb.7:
	v_dual_mov_b32 v13, 0 :: v_dual_add_nc_u32 v12, s1, v9
	v_add_nc_u32_e32 v9, 0x100, v9
	s_delay_alu instid0(VALU_DEP_2)
	v_lshl_add_u64 v[12:13], v[12:13], 1, v[4:5]
	flat_load_u16 v12, v[12:13]
.LBB16_8:
	s_wait_xcnt 0x0
	s_or_b32 exec_lo, exec_lo, s2
	v_dual_mov_b32 v13, 0 :: v_dual_mov_b32 v17, 0
	s_mov_b32 s2, exec_lo
	v_cmpx_lt_i32_e64 v9, v6
	s_cbranch_execz .LBB16_10
; %bb.9:
	v_dual_mov_b32 v19, 0 :: v_dual_add_nc_u32 v18, s1, v9
	v_add_nc_u32_e32 v9, 0x100, v9
	s_delay_alu instid0(VALU_DEP_2)
	v_lshl_add_u64 v[18:19], v[18:19], 1, v[4:5]
	flat_load_u16 v17, v[18:19]
.LBB16_10:
	s_wait_xcnt 0x0
	s_or_b32 exec_lo, exec_lo, s2
	s_delay_alu instid0(SALU_CYCLE_1)
	s_mov_b32 s2, exec_lo
	v_cmpx_lt_i32_e64 v9, v6
	s_cbranch_execz .LBB16_12
; %bb.11:
	v_dual_mov_b32 v19, 0 :: v_dual_add_nc_u32 v18, s1, v9
	v_add_nc_u32_e32 v9, 0x100, v9
	s_delay_alu instid0(VALU_DEP_2)
	v_lshl_add_u64 v[18:19], v[18:19], 1, v[4:5]
	flat_load_u16 v13, v[18:19]
.LBB16_12:
	s_wait_xcnt 0x0
	s_or_b32 exec_lo, exec_lo, s2
	v_dual_mov_b32 v15, 0 :: v_dual_mov_b32 v18, 0
	s_mov_b32 s2, exec_lo
	v_cmpx_lt_i32_e64 v9, v6
	s_cbranch_execnz .LBB16_16
; %bb.13:
	s_or_b32 exec_lo, exec_lo, s2
	s_delay_alu instid0(SALU_CYCLE_1)
	s_mov_b32 s2, exec_lo
	v_cmpx_lt_i32_e64 v9, v6
	s_cbranch_execnz .LBB16_17
.LBB16_14:
	s_or_b32 exec_lo, exec_lo, s2
	s_and_saveexec_b32 s2, s0
	s_cbranch_execnz .LBB16_18
.LBB16_15:
	s_or_b32 exec_lo, exec_lo, s2
	s_delay_alu instid0(SALU_CYCLE_1)
	s_mov_b32 s2, exec_lo
	v_cmpx_lt_i32_e64 v10, v6
	s_cbranch_execnz .LBB16_21
	s_branch .LBB16_24
.LBB16_16:
	v_dual_mov_b32 v19, 0 :: v_dual_add_nc_u32 v18, s1, v9
	v_add_nc_u32_e32 v9, 0x100, v9
	s_delay_alu instid0(VALU_DEP_2) | instskip(SKIP_3) | instid1(SALU_CYCLE_1)
	v_lshl_add_u64 v[18:19], v[18:19], 1, v[4:5]
	flat_load_u16 v18, v[18:19]
	s_wait_xcnt 0x0
	s_or_b32 exec_lo, exec_lo, s2
	s_mov_b32 s2, exec_lo
	v_cmpx_lt_i32_e64 v9, v6
	s_cbranch_execz .LBB16_14
.LBB16_17:
	v_dual_mov_b32 v21, 0 :: v_dual_add_nc_u32 v20, s1, v9
	s_delay_alu instid0(VALU_DEP_1)
	v_lshl_add_u64 v[4:5], v[20:21], 1, v[4:5]
	flat_load_u16 v15, v[4:5]
	s_wait_xcnt 0x0
	s_or_b32 exec_lo, exec_lo, s2
	s_and_saveexec_b32 s2, s0
	s_cbranch_execz .LBB16_15
.LBB16_18:
	s_wait_loadcnt_dscnt 0x0
	v_cvt_f32_f16_e32 v4, v14
	s_mov_b32 s3, exec_lo
	s_delay_alu instid0(VALU_DEP_1) | instskip(NEXT) | instid1(VALU_DEP_1)
	v_mul_f32_e32 v4, v0, v4
	v_cmpx_ngt_f32_e32 v4, v1
	s_cbranch_execz .LBB16_20
; %bb.19:
	v_mul_f32_e32 v5, 0x3fb8aa3b, v4
	v_cmp_ngt_f32_e32 vcc_lo, 0xc2ce8ed0, v4
	s_mov_b32 s4, 0x3e9b6dac
	s_delay_alu instid0(VALU_DEP_2) | instskip(SKIP_1) | instid1(VALU_DEP_1)
	v_rndne_f32_e32 v9, v5
	v_fma_f32 v14, 0x3fb8aa3b, v4, -v5
	v_dual_sub_f32 v5, v5, v9 :: v_dual_fmamk_f32 v14, v4, 0x32a5705f, v14
	v_cvt_i32_f32_e32 v9, v9
	s_delay_alu instid0(VALU_DEP_2) | instskip(NEXT) | instid1(VALU_DEP_1)
	v_add_f32_e32 v5, v5, v14
	v_exp_f32_e32 v5, v5
	v_nop
	s_delay_alu instid0(TRANS32_DEP_1) | instskip(NEXT) | instid1(VALU_DEP_1)
	v_ldexp_f32 v5, v5, v9
	v_cndmask_b32_e32 v5, 0, v5, vcc_lo
	v_cmp_nlt_f32_e32 vcc_lo, 0x42b17218, v4
	s_delay_alu instid0(VALU_DEP_2) | instskip(NEXT) | instid1(VALU_DEP_1)
	v_cndmask_b32_e32 v19, 0x7f800000, v5, vcc_lo
	v_add_f32_e32 v9, 1.0, v19
	s_delay_alu instid0(VALU_DEP_1) | instskip(NEXT) | instid1(VALU_DEP_1)
	v_cvt_f64_f32_e32 v[4:5], v9
	v_frexp_exp_i32_f64_e32 v4, v[4:5]
	v_frexp_mant_f32_e32 v5, v9
	s_delay_alu instid0(VALU_DEP_1) | instskip(NEXT) | instid1(VALU_DEP_3)
	v_cmp_gt_f32_e32 vcc_lo, 0x3f2aaaab, v5
	v_subrev_co_ci_u32_e64 v14, null, 0, v4, vcc_lo
	s_delay_alu instid0(VALU_DEP_1) | instskip(NEXT) | instid1(VALU_DEP_1)
	v_dual_add_f32 v4, -1.0, v9 :: v_dual_sub_nc_u32 v5, 0, v14
	v_sub_f32_e32 v20, v4, v9
	s_delay_alu instid0(VALU_DEP_2) | instskip(NEXT) | instid1(VALU_DEP_2)
	v_ldexp_f32 v9, v9, v5
	v_add_f32_e32 v20, 1.0, v20
	v_sub_f32_e32 v4, v19, v4
	v_cmp_neq_f32_e32 vcc_lo, 0x7f800000, v19
	s_delay_alu instid0(VALU_DEP_2) | instskip(NEXT) | instid1(VALU_DEP_1)
	v_dual_add_f32 v21, 1.0, v9 :: v_dual_add_f32 v4, v4, v20
	v_add_f32_e32 v20, -1.0, v21
	v_add_f32_e32 v23, -1.0, v9
	s_delay_alu instid0(VALU_DEP_3) | instskip(NEXT) | instid1(VALU_DEP_2)
	v_ldexp_f32 v4, v4, v5
	v_dual_sub_f32 v5, v9, v20 :: v_dual_add_f32 v20, 1.0, v23
	s_delay_alu instid0(VALU_DEP_1) | instskip(NEXT) | instid1(VALU_DEP_1)
	v_dual_add_f32 v22, v4, v5 :: v_dual_sub_f32 v5, v9, v20
	v_dual_add_f32 v9, v21, v22 :: v_dual_add_f32 v24, v4, v5
	s_delay_alu instid0(VALU_DEP_1) | instskip(SKIP_1) | instid1(VALU_DEP_1)
	v_sub_f32_e32 v4, v21, v9
	v_rcp_f32_e32 v25, v9
	v_add_f32_e32 v27, v22, v4
	s_delay_alu instid0(VALU_DEP_3)
	v_add_f32_e32 v5, v23, v24
	s_delay_alu instid0(TRANS32_DEP_1) | instid1(VALU_DEP_1)
	v_mul_f32_e32 v26, v5, v25
	s_delay_alu instid0(VALU_DEP_1) | instskip(NEXT) | instid1(VALU_DEP_1)
	v_mul_f32_e32 v20, v9, v26
	v_fma_f32 v22, v26, v9, -v20
	s_delay_alu instid0(VALU_DEP_1) | instskip(NEXT) | instid1(VALU_DEP_1)
	v_dual_sub_f32 v28, v23, v5 :: v_dual_fmac_f32 v22, v26, v27
	v_add_f32_e32 v4, v20, v22
	s_delay_alu instid0(VALU_DEP_1) | instskip(NEXT) | instid1(VALU_DEP_1)
	v_dual_sub_f32 v21, v5, v4 :: v_dual_mov_b32 v23, v4
	v_pk_add_f32 v[4:5], v[4:5], v[20:21] neg_lo:[0,1] neg_hi:[0,1]
	s_delay_alu instid0(VALU_DEP_4) | instskip(NEXT) | instid1(VALU_DEP_2)
	v_add_f32_e32 v20, v24, v28
	v_pk_add_f32 v[4:5], v[4:5], v[22:23] neg_lo:[0,1] neg_hi:[0,1]
	s_delay_alu instid0(VALU_DEP_1) | instskip(NEXT) | instid1(VALU_DEP_1)
	v_add_f32_e32 v5, v20, v5
	v_add_f32_e32 v24, v4, v5
	s_delay_alu instid0(VALU_DEP_1) | instskip(NEXT) | instid1(VALU_DEP_1)
	v_add_f32_e32 v5, v21, v24
	v_mul_f32_e32 v28, v25, v5
	s_delay_alu instid0(VALU_DEP_1) | instskip(NEXT) | instid1(VALU_DEP_1)
	v_mul_f32_e32 v22, v9, v28
	v_fma_f32 v20, v28, v9, -v22
	s_delay_alu instid0(VALU_DEP_1) | instskip(NEXT) | instid1(VALU_DEP_1)
	v_dual_sub_f32 v9, v21, v5 :: v_dual_fmac_f32 v20, v28, v27
	v_add_f32_e32 v4, v22, v20
	s_delay_alu instid0(VALU_DEP_1) | instskip(SKIP_1) | instid1(VALU_DEP_2)
	v_dual_sub_f32 v23, v5, v4 :: v_dual_add_f32 v9, v24, v9
	v_mov_b32_e32 v21, v4
	v_pk_add_f32 v[4:5], v[4:5], v[22:23] neg_lo:[0,1] neg_hi:[0,1]
	s_delay_alu instid0(VALU_DEP_1) | instskip(SKIP_1) | instid1(VALU_DEP_2)
	v_pk_add_f32 v[4:5], v[4:5], v[20:21] neg_lo:[0,1] neg_hi:[0,1]
	v_cvt_f32_i32_e32 v20, v14
	v_dual_add_f32 v5, v9, v5 :: v_dual_add_f32 v9, v26, v28
	s_delay_alu instid0(VALU_DEP_1) | instskip(NEXT) | instid1(VALU_DEP_1)
	v_dual_add_f32 v4, v4, v5 :: v_dual_sub_f32 v5, v9, v26
	v_dual_add_f32 v4, v23, v4 :: v_dual_sub_f32 v5, v28, v5
	s_delay_alu instid0(VALU_DEP_1) | instskip(NEXT) | instid1(VALU_DEP_1)
	v_mul_f32_e32 v4, v25, v4
	v_add_f32_e32 v24, v5, v4
	s_delay_alu instid0(VALU_DEP_1) | instskip(NEXT) | instid1(VALU_DEP_1)
	v_add_f32_e32 v22, v9, v24
	v_dual_mul_f32 v5, v22, v22 :: v_dual_mov_b32 v4, 0x3f317218
	v_sub_f32_e32 v9, v22, v9
	s_delay_alu instid0(VALU_DEP_2) | instskip(SKIP_1) | instid1(VALU_DEP_2)
	v_fmaak_f32 v23, s4, v5, 0x3ecc95a3
	v_mul_f32_e32 v21, v22, v5
	v_fmaak_f32 v5, v5, v23, 0x3f2aaada
	s_delay_alu instid0(VALU_DEP_1) | instskip(SKIP_1) | instid1(VALU_DEP_2)
	v_pk_mul_f32 v[4:5], v[20:21], v[4:5]
	v_ldexp_f32 v21, v22, 1
	v_fma_f32 v14, 0x3f317218, v20, -v4
	s_delay_alu instid0(VALU_DEP_1) | instskip(NEXT) | instid1(VALU_DEP_1)
	v_fmamk_f32 v20, v20, 0xb102e308, v14
	v_pk_add_f32 v[22:23], v[4:5], v[20:21]
	v_sub_f32_e32 v9, v24, v9
	s_delay_alu instid0(VALU_DEP_2) | instskip(NEXT) | instid1(VALU_DEP_2)
	v_dual_sub_f32 v14, v23, v21 :: v_dual_mov_b32 v21, v22
	v_ldexp_f32 v9, v9, 1
	s_delay_alu instid0(VALU_DEP_2) | instskip(SKIP_1) | instid1(VALU_DEP_2)
	v_dual_sub_f32 v14, v5, v14 :: v_dual_mov_b32 v24, v4
	v_pk_add_f32 v[4:5], v[22:23], v[4:5] neg_lo:[0,1] neg_hi:[0,1]
	v_add_f32_e32 v25, v9, v14
	s_delay_alu instid0(VALU_DEP_1) | instskip(NEXT) | instid1(VALU_DEP_1)
	v_pk_add_f32 v[26:27], v[22:23], v[24:25]
	v_dual_mov_b32 v32, v23 :: v_dual_mov_b32 v5, v27
	s_delay_alu instid0(VALU_DEP_1) | instskip(NEXT) | instid1(VALU_DEP_1)
	v_pk_add_f32 v[28:29], v[20:21], v[4:5]
	v_dual_mov_b32 v28, v27 :: v_dual_mov_b32 v14, v29
	v_pk_add_f32 v[4:5], v[20:21], v[4:5] neg_lo:[0,1] neg_hi:[0,1]
	v_mov_b32_e32 v5, v29
	s_delay_alu instid0(VALU_DEP_3) | instskip(SKIP_1) | instid1(VALU_DEP_2)
	v_pk_add_f32 v[30:31], v[14:15], v[22:23] neg_lo:[0,1] neg_hi:[0,1]
	v_dual_mov_b32 v23, v22 :: v_dual_mov_b32 v22, v25
	v_dual_mov_b32 v9, v30 :: v_dual_mov_b32 v33, v30
	s_delay_alu instid0(VALU_DEP_1) | instskip(NEXT) | instid1(VALU_DEP_2)
	v_pk_add_f32 v[24:25], v[26:27], v[8:9] neg_lo:[0,1] neg_hi:[0,1]
	v_pk_add_f32 v[20:21], v[28:29], v[32:33] neg_lo:[0,1] neg_hi:[0,1]
	v_mov_b32_e32 v24, v4
	s_delay_alu instid0(VALU_DEP_2) | instskip(NEXT) | instid1(VALU_DEP_1)
	v_pk_add_f32 v[20:21], v[22:23], v[20:21] neg_lo:[0,1] neg_hi:[0,1]
	v_pk_add_f32 v[22:23], v[24:25], v[20:21]
	s_delay_alu instid0(VALU_DEP_1) | instskip(NEXT) | instid1(VALU_DEP_1)
	v_mov_b32_e32 v24, v23
	v_pk_add_f32 v[24:25], v[22:23], v[24:25]
	s_delay_alu instid0(VALU_DEP_1) | instskip(NEXT) | instid1(VALU_DEP_1)
	v_pk_add_f32 v[26:27], v[14:15], v[24:25]
	v_mov_b32_e32 v23, v26
	s_delay_alu instid0(VALU_DEP_1) | instskip(NEXT) | instid1(VALU_DEP_1)
	v_pk_add_f32 v[28:29], v[22:23], v[4:5] neg_lo:[0,1] neg_hi:[0,1]
	v_dual_mov_b32 v21, v24 :: v_dual_sub_f32 v5, v22, v28
	s_delay_alu instid0(VALU_DEP_1) | instskip(NEXT) | instid1(VALU_DEP_2)
	v_pk_add_f32 v[20:21], v[20:21], v[28:29] neg_lo:[0,1] neg_hi:[0,1]
	v_sub_f32_e32 v4, v4, v5
	s_delay_alu instid0(VALU_DEP_1) | instskip(NEXT) | instid1(VALU_DEP_1)
	v_add_f32_e32 v4, v20, v4
	v_add_f32_e32 v4, v4, v21
	s_delay_alu instid0(VALU_DEP_1) | instskip(NEXT) | instid1(VALU_DEP_1)
	v_add_f32_e32 v4, v26, v4
	v_cndmask_b32_e32 v4, 0x7f800000, v4, vcc_lo
	v_cmp_gt_f32_e64 vcc_lo, 0x33800000, |v19|
	s_delay_alu instid0(VALU_DEP_2) | instskip(NEXT) | instid1(VALU_DEP_1)
	v_cndmask_b32_e32 v4, v4, v19, vcc_lo
	v_div_scale_f32 v5, null, v0, v0, v4
	s_delay_alu instid0(VALU_DEP_1) | instskip(SKIP_1) | instid1(TRANS32_DEP_1)
	v_rcp_f32_e32 v9, v5
	v_nop
	v_fma_f32 v14, -v5, v9, 1.0
	s_delay_alu instid0(VALU_DEP_1) | instskip(SKIP_1) | instid1(VALU_DEP_1)
	v_fmac_f32_e32 v9, v14, v9
	v_div_scale_f32 v14, vcc_lo, v4, v0, v4
	v_mul_f32_e32 v19, v14, v9
	s_delay_alu instid0(VALU_DEP_1) | instskip(NEXT) | instid1(VALU_DEP_1)
	v_fma_f32 v20, -v5, v19, v14
	v_fmac_f32_e32 v19, v20, v9
	s_delay_alu instid0(VALU_DEP_1) | instskip(NEXT) | instid1(VALU_DEP_1)
	v_fma_f32 v5, -v5, v19, v14
	v_div_fmas_f32 v5, v5, v9, v19
	s_delay_alu instid0(VALU_DEP_1) | instskip(NEXT) | instid1(VALU_DEP_1)
	v_div_fixup_f32 v4, v5, v0, v4
	v_cvt_f16_f32_e32 v14, v4
.LBB16_20:
	s_or_b32 exec_lo, exec_lo, s3
	s_delay_alu instid0(SALU_CYCLE_1) | instskip(NEXT) | instid1(SALU_CYCLE_1)
	s_or_b32 exec_lo, exec_lo, s2
	s_mov_b32 s2, exec_lo
	v_cmpx_lt_i32_e64 v10, v6
	s_cbranch_execz .LBB16_24
.LBB16_21:
	s_wait_loadcnt_dscnt 0x0
	v_cvt_f32_f16_e32 v4, v11
	s_mov_b32 s3, exec_lo
	s_delay_alu instid0(VALU_DEP_1) | instskip(NEXT) | instid1(VALU_DEP_1)
	v_mul_f32_e32 v4, v0, v4
	v_cmpx_ngt_f32_e32 v4, v1
	s_cbranch_execz .LBB16_23
; %bb.22:
	v_mul_f32_e32 v5, 0x3fb8aa3b, v4
	v_cmp_ngt_f32_e32 vcc_lo, 0xc2ce8ed0, v4
	s_mov_b32 s4, 0x3e9b6dac
	s_delay_alu instid0(VALU_DEP_2) | instskip(SKIP_1) | instid1(VALU_DEP_2)
	v_rndne_f32_e32 v9, v5
	v_fma_f32 v11, 0x3fb8aa3b, v4, -v5
	v_sub_f32_e32 v5, v5, v9
	s_delay_alu instid0(VALU_DEP_2) | instskip(SKIP_1) | instid1(VALU_DEP_2)
	v_fmamk_f32 v11, v4, 0x32a5705f, v11
	v_cvt_i32_f32_e32 v9, v9
	v_add_f32_e32 v5, v5, v11
	s_delay_alu instid0(VALU_DEP_1) | instskip(SKIP_1) | instid1(TRANS32_DEP_1)
	v_exp_f32_e32 v5, v5
	v_nop
	v_ldexp_f32 v5, v5, v9
	s_delay_alu instid0(VALU_DEP_1) | instskip(SKIP_1) | instid1(VALU_DEP_2)
	v_cndmask_b32_e32 v5, 0, v5, vcc_lo
	v_cmp_nlt_f32_e32 vcc_lo, 0x42b17218, v4
	v_cndmask_b32_e32 v11, 0x7f800000, v5, vcc_lo
	s_delay_alu instid0(VALU_DEP_1) | instskip(NEXT) | instid1(VALU_DEP_1)
	v_add_f32_e32 v9, 1.0, v11
	v_cvt_f64_f32_e32 v[4:5], v9
	s_delay_alu instid0(VALU_DEP_1) | instskip(SKIP_1) | instid1(VALU_DEP_1)
	v_frexp_exp_i32_f64_e32 v4, v[4:5]
	v_frexp_mant_f32_e32 v5, v9
	v_cmp_gt_f32_e32 vcc_lo, 0x3f2aaaab, v5
	s_delay_alu instid0(VALU_DEP_3) | instskip(NEXT) | instid1(VALU_DEP_1)
	v_subrev_co_ci_u32_e64 v19, null, 0, v4, vcc_lo
	v_dual_add_f32 v4, -1.0, v9 :: v_dual_sub_nc_u32 v5, 0, v19
	s_delay_alu instid0(VALU_DEP_1) | instskip(NEXT) | instid1(VALU_DEP_2)
	v_dual_sub_f32 v20, v4, v9 :: v_dual_sub_f32 v4, v11, v4
	v_ldexp_f32 v9, v9, v5
	s_delay_alu instid0(VALU_DEP_1) | instskip(NEXT) | instid1(VALU_DEP_1)
	v_dual_add_f32 v20, 1.0, v20 :: v_dual_add_f32 v21, 1.0, v9
	v_add_f32_e32 v4, v4, v20
	v_cmp_neq_f32_e32 vcc_lo, 0x7f800000, v11
	s_delay_alu instid0(VALU_DEP_3) | instskip(SKIP_1) | instid1(VALU_DEP_4)
	v_add_f32_e32 v20, -1.0, v21
	v_add_f32_e32 v23, -1.0, v9
	v_ldexp_f32 v4, v4, v5
	s_delay_alu instid0(VALU_DEP_2) | instskip(NEXT) | instid1(VALU_DEP_1)
	v_dual_sub_f32 v5, v9, v20 :: v_dual_add_f32 v20, 1.0, v23
	v_dual_add_f32 v22, v4, v5 :: v_dual_sub_f32 v5, v9, v20
	s_delay_alu instid0(VALU_DEP_1) | instskip(NEXT) | instid1(VALU_DEP_1)
	v_dual_add_f32 v9, v21, v22 :: v_dual_add_f32 v24, v4, v5
	v_sub_f32_e32 v4, v21, v9
	v_rcp_f32_e32 v25, v9
	s_delay_alu instid0(VALU_DEP_1) | instskip(NEXT) | instid1(VALU_DEP_3)
	v_add_f32_e32 v27, v22, v4
	v_add_f32_e32 v5, v23, v24
	s_delay_alu instid0(TRANS32_DEP_1) | instid1(VALU_DEP_1)
	v_mul_f32_e32 v26, v5, v25
	s_delay_alu instid0(VALU_DEP_1) | instskip(NEXT) | instid1(VALU_DEP_1)
	v_mul_f32_e32 v20, v9, v26
	v_fma_f32 v22, v26, v9, -v20
	s_delay_alu instid0(VALU_DEP_1) | instskip(NEXT) | instid1(VALU_DEP_1)
	v_dual_sub_f32 v28, v23, v5 :: v_dual_fmac_f32 v22, v26, v27
	v_add_f32_e32 v4, v20, v22
	s_delay_alu instid0(VALU_DEP_1) | instskip(NEXT) | instid1(VALU_DEP_1)
	v_dual_sub_f32 v21, v5, v4 :: v_dual_mov_b32 v23, v4
	v_pk_add_f32 v[4:5], v[4:5], v[20:21] neg_lo:[0,1] neg_hi:[0,1]
	s_delay_alu instid0(VALU_DEP_4) | instskip(NEXT) | instid1(VALU_DEP_2)
	v_add_f32_e32 v20, v24, v28
	v_pk_add_f32 v[4:5], v[4:5], v[22:23] neg_lo:[0,1] neg_hi:[0,1]
	s_delay_alu instid0(VALU_DEP_1) | instskip(NEXT) | instid1(VALU_DEP_1)
	v_add_f32_e32 v5, v20, v5
	v_add_f32_e32 v24, v4, v5
	s_delay_alu instid0(VALU_DEP_1) | instskip(NEXT) | instid1(VALU_DEP_1)
	v_add_f32_e32 v5, v21, v24
	v_mul_f32_e32 v28, v25, v5
	s_delay_alu instid0(VALU_DEP_1) | instskip(NEXT) | instid1(VALU_DEP_1)
	v_mul_f32_e32 v22, v9, v28
	v_fma_f32 v20, v28, v9, -v22
	s_delay_alu instid0(VALU_DEP_1) | instskip(NEXT) | instid1(VALU_DEP_1)
	v_dual_sub_f32 v9, v21, v5 :: v_dual_fmac_f32 v20, v28, v27
	v_add_f32_e32 v4, v22, v20
	s_delay_alu instid0(VALU_DEP_1) | instskip(SKIP_1) | instid1(VALU_DEP_2)
	v_dual_sub_f32 v23, v5, v4 :: v_dual_add_f32 v9, v24, v9
	v_mov_b32_e32 v21, v4
	v_pk_add_f32 v[4:5], v[4:5], v[22:23] neg_lo:[0,1] neg_hi:[0,1]
	s_delay_alu instid0(VALU_DEP_1) | instskip(SKIP_1) | instid1(VALU_DEP_2)
	v_pk_add_f32 v[4:5], v[4:5], v[20:21] neg_lo:[0,1] neg_hi:[0,1]
	v_cvt_f32_i32_e32 v20, v19
	v_dual_add_f32 v5, v9, v5 :: v_dual_add_f32 v9, v26, v28
	s_delay_alu instid0(VALU_DEP_1) | instskip(NEXT) | instid1(VALU_DEP_1)
	v_dual_add_f32 v4, v4, v5 :: v_dual_sub_f32 v5, v9, v26
	v_dual_add_f32 v4, v23, v4 :: v_dual_sub_f32 v5, v28, v5
	s_delay_alu instid0(VALU_DEP_1) | instskip(NEXT) | instid1(VALU_DEP_1)
	v_mul_f32_e32 v4, v25, v4
	v_add_f32_e32 v24, v5, v4
	s_delay_alu instid0(VALU_DEP_1) | instskip(NEXT) | instid1(VALU_DEP_1)
	v_add_f32_e32 v22, v9, v24
	v_dual_mul_f32 v5, v22, v22 :: v_dual_mov_b32 v4, 0x3f317218
	v_sub_f32_e32 v9, v22, v9
	s_delay_alu instid0(VALU_DEP_2) | instskip(SKIP_1) | instid1(VALU_DEP_2)
	v_fmaak_f32 v23, s4, v5, 0x3ecc95a3
	v_mul_f32_e32 v21, v22, v5
	v_fmaak_f32 v5, v5, v23, 0x3f2aaada
	s_delay_alu instid0(VALU_DEP_1) | instskip(SKIP_1) | instid1(VALU_DEP_2)
	v_pk_mul_f32 v[4:5], v[20:21], v[4:5]
	v_ldexp_f32 v21, v22, 1
	v_fma_f32 v19, 0x3f317218, v20, -v4
	s_delay_alu instid0(VALU_DEP_1) | instskip(NEXT) | instid1(VALU_DEP_1)
	v_fmamk_f32 v20, v20, 0xb102e308, v19
	v_pk_add_f32 v[22:23], v[4:5], v[20:21]
	s_delay_alu instid0(VALU_DEP_1) | instskip(SKIP_2) | instid1(VALU_DEP_3)
	v_dual_sub_f32 v19, v23, v21 :: v_dual_mov_b32 v21, v22
	v_sub_f32_e32 v9, v24, v9
	v_dual_mov_b32 v24, v4 :: v_dual_mov_b32 v32, v23
	v_sub_f32_e32 v19, v5, v19
	v_pk_add_f32 v[4:5], v[22:23], v[4:5] neg_lo:[0,1] neg_hi:[0,1]
	s_delay_alu instid0(VALU_DEP_4) | instskip(NEXT) | instid1(VALU_DEP_1)
	v_ldexp_f32 v9, v9, 1
	v_add_f32_e32 v25, v9, v19
	s_delay_alu instid0(VALU_DEP_1) | instskip(NEXT) | instid1(VALU_DEP_1)
	v_pk_add_f32 v[26:27], v[22:23], v[24:25]
	v_mov_b32_e32 v5, v27
	s_delay_alu instid0(VALU_DEP_1) | instskip(SKIP_2) | instid1(VALU_DEP_3)
	v_pk_add_f32 v[28:29], v[20:21], v[4:5]
	v_mov_b32_e32 v28, v27
	v_pk_add_f32 v[4:5], v[20:21], v[4:5] neg_lo:[0,1] neg_hi:[0,1]
	v_dual_mov_b32 v24, v29 :: v_dual_mov_b32 v5, v29
	s_delay_alu instid0(VALU_DEP_1) | instskip(SKIP_1) | instid1(VALU_DEP_2)
	v_pk_add_f32 v[30:31], v[24:25], v[22:23] neg_lo:[0,1] neg_hi:[0,1]
	v_dual_mov_b32 v23, v22 :: v_dual_mov_b32 v22, v25
	v_dual_mov_b32 v9, v30 :: v_dual_mov_b32 v33, v30
	s_delay_alu instid0(VALU_DEP_1) | instskip(NEXT) | instid1(VALU_DEP_2)
	v_pk_add_f32 v[26:27], v[26:27], v[8:9] neg_lo:[0,1] neg_hi:[0,1]
	v_pk_add_f32 v[20:21], v[28:29], v[32:33] neg_lo:[0,1] neg_hi:[0,1]
	v_mov_b32_e32 v26, v4
	s_delay_alu instid0(VALU_DEP_2) | instskip(NEXT) | instid1(VALU_DEP_1)
	v_pk_add_f32 v[20:21], v[22:23], v[20:21] neg_lo:[0,1] neg_hi:[0,1]
	v_pk_add_f32 v[22:23], v[26:27], v[20:21]
	s_delay_alu instid0(VALU_DEP_1) | instskip(NEXT) | instid1(VALU_DEP_1)
	v_mov_b32_e32 v26, v23
	v_pk_add_f32 v[26:27], v[22:23], v[26:27]
	s_delay_alu instid0(VALU_DEP_1) | instskip(NEXT) | instid1(VALU_DEP_1)
	v_pk_add_f32 v[24:25], v[24:25], v[26:27]
	v_mov_b32_e32 v23, v24
	s_delay_alu instid0(VALU_DEP_1) | instskip(NEXT) | instid1(VALU_DEP_1)
	v_pk_add_f32 v[28:29], v[22:23], v[4:5] neg_lo:[0,1] neg_hi:[0,1]
	v_sub_f32_e32 v5, v22, v28
	s_delay_alu instid0(VALU_DEP_1) | instskip(NEXT) | instid1(VALU_DEP_1)
	v_dual_mov_b32 v21, v26 :: v_dual_sub_f32 v4, v4, v5
	v_pk_add_f32 v[20:21], v[20:21], v[28:29] neg_lo:[0,1] neg_hi:[0,1]
	s_delay_alu instid0(VALU_DEP_1) | instskip(NEXT) | instid1(VALU_DEP_1)
	v_add_f32_e32 v4, v20, v4
	v_add_f32_e32 v4, v4, v21
	s_delay_alu instid0(VALU_DEP_1) | instskip(NEXT) | instid1(VALU_DEP_1)
	v_add_f32_e32 v4, v24, v4
	v_cndmask_b32_e32 v4, 0x7f800000, v4, vcc_lo
	v_cmp_gt_f32_e64 vcc_lo, 0x33800000, |v11|
	s_delay_alu instid0(VALU_DEP_2) | instskip(NEXT) | instid1(VALU_DEP_1)
	v_cndmask_b32_e32 v4, v4, v11, vcc_lo
	v_div_scale_f32 v5, null, v0, v0, v4
	s_delay_alu instid0(VALU_DEP_1) | instskip(SKIP_1) | instid1(TRANS32_DEP_1)
	v_rcp_f32_e32 v9, v5
	v_nop
	v_fma_f32 v11, -v5, v9, 1.0
	s_delay_alu instid0(VALU_DEP_1) | instskip(SKIP_1) | instid1(VALU_DEP_1)
	v_fmac_f32_e32 v9, v11, v9
	v_div_scale_f32 v11, vcc_lo, v4, v0, v4
	v_mul_f32_e32 v19, v11, v9
	s_delay_alu instid0(VALU_DEP_1) | instskip(NEXT) | instid1(VALU_DEP_1)
	v_fma_f32 v20, -v5, v19, v11
	v_fmac_f32_e32 v19, v20, v9
	s_delay_alu instid0(VALU_DEP_1) | instskip(NEXT) | instid1(VALU_DEP_1)
	v_fma_f32 v5, -v5, v19, v11
	v_div_fmas_f32 v5, v5, v9, v19
	s_delay_alu instid0(VALU_DEP_1) | instskip(NEXT) | instid1(VALU_DEP_1)
	v_div_fixup_f32 v4, v5, v0, v4
	v_cvt_f16_f32_e32 v11, v4
.LBB16_23:
	s_or_b32 exec_lo, exec_lo, s3
.LBB16_24:
	s_delay_alu instid0(SALU_CYCLE_1) | instskip(SKIP_2) | instid1(VALU_DEP_1)
	s_or_b32 exec_lo, exec_lo, s2
	v_add_nc_u32_e32 v4, 0x200, v7
	s_mov_b32 s2, exec_lo
	v_cmpx_lt_i32_e64 v4, v6
	s_cbranch_execz .LBB16_28
; %bb.25:
	s_wait_loadcnt_dscnt 0x0
	v_cvt_f32_f16_e32 v4, v16
	s_mov_b32 s3, exec_lo
	s_delay_alu instid0(VALU_DEP_1) | instskip(NEXT) | instid1(VALU_DEP_1)
	v_mul_f32_e32 v4, v0, v4
	v_cmpx_ngt_f32_e32 v4, v1
	s_cbranch_execz .LBB16_27
; %bb.26:
	v_mul_f32_e32 v5, 0x3fb8aa3b, v4
	v_cmp_ngt_f32_e32 vcc_lo, 0xc2ce8ed0, v4
	s_mov_b32 s4, 0x3e9b6dac
	s_delay_alu instid0(VALU_DEP_2) | instskip(SKIP_1) | instid1(VALU_DEP_1)
	v_rndne_f32_e32 v9, v5
	v_fma_f32 v16, 0x3fb8aa3b, v4, -v5
	v_dual_sub_f32 v5, v5, v9 :: v_dual_fmamk_f32 v16, v4, 0x32a5705f, v16
	v_cvt_i32_f32_e32 v9, v9
	s_delay_alu instid0(VALU_DEP_2) | instskip(NEXT) | instid1(VALU_DEP_1)
	v_add_f32_e32 v5, v5, v16
	v_exp_f32_e32 v5, v5
	v_nop
	s_delay_alu instid0(TRANS32_DEP_1) | instskip(NEXT) | instid1(VALU_DEP_1)
	v_ldexp_f32 v5, v5, v9
	v_cndmask_b32_e32 v5, 0, v5, vcc_lo
	v_cmp_nlt_f32_e32 vcc_lo, 0x42b17218, v4
	s_delay_alu instid0(VALU_DEP_2) | instskip(NEXT) | instid1(VALU_DEP_1)
	v_cndmask_b32_e32 v19, 0x7f800000, v5, vcc_lo
	v_add_f32_e32 v9, 1.0, v19
	s_delay_alu instid0(VALU_DEP_1) | instskip(NEXT) | instid1(VALU_DEP_1)
	v_cvt_f64_f32_e32 v[4:5], v9
	v_frexp_exp_i32_f64_e32 v4, v[4:5]
	v_frexp_mant_f32_e32 v5, v9
	s_delay_alu instid0(VALU_DEP_1) | instskip(NEXT) | instid1(VALU_DEP_3)
	v_cmp_gt_f32_e32 vcc_lo, 0x3f2aaaab, v5
	v_subrev_co_ci_u32_e64 v16, null, 0, v4, vcc_lo
	s_delay_alu instid0(VALU_DEP_1) | instskip(NEXT) | instid1(VALU_DEP_1)
	v_dual_add_f32 v4, -1.0, v9 :: v_dual_sub_nc_u32 v5, 0, v16
	v_sub_f32_e32 v20, v4, v9
	s_delay_alu instid0(VALU_DEP_2) | instskip(NEXT) | instid1(VALU_DEP_2)
	v_ldexp_f32 v9, v9, v5
	v_add_f32_e32 v20, 1.0, v20
	v_sub_f32_e32 v4, v19, v4
	v_cmp_neq_f32_e32 vcc_lo, 0x7f800000, v19
	s_delay_alu instid0(VALU_DEP_2) | instskip(NEXT) | instid1(VALU_DEP_1)
	v_dual_add_f32 v21, 1.0, v9 :: v_dual_add_f32 v4, v4, v20
	v_add_f32_e32 v20, -1.0, v21
	v_add_f32_e32 v23, -1.0, v9
	s_delay_alu instid0(VALU_DEP_3) | instskip(NEXT) | instid1(VALU_DEP_2)
	v_ldexp_f32 v4, v4, v5
	v_dual_sub_f32 v5, v9, v20 :: v_dual_add_f32 v20, 1.0, v23
	s_delay_alu instid0(VALU_DEP_1) | instskip(NEXT) | instid1(VALU_DEP_1)
	v_dual_add_f32 v22, v4, v5 :: v_dual_sub_f32 v5, v9, v20
	v_dual_add_f32 v9, v21, v22 :: v_dual_add_f32 v24, v4, v5
	s_delay_alu instid0(VALU_DEP_1) | instskip(SKIP_1) | instid1(VALU_DEP_1)
	v_sub_f32_e32 v4, v21, v9
	v_rcp_f32_e32 v25, v9
	v_add_f32_e32 v27, v22, v4
	s_delay_alu instid0(VALU_DEP_3)
	v_add_f32_e32 v5, v23, v24
	s_delay_alu instid0(TRANS32_DEP_1) | instid1(VALU_DEP_1)
	v_mul_f32_e32 v26, v5, v25
	s_delay_alu instid0(VALU_DEP_1) | instskip(NEXT) | instid1(VALU_DEP_1)
	v_mul_f32_e32 v20, v9, v26
	v_fma_f32 v22, v26, v9, -v20
	s_delay_alu instid0(VALU_DEP_1) | instskip(NEXT) | instid1(VALU_DEP_1)
	v_dual_sub_f32 v28, v23, v5 :: v_dual_fmac_f32 v22, v26, v27
	v_add_f32_e32 v4, v20, v22
	s_delay_alu instid0(VALU_DEP_1) | instskip(NEXT) | instid1(VALU_DEP_1)
	v_dual_sub_f32 v21, v5, v4 :: v_dual_mov_b32 v23, v4
	v_pk_add_f32 v[4:5], v[4:5], v[20:21] neg_lo:[0,1] neg_hi:[0,1]
	s_delay_alu instid0(VALU_DEP_4) | instskip(NEXT) | instid1(VALU_DEP_2)
	v_add_f32_e32 v20, v24, v28
	v_pk_add_f32 v[4:5], v[4:5], v[22:23] neg_lo:[0,1] neg_hi:[0,1]
	s_delay_alu instid0(VALU_DEP_1) | instskip(NEXT) | instid1(VALU_DEP_1)
	v_add_f32_e32 v5, v20, v5
	v_add_f32_e32 v24, v4, v5
	s_delay_alu instid0(VALU_DEP_1) | instskip(NEXT) | instid1(VALU_DEP_1)
	v_add_f32_e32 v5, v21, v24
	v_mul_f32_e32 v28, v25, v5
	s_delay_alu instid0(VALU_DEP_1) | instskip(NEXT) | instid1(VALU_DEP_1)
	v_mul_f32_e32 v22, v9, v28
	v_fma_f32 v20, v28, v9, -v22
	s_delay_alu instid0(VALU_DEP_1) | instskip(NEXT) | instid1(VALU_DEP_1)
	v_dual_sub_f32 v9, v21, v5 :: v_dual_fmac_f32 v20, v28, v27
	v_add_f32_e32 v4, v22, v20
	s_delay_alu instid0(VALU_DEP_1) | instskip(SKIP_1) | instid1(VALU_DEP_2)
	v_dual_sub_f32 v23, v5, v4 :: v_dual_add_f32 v9, v24, v9
	v_mov_b32_e32 v21, v4
	v_pk_add_f32 v[4:5], v[4:5], v[22:23] neg_lo:[0,1] neg_hi:[0,1]
	s_delay_alu instid0(VALU_DEP_1) | instskip(SKIP_1) | instid1(VALU_DEP_2)
	v_pk_add_f32 v[4:5], v[4:5], v[20:21] neg_lo:[0,1] neg_hi:[0,1]
	v_cvt_f32_i32_e32 v20, v16
	v_dual_add_f32 v5, v9, v5 :: v_dual_add_f32 v9, v26, v28
	s_delay_alu instid0(VALU_DEP_1) | instskip(NEXT) | instid1(VALU_DEP_1)
	v_dual_add_f32 v4, v4, v5 :: v_dual_sub_f32 v5, v9, v26
	v_dual_add_f32 v4, v23, v4 :: v_dual_sub_f32 v5, v28, v5
	s_delay_alu instid0(VALU_DEP_1) | instskip(NEXT) | instid1(VALU_DEP_1)
	v_mul_f32_e32 v4, v25, v4
	v_add_f32_e32 v24, v5, v4
	s_delay_alu instid0(VALU_DEP_1) | instskip(NEXT) | instid1(VALU_DEP_1)
	v_add_f32_e32 v22, v9, v24
	v_dual_mul_f32 v5, v22, v22 :: v_dual_mov_b32 v4, 0x3f317218
	v_sub_f32_e32 v9, v22, v9
	s_delay_alu instid0(VALU_DEP_2) | instskip(SKIP_1) | instid1(VALU_DEP_2)
	v_fmaak_f32 v23, s4, v5, 0x3ecc95a3
	v_mul_f32_e32 v21, v22, v5
	v_fmaak_f32 v5, v5, v23, 0x3f2aaada
	s_delay_alu instid0(VALU_DEP_1) | instskip(SKIP_1) | instid1(VALU_DEP_2)
	v_pk_mul_f32 v[4:5], v[20:21], v[4:5]
	v_ldexp_f32 v21, v22, 1
	v_fma_f32 v16, 0x3f317218, v20, -v4
	s_delay_alu instid0(VALU_DEP_1) | instskip(NEXT) | instid1(VALU_DEP_1)
	v_fmamk_f32 v20, v20, 0xb102e308, v16
	v_pk_add_f32 v[22:23], v[4:5], v[20:21]
	v_sub_f32_e32 v9, v24, v9
	s_delay_alu instid0(VALU_DEP_2) | instskip(NEXT) | instid1(VALU_DEP_2)
	v_dual_sub_f32 v16, v23, v21 :: v_dual_mov_b32 v21, v22
	v_ldexp_f32 v9, v9, 1
	s_delay_alu instid0(VALU_DEP_2) | instskip(SKIP_1) | instid1(VALU_DEP_2)
	v_dual_sub_f32 v16, v5, v16 :: v_dual_mov_b32 v24, v4
	v_pk_add_f32 v[4:5], v[22:23], v[4:5] neg_lo:[0,1] neg_hi:[0,1]
	v_add_f32_e32 v25, v9, v16
	s_delay_alu instid0(VALU_DEP_1) | instskip(NEXT) | instid1(VALU_DEP_1)
	v_pk_add_f32 v[26:27], v[22:23], v[24:25]
	v_dual_mov_b32 v32, v23 :: v_dual_mov_b32 v5, v27
	s_delay_alu instid0(VALU_DEP_1) | instskip(NEXT) | instid1(VALU_DEP_1)
	v_pk_add_f32 v[28:29], v[20:21], v[4:5]
	v_dual_mov_b32 v28, v27 :: v_dual_mov_b32 v16, v29
	v_pk_add_f32 v[4:5], v[20:21], v[4:5] neg_lo:[0,1] neg_hi:[0,1]
	v_mov_b32_e32 v5, v29
	s_delay_alu instid0(VALU_DEP_3) | instskip(SKIP_1) | instid1(VALU_DEP_2)
	v_pk_add_f32 v[30:31], v[16:17], v[22:23] neg_lo:[0,1] neg_hi:[0,1]
	v_dual_mov_b32 v23, v22 :: v_dual_mov_b32 v22, v25
	v_dual_mov_b32 v9, v30 :: v_dual_mov_b32 v33, v30
	s_delay_alu instid0(VALU_DEP_1) | instskip(NEXT) | instid1(VALU_DEP_2)
	v_pk_add_f32 v[24:25], v[26:27], v[8:9] neg_lo:[0,1] neg_hi:[0,1]
	v_pk_add_f32 v[20:21], v[28:29], v[32:33] neg_lo:[0,1] neg_hi:[0,1]
	v_mov_b32_e32 v24, v4
	s_delay_alu instid0(VALU_DEP_2) | instskip(NEXT) | instid1(VALU_DEP_1)
	v_pk_add_f32 v[20:21], v[22:23], v[20:21] neg_lo:[0,1] neg_hi:[0,1]
	v_pk_add_f32 v[22:23], v[24:25], v[20:21]
	s_delay_alu instid0(VALU_DEP_1) | instskip(NEXT) | instid1(VALU_DEP_1)
	v_mov_b32_e32 v24, v23
	v_pk_add_f32 v[24:25], v[22:23], v[24:25]
	s_delay_alu instid0(VALU_DEP_1) | instskip(NEXT) | instid1(VALU_DEP_1)
	v_pk_add_f32 v[26:27], v[16:17], v[24:25]
	v_mov_b32_e32 v23, v26
	s_delay_alu instid0(VALU_DEP_1) | instskip(NEXT) | instid1(VALU_DEP_1)
	v_pk_add_f32 v[28:29], v[22:23], v[4:5] neg_lo:[0,1] neg_hi:[0,1]
	v_dual_mov_b32 v21, v24 :: v_dual_sub_f32 v5, v22, v28
	s_delay_alu instid0(VALU_DEP_1) | instskip(NEXT) | instid1(VALU_DEP_2)
	v_pk_add_f32 v[20:21], v[20:21], v[28:29] neg_lo:[0,1] neg_hi:[0,1]
	v_sub_f32_e32 v4, v4, v5
	s_delay_alu instid0(VALU_DEP_1) | instskip(NEXT) | instid1(VALU_DEP_1)
	v_add_f32_e32 v4, v20, v4
	v_add_f32_e32 v4, v4, v21
	s_delay_alu instid0(VALU_DEP_1) | instskip(NEXT) | instid1(VALU_DEP_1)
	v_add_f32_e32 v4, v26, v4
	v_cndmask_b32_e32 v4, 0x7f800000, v4, vcc_lo
	v_cmp_gt_f32_e64 vcc_lo, 0x33800000, |v19|
	s_delay_alu instid0(VALU_DEP_2) | instskip(NEXT) | instid1(VALU_DEP_1)
	v_cndmask_b32_e32 v4, v4, v19, vcc_lo
	v_div_scale_f32 v5, null, v0, v0, v4
	s_delay_alu instid0(VALU_DEP_1) | instskip(SKIP_1) | instid1(TRANS32_DEP_1)
	v_rcp_f32_e32 v9, v5
	v_nop
	v_fma_f32 v16, -v5, v9, 1.0
	s_delay_alu instid0(VALU_DEP_1) | instskip(SKIP_1) | instid1(VALU_DEP_1)
	v_fmac_f32_e32 v9, v16, v9
	v_div_scale_f32 v16, vcc_lo, v4, v0, v4
	v_mul_f32_e32 v19, v16, v9
	s_delay_alu instid0(VALU_DEP_1) | instskip(NEXT) | instid1(VALU_DEP_1)
	v_fma_f32 v20, -v5, v19, v16
	v_fmac_f32_e32 v19, v20, v9
	s_delay_alu instid0(VALU_DEP_1) | instskip(NEXT) | instid1(VALU_DEP_1)
	v_fma_f32 v5, -v5, v19, v16
	v_div_fmas_f32 v5, v5, v9, v19
	s_delay_alu instid0(VALU_DEP_1) | instskip(NEXT) | instid1(VALU_DEP_1)
	v_div_fixup_f32 v4, v5, v0, v4
	v_cvt_f16_f32_e32 v16, v4
.LBB16_27:
	s_or_b32 exec_lo, exec_lo, s3
.LBB16_28:
	s_delay_alu instid0(SALU_CYCLE_1) | instskip(SKIP_2) | instid1(VALU_DEP_1)
	s_or_b32 exec_lo, exec_lo, s2
	v_add_nc_u32_e32 v4, 0x300, v7
	s_mov_b32 s2, exec_lo
	v_cmpx_lt_i32_e64 v4, v6
	s_cbranch_execz .LBB16_32
; %bb.29:
	s_wait_loadcnt_dscnt 0x0
	v_cvt_f32_f16_e32 v4, v12
	s_mov_b32 s3, exec_lo
	s_delay_alu instid0(VALU_DEP_1) | instskip(NEXT) | instid1(VALU_DEP_1)
	v_mul_f32_e32 v4, v0, v4
	v_cmpx_ngt_f32_e32 v4, v1
	s_cbranch_execz .LBB16_31
; %bb.30:
	v_mul_f32_e32 v5, 0x3fb8aa3b, v4
	v_cmp_ngt_f32_e32 vcc_lo, 0xc2ce8ed0, v4
	s_mov_b32 s4, 0x3e9b6dac
	s_delay_alu instid0(VALU_DEP_2) | instskip(SKIP_1) | instid1(VALU_DEP_1)
	v_rndne_f32_e32 v9, v5
	v_fma_f32 v12, 0x3fb8aa3b, v4, -v5
	v_dual_sub_f32 v5, v5, v9 :: v_dual_fmamk_f32 v12, v4, 0x32a5705f, v12
	v_cvt_i32_f32_e32 v9, v9
	s_delay_alu instid0(VALU_DEP_2) | instskip(NEXT) | instid1(VALU_DEP_1)
	v_add_f32_e32 v5, v5, v12
	v_exp_f32_e32 v5, v5
	v_nop
	s_delay_alu instid0(TRANS32_DEP_1) | instskip(NEXT) | instid1(VALU_DEP_1)
	v_ldexp_f32 v5, v5, v9
	v_cndmask_b32_e32 v5, 0, v5, vcc_lo
	v_cmp_nlt_f32_e32 vcc_lo, 0x42b17218, v4
	s_delay_alu instid0(VALU_DEP_2) | instskip(NEXT) | instid1(VALU_DEP_1)
	v_cndmask_b32_e32 v19, 0x7f800000, v5, vcc_lo
	v_add_f32_e32 v9, 1.0, v19
	s_delay_alu instid0(VALU_DEP_1) | instskip(NEXT) | instid1(VALU_DEP_1)
	v_cvt_f64_f32_e32 v[4:5], v9
	v_frexp_exp_i32_f64_e32 v4, v[4:5]
	v_frexp_mant_f32_e32 v5, v9
	s_delay_alu instid0(VALU_DEP_1) | instskip(NEXT) | instid1(VALU_DEP_3)
	v_cmp_gt_f32_e32 vcc_lo, 0x3f2aaaab, v5
	v_subrev_co_ci_u32_e64 v12, null, 0, v4, vcc_lo
	s_delay_alu instid0(VALU_DEP_1) | instskip(NEXT) | instid1(VALU_DEP_1)
	v_dual_add_f32 v4, -1.0, v9 :: v_dual_sub_nc_u32 v5, 0, v12
	v_sub_f32_e32 v20, v4, v9
	s_delay_alu instid0(VALU_DEP_2) | instskip(NEXT) | instid1(VALU_DEP_2)
	v_ldexp_f32 v9, v9, v5
	v_add_f32_e32 v20, 1.0, v20
	v_sub_f32_e32 v4, v19, v4
	v_cmp_neq_f32_e32 vcc_lo, 0x7f800000, v19
	s_delay_alu instid0(VALU_DEP_2) | instskip(NEXT) | instid1(VALU_DEP_1)
	v_dual_add_f32 v21, 1.0, v9 :: v_dual_add_f32 v4, v4, v20
	v_add_f32_e32 v20, -1.0, v21
	v_add_f32_e32 v23, -1.0, v9
	s_delay_alu instid0(VALU_DEP_3) | instskip(NEXT) | instid1(VALU_DEP_2)
	v_ldexp_f32 v4, v4, v5
	v_dual_sub_f32 v5, v9, v20 :: v_dual_add_f32 v20, 1.0, v23
	s_delay_alu instid0(VALU_DEP_1) | instskip(NEXT) | instid1(VALU_DEP_1)
	v_dual_add_f32 v22, v4, v5 :: v_dual_sub_f32 v5, v9, v20
	v_dual_add_f32 v9, v21, v22 :: v_dual_add_f32 v24, v4, v5
	s_delay_alu instid0(VALU_DEP_1) | instskip(SKIP_1) | instid1(VALU_DEP_1)
	v_sub_f32_e32 v4, v21, v9
	v_rcp_f32_e32 v25, v9
	v_add_f32_e32 v27, v22, v4
	s_delay_alu instid0(VALU_DEP_3)
	v_add_f32_e32 v5, v23, v24
	s_delay_alu instid0(TRANS32_DEP_1) | instid1(VALU_DEP_1)
	v_mul_f32_e32 v26, v5, v25
	s_delay_alu instid0(VALU_DEP_1) | instskip(NEXT) | instid1(VALU_DEP_1)
	v_mul_f32_e32 v20, v9, v26
	v_fma_f32 v22, v26, v9, -v20
	s_delay_alu instid0(VALU_DEP_1) | instskip(NEXT) | instid1(VALU_DEP_1)
	v_dual_sub_f32 v28, v23, v5 :: v_dual_fmac_f32 v22, v26, v27
	v_add_f32_e32 v4, v20, v22
	s_delay_alu instid0(VALU_DEP_1) | instskip(NEXT) | instid1(VALU_DEP_1)
	v_dual_sub_f32 v21, v5, v4 :: v_dual_mov_b32 v23, v4
	v_pk_add_f32 v[4:5], v[4:5], v[20:21] neg_lo:[0,1] neg_hi:[0,1]
	s_delay_alu instid0(VALU_DEP_4) | instskip(NEXT) | instid1(VALU_DEP_2)
	v_add_f32_e32 v20, v24, v28
	v_pk_add_f32 v[4:5], v[4:5], v[22:23] neg_lo:[0,1] neg_hi:[0,1]
	s_delay_alu instid0(VALU_DEP_1) | instskip(NEXT) | instid1(VALU_DEP_1)
	v_add_f32_e32 v5, v20, v5
	v_add_f32_e32 v24, v4, v5
	s_delay_alu instid0(VALU_DEP_1) | instskip(NEXT) | instid1(VALU_DEP_1)
	v_add_f32_e32 v5, v21, v24
	v_mul_f32_e32 v28, v25, v5
	s_delay_alu instid0(VALU_DEP_1) | instskip(NEXT) | instid1(VALU_DEP_1)
	v_mul_f32_e32 v22, v9, v28
	v_fma_f32 v20, v28, v9, -v22
	s_delay_alu instid0(VALU_DEP_1) | instskip(NEXT) | instid1(VALU_DEP_1)
	v_dual_sub_f32 v9, v21, v5 :: v_dual_fmac_f32 v20, v28, v27
	v_add_f32_e32 v4, v22, v20
	s_delay_alu instid0(VALU_DEP_1) | instskip(SKIP_1) | instid1(VALU_DEP_2)
	v_dual_sub_f32 v23, v5, v4 :: v_dual_add_f32 v9, v24, v9
	v_mov_b32_e32 v21, v4
	v_pk_add_f32 v[4:5], v[4:5], v[22:23] neg_lo:[0,1] neg_hi:[0,1]
	s_delay_alu instid0(VALU_DEP_1) | instskip(SKIP_1) | instid1(VALU_DEP_2)
	v_pk_add_f32 v[4:5], v[4:5], v[20:21] neg_lo:[0,1] neg_hi:[0,1]
	v_cvt_f32_i32_e32 v20, v12
	v_dual_add_f32 v5, v9, v5 :: v_dual_add_f32 v9, v26, v28
	s_delay_alu instid0(VALU_DEP_1) | instskip(NEXT) | instid1(VALU_DEP_1)
	v_dual_add_f32 v4, v4, v5 :: v_dual_sub_f32 v5, v9, v26
	v_dual_add_f32 v4, v23, v4 :: v_dual_sub_f32 v5, v28, v5
	s_delay_alu instid0(VALU_DEP_1) | instskip(NEXT) | instid1(VALU_DEP_1)
	v_mul_f32_e32 v4, v25, v4
	v_add_f32_e32 v24, v5, v4
	s_delay_alu instid0(VALU_DEP_1) | instskip(NEXT) | instid1(VALU_DEP_1)
	v_add_f32_e32 v22, v9, v24
	v_dual_mul_f32 v5, v22, v22 :: v_dual_mov_b32 v4, 0x3f317218
	v_sub_f32_e32 v9, v22, v9
	s_delay_alu instid0(VALU_DEP_2) | instskip(SKIP_1) | instid1(VALU_DEP_2)
	v_fmaak_f32 v23, s4, v5, 0x3ecc95a3
	v_mul_f32_e32 v21, v22, v5
	v_fmaak_f32 v5, v5, v23, 0x3f2aaada
	s_delay_alu instid0(VALU_DEP_1) | instskip(SKIP_1) | instid1(VALU_DEP_2)
	v_pk_mul_f32 v[4:5], v[20:21], v[4:5]
	v_ldexp_f32 v21, v22, 1
	v_fma_f32 v12, 0x3f317218, v20, -v4
	s_delay_alu instid0(VALU_DEP_1) | instskip(NEXT) | instid1(VALU_DEP_1)
	v_fmamk_f32 v20, v20, 0xb102e308, v12
	v_pk_add_f32 v[22:23], v[4:5], v[20:21]
	v_sub_f32_e32 v9, v24, v9
	s_delay_alu instid0(VALU_DEP_2) | instskip(NEXT) | instid1(VALU_DEP_2)
	v_dual_sub_f32 v12, v23, v21 :: v_dual_mov_b32 v21, v22
	v_ldexp_f32 v9, v9, 1
	s_delay_alu instid0(VALU_DEP_2) | instskip(SKIP_1) | instid1(VALU_DEP_2)
	v_dual_sub_f32 v12, v5, v12 :: v_dual_mov_b32 v24, v4
	v_pk_add_f32 v[4:5], v[22:23], v[4:5] neg_lo:[0,1] neg_hi:[0,1]
	v_add_f32_e32 v25, v9, v12
	s_delay_alu instid0(VALU_DEP_1) | instskip(NEXT) | instid1(VALU_DEP_1)
	v_pk_add_f32 v[26:27], v[22:23], v[24:25]
	v_dual_mov_b32 v32, v23 :: v_dual_mov_b32 v5, v27
	s_delay_alu instid0(VALU_DEP_1) | instskip(NEXT) | instid1(VALU_DEP_1)
	v_pk_add_f32 v[28:29], v[20:21], v[4:5]
	v_dual_mov_b32 v28, v27 :: v_dual_mov_b32 v12, v29
	v_pk_add_f32 v[4:5], v[20:21], v[4:5] neg_lo:[0,1] neg_hi:[0,1]
	v_mov_b32_e32 v5, v29
	s_delay_alu instid0(VALU_DEP_3) | instskip(SKIP_1) | instid1(VALU_DEP_2)
	v_pk_add_f32 v[30:31], v[12:13], v[22:23] neg_lo:[0,1] neg_hi:[0,1]
	v_dual_mov_b32 v23, v22 :: v_dual_mov_b32 v22, v25
	v_dual_mov_b32 v9, v30 :: v_dual_mov_b32 v33, v30
	s_delay_alu instid0(VALU_DEP_1) | instskip(NEXT) | instid1(VALU_DEP_2)
	v_pk_add_f32 v[24:25], v[26:27], v[8:9] neg_lo:[0,1] neg_hi:[0,1]
	v_pk_add_f32 v[20:21], v[28:29], v[32:33] neg_lo:[0,1] neg_hi:[0,1]
	v_mov_b32_e32 v24, v4
	s_delay_alu instid0(VALU_DEP_2) | instskip(NEXT) | instid1(VALU_DEP_1)
	v_pk_add_f32 v[20:21], v[22:23], v[20:21] neg_lo:[0,1] neg_hi:[0,1]
	v_pk_add_f32 v[22:23], v[24:25], v[20:21]
	s_delay_alu instid0(VALU_DEP_1) | instskip(NEXT) | instid1(VALU_DEP_1)
	v_mov_b32_e32 v24, v23
	v_pk_add_f32 v[24:25], v[22:23], v[24:25]
	s_delay_alu instid0(VALU_DEP_1) | instskip(NEXT) | instid1(VALU_DEP_1)
	v_pk_add_f32 v[26:27], v[12:13], v[24:25]
	v_mov_b32_e32 v23, v26
	s_delay_alu instid0(VALU_DEP_1) | instskip(NEXT) | instid1(VALU_DEP_1)
	v_pk_add_f32 v[28:29], v[22:23], v[4:5] neg_lo:[0,1] neg_hi:[0,1]
	v_dual_mov_b32 v21, v24 :: v_dual_sub_f32 v5, v22, v28
	s_delay_alu instid0(VALU_DEP_1) | instskip(NEXT) | instid1(VALU_DEP_2)
	v_pk_add_f32 v[20:21], v[20:21], v[28:29] neg_lo:[0,1] neg_hi:[0,1]
	v_sub_f32_e32 v4, v4, v5
	s_delay_alu instid0(VALU_DEP_1) | instskip(NEXT) | instid1(VALU_DEP_1)
	v_add_f32_e32 v4, v20, v4
	v_add_f32_e32 v4, v4, v21
	s_delay_alu instid0(VALU_DEP_1) | instskip(NEXT) | instid1(VALU_DEP_1)
	v_add_f32_e32 v4, v26, v4
	v_cndmask_b32_e32 v4, 0x7f800000, v4, vcc_lo
	v_cmp_gt_f32_e64 vcc_lo, 0x33800000, |v19|
	s_delay_alu instid0(VALU_DEP_2) | instskip(NEXT) | instid1(VALU_DEP_1)
	v_cndmask_b32_e32 v4, v4, v19, vcc_lo
	v_div_scale_f32 v5, null, v0, v0, v4
	s_delay_alu instid0(VALU_DEP_1) | instskip(SKIP_1) | instid1(TRANS32_DEP_1)
	v_rcp_f32_e32 v9, v5
	v_nop
	v_fma_f32 v12, -v5, v9, 1.0
	s_delay_alu instid0(VALU_DEP_1) | instskip(SKIP_1) | instid1(VALU_DEP_1)
	v_fmac_f32_e32 v9, v12, v9
	v_div_scale_f32 v12, vcc_lo, v4, v0, v4
	v_mul_f32_e32 v19, v12, v9
	s_delay_alu instid0(VALU_DEP_1) | instskip(NEXT) | instid1(VALU_DEP_1)
	v_fma_f32 v20, -v5, v19, v12
	v_fmac_f32_e32 v19, v20, v9
	s_delay_alu instid0(VALU_DEP_1) | instskip(NEXT) | instid1(VALU_DEP_1)
	v_fma_f32 v5, -v5, v19, v12
	v_div_fmas_f32 v5, v5, v9, v19
	s_delay_alu instid0(VALU_DEP_1) | instskip(NEXT) | instid1(VALU_DEP_1)
	v_div_fixup_f32 v4, v5, v0, v4
	v_cvt_f16_f32_e32 v12, v4
.LBB16_31:
	s_or_b32 exec_lo, exec_lo, s3
.LBB16_32:
	s_delay_alu instid0(SALU_CYCLE_1) | instskip(SKIP_2) | instid1(VALU_DEP_1)
	s_or_b32 exec_lo, exec_lo, s2
	v_or_b32_e32 v4, 0x400, v7
	s_mov_b32 s2, exec_lo
	v_cmpx_lt_i32_e64 v4, v6
	s_cbranch_execz .LBB16_36
; %bb.33:
	s_wait_loadcnt_dscnt 0x0
	v_cvt_f32_f16_e32 v4, v17
	s_mov_b32 s3, exec_lo
	s_delay_alu instid0(VALU_DEP_1) | instskip(NEXT) | instid1(VALU_DEP_1)
	v_mul_f32_e32 v4, v0, v4
	v_cmpx_ngt_f32_e32 v4, v1
	s_cbranch_execz .LBB16_35
; %bb.34:
	v_mul_f32_e32 v5, 0x3fb8aa3b, v4
	v_cmp_ngt_f32_e32 vcc_lo, 0xc2ce8ed0, v4
	s_mov_b32 s4, 0x3e9b6dac
	s_delay_alu instid0(VALU_DEP_2) | instskip(SKIP_1) | instid1(VALU_DEP_2)
	v_rndne_f32_e32 v9, v5
	v_fma_f32 v17, 0x3fb8aa3b, v4, -v5
	v_sub_f32_e32 v5, v5, v9
	s_delay_alu instid0(VALU_DEP_2) | instskip(SKIP_1) | instid1(VALU_DEP_2)
	v_fmamk_f32 v17, v4, 0x32a5705f, v17
	v_cvt_i32_f32_e32 v9, v9
	v_add_f32_e32 v5, v5, v17
	s_delay_alu instid0(VALU_DEP_1) | instskip(SKIP_1) | instid1(TRANS32_DEP_1)
	v_exp_f32_e32 v5, v5
	v_nop
	v_ldexp_f32 v5, v5, v9
	s_delay_alu instid0(VALU_DEP_1) | instskip(SKIP_1) | instid1(VALU_DEP_2)
	v_cndmask_b32_e32 v5, 0, v5, vcc_lo
	v_cmp_nlt_f32_e32 vcc_lo, 0x42b17218, v4
	v_cndmask_b32_e32 v17, 0x7f800000, v5, vcc_lo
	s_delay_alu instid0(VALU_DEP_1) | instskip(NEXT) | instid1(VALU_DEP_1)
	v_add_f32_e32 v9, 1.0, v17
	v_cvt_f64_f32_e32 v[4:5], v9
	s_delay_alu instid0(VALU_DEP_1) | instskip(SKIP_1) | instid1(VALU_DEP_1)
	v_frexp_exp_i32_f64_e32 v4, v[4:5]
	v_frexp_mant_f32_e32 v5, v9
	v_cmp_gt_f32_e32 vcc_lo, 0x3f2aaaab, v5
	s_delay_alu instid0(VALU_DEP_3) | instskip(NEXT) | instid1(VALU_DEP_1)
	v_subrev_co_ci_u32_e64 v19, null, 0, v4, vcc_lo
	v_dual_add_f32 v4, -1.0, v9 :: v_dual_sub_nc_u32 v5, 0, v19
	s_delay_alu instid0(VALU_DEP_1) | instskip(NEXT) | instid1(VALU_DEP_2)
	v_dual_sub_f32 v20, v4, v9 :: v_dual_sub_f32 v4, v17, v4
	v_ldexp_f32 v9, v9, v5
	s_delay_alu instid0(VALU_DEP_1) | instskip(NEXT) | instid1(VALU_DEP_1)
	v_dual_add_f32 v20, 1.0, v20 :: v_dual_add_f32 v21, 1.0, v9
	v_add_f32_e32 v4, v4, v20
	v_cmp_neq_f32_e32 vcc_lo, 0x7f800000, v17
	s_delay_alu instid0(VALU_DEP_3) | instskip(SKIP_1) | instid1(VALU_DEP_4)
	v_add_f32_e32 v20, -1.0, v21
	v_add_f32_e32 v23, -1.0, v9
	v_ldexp_f32 v4, v4, v5
	s_delay_alu instid0(VALU_DEP_2) | instskip(NEXT) | instid1(VALU_DEP_1)
	v_dual_sub_f32 v5, v9, v20 :: v_dual_add_f32 v20, 1.0, v23
	v_dual_add_f32 v22, v4, v5 :: v_dual_sub_f32 v5, v9, v20
	s_delay_alu instid0(VALU_DEP_1) | instskip(NEXT) | instid1(VALU_DEP_1)
	v_dual_add_f32 v9, v21, v22 :: v_dual_add_f32 v24, v4, v5
	v_sub_f32_e32 v4, v21, v9
	v_rcp_f32_e32 v25, v9
	s_delay_alu instid0(VALU_DEP_1) | instskip(NEXT) | instid1(VALU_DEP_3)
	v_add_f32_e32 v27, v22, v4
	v_add_f32_e32 v5, v23, v24
	s_delay_alu instid0(TRANS32_DEP_1) | instid1(VALU_DEP_1)
	v_mul_f32_e32 v26, v5, v25
	s_delay_alu instid0(VALU_DEP_1) | instskip(NEXT) | instid1(VALU_DEP_1)
	v_mul_f32_e32 v20, v9, v26
	v_fma_f32 v22, v26, v9, -v20
	s_delay_alu instid0(VALU_DEP_1) | instskip(NEXT) | instid1(VALU_DEP_1)
	v_dual_sub_f32 v28, v23, v5 :: v_dual_fmac_f32 v22, v26, v27
	v_add_f32_e32 v4, v20, v22
	s_delay_alu instid0(VALU_DEP_1) | instskip(NEXT) | instid1(VALU_DEP_1)
	v_dual_sub_f32 v21, v5, v4 :: v_dual_mov_b32 v23, v4
	v_pk_add_f32 v[4:5], v[4:5], v[20:21] neg_lo:[0,1] neg_hi:[0,1]
	s_delay_alu instid0(VALU_DEP_4) | instskip(NEXT) | instid1(VALU_DEP_2)
	v_add_f32_e32 v20, v24, v28
	v_pk_add_f32 v[4:5], v[4:5], v[22:23] neg_lo:[0,1] neg_hi:[0,1]
	s_delay_alu instid0(VALU_DEP_1) | instskip(NEXT) | instid1(VALU_DEP_1)
	v_add_f32_e32 v5, v20, v5
	v_add_f32_e32 v24, v4, v5
	s_delay_alu instid0(VALU_DEP_1) | instskip(NEXT) | instid1(VALU_DEP_1)
	v_add_f32_e32 v5, v21, v24
	v_mul_f32_e32 v28, v25, v5
	s_delay_alu instid0(VALU_DEP_1) | instskip(NEXT) | instid1(VALU_DEP_1)
	v_mul_f32_e32 v22, v9, v28
	v_fma_f32 v20, v28, v9, -v22
	s_delay_alu instid0(VALU_DEP_1) | instskip(NEXT) | instid1(VALU_DEP_1)
	v_dual_sub_f32 v9, v21, v5 :: v_dual_fmac_f32 v20, v28, v27
	v_add_f32_e32 v4, v22, v20
	s_delay_alu instid0(VALU_DEP_1) | instskip(SKIP_1) | instid1(VALU_DEP_2)
	v_dual_sub_f32 v23, v5, v4 :: v_dual_add_f32 v9, v24, v9
	v_mov_b32_e32 v21, v4
	v_pk_add_f32 v[4:5], v[4:5], v[22:23] neg_lo:[0,1] neg_hi:[0,1]
	s_delay_alu instid0(VALU_DEP_1) | instskip(SKIP_1) | instid1(VALU_DEP_2)
	v_pk_add_f32 v[4:5], v[4:5], v[20:21] neg_lo:[0,1] neg_hi:[0,1]
	v_cvt_f32_i32_e32 v20, v19
	v_dual_add_f32 v5, v9, v5 :: v_dual_add_f32 v9, v26, v28
	s_delay_alu instid0(VALU_DEP_1) | instskip(NEXT) | instid1(VALU_DEP_1)
	v_dual_add_f32 v4, v4, v5 :: v_dual_sub_f32 v5, v9, v26
	v_dual_add_f32 v4, v23, v4 :: v_dual_sub_f32 v5, v28, v5
	s_delay_alu instid0(VALU_DEP_1) | instskip(NEXT) | instid1(VALU_DEP_1)
	v_mul_f32_e32 v4, v25, v4
	v_add_f32_e32 v24, v5, v4
	s_delay_alu instid0(VALU_DEP_1) | instskip(NEXT) | instid1(VALU_DEP_1)
	v_add_f32_e32 v22, v9, v24
	v_dual_mul_f32 v5, v22, v22 :: v_dual_mov_b32 v4, 0x3f317218
	v_sub_f32_e32 v9, v22, v9
	s_delay_alu instid0(VALU_DEP_2) | instskip(SKIP_1) | instid1(VALU_DEP_2)
	v_fmaak_f32 v23, s4, v5, 0x3ecc95a3
	v_mul_f32_e32 v21, v22, v5
	v_fmaak_f32 v5, v5, v23, 0x3f2aaada
	s_delay_alu instid0(VALU_DEP_1) | instskip(SKIP_1) | instid1(VALU_DEP_2)
	v_pk_mul_f32 v[4:5], v[20:21], v[4:5]
	v_ldexp_f32 v21, v22, 1
	v_fma_f32 v19, 0x3f317218, v20, -v4
	s_delay_alu instid0(VALU_DEP_1) | instskip(NEXT) | instid1(VALU_DEP_1)
	v_fmamk_f32 v20, v20, 0xb102e308, v19
	v_pk_add_f32 v[22:23], v[4:5], v[20:21]
	s_delay_alu instid0(VALU_DEP_1) | instskip(SKIP_2) | instid1(VALU_DEP_3)
	v_dual_sub_f32 v19, v23, v21 :: v_dual_mov_b32 v21, v22
	v_sub_f32_e32 v9, v24, v9
	v_dual_mov_b32 v24, v4 :: v_dual_mov_b32 v32, v23
	v_sub_f32_e32 v19, v5, v19
	v_pk_add_f32 v[4:5], v[22:23], v[4:5] neg_lo:[0,1] neg_hi:[0,1]
	s_delay_alu instid0(VALU_DEP_4) | instskip(NEXT) | instid1(VALU_DEP_1)
	v_ldexp_f32 v9, v9, 1
	v_add_f32_e32 v25, v9, v19
	s_delay_alu instid0(VALU_DEP_1) | instskip(NEXT) | instid1(VALU_DEP_1)
	v_pk_add_f32 v[26:27], v[22:23], v[24:25]
	v_mov_b32_e32 v5, v27
	s_delay_alu instid0(VALU_DEP_1) | instskip(SKIP_2) | instid1(VALU_DEP_3)
	v_pk_add_f32 v[28:29], v[20:21], v[4:5]
	v_mov_b32_e32 v28, v27
	v_pk_add_f32 v[4:5], v[20:21], v[4:5] neg_lo:[0,1] neg_hi:[0,1]
	v_dual_mov_b32 v24, v29 :: v_dual_mov_b32 v5, v29
	s_delay_alu instid0(VALU_DEP_1) | instskip(SKIP_1) | instid1(VALU_DEP_2)
	v_pk_add_f32 v[30:31], v[24:25], v[22:23] neg_lo:[0,1] neg_hi:[0,1]
	v_dual_mov_b32 v23, v22 :: v_dual_mov_b32 v22, v25
	v_dual_mov_b32 v9, v30 :: v_dual_mov_b32 v33, v30
	s_delay_alu instid0(VALU_DEP_1) | instskip(NEXT) | instid1(VALU_DEP_2)
	v_pk_add_f32 v[26:27], v[26:27], v[8:9] neg_lo:[0,1] neg_hi:[0,1]
	v_pk_add_f32 v[20:21], v[28:29], v[32:33] neg_lo:[0,1] neg_hi:[0,1]
	v_mov_b32_e32 v26, v4
	s_delay_alu instid0(VALU_DEP_2) | instskip(NEXT) | instid1(VALU_DEP_1)
	v_pk_add_f32 v[20:21], v[22:23], v[20:21] neg_lo:[0,1] neg_hi:[0,1]
	v_pk_add_f32 v[22:23], v[26:27], v[20:21]
	s_delay_alu instid0(VALU_DEP_1) | instskip(NEXT) | instid1(VALU_DEP_1)
	v_mov_b32_e32 v26, v23
	v_pk_add_f32 v[26:27], v[22:23], v[26:27]
	s_delay_alu instid0(VALU_DEP_1) | instskip(NEXT) | instid1(VALU_DEP_1)
	v_pk_add_f32 v[24:25], v[24:25], v[26:27]
	v_mov_b32_e32 v23, v24
	s_delay_alu instid0(VALU_DEP_1) | instskip(NEXT) | instid1(VALU_DEP_1)
	v_pk_add_f32 v[28:29], v[22:23], v[4:5] neg_lo:[0,1] neg_hi:[0,1]
	v_sub_f32_e32 v5, v22, v28
	s_delay_alu instid0(VALU_DEP_1) | instskip(NEXT) | instid1(VALU_DEP_1)
	v_dual_mov_b32 v21, v26 :: v_dual_sub_f32 v4, v4, v5
	v_pk_add_f32 v[20:21], v[20:21], v[28:29] neg_lo:[0,1] neg_hi:[0,1]
	s_delay_alu instid0(VALU_DEP_1) | instskip(NEXT) | instid1(VALU_DEP_1)
	v_add_f32_e32 v4, v20, v4
	v_add_f32_e32 v4, v4, v21
	s_delay_alu instid0(VALU_DEP_1) | instskip(NEXT) | instid1(VALU_DEP_1)
	v_add_f32_e32 v4, v24, v4
	v_cndmask_b32_e32 v4, 0x7f800000, v4, vcc_lo
	v_cmp_gt_f32_e64 vcc_lo, 0x33800000, |v17|
	s_delay_alu instid0(VALU_DEP_2) | instskip(NEXT) | instid1(VALU_DEP_1)
	v_cndmask_b32_e32 v4, v4, v17, vcc_lo
	v_div_scale_f32 v5, null, v0, v0, v4
	s_delay_alu instid0(VALU_DEP_1) | instskip(SKIP_1) | instid1(TRANS32_DEP_1)
	v_rcp_f32_e32 v9, v5
	v_nop
	v_fma_f32 v17, -v5, v9, 1.0
	s_delay_alu instid0(VALU_DEP_1) | instskip(SKIP_1) | instid1(VALU_DEP_1)
	v_fmac_f32_e32 v9, v17, v9
	v_div_scale_f32 v17, vcc_lo, v4, v0, v4
	v_mul_f32_e32 v19, v17, v9
	s_delay_alu instid0(VALU_DEP_1) | instskip(NEXT) | instid1(VALU_DEP_1)
	v_fma_f32 v20, -v5, v19, v17
	v_fmac_f32_e32 v19, v20, v9
	s_delay_alu instid0(VALU_DEP_1) | instskip(NEXT) | instid1(VALU_DEP_1)
	v_fma_f32 v5, -v5, v19, v17
	v_div_fmas_f32 v5, v5, v9, v19
	s_delay_alu instid0(VALU_DEP_1) | instskip(NEXT) | instid1(VALU_DEP_1)
	v_div_fixup_f32 v4, v5, v0, v4
	v_cvt_f16_f32_e32 v17, v4
.LBB16_35:
	s_or_b32 exec_lo, exec_lo, s3
.LBB16_36:
	s_delay_alu instid0(SALU_CYCLE_1) | instskip(SKIP_2) | instid1(VALU_DEP_1)
	s_or_b32 exec_lo, exec_lo, s2
	v_add_nc_u32_e32 v4, 0x500, v7
	s_mov_b32 s2, exec_lo
	v_cmpx_lt_i32_e64 v4, v6
	s_cbranch_execz .LBB16_40
; %bb.37:
	s_wait_loadcnt_dscnt 0x0
	v_cvt_f32_f16_e32 v4, v13
	s_mov_b32 s3, exec_lo
	s_delay_alu instid0(VALU_DEP_1) | instskip(NEXT) | instid1(VALU_DEP_1)
	v_mul_f32_e32 v4, v0, v4
	v_cmpx_ngt_f32_e32 v4, v1
	s_cbranch_execz .LBB16_39
; %bb.38:
	v_mul_f32_e32 v5, 0x3fb8aa3b, v4
	v_cmp_ngt_f32_e32 vcc_lo, 0xc2ce8ed0, v4
	s_mov_b32 s4, 0x3e9b6dac
	s_delay_alu instid0(VALU_DEP_2) | instskip(SKIP_1) | instid1(VALU_DEP_2)
	v_rndne_f32_e32 v9, v5
	v_fma_f32 v13, 0x3fb8aa3b, v4, -v5
	v_sub_f32_e32 v5, v5, v9
	s_delay_alu instid0(VALU_DEP_2) | instskip(SKIP_1) | instid1(VALU_DEP_2)
	v_fmamk_f32 v13, v4, 0x32a5705f, v13
	v_cvt_i32_f32_e32 v9, v9
	v_add_f32_e32 v5, v5, v13
	s_delay_alu instid0(VALU_DEP_1) | instskip(SKIP_1) | instid1(TRANS32_DEP_1)
	v_exp_f32_e32 v5, v5
	v_nop
	v_ldexp_f32 v5, v5, v9
	s_delay_alu instid0(VALU_DEP_1) | instskip(SKIP_1) | instid1(VALU_DEP_2)
	v_cndmask_b32_e32 v5, 0, v5, vcc_lo
	v_cmp_nlt_f32_e32 vcc_lo, 0x42b17218, v4
	v_cndmask_b32_e32 v13, 0x7f800000, v5, vcc_lo
	s_delay_alu instid0(VALU_DEP_1) | instskip(NEXT) | instid1(VALU_DEP_1)
	v_add_f32_e32 v9, 1.0, v13
	v_cvt_f64_f32_e32 v[4:5], v9
	s_delay_alu instid0(VALU_DEP_1) | instskip(SKIP_1) | instid1(VALU_DEP_1)
	v_frexp_exp_i32_f64_e32 v4, v[4:5]
	v_frexp_mant_f32_e32 v5, v9
	v_cmp_gt_f32_e32 vcc_lo, 0x3f2aaaab, v5
	s_delay_alu instid0(VALU_DEP_3) | instskip(NEXT) | instid1(VALU_DEP_1)
	v_subrev_co_ci_u32_e64 v19, null, 0, v4, vcc_lo
	v_dual_add_f32 v4, -1.0, v9 :: v_dual_sub_nc_u32 v5, 0, v19
	s_delay_alu instid0(VALU_DEP_1) | instskip(NEXT) | instid1(VALU_DEP_2)
	v_dual_sub_f32 v20, v4, v9 :: v_dual_sub_f32 v4, v13, v4
	v_ldexp_f32 v9, v9, v5
	s_delay_alu instid0(VALU_DEP_1) | instskip(NEXT) | instid1(VALU_DEP_1)
	v_dual_add_f32 v20, 1.0, v20 :: v_dual_add_f32 v21, 1.0, v9
	v_add_f32_e32 v4, v4, v20
	v_cmp_neq_f32_e32 vcc_lo, 0x7f800000, v13
	s_delay_alu instid0(VALU_DEP_3) | instskip(SKIP_1) | instid1(VALU_DEP_4)
	v_add_f32_e32 v20, -1.0, v21
	v_add_f32_e32 v23, -1.0, v9
	v_ldexp_f32 v4, v4, v5
	s_delay_alu instid0(VALU_DEP_2) | instskip(NEXT) | instid1(VALU_DEP_1)
	v_dual_sub_f32 v5, v9, v20 :: v_dual_add_f32 v20, 1.0, v23
	v_dual_add_f32 v22, v4, v5 :: v_dual_sub_f32 v5, v9, v20
	s_delay_alu instid0(VALU_DEP_1) | instskip(NEXT) | instid1(VALU_DEP_1)
	v_dual_add_f32 v9, v21, v22 :: v_dual_add_f32 v24, v4, v5
	v_sub_f32_e32 v4, v21, v9
	v_rcp_f32_e32 v25, v9
	s_delay_alu instid0(VALU_DEP_1) | instskip(NEXT) | instid1(VALU_DEP_3)
	v_add_f32_e32 v27, v22, v4
	v_add_f32_e32 v5, v23, v24
	s_delay_alu instid0(TRANS32_DEP_1) | instid1(VALU_DEP_1)
	v_mul_f32_e32 v26, v5, v25
	s_delay_alu instid0(VALU_DEP_1) | instskip(NEXT) | instid1(VALU_DEP_1)
	v_mul_f32_e32 v20, v9, v26
	v_fma_f32 v22, v26, v9, -v20
	s_delay_alu instid0(VALU_DEP_1) | instskip(NEXT) | instid1(VALU_DEP_1)
	v_dual_sub_f32 v28, v23, v5 :: v_dual_fmac_f32 v22, v26, v27
	v_add_f32_e32 v4, v20, v22
	s_delay_alu instid0(VALU_DEP_1) | instskip(NEXT) | instid1(VALU_DEP_1)
	v_dual_sub_f32 v21, v5, v4 :: v_dual_mov_b32 v23, v4
	v_pk_add_f32 v[4:5], v[4:5], v[20:21] neg_lo:[0,1] neg_hi:[0,1]
	s_delay_alu instid0(VALU_DEP_4) | instskip(NEXT) | instid1(VALU_DEP_2)
	v_add_f32_e32 v20, v24, v28
	v_pk_add_f32 v[4:5], v[4:5], v[22:23] neg_lo:[0,1] neg_hi:[0,1]
	s_delay_alu instid0(VALU_DEP_1) | instskip(NEXT) | instid1(VALU_DEP_1)
	v_add_f32_e32 v5, v20, v5
	v_add_f32_e32 v24, v4, v5
	s_delay_alu instid0(VALU_DEP_1) | instskip(NEXT) | instid1(VALU_DEP_1)
	v_add_f32_e32 v5, v21, v24
	v_mul_f32_e32 v28, v25, v5
	s_delay_alu instid0(VALU_DEP_1) | instskip(NEXT) | instid1(VALU_DEP_1)
	v_mul_f32_e32 v22, v9, v28
	v_fma_f32 v20, v28, v9, -v22
	s_delay_alu instid0(VALU_DEP_1) | instskip(NEXT) | instid1(VALU_DEP_1)
	v_dual_sub_f32 v9, v21, v5 :: v_dual_fmac_f32 v20, v28, v27
	v_add_f32_e32 v4, v22, v20
	s_delay_alu instid0(VALU_DEP_1) | instskip(SKIP_1) | instid1(VALU_DEP_2)
	v_dual_sub_f32 v23, v5, v4 :: v_dual_add_f32 v9, v24, v9
	v_mov_b32_e32 v21, v4
	v_pk_add_f32 v[4:5], v[4:5], v[22:23] neg_lo:[0,1] neg_hi:[0,1]
	s_delay_alu instid0(VALU_DEP_1) | instskip(SKIP_1) | instid1(VALU_DEP_2)
	v_pk_add_f32 v[4:5], v[4:5], v[20:21] neg_lo:[0,1] neg_hi:[0,1]
	v_cvt_f32_i32_e32 v20, v19
	v_dual_add_f32 v5, v9, v5 :: v_dual_add_f32 v9, v26, v28
	s_delay_alu instid0(VALU_DEP_1) | instskip(NEXT) | instid1(VALU_DEP_1)
	v_dual_add_f32 v4, v4, v5 :: v_dual_sub_f32 v5, v9, v26
	v_dual_add_f32 v4, v23, v4 :: v_dual_sub_f32 v5, v28, v5
	s_delay_alu instid0(VALU_DEP_1) | instskip(NEXT) | instid1(VALU_DEP_1)
	v_mul_f32_e32 v4, v25, v4
	v_add_f32_e32 v24, v5, v4
	s_delay_alu instid0(VALU_DEP_1) | instskip(NEXT) | instid1(VALU_DEP_1)
	v_add_f32_e32 v22, v9, v24
	v_dual_mul_f32 v5, v22, v22 :: v_dual_mov_b32 v4, 0x3f317218
	v_sub_f32_e32 v9, v22, v9
	s_delay_alu instid0(VALU_DEP_2) | instskip(SKIP_1) | instid1(VALU_DEP_2)
	v_fmaak_f32 v23, s4, v5, 0x3ecc95a3
	v_mul_f32_e32 v21, v22, v5
	v_fmaak_f32 v5, v5, v23, 0x3f2aaada
	s_delay_alu instid0(VALU_DEP_1) | instskip(SKIP_1) | instid1(VALU_DEP_2)
	v_pk_mul_f32 v[4:5], v[20:21], v[4:5]
	v_ldexp_f32 v21, v22, 1
	v_fma_f32 v19, 0x3f317218, v20, -v4
	s_delay_alu instid0(VALU_DEP_1) | instskip(NEXT) | instid1(VALU_DEP_1)
	v_fmamk_f32 v20, v20, 0xb102e308, v19
	v_pk_add_f32 v[22:23], v[4:5], v[20:21]
	s_delay_alu instid0(VALU_DEP_1) | instskip(SKIP_2) | instid1(VALU_DEP_3)
	v_dual_sub_f32 v19, v23, v21 :: v_dual_mov_b32 v21, v22
	v_sub_f32_e32 v9, v24, v9
	v_dual_mov_b32 v24, v4 :: v_dual_mov_b32 v32, v23
	v_sub_f32_e32 v19, v5, v19
	v_pk_add_f32 v[4:5], v[22:23], v[4:5] neg_lo:[0,1] neg_hi:[0,1]
	s_delay_alu instid0(VALU_DEP_4) | instskip(NEXT) | instid1(VALU_DEP_1)
	v_ldexp_f32 v9, v9, 1
	v_add_f32_e32 v25, v9, v19
	s_delay_alu instid0(VALU_DEP_1) | instskip(NEXT) | instid1(VALU_DEP_1)
	v_pk_add_f32 v[26:27], v[22:23], v[24:25]
	v_mov_b32_e32 v5, v27
	s_delay_alu instid0(VALU_DEP_1) | instskip(SKIP_2) | instid1(VALU_DEP_3)
	v_pk_add_f32 v[28:29], v[20:21], v[4:5]
	v_mov_b32_e32 v28, v27
	v_pk_add_f32 v[4:5], v[20:21], v[4:5] neg_lo:[0,1] neg_hi:[0,1]
	v_dual_mov_b32 v24, v29 :: v_dual_mov_b32 v5, v29
	s_delay_alu instid0(VALU_DEP_1) | instskip(SKIP_1) | instid1(VALU_DEP_2)
	v_pk_add_f32 v[30:31], v[24:25], v[22:23] neg_lo:[0,1] neg_hi:[0,1]
	v_dual_mov_b32 v23, v22 :: v_dual_mov_b32 v22, v25
	v_dual_mov_b32 v9, v30 :: v_dual_mov_b32 v33, v30
	s_delay_alu instid0(VALU_DEP_1) | instskip(NEXT) | instid1(VALU_DEP_2)
	v_pk_add_f32 v[26:27], v[26:27], v[8:9] neg_lo:[0,1] neg_hi:[0,1]
	v_pk_add_f32 v[20:21], v[28:29], v[32:33] neg_lo:[0,1] neg_hi:[0,1]
	v_mov_b32_e32 v26, v4
	s_delay_alu instid0(VALU_DEP_2) | instskip(NEXT) | instid1(VALU_DEP_1)
	v_pk_add_f32 v[20:21], v[22:23], v[20:21] neg_lo:[0,1] neg_hi:[0,1]
	v_pk_add_f32 v[22:23], v[26:27], v[20:21]
	s_delay_alu instid0(VALU_DEP_1) | instskip(NEXT) | instid1(VALU_DEP_1)
	v_mov_b32_e32 v26, v23
	v_pk_add_f32 v[26:27], v[22:23], v[26:27]
	s_delay_alu instid0(VALU_DEP_1) | instskip(NEXT) | instid1(VALU_DEP_1)
	v_pk_add_f32 v[24:25], v[24:25], v[26:27]
	v_mov_b32_e32 v23, v24
	s_delay_alu instid0(VALU_DEP_1) | instskip(NEXT) | instid1(VALU_DEP_1)
	v_pk_add_f32 v[28:29], v[22:23], v[4:5] neg_lo:[0,1] neg_hi:[0,1]
	v_sub_f32_e32 v5, v22, v28
	s_delay_alu instid0(VALU_DEP_1) | instskip(NEXT) | instid1(VALU_DEP_1)
	v_dual_mov_b32 v21, v26 :: v_dual_sub_f32 v4, v4, v5
	v_pk_add_f32 v[20:21], v[20:21], v[28:29] neg_lo:[0,1] neg_hi:[0,1]
	s_delay_alu instid0(VALU_DEP_1) | instskip(NEXT) | instid1(VALU_DEP_1)
	v_add_f32_e32 v4, v20, v4
	v_add_f32_e32 v4, v4, v21
	s_delay_alu instid0(VALU_DEP_1) | instskip(NEXT) | instid1(VALU_DEP_1)
	v_add_f32_e32 v4, v24, v4
	v_cndmask_b32_e32 v4, 0x7f800000, v4, vcc_lo
	v_cmp_gt_f32_e64 vcc_lo, 0x33800000, |v13|
	s_delay_alu instid0(VALU_DEP_2) | instskip(NEXT) | instid1(VALU_DEP_1)
	v_cndmask_b32_e32 v4, v4, v13, vcc_lo
	v_div_scale_f32 v5, null, v0, v0, v4
	s_delay_alu instid0(VALU_DEP_1) | instskip(SKIP_1) | instid1(TRANS32_DEP_1)
	v_rcp_f32_e32 v9, v5
	v_nop
	v_fma_f32 v13, -v5, v9, 1.0
	s_delay_alu instid0(VALU_DEP_1) | instskip(SKIP_1) | instid1(VALU_DEP_1)
	v_fmac_f32_e32 v9, v13, v9
	v_div_scale_f32 v13, vcc_lo, v4, v0, v4
	v_mul_f32_e32 v19, v13, v9
	s_delay_alu instid0(VALU_DEP_1) | instskip(NEXT) | instid1(VALU_DEP_1)
	v_fma_f32 v20, -v5, v19, v13
	v_fmac_f32_e32 v19, v20, v9
	s_delay_alu instid0(VALU_DEP_1) | instskip(NEXT) | instid1(VALU_DEP_1)
	v_fma_f32 v5, -v5, v19, v13
	v_div_fmas_f32 v5, v5, v9, v19
	s_delay_alu instid0(VALU_DEP_1) | instskip(NEXT) | instid1(VALU_DEP_1)
	v_div_fixup_f32 v4, v5, v0, v4
	v_cvt_f16_f32_e32 v13, v4
.LBB16_39:
	s_or_b32 exec_lo, exec_lo, s3
.LBB16_40:
	s_delay_alu instid0(SALU_CYCLE_1) | instskip(SKIP_2) | instid1(VALU_DEP_1)
	s_or_b32 exec_lo, exec_lo, s2
	v_add_nc_u32_e32 v4, 0x600, v7
	s_mov_b32 s2, exec_lo
	v_cmpx_lt_i32_e64 v4, v6
	s_cbranch_execz .LBB16_44
; %bb.41:
	s_wait_loadcnt_dscnt 0x0
	v_cvt_f32_f16_e32 v4, v18
	s_mov_b32 s3, exec_lo
	s_delay_alu instid0(VALU_DEP_1) | instskip(NEXT) | instid1(VALU_DEP_1)
	v_mul_f32_e32 v4, v0, v4
	v_cmpx_ngt_f32_e32 v4, v1
	s_cbranch_execz .LBB16_43
; %bb.42:
	v_mul_f32_e32 v5, 0x3fb8aa3b, v4
	v_cmp_ngt_f32_e32 vcc_lo, 0xc2ce8ed0, v4
	s_mov_b32 s4, 0x3e9b6dac
	s_delay_alu instid0(VALU_DEP_2) | instskip(SKIP_1) | instid1(VALU_DEP_1)
	v_rndne_f32_e32 v9, v5
	v_fma_f32 v18, 0x3fb8aa3b, v4, -v5
	v_dual_sub_f32 v5, v5, v9 :: v_dual_fmamk_f32 v18, v4, 0x32a5705f, v18
	v_cvt_i32_f32_e32 v9, v9
	s_delay_alu instid0(VALU_DEP_2) | instskip(NEXT) | instid1(VALU_DEP_1)
	v_add_f32_e32 v5, v5, v18
	v_exp_f32_e32 v5, v5
	v_nop
	s_delay_alu instid0(TRANS32_DEP_1) | instskip(NEXT) | instid1(VALU_DEP_1)
	v_ldexp_f32 v5, v5, v9
	v_cndmask_b32_e32 v5, 0, v5, vcc_lo
	v_cmp_nlt_f32_e32 vcc_lo, 0x42b17218, v4
	s_delay_alu instid0(VALU_DEP_2) | instskip(NEXT) | instid1(VALU_DEP_1)
	v_cndmask_b32_e32 v32, 0x7f800000, v5, vcc_lo
	v_add_f32_e32 v9, 1.0, v32
	s_delay_alu instid0(VALU_DEP_1) | instskip(NEXT) | instid1(VALU_DEP_1)
	v_cvt_f64_f32_e32 v[4:5], v9
	v_frexp_exp_i32_f64_e32 v4, v[4:5]
	v_frexp_mant_f32_e32 v5, v9
	s_delay_alu instid0(VALU_DEP_1) | instskip(NEXT) | instid1(VALU_DEP_3)
	v_cmp_gt_f32_e32 vcc_lo, 0x3f2aaaab, v5
	v_subrev_co_ci_u32_e64 v22, null, 0, v4, vcc_lo
	s_delay_alu instid0(VALU_DEP_1) | instskip(SKIP_1) | instid1(VALU_DEP_2)
	v_dual_add_f32 v4, -1.0, v9 :: v_dual_sub_nc_u32 v5, 0, v22
	v_cmp_neq_f32_e32 vcc_lo, 0x7f800000, v32
	v_sub_f32_e32 v18, v4, v9
	v_sub_f32_e32 v4, v32, v4
	s_delay_alu instid0(VALU_DEP_4) | instskip(NEXT) | instid1(VALU_DEP_1)
	v_ldexp_f32 v9, v9, v5
	v_dual_add_f32 v19, 1.0, v9 :: v_dual_add_f32 v18, 1.0, v18
	s_delay_alu instid0(VALU_DEP_1) | instskip(NEXT) | instid1(VALU_DEP_2)
	v_dual_add_f32 v21, -1.0, v9 :: v_dual_add_f32 v4, v4, v18
	v_add_f32_e32 v18, -1.0, v19
	s_delay_alu instid0(VALU_DEP_2) | instskip(NEXT) | instid1(VALU_DEP_2)
	v_ldexp_f32 v4, v4, v5
	v_dual_sub_f32 v5, v9, v18 :: v_dual_add_f32 v18, 1.0, v21
	s_delay_alu instid0(VALU_DEP_1) | instskip(NEXT) | instid1(VALU_DEP_1)
	v_dual_add_f32 v20, v4, v5 :: v_dual_sub_f32 v5, v9, v18
	v_dual_add_f32 v9, v19, v20 :: v_dual_add_f32 v23, v4, v5
	s_delay_alu instid0(VALU_DEP_1) | instskip(NEXT) | instid1(VALU_DEP_1)
	v_rcp_f32_e32 v24, v9
	v_dual_add_f32 v5, v21, v23 :: v_dual_sub_f32 v4, v19, v9
	s_delay_alu instid0(VALU_DEP_1) | instskip(NEXT) | instid1(TRANS32_DEP_1)
	v_sub_f32_e32 v27, v21, v5
	v_mul_f32_e32 v25, v5, v24
	s_delay_alu instid0(VALU_DEP_1) | instskip(NEXT) | instid1(VALU_DEP_1)
	v_dual_add_f32 v26, v20, v4 :: v_dual_mul_f32 v18, v9, v25
	v_fma_f32 v20, v25, v9, -v18
	s_delay_alu instid0(VALU_DEP_1) | instskip(NEXT) | instid1(VALU_DEP_1)
	v_fmac_f32_e32 v20, v25, v26
	v_add_f32_e32 v4, v18, v20
	s_delay_alu instid0(VALU_DEP_1) | instskip(NEXT) | instid1(VALU_DEP_1)
	v_dual_sub_f32 v19, v5, v4 :: v_dual_mov_b32 v21, v4
	v_pk_add_f32 v[4:5], v[4:5], v[18:19] neg_lo:[0,1] neg_hi:[0,1]
	v_add_f32_e32 v18, v23, v27
	s_delay_alu instid0(VALU_DEP_2) | instskip(NEXT) | instid1(VALU_DEP_1)
	v_pk_add_f32 v[4:5], v[4:5], v[20:21] neg_lo:[0,1] neg_hi:[0,1]
	v_add_f32_e32 v5, v18, v5
	s_delay_alu instid0(VALU_DEP_1) | instskip(NEXT) | instid1(VALU_DEP_1)
	v_add_f32_e32 v23, v4, v5
	v_add_f32_e32 v5, v19, v23
	s_delay_alu instid0(VALU_DEP_1) | instskip(NEXT) | instid1(VALU_DEP_1)
	v_mul_f32_e32 v27, v24, v5
	v_mul_f32_e32 v20, v9, v27
	s_delay_alu instid0(VALU_DEP_1) | instskip(SKIP_1) | instid1(VALU_DEP_2)
	v_fma_f32 v18, v27, v9, -v20
	v_sub_f32_e32 v9, v19, v5
	v_fmac_f32_e32 v18, v27, v26
	s_delay_alu instid0(VALU_DEP_1) | instskip(NEXT) | instid1(VALU_DEP_1)
	v_add_f32_e32 v4, v20, v18
	v_dual_sub_f32 v21, v5, v4 :: v_dual_mov_b32 v19, v4
	s_delay_alu instid0(VALU_DEP_4) | instskip(NEXT) | instid1(VALU_DEP_2)
	v_add_f32_e32 v9, v23, v9
	v_pk_add_f32 v[4:5], v[4:5], v[20:21] neg_lo:[0,1] neg_hi:[0,1]
	s_delay_alu instid0(VALU_DEP_1) | instskip(SKIP_1) | instid1(VALU_DEP_2)
	v_pk_add_f32 v[4:5], v[4:5], v[18:19] neg_lo:[0,1] neg_hi:[0,1]
	v_cvt_f32_i32_e32 v18, v22
	v_add_f32_e32 v5, v9, v5
	s_delay_alu instid0(VALU_DEP_1) | instskip(NEXT) | instid1(VALU_DEP_1)
	v_dual_add_f32 v9, v25, v27 :: v_dual_add_f32 v4, v4, v5
	v_sub_f32_e32 v5, v9, v25
	s_delay_alu instid0(VALU_DEP_1) | instskip(NEXT) | instid1(VALU_DEP_1)
	v_dual_add_f32 v4, v21, v4 :: v_dual_sub_f32 v5, v27, v5
	v_mul_f32_e32 v4, v24, v4
	s_delay_alu instid0(VALU_DEP_1) | instskip(NEXT) | instid1(VALU_DEP_1)
	v_dual_add_f32 v23, v5, v4 :: v_dual_mov_b32 v4, 0x3f317218
	v_add_f32_e32 v20, v9, v23
	s_delay_alu instid0(VALU_DEP_1) | instskip(NEXT) | instid1(VALU_DEP_1)
	v_mul_f32_e32 v5, v20, v20
	v_fmaak_f32 v21, s4, v5, 0x3ecc95a3
	v_mul_f32_e32 v19, v20, v5
	s_delay_alu instid0(VALU_DEP_2) | instskip(NEXT) | instid1(VALU_DEP_1)
	v_fmaak_f32 v5, v5, v21, 0x3f2aaada
	v_pk_mul_f32 v[4:5], v[18:19], v[4:5]
	v_ldexp_f32 v19, v20, 1
	v_sub_f32_e32 v9, v20, v9
	s_delay_alu instid0(VALU_DEP_3) | instskip(SKIP_1) | instid1(VALU_DEP_2)
	v_fma_f32 v21, 0x3f317218, v18, -v4
	v_mov_b32_e32 v22, v4
	v_fmamk_f32 v18, v18, 0xb102e308, v21
	s_delay_alu instid0(VALU_DEP_1) | instskip(NEXT) | instid1(VALU_DEP_1)
	v_pk_add_f32 v[20:21], v[4:5], v[18:19]
	v_dual_sub_f32 v19, v21, v19 :: v_dual_sub_f32 v9, v23, v9
	s_delay_alu instid0(VALU_DEP_1) | instskip(NEXT) | instid1(VALU_DEP_2)
	v_sub_f32_e32 v19, v5, v19
	v_ldexp_f32 v9, v9, 1
	s_delay_alu instid0(VALU_DEP_4) | instskip(NEXT) | instid1(VALU_DEP_2)
	v_pk_add_f32 v[4:5], v[20:21], v[4:5] neg_lo:[0,1] neg_hi:[0,1]
	v_dual_add_f32 v23, v9, v19 :: v_dual_mov_b32 v19, v20
	s_delay_alu instid0(VALU_DEP_1) | instskip(NEXT) | instid1(VALU_DEP_1)
	v_pk_add_f32 v[24:25], v[20:21], v[22:23]
	v_dual_mov_b32 v30, v21 :: v_dual_mov_b32 v5, v25
	s_delay_alu instid0(VALU_DEP_1) | instskip(SKIP_2) | instid1(VALU_DEP_3)
	v_pk_add_f32 v[26:27], v[18:19], v[4:5]
	v_mov_b32_e32 v26, v25
	v_pk_add_f32 v[4:5], v[18:19], v[4:5] neg_lo:[0,1] neg_hi:[0,1]
	v_dual_mov_b32 v22, v27 :: v_dual_mov_b32 v5, v27
	s_delay_alu instid0(VALU_DEP_1) | instskip(SKIP_1) | instid1(VALU_DEP_2)
	v_pk_add_f32 v[28:29], v[22:23], v[20:21] neg_lo:[0,1] neg_hi:[0,1]
	v_dual_mov_b32 v21, v20 :: v_dual_mov_b32 v20, v23
	v_dual_mov_b32 v9, v28 :: v_dual_mov_b32 v31, v28
	s_delay_alu instid0(VALU_DEP_1) | instskip(NEXT) | instid1(VALU_DEP_2)
	v_pk_add_f32 v[24:25], v[24:25], v[8:9] neg_lo:[0,1] neg_hi:[0,1]
	v_pk_add_f32 v[18:19], v[26:27], v[30:31] neg_lo:[0,1] neg_hi:[0,1]
	v_mov_b32_e32 v24, v4
	s_delay_alu instid0(VALU_DEP_2) | instskip(NEXT) | instid1(VALU_DEP_1)
	v_pk_add_f32 v[18:19], v[20:21], v[18:19] neg_lo:[0,1] neg_hi:[0,1]
	v_pk_add_f32 v[20:21], v[24:25], v[18:19]
	s_delay_alu instid0(VALU_DEP_1) | instskip(NEXT) | instid1(VALU_DEP_1)
	v_mov_b32_e32 v24, v21
	v_pk_add_f32 v[24:25], v[20:21], v[24:25]
	s_delay_alu instid0(VALU_DEP_1) | instskip(NEXT) | instid1(VALU_DEP_1)
	v_pk_add_f32 v[22:23], v[22:23], v[24:25]
	v_mov_b32_e32 v21, v22
	s_delay_alu instid0(VALU_DEP_1) | instskip(NEXT) | instid1(VALU_DEP_1)
	v_pk_add_f32 v[26:27], v[20:21], v[4:5] neg_lo:[0,1] neg_hi:[0,1]
	v_sub_f32_e32 v5, v20, v26
	s_delay_alu instid0(VALU_DEP_1) | instskip(SKIP_1) | instid1(VALU_DEP_1)
	v_sub_f32_e32 v4, v4, v5
	v_mov_b32_e32 v19, v24
	v_pk_add_f32 v[18:19], v[18:19], v[26:27] neg_lo:[0,1] neg_hi:[0,1]
	s_delay_alu instid0(VALU_DEP_1) | instskip(NEXT) | instid1(VALU_DEP_1)
	v_add_f32_e32 v4, v18, v4
	v_add_f32_e32 v4, v4, v19
	s_delay_alu instid0(VALU_DEP_1) | instskip(NEXT) | instid1(VALU_DEP_1)
	v_add_f32_e32 v4, v22, v4
	v_cndmask_b32_e32 v4, 0x7f800000, v4, vcc_lo
	v_cmp_gt_f32_e64 vcc_lo, 0x33800000, |v32|
	s_delay_alu instid0(VALU_DEP_2) | instskip(NEXT) | instid1(VALU_DEP_1)
	v_cndmask_b32_e32 v4, v4, v32, vcc_lo
	v_div_scale_f32 v5, null, v0, v0, v4
	s_delay_alu instid0(VALU_DEP_1) | instskip(SKIP_1) | instid1(TRANS32_DEP_1)
	v_rcp_f32_e32 v9, v5
	v_nop
	v_fma_f32 v18, -v5, v9, 1.0
	s_delay_alu instid0(VALU_DEP_1) | instskip(SKIP_1) | instid1(VALU_DEP_1)
	v_fmac_f32_e32 v9, v18, v9
	v_div_scale_f32 v18, vcc_lo, v4, v0, v4
	v_mul_f32_e32 v19, v18, v9
	s_delay_alu instid0(VALU_DEP_1) | instskip(NEXT) | instid1(VALU_DEP_1)
	v_fma_f32 v20, -v5, v19, v18
	v_fmac_f32_e32 v19, v20, v9
	s_delay_alu instid0(VALU_DEP_1) | instskip(NEXT) | instid1(VALU_DEP_1)
	v_fma_f32 v5, -v5, v19, v18
	v_div_fmas_f32 v5, v5, v9, v19
	s_delay_alu instid0(VALU_DEP_1) | instskip(NEXT) | instid1(VALU_DEP_1)
	v_div_fixup_f32 v4, v5, v0, v4
	v_cvt_f16_f32_e32 v18, v4
.LBB16_43:
	s_or_b32 exec_lo, exec_lo, s3
.LBB16_44:
	s_delay_alu instid0(SALU_CYCLE_1) | instskip(SKIP_2) | instid1(VALU_DEP_1)
	s_or_b32 exec_lo, exec_lo, s2
	v_add_nc_u32_e32 v4, 0x700, v7
	s_mov_b32 s2, exec_lo
	v_cmpx_lt_i32_e64 v4, v6
	s_cbranch_execnz .LBB16_54
; %bb.45:
	s_or_b32 exec_lo, exec_lo, s2
	s_and_saveexec_b32 s2, s0
	s_delay_alu instid0(SALU_CYCLE_1)
	s_xor_b32 s0, exec_lo, s2
	s_cbranch_execnz .LBB16_57
.LBB16_46:
	s_or_b32 exec_lo, exec_lo, s0
	s_delay_alu instid0(SALU_CYCLE_1)
	s_mov_b32 s0, exec_lo
	v_cmpx_lt_i32_e64 v7, v6
	s_cbranch_execnz .LBB16_58
.LBB16_47:
	s_or_b32 exec_lo, exec_lo, s0
	s_delay_alu instid0(SALU_CYCLE_1)
	s_mov_b32 s0, exec_lo
	v_cmpx_lt_i32_e64 v7, v6
	s_cbranch_execnz .LBB16_59
.LBB16_48:
	s_or_b32 exec_lo, exec_lo, s0
	s_delay_alu instid0(SALU_CYCLE_1)
	s_mov_b32 s0, exec_lo
	v_cmpx_lt_i32_e64 v7, v6
	s_cbranch_execnz .LBB16_60
.LBB16_49:
	s_or_b32 exec_lo, exec_lo, s0
	s_delay_alu instid0(SALU_CYCLE_1)
	s_mov_b32 s0, exec_lo
	v_cmpx_lt_i32_e64 v7, v6
	s_cbranch_execnz .LBB16_61
.LBB16_50:
	s_or_b32 exec_lo, exec_lo, s0
	s_delay_alu instid0(SALU_CYCLE_1)
	s_mov_b32 s0, exec_lo
	v_cmpx_lt_i32_e64 v7, v6
	s_cbranch_execnz .LBB16_62
.LBB16_51:
	s_or_b32 exec_lo, exec_lo, s0
	s_delay_alu instid0(SALU_CYCLE_1)
	s_mov_b32 s0, exec_lo
	v_cmpx_lt_i32_e64 v7, v6
	s_cbranch_execnz .LBB16_63
.LBB16_52:
	s_or_b32 exec_lo, exec_lo, s0
	s_delay_alu instid0(SALU_CYCLE_1)
	s_mov_b32 s0, exec_lo
	v_cmpx_lt_i32_e64 v7, v6
	s_cbranch_execnz .LBB16_64
.LBB16_53:
	s_or_b32 exec_lo, exec_lo, s0
	s_wait_loadcnt_dscnt 0x0
	s_set_pc_i64 s[30:31]
.LBB16_54:
	s_wait_loadcnt_dscnt 0x0
	v_cvt_f32_f16_e32 v4, v15
	s_mov_b32 s3, exec_lo
	s_delay_alu instid0(VALU_DEP_1) | instskip(NEXT) | instid1(VALU_DEP_1)
	v_mul_f32_e32 v4, v0, v4
	v_cmpx_ngt_f32_e32 v4, v1
	s_cbranch_execz .LBB16_56
; %bb.55:
	v_mul_f32_e32 v1, 0x3fb8aa3b, v4
	v_cmp_ngt_f32_e32 vcc_lo, 0xc2ce8ed0, v4
	s_mov_b32 s4, 0x3e9b6dac
	s_delay_alu instid0(VALU_DEP_2) | instskip(SKIP_1) | instid1(VALU_DEP_2)
	v_rndne_f32_e32 v5, v1
	v_fma_f32 v9, 0x3fb8aa3b, v4, -v1
	v_sub_f32_e32 v1, v1, v5
	s_delay_alu instid0(VALU_DEP_2) | instskip(SKIP_1) | instid1(VALU_DEP_2)
	v_fmamk_f32 v9, v4, 0x32a5705f, v9
	v_cvt_i32_f32_e32 v5, v5
	v_add_f32_e32 v1, v1, v9
	s_delay_alu instid0(VALU_DEP_1) | instskip(SKIP_1) | instid1(TRANS32_DEP_1)
	v_exp_f32_e32 v1, v1
	v_nop
	v_ldexp_f32 v1, v1, v5
	s_delay_alu instid0(VALU_DEP_1) | instskip(SKIP_1) | instid1(VALU_DEP_2)
	v_cndmask_b32_e32 v1, 0, v1, vcc_lo
	v_cmp_nlt_f32_e32 vcc_lo, 0x42b17218, v4
	v_cndmask_b32_e32 v9, 0x7f800000, v1, vcc_lo
	s_delay_alu instid0(VALU_DEP_1) | instskip(NEXT) | instid1(VALU_DEP_1)
	v_add_f32_e32 v1, 1.0, v9
	v_cvt_f64_f32_e32 v[4:5], v1
	s_delay_alu instid0(VALU_DEP_1) | instskip(SKIP_1) | instid1(VALU_DEP_1)
	v_frexp_exp_i32_f64_e32 v4, v[4:5]
	v_frexp_mant_f32_e32 v5, v1
	v_cmp_gt_f32_e32 vcc_lo, 0x3f2aaaab, v5
	s_delay_alu instid0(VALU_DEP_3) | instskip(NEXT) | instid1(VALU_DEP_1)
	v_subrev_co_ci_u32_e64 v15, null, 0, v4, vcc_lo
	v_dual_add_f32 v4, -1.0, v1 :: v_dual_sub_nc_u32 v5, 0, v15
	s_delay_alu instid0(VALU_DEP_1) | instskip(NEXT) | instid1(VALU_DEP_2)
	v_sub_f32_e32 v19, v4, v1
	v_ldexp_f32 v1, v1, v5
	s_delay_alu instid0(VALU_DEP_1) | instskip(NEXT) | instid1(VALU_DEP_3)
	v_dual_add_f32 v20, 1.0, v1 :: v_dual_sub_f32 v4, v9, v4
	v_dual_add_f32 v23, -1.0, v1 :: v_dual_add_f32 v19, 1.0, v19
	v_cmp_neq_f32_e32 vcc_lo, 0x7f800000, v9
	s_delay_alu instid0(VALU_DEP_2) | instskip(NEXT) | instid1(VALU_DEP_1)
	v_dual_add_f32 v4, v4, v19 :: v_dual_add_f32 v19, -1.0, v20
	v_ldexp_f32 v4, v4, v5
	s_delay_alu instid0(VALU_DEP_2) | instskip(SKIP_1) | instid1(VALU_DEP_1)
	v_sub_f32_e32 v5, v1, v19
	v_add_f32_e32 v19, 1.0, v23
	v_dual_sub_f32 v1, v1, v19 :: v_dual_add_f32 v21, v4, v5
	s_delay_alu instid0(VALU_DEP_1) | instskip(NEXT) | instid1(VALU_DEP_1)
	v_add_f32_e32 v1, v4, v1
	v_add_f32_e32 v5, v23, v1
	s_delay_alu instid0(VALU_DEP_3) | instskip(NEXT) | instid1(VALU_DEP_1)
	v_add_f32_e32 v19, v20, v21
	v_rcp_f32_e32 v24, v19
	v_nop
	s_delay_alu instid0(TRANS32_DEP_1) | instskip(NEXT) | instid1(VALU_DEP_1)
	v_dual_mul_f32 v25, v5, v24 :: v_dual_sub_f32 v4, v20, v19
	v_dual_sub_f32 v27, v23, v5 :: v_dual_add_f32 v26, v21, v4
	s_delay_alu instid0(VALU_DEP_1) | instskip(NEXT) | instid1(VALU_DEP_1)
	v_dual_mul_f32 v20, v19, v25 :: v_dual_add_f32 v1, v1, v27
	v_fma_f32 v22, v25, v19, -v20
	s_delay_alu instid0(VALU_DEP_1) | instskip(NEXT) | instid1(VALU_DEP_1)
	v_fmac_f32_e32 v22, v25, v26
	v_add_f32_e32 v4, v20, v22
	s_delay_alu instid0(VALU_DEP_1) | instskip(NEXT) | instid1(VALU_DEP_1)
	v_dual_sub_f32 v21, v5, v4 :: v_dual_mov_b32 v23, v4
	v_pk_add_f32 v[4:5], v[4:5], v[20:21] neg_lo:[0,1] neg_hi:[0,1]
	s_delay_alu instid0(VALU_DEP_1) | instskip(NEXT) | instid1(VALU_DEP_1)
	v_pk_add_f32 v[4:5], v[4:5], v[22:23] neg_lo:[0,1] neg_hi:[0,1]
	v_add_f32_e32 v1, v1, v5
	s_delay_alu instid0(VALU_DEP_1) | instskip(NEXT) | instid1(VALU_DEP_1)
	v_add_f32_e32 v1, v4, v1
	v_add_f32_e32 v5, v21, v1
	s_delay_alu instid0(VALU_DEP_1) | instskip(NEXT) | instid1(VALU_DEP_1)
	v_mul_f32_e32 v27, v24, v5
	v_mul_f32_e32 v22, v19, v27
	s_delay_alu instid0(VALU_DEP_1) | instskip(NEXT) | instid1(VALU_DEP_1)
	v_dual_fma_f32 v20, v27, v19, -v22 :: v_dual_sub_f32 v19, v21, v5
	v_dual_fmac_f32 v20, v27, v26 :: v_dual_add_f32 v1, v1, v19
	s_delay_alu instid0(VALU_DEP_1) | instskip(NEXT) | instid1(VALU_DEP_1)
	v_add_f32_e32 v4, v22, v20
	v_dual_sub_f32 v23, v5, v4 :: v_dual_mov_b32 v21, v4
	s_delay_alu instid0(VALU_DEP_1) | instskip(NEXT) | instid1(VALU_DEP_1)
	v_pk_add_f32 v[4:5], v[4:5], v[22:23] neg_lo:[0,1] neg_hi:[0,1]
	v_pk_add_f32 v[4:5], v[4:5], v[20:21] neg_lo:[0,1] neg_hi:[0,1]
	v_cvt_f32_i32_e32 v20, v15
	s_delay_alu instid0(VALU_DEP_2) | instskip(NEXT) | instid1(VALU_DEP_1)
	v_add_f32_e32 v1, v1, v5
	v_dual_add_f32 v19, v25, v27 :: v_dual_add_f32 v1, v4, v1
	s_delay_alu instid0(VALU_DEP_1) | instskip(NEXT) | instid1(VALU_DEP_2)
	v_sub_f32_e32 v4, v19, v25
	v_add_f32_e32 v1, v23, v1
	s_delay_alu instid0(VALU_DEP_1) | instskip(NEXT) | instid1(VALU_DEP_1)
	v_dual_sub_f32 v4, v27, v4 :: v_dual_mul_f32 v1, v24, v1
	v_dual_add_f32 v1, v4, v1 :: v_dual_mov_b32 v4, 0x3f317218
	s_delay_alu instid0(VALU_DEP_1) | instskip(NEXT) | instid1(VALU_DEP_1)
	v_add_f32_e32 v22, v19, v1
	v_mul_f32_e32 v5, v22, v22
	s_delay_alu instid0(VALU_DEP_1) | instskip(SKIP_1) | instid1(VALU_DEP_2)
	v_fmaak_f32 v23, s4, v5, 0x3ecc95a3
	v_mul_f32_e32 v21, v22, v5
	v_fmaak_f32 v5, v5, v23, 0x3f2aaada
	s_delay_alu instid0(VALU_DEP_1) | instskip(SKIP_1) | instid1(VALU_DEP_2)
	v_pk_mul_f32 v[4:5], v[20:21], v[4:5]
	v_ldexp_f32 v21, v22, 1
	v_fma_f32 v15, 0x3f317218, v20, -v4
	v_mov_b32_e32 v24, v4
	s_delay_alu instid0(VALU_DEP_2) | instskip(NEXT) | instid1(VALU_DEP_1)
	v_dual_fmamk_f32 v20, v20, 0xb102e308, v15 :: v_dual_sub_f32 v15, v22, v19
	v_pk_add_f32 v[22:23], v[4:5], v[20:21]
	s_delay_alu instid0(VALU_DEP_1) | instskip(NEXT) | instid1(VALU_DEP_1)
	v_dual_sub_f32 v1, v1, v15 :: v_dual_sub_f32 v15, v23, v21
	v_ldexp_f32 v1, v1, 1
	s_delay_alu instid0(VALU_DEP_2) | instskip(SKIP_1) | instid1(VALU_DEP_2)
	v_dual_mov_b32 v21, v22 :: v_dual_sub_f32 v15, v5, v15
	v_pk_add_f32 v[4:5], v[22:23], v[4:5] neg_lo:[0,1] neg_hi:[0,1]
	v_add_f32_e32 v25, v1, v15
	s_delay_alu instid0(VALU_DEP_1) | instskip(NEXT) | instid1(VALU_DEP_1)
	v_pk_add_f32 v[26:27], v[22:23], v[24:25]
	v_dual_mov_b32 v32, v23 :: v_dual_mov_b32 v5, v27
	s_delay_alu instid0(VALU_DEP_1) | instskip(NEXT) | instid1(VALU_DEP_1)
	v_pk_add_f32 v[28:29], v[20:21], v[4:5]
	v_dual_mov_b32 v28, v27 :: v_dual_mov_b32 v24, v29
	v_pk_add_f32 v[4:5], v[20:21], v[4:5] neg_lo:[0,1] neg_hi:[0,1]
	v_mov_b32_e32 v5, v29
	s_delay_alu instid0(VALU_DEP_3) | instskip(SKIP_1) | instid1(VALU_DEP_2)
	v_pk_add_f32 v[30:31], v[24:25], v[22:23] neg_lo:[0,1] neg_hi:[0,1]
	v_dual_mov_b32 v23, v22 :: v_dual_mov_b32 v22, v25
	v_dual_mov_b32 v1, v30 :: v_dual_mov_b32 v33, v30
	s_delay_alu instid0(VALU_DEP_1) | instskip(NEXT) | instid1(VALU_DEP_2)
	v_pk_add_f32 v[26:27], v[26:27], v[0:1] neg_lo:[0,1] neg_hi:[0,1]
	v_pk_add_f32 v[20:21], v[28:29], v[32:33] neg_lo:[0,1] neg_hi:[0,1]
	v_mov_b32_e32 v26, v4
	s_delay_alu instid0(VALU_DEP_2) | instskip(NEXT) | instid1(VALU_DEP_1)
	v_pk_add_f32 v[20:21], v[22:23], v[20:21] neg_lo:[0,1] neg_hi:[0,1]
	v_pk_add_f32 v[22:23], v[26:27], v[20:21]
	s_delay_alu instid0(VALU_DEP_1) | instskip(NEXT) | instid1(VALU_DEP_1)
	v_mov_b32_e32 v26, v23
	v_pk_add_f32 v[26:27], v[22:23], v[26:27]
	s_delay_alu instid0(VALU_DEP_1) | instskip(NEXT) | instid1(VALU_DEP_1)
	v_pk_add_f32 v[24:25], v[24:25], v[26:27]
	v_mov_b32_e32 v23, v24
	s_delay_alu instid0(VALU_DEP_1) | instskip(NEXT) | instid1(VALU_DEP_1)
	v_pk_add_f32 v[28:29], v[22:23], v[4:5] neg_lo:[0,1] neg_hi:[0,1]
	v_sub_f32_e32 v1, v22, v28
	s_delay_alu instid0(VALU_DEP_1) | instskip(NEXT) | instid1(VALU_DEP_1)
	v_dual_mov_b32 v21, v26 :: v_dual_sub_f32 v1, v4, v1
	v_pk_add_f32 v[20:21], v[20:21], v[28:29] neg_lo:[0,1] neg_hi:[0,1]
	s_delay_alu instid0(VALU_DEP_1) | instskip(NEXT) | instid1(VALU_DEP_1)
	v_add_f32_e32 v1, v20, v1
	v_add_f32_e32 v1, v1, v21
	s_delay_alu instid0(VALU_DEP_1) | instskip(NEXT) | instid1(VALU_DEP_1)
	v_add_f32_e32 v1, v24, v1
	v_cndmask_b32_e32 v1, 0x7f800000, v1, vcc_lo
	v_cmp_gt_f32_e64 vcc_lo, 0x33800000, |v9|
	s_delay_alu instid0(VALU_DEP_2) | instskip(NEXT) | instid1(VALU_DEP_1)
	v_cndmask_b32_e32 v1, v1, v9, vcc_lo
	v_div_scale_f32 v4, null, v0, v0, v1
	s_delay_alu instid0(VALU_DEP_1) | instskip(SKIP_1) | instid1(TRANS32_DEP_1)
	v_rcp_f32_e32 v5, v4
	v_nop
	v_fma_f32 v9, -v4, v5, 1.0
	s_delay_alu instid0(VALU_DEP_1) | instskip(SKIP_1) | instid1(VALU_DEP_1)
	v_fmac_f32_e32 v5, v9, v5
	v_div_scale_f32 v9, vcc_lo, v1, v0, v1
	v_mul_f32_e32 v15, v9, v5
	s_delay_alu instid0(VALU_DEP_1) | instskip(NEXT) | instid1(VALU_DEP_1)
	v_fma_f32 v19, -v4, v15, v9
	v_fmac_f32_e32 v15, v19, v5
	s_delay_alu instid0(VALU_DEP_1) | instskip(NEXT) | instid1(VALU_DEP_1)
	v_fma_f32 v4, -v4, v15, v9
	v_div_fmas_f32 v4, v4, v5, v15
	s_delay_alu instid0(VALU_DEP_1) | instskip(NEXT) | instid1(VALU_DEP_1)
	v_div_fixup_f32 v0, v4, v0, v1
	v_cvt_f16_f32_e32 v15, v0
.LBB16_56:
	s_or_b32 exec_lo, exec_lo, s3
	s_delay_alu instid0(SALU_CYCLE_1) | instskip(SKIP_1) | instid1(SALU_CYCLE_1)
	s_or_b32 exec_lo, exec_lo, s2
	s_and_saveexec_b32 s2, s0
	s_xor_b32 s0, exec_lo, s2
	s_cbranch_execz .LBB16_46
.LBB16_57:
	v_dual_mov_b32 v9, 0 :: v_dual_mov_b32 v7, v10
	s_delay_alu instid0(VALU_DEP_1) | instskip(SKIP_4) | instid1(SALU_CYCLE_1)
	v_lshl_add_u64 v[0:1], v[8:9], 1, v[2:3]
	s_wait_loadcnt_dscnt 0x0
	flat_store_b16 v[0:1], v14
	s_wait_xcnt 0x0
	s_or_b32 exec_lo, exec_lo, s0
	s_mov_b32 s0, exec_lo
	v_cmpx_lt_i32_e64 v7, v6
	s_cbranch_execz .LBB16_47
.LBB16_58:
	v_dual_mov_b32 v1, 0 :: v_dual_add_nc_u32 v0, s1, v7
	v_add_nc_u32_e32 v7, 0x100, v7
	s_delay_alu instid0(VALU_DEP_2) | instskip(SKIP_4) | instid1(SALU_CYCLE_1)
	v_lshl_add_u64 v[0:1], v[0:1], 1, v[2:3]
	s_wait_loadcnt_dscnt 0x0
	flat_store_b16 v[0:1], v11
	s_wait_xcnt 0x0
	s_or_b32 exec_lo, exec_lo, s0
	s_mov_b32 s0, exec_lo
	v_cmpx_lt_i32_e64 v7, v6
	s_cbranch_execz .LBB16_48
.LBB16_59:
	v_dual_mov_b32 v1, 0 :: v_dual_add_nc_u32 v0, s1, v7
	v_add_nc_u32_e32 v7, 0x100, v7
	s_delay_alu instid0(VALU_DEP_2) | instskip(SKIP_4) | instid1(SALU_CYCLE_1)
	v_lshl_add_u64 v[0:1], v[0:1], 1, v[2:3]
	s_wait_loadcnt_dscnt 0x0
	flat_store_b16 v[0:1], v16
	s_wait_xcnt 0x0
	s_or_b32 exec_lo, exec_lo, s0
	s_mov_b32 s0, exec_lo
	v_cmpx_lt_i32_e64 v7, v6
	s_cbranch_execz .LBB16_49
.LBB16_60:
	v_dual_mov_b32 v1, 0 :: v_dual_add_nc_u32 v0, s1, v7
	v_add_nc_u32_e32 v7, 0x100, v7
	s_delay_alu instid0(VALU_DEP_2) | instskip(SKIP_4) | instid1(SALU_CYCLE_1)
	v_lshl_add_u64 v[0:1], v[0:1], 1, v[2:3]
	s_wait_loadcnt_dscnt 0x0
	flat_store_b16 v[0:1], v12
	s_wait_xcnt 0x0
	s_or_b32 exec_lo, exec_lo, s0
	s_mov_b32 s0, exec_lo
	v_cmpx_lt_i32_e64 v7, v6
	s_cbranch_execz .LBB16_50
.LBB16_61:
	v_dual_mov_b32 v1, 0 :: v_dual_add_nc_u32 v0, s1, v7
	v_add_nc_u32_e32 v7, 0x100, v7
	s_delay_alu instid0(VALU_DEP_2) | instskip(SKIP_4) | instid1(SALU_CYCLE_1)
	v_lshl_add_u64 v[0:1], v[0:1], 1, v[2:3]
	s_wait_loadcnt_dscnt 0x0
	flat_store_b16 v[0:1], v17
	s_wait_xcnt 0x0
	s_or_b32 exec_lo, exec_lo, s0
	s_mov_b32 s0, exec_lo
	v_cmpx_lt_i32_e64 v7, v6
	s_cbranch_execz .LBB16_51
.LBB16_62:
	v_dual_mov_b32 v1, 0 :: v_dual_add_nc_u32 v0, s1, v7
	v_add_nc_u32_e32 v7, 0x100, v7
	s_delay_alu instid0(VALU_DEP_2) | instskip(SKIP_4) | instid1(SALU_CYCLE_1)
	v_lshl_add_u64 v[0:1], v[0:1], 1, v[2:3]
	s_wait_loadcnt_dscnt 0x0
	flat_store_b16 v[0:1], v13
	s_wait_xcnt 0x0
	s_or_b32 exec_lo, exec_lo, s0
	s_mov_b32 s0, exec_lo
	v_cmpx_lt_i32_e64 v7, v6
	s_cbranch_execz .LBB16_52
.LBB16_63:
	v_dual_mov_b32 v1, 0 :: v_dual_add_nc_u32 v0, s1, v7
	v_add_nc_u32_e32 v7, 0x100, v7
	s_delay_alu instid0(VALU_DEP_2) | instskip(SKIP_4) | instid1(SALU_CYCLE_1)
	v_lshl_add_u64 v[0:1], v[0:1], 1, v[2:3]
	s_wait_loadcnt_dscnt 0x0
	flat_store_b16 v[0:1], v18
	s_wait_xcnt 0x0
	s_or_b32 exec_lo, exec_lo, s0
	s_mov_b32 s0, exec_lo
	v_cmpx_lt_i32_e64 v7, v6
	s_cbranch_execz .LBB16_53
.LBB16_64:
	v_dual_mov_b32 v1, 0 :: v_dual_add_nc_u32 v0, s1, v7
	s_delay_alu instid0(VALU_DEP_1)
	v_lshl_add_u64 v[0:1], v[0:1], 1, v[2:3]
	s_wait_loadcnt_dscnt 0x0
	flat_store_b16 v[0:1], v15
	s_wait_xcnt 0x0
	s_or_b32 exec_lo, exec_lo, s0
	s_wait_dscnt 0x0
	s_set_pc_i64 s[30:31]
.Lfunc_end16:
	.size	_ZN2at6native25elementwise_kernel_helperILb0EZZZNS0_12_GLOBAL__N_115softplus_kernelERNS_18TensorIteratorBaseERKN3c106ScalarES8_ENKUlvE_clEvENKUlvE1_clEvEUlNS5_4HalfEE_NS0_6memory8policies11unroll_baseILi256ESt5arrayIPcLm2EE23TrivialOffsetCalculatorILi1EjESK_NSD_15LoadWithoutCastENSD_16StoreWithoutCastELi8ELi1EEEEEvT0_T1_, .Lfunc_end16-_ZN2at6native25elementwise_kernel_helperILb0EZZZNS0_12_GLOBAL__N_115softplus_kernelERNS_18TensorIteratorBaseERKN3c106ScalarES8_ENKUlvE_clEvENKUlvE1_clEvEUlNS5_4HalfEE_NS0_6memory8policies11unroll_baseILi256ESt5arrayIPcLm2EE23TrivialOffsetCalculatorILi1EjESK_NSD_15LoadWithoutCastENSD_16StoreWithoutCastELi8ELi1EEEEEvT0_T1_
                                        ; -- End function
	.set .L_ZN2at6native25elementwise_kernel_helperILb0EZZZNS0_12_GLOBAL__N_115softplus_kernelERNS_18TensorIteratorBaseERKN3c106ScalarES8_ENKUlvE_clEvENKUlvE1_clEvEUlNS5_4HalfEE_NS0_6memory8policies11unroll_baseILi256ESt5arrayIPcLm2EE23TrivialOffsetCalculatorILi1EjESK_NSD_15LoadWithoutCastENSD_16StoreWithoutCastELi8ELi1EEEEEvT0_T1_.num_vgpr, 34
	.set .L_ZN2at6native25elementwise_kernel_helperILb0EZZZNS0_12_GLOBAL__N_115softplus_kernelERNS_18TensorIteratorBaseERKN3c106ScalarES8_ENKUlvE_clEvENKUlvE1_clEvEUlNS5_4HalfEE_NS0_6memory8policies11unroll_baseILi256ESt5arrayIPcLm2EE23TrivialOffsetCalculatorILi1EjESK_NSD_15LoadWithoutCastENSD_16StoreWithoutCastELi8ELi1EEEEEvT0_T1_.num_agpr, 0
	.set .L_ZN2at6native25elementwise_kernel_helperILb0EZZZNS0_12_GLOBAL__N_115softplus_kernelERNS_18TensorIteratorBaseERKN3c106ScalarES8_ENKUlvE_clEvENKUlvE1_clEvEUlNS5_4HalfEE_NS0_6memory8policies11unroll_baseILi256ESt5arrayIPcLm2EE23TrivialOffsetCalculatorILi1EjESK_NSD_15LoadWithoutCastENSD_16StoreWithoutCastELi8ELi1EEEEEvT0_T1_.numbered_sgpr, 32
	.set .L_ZN2at6native25elementwise_kernel_helperILb0EZZZNS0_12_GLOBAL__N_115softplus_kernelERNS_18TensorIteratorBaseERKN3c106ScalarES8_ENKUlvE_clEvENKUlvE1_clEvEUlNS5_4HalfEE_NS0_6memory8policies11unroll_baseILi256ESt5arrayIPcLm2EE23TrivialOffsetCalculatorILi1EjESK_NSD_15LoadWithoutCastENSD_16StoreWithoutCastELi8ELi1EEEEEvT0_T1_.num_named_barrier, 0
	.set .L_ZN2at6native25elementwise_kernel_helperILb0EZZZNS0_12_GLOBAL__N_115softplus_kernelERNS_18TensorIteratorBaseERKN3c106ScalarES8_ENKUlvE_clEvENKUlvE1_clEvEUlNS5_4HalfEE_NS0_6memory8policies11unroll_baseILi256ESt5arrayIPcLm2EE23TrivialOffsetCalculatorILi1EjESK_NSD_15LoadWithoutCastENSD_16StoreWithoutCastELi8ELi1EEEEEvT0_T1_.private_seg_size, 0
	.set .L_ZN2at6native25elementwise_kernel_helperILb0EZZZNS0_12_GLOBAL__N_115softplus_kernelERNS_18TensorIteratorBaseERKN3c106ScalarES8_ENKUlvE_clEvENKUlvE1_clEvEUlNS5_4HalfEE_NS0_6memory8policies11unroll_baseILi256ESt5arrayIPcLm2EE23TrivialOffsetCalculatorILi1EjESK_NSD_15LoadWithoutCastENSD_16StoreWithoutCastELi8ELi1EEEEEvT0_T1_.uses_vcc, 1
	.set .L_ZN2at6native25elementwise_kernel_helperILb0EZZZNS0_12_GLOBAL__N_115softplus_kernelERNS_18TensorIteratorBaseERKN3c106ScalarES8_ENKUlvE_clEvENKUlvE1_clEvEUlNS5_4HalfEE_NS0_6memory8policies11unroll_baseILi256ESt5arrayIPcLm2EE23TrivialOffsetCalculatorILi1EjESK_NSD_15LoadWithoutCastENSD_16StoreWithoutCastELi8ELi1EEEEEvT0_T1_.uses_flat_scratch, 0
	.set .L_ZN2at6native25elementwise_kernel_helperILb0EZZZNS0_12_GLOBAL__N_115softplus_kernelERNS_18TensorIteratorBaseERKN3c106ScalarES8_ENKUlvE_clEvENKUlvE1_clEvEUlNS5_4HalfEE_NS0_6memory8policies11unroll_baseILi256ESt5arrayIPcLm2EE23TrivialOffsetCalculatorILi1EjESK_NSD_15LoadWithoutCastENSD_16StoreWithoutCastELi8ELi1EEEEEvT0_T1_.has_dyn_sized_stack, 0
	.set .L_ZN2at6native25elementwise_kernel_helperILb0EZZZNS0_12_GLOBAL__N_115softplus_kernelERNS_18TensorIteratorBaseERKN3c106ScalarES8_ENKUlvE_clEvENKUlvE1_clEvEUlNS5_4HalfEE_NS0_6memory8policies11unroll_baseILi256ESt5arrayIPcLm2EE23TrivialOffsetCalculatorILi1EjESK_NSD_15LoadWithoutCastENSD_16StoreWithoutCastELi8ELi1EEEEEvT0_T1_.has_recursion, 0
	.set .L_ZN2at6native25elementwise_kernel_helperILb0EZZZNS0_12_GLOBAL__N_115softplus_kernelERNS_18TensorIteratorBaseERKN3c106ScalarES8_ENKUlvE_clEvENKUlvE1_clEvEUlNS5_4HalfEE_NS0_6memory8policies11unroll_baseILi256ESt5arrayIPcLm2EE23TrivialOffsetCalculatorILi1EjESK_NSD_15LoadWithoutCastENSD_16StoreWithoutCastELi8ELi1EEEEEvT0_T1_.has_indirect_call, 0
	.section	.AMDGPU.csdata,"",@progbits
; Function info:
; codeLenInByte = 10024
; TotalNumSgprs: 34
; NumVgprs: 34
; ScratchSize: 0
; MemoryBound: 0
	.text
	.p2align	2                               ; -- Begin function _ZN2at6native25elementwise_kernel_helperILb0EZZZNS0_12_GLOBAL__N_115softplus_kernelERNS_18TensorIteratorBaseERKN3c106ScalarES8_ENKUlvE_clEvENKUlvE1_clEvEUlNS5_4HalfEE_NS0_6memory8policies10vectorizedILi8ESt5arrayIPcLm2EELi8EEEEEvT0_T1_
	.type	_ZN2at6native25elementwise_kernel_helperILb0EZZZNS0_12_GLOBAL__N_115softplus_kernelERNS_18TensorIteratorBaseERKN3c106ScalarES8_ENKUlvE_clEvENKUlvE1_clEvEUlNS5_4HalfEE_NS0_6memory8policies10vectorizedILi8ESt5arrayIPcLm2EELi8EEEEEvT0_T1_,@function
_ZN2at6native25elementwise_kernel_helperILb0EZZZNS0_12_GLOBAL__N_115softplus_kernelERNS_18TensorIteratorBaseERKN3c106ScalarES8_ENKUlvE_clEvENKUlvE1_clEvEUlNS5_4HalfEE_NS0_6memory8policies10vectorizedILi8ESt5arrayIPcLm2EELi8EEEEEvT0_T1_: ; @_ZN2at6native25elementwise_kernel_helperILb0EZZZNS0_12_GLOBAL__N_115softplus_kernelERNS_18TensorIteratorBaseERKN3c106ScalarES8_ENKUlvE_clEvENKUlvE1_clEvEUlNS5_4HalfEE_NS0_6memory8policies10vectorizedILi8ESt5arrayIPcLm2EELi8EEEEEvT0_T1_
; %bb.0:
	s_wait_loadcnt_dscnt 0x0
	s_wait_kmcnt 0x0
	s_bfe_u32 s0, ttmp6, 0x4000c
	s_and_b32 s1, ttmp6, 15
	s_add_co_i32 s0, s0, 1
	s_getreg_b32 s2, hwreg(HW_REG_IB_STS2, 6, 4)
	s_mul_i32 s0, ttmp9, s0
	v_and_b32_e32 v6, 0x3ff, v31
	s_add_co_i32 s1, s1, s0
	s_cmp_eq_u32 s2, 0
	v_mov_b32_e32 v9, 0
	s_cselect_b32 s0, ttmp9, s1
	v_lshlrev_b32_e32 v8, 4, v6
	s_lshl_b32 s0, s0, 11
	s_mov_b32 s2, exec_lo
	s_ashr_i32 s1, s0, 31
	s_delay_alu instid0(SALU_CYCLE_1) | instskip(NEXT) | instid1(VALU_DEP_1)
	v_lshl_add_u64 v[4:5], s[0:1], 1, v[4:5]
	v_add_nc_u64_e32 v[4:5], v[4:5], v[8:9]
	flat_load_b128 v[4:7], v[4:5]
	s_wait_loadcnt_dscnt 0x0
	v_cvt_f32_f16_e32 v9, v4
	v_mov_b32_e32 v10, v4
	s_delay_alu instid0(VALU_DEP_2) | instskip(SKIP_1) | instid1(VALU_DEP_1)
	v_mul_f32_e32 v9, v0, v9
	s_wait_xcnt 0x0
	v_cmpx_ngt_f32_e32 v9, v1
	s_cbranch_execz .LBB17_2
; %bb.1:
	v_mul_f32_e32 v10, 0x3fb8aa3b, v9
	v_cmp_ngt_f32_e32 vcc_lo, 0xc2ce8ed0, v9
	s_mov_b32 s3, 0x3e9b6dac
	s_delay_alu instid0(VALU_DEP_2) | instskip(SKIP_1) | instid1(VALU_DEP_2)
	v_rndne_f32_e32 v11, v10
	v_fma_f32 v12, 0x3fb8aa3b, v9, -v10
	v_sub_f32_e32 v10, v10, v11
	s_delay_alu instid0(VALU_DEP_2) | instskip(SKIP_1) | instid1(VALU_DEP_2)
	v_fmamk_f32 v12, v9, 0x32a5705f, v12
	v_cvt_i32_f32_e32 v11, v11
	v_add_f32_e32 v10, v10, v12
	s_delay_alu instid0(VALU_DEP_1) | instskip(SKIP_1) | instid1(TRANS32_DEP_1)
	v_exp_f32_e32 v10, v10
	v_nop
	v_ldexp_f32 v10, v10, v11
	s_delay_alu instid0(VALU_DEP_1) | instskip(SKIP_1) | instid1(VALU_DEP_2)
	v_cndmask_b32_e32 v10, 0, v10, vcc_lo
	v_cmp_nlt_f32_e32 vcc_lo, 0x42b17218, v9
	v_cndmask_b32_e32 v26, 0x7f800000, v10, vcc_lo
	s_delay_alu instid0(VALU_DEP_1) | instskip(NEXT) | instid1(VALU_DEP_1)
	v_add_f32_e32 v9, 1.0, v26
	v_cvt_f64_f32_e32 v[10:11], v9
	s_delay_alu instid0(VALU_DEP_1) | instskip(SKIP_1) | instid1(VALU_DEP_1)
	v_frexp_exp_i32_f64_e32 v10, v[10:11]
	v_frexp_mant_f32_e32 v11, v9
	v_cmp_gt_f32_e32 vcc_lo, 0x3f2aaaab, v11
	s_delay_alu instid0(VALU_DEP_3) | instskip(NEXT) | instid1(VALU_DEP_1)
	v_subrev_co_ci_u32_e64 v16, null, 0, v10, vcc_lo
	v_dual_add_f32 v10, -1.0, v9 :: v_dual_sub_nc_u32 v11, 0, v16
	s_delay_alu instid0(VALU_DEP_1) | instskip(NEXT) | instid1(VALU_DEP_2)
	v_sub_f32_e32 v12, v10, v9
	v_ldexp_f32 v9, v9, v11
	s_delay_alu instid0(VALU_DEP_1) | instskip(SKIP_2) | instid1(VALU_DEP_2)
	v_dual_add_f32 v12, 1.0, v12 :: v_dual_add_f32 v13, 1.0, v9
	v_dual_add_f32 v15, -1.0, v9 :: v_dual_sub_f32 v10, v26, v10
	v_cmp_neq_f32_e32 vcc_lo, 0x7f800000, v26
	v_dual_add_f32 v10, v10, v12 :: v_dual_add_f32 v12, -1.0, v13
	s_delay_alu instid0(VALU_DEP_1) | instskip(NEXT) | instid1(VALU_DEP_2)
	v_ldexp_f32 v10, v10, v11
	v_dual_sub_f32 v11, v9, v12 :: v_dual_add_f32 v12, 1.0, v15
	s_delay_alu instid0(VALU_DEP_1) | instskip(NEXT) | instid1(VALU_DEP_1)
	v_dual_add_f32 v14, v10, v11 :: v_dual_sub_f32 v9, v9, v12
	v_dual_add_f32 v17, v13, v14 :: v_dual_add_f32 v9, v10, v9
	s_delay_alu instid0(VALU_DEP_1) | instskip(NEXT) | instid1(VALU_DEP_1)
	v_rcp_f32_e32 v18, v17
	v_add_f32_e32 v11, v15, v9
	s_delay_alu instid0(TRANS32_DEP_1) | instid1(VALU_DEP_1)
	v_dual_sub_f32 v10, v13, v17 :: v_dual_mul_f32 v19, v11, v18
	s_delay_alu instid0(VALU_DEP_1) | instskip(SKIP_1) | instid1(VALU_DEP_2)
	v_dual_mul_f32 v12, v17, v19 :: v_dual_add_f32 v20, v14, v10
	v_sub_f32_e32 v21, v15, v11
	v_fma_f32 v14, v19, v17, -v12
	s_delay_alu instid0(VALU_DEP_1) | instskip(NEXT) | instid1(VALU_DEP_1)
	v_dual_add_f32 v9, v9, v21 :: v_dual_fmac_f32 v14, v19, v20
	v_add_f32_e32 v10, v12, v14
	s_delay_alu instid0(VALU_DEP_1) | instskip(NEXT) | instid1(VALU_DEP_1)
	v_dual_sub_f32 v13, v11, v10 :: v_dual_mov_b32 v15, v10
	v_pk_add_f32 v[10:11], v[10:11], v[12:13] neg_lo:[0,1] neg_hi:[0,1]
	s_delay_alu instid0(VALU_DEP_1) | instskip(NEXT) | instid1(VALU_DEP_1)
	v_pk_add_f32 v[10:11], v[10:11], v[14:15] neg_lo:[0,1] neg_hi:[0,1]
	v_add_f32_e32 v9, v9, v11
	s_delay_alu instid0(VALU_DEP_1) | instskip(NEXT) | instid1(VALU_DEP_1)
	v_add_f32_e32 v9, v10, v9
	v_add_f32_e32 v11, v13, v9
	s_delay_alu instid0(VALU_DEP_1) | instskip(NEXT) | instid1(VALU_DEP_1)
	v_mul_f32_e32 v21, v18, v11
	v_mul_f32_e32 v14, v17, v21
	s_delay_alu instid0(VALU_DEP_1) | instskip(NEXT) | instid1(VALU_DEP_1)
	v_fma_f32 v12, v21, v17, -v14
	v_fmac_f32_e32 v12, v21, v20
	s_delay_alu instid0(VALU_DEP_1) | instskip(NEXT) | instid1(VALU_DEP_1)
	v_dual_add_f32 v10, v14, v12 :: v_dual_sub_f32 v17, v13, v11
	v_dual_sub_f32 v15, v11, v10 :: v_dual_mov_b32 v13, v10
	s_delay_alu instid0(VALU_DEP_1) | instskip(SKIP_1) | instid1(VALU_DEP_4)
	v_pk_add_f32 v[10:11], v[10:11], v[14:15] neg_lo:[0,1] neg_hi:[0,1]
	v_add_f32_e32 v14, v19, v21
	v_add_f32_e32 v9, v9, v17
	s_delay_alu instid0(VALU_DEP_3) | instskip(SKIP_1) | instid1(VALU_DEP_2)
	v_pk_add_f32 v[10:11], v[10:11], v[12:13] neg_lo:[0,1] neg_hi:[0,1]
	v_cvt_f32_i32_e32 v12, v16
	v_add_f32_e32 v9, v9, v11
	s_delay_alu instid0(VALU_DEP_1) | instskip(SKIP_1) | instid1(VALU_DEP_1)
	v_add_f32_e32 v9, v10, v9
	v_sub_f32_e32 v10, v14, v19
	v_dual_sub_f32 v10, v21, v10 :: v_dual_add_f32 v9, v15, v9
	s_delay_alu instid0(VALU_DEP_1) | instskip(NEXT) | instid1(VALU_DEP_1)
	v_mul_f32_e32 v9, v18, v9
	v_dual_add_f32 v9, v10, v9 :: v_dual_mov_b32 v10, 0x3f317218
	s_delay_alu instid0(VALU_DEP_1) | instskip(NEXT) | instid1(VALU_DEP_1)
	v_add_f32_e32 v15, v14, v9
	v_mul_f32_e32 v11, v15, v15
	s_delay_alu instid0(VALU_DEP_1) | instskip(SKIP_1) | instid1(VALU_DEP_2)
	v_fmaak_f32 v17, s3, v11, 0x3ecc95a3
	v_mul_f32_e32 v13, v15, v11
	v_fmaak_f32 v11, v11, v17, 0x3f2aaada
	s_delay_alu instid0(VALU_DEP_1) | instskip(NEXT) | instid1(VALU_DEP_1)
	v_pk_mul_f32 v[10:11], v[12:13], v[10:11]
	v_fma_f32 v16, 0x3f317218, v12, -v10
	s_delay_alu instid0(VALU_DEP_1) | instskip(SKIP_1) | instid1(VALU_DEP_1)
	v_fmamk_f32 v12, v12, 0xb102e308, v16
	v_sub_f32_e32 v16, v15, v14
	v_sub_f32_e32 v9, v9, v16
	v_ldexp_f32 v13, v15, 1
	v_mov_b32_e32 v16, v10
	s_delay_alu instid0(VALU_DEP_3) | instskip(NEXT) | instid1(VALU_DEP_3)
	v_ldexp_f32 v9, v9, 1
	v_pk_add_f32 v[14:15], v[10:11], v[12:13]
	s_delay_alu instid0(VALU_DEP_1) | instskip(NEXT) | instid1(VALU_DEP_1)
	v_dual_sub_f32 v13, v15, v13 :: v_dual_mov_b32 v24, v15
	v_sub_f32_e32 v13, v11, v13
	s_delay_alu instid0(VALU_DEP_3) | instskip(NEXT) | instid1(VALU_DEP_2)
	v_pk_add_f32 v[10:11], v[14:15], v[10:11] neg_lo:[0,1] neg_hi:[0,1]
	v_dual_add_f32 v17, v9, v13 :: v_dual_mov_b32 v13, v14
	s_delay_alu instid0(VALU_DEP_1) | instskip(NEXT) | instid1(VALU_DEP_1)
	v_pk_add_f32 v[18:19], v[14:15], v[16:17]
	v_mov_b32_e32 v11, v19
	s_delay_alu instid0(VALU_DEP_1) | instskip(SKIP_2) | instid1(VALU_DEP_3)
	v_pk_add_f32 v[20:21], v[12:13], v[10:11]
	v_mov_b32_e32 v20, v19
	v_pk_add_f32 v[10:11], v[12:13], v[10:11] neg_lo:[0,1] neg_hi:[0,1]
	v_dual_mov_b32 v16, v21 :: v_dual_mov_b32 v11, v21
	s_delay_alu instid0(VALU_DEP_1) | instskip(SKIP_1) | instid1(VALU_DEP_2)
	v_pk_add_f32 v[22:23], v[16:17], v[14:15] neg_lo:[0,1] neg_hi:[0,1]
	v_dual_mov_b32 v15, v14 :: v_dual_mov_b32 v14, v17
	v_dual_mov_b32 v9, v22 :: v_dual_mov_b32 v25, v22
	s_delay_alu instid0(VALU_DEP_1) | instskip(NEXT) | instid1(VALU_DEP_2)
	v_pk_add_f32 v[18:19], v[18:19], v[8:9] neg_lo:[0,1] neg_hi:[0,1]
	v_pk_add_f32 v[12:13], v[20:21], v[24:25] neg_lo:[0,1] neg_hi:[0,1]
	v_mov_b32_e32 v18, v10
	s_delay_alu instid0(VALU_DEP_2) | instskip(NEXT) | instid1(VALU_DEP_1)
	v_pk_add_f32 v[12:13], v[14:15], v[12:13] neg_lo:[0,1] neg_hi:[0,1]
	v_pk_add_f32 v[14:15], v[18:19], v[12:13]
	s_delay_alu instid0(VALU_DEP_1) | instskip(NEXT) | instid1(VALU_DEP_1)
	v_mov_b32_e32 v18, v15
	v_pk_add_f32 v[18:19], v[14:15], v[18:19]
	s_delay_alu instid0(VALU_DEP_1) | instskip(NEXT) | instid1(VALU_DEP_1)
	v_pk_add_f32 v[16:17], v[16:17], v[18:19]
	v_mov_b32_e32 v15, v16
	s_delay_alu instid0(VALU_DEP_1) | instskip(NEXT) | instid1(VALU_DEP_1)
	v_pk_add_f32 v[20:21], v[14:15], v[10:11] neg_lo:[0,1] neg_hi:[0,1]
	v_sub_f32_e32 v9, v14, v20
	s_delay_alu instid0(VALU_DEP_1) | instskip(SKIP_1) | instid1(VALU_DEP_1)
	v_sub_f32_e32 v9, v10, v9
	v_mov_b32_e32 v13, v18
	v_pk_add_f32 v[12:13], v[12:13], v[20:21] neg_lo:[0,1] neg_hi:[0,1]
	s_delay_alu instid0(VALU_DEP_1) | instskip(NEXT) | instid1(VALU_DEP_1)
	v_add_f32_e32 v9, v12, v9
	v_add_f32_e32 v9, v9, v13
	s_delay_alu instid0(VALU_DEP_1) | instskip(NEXT) | instid1(VALU_DEP_1)
	v_add_f32_e32 v9, v16, v9
	v_cndmask_b32_e32 v9, 0x7f800000, v9, vcc_lo
	v_cmp_gt_f32_e64 vcc_lo, 0x33800000, |v26|
	s_delay_alu instid0(VALU_DEP_2) | instskip(NEXT) | instid1(VALU_DEP_1)
	v_cndmask_b32_e32 v9, v9, v26, vcc_lo
	v_div_scale_f32 v10, null, v0, v0, v9
	s_delay_alu instid0(VALU_DEP_1) | instskip(SKIP_1) | instid1(TRANS32_DEP_1)
	v_rcp_f32_e32 v11, v10
	v_nop
	v_fma_f32 v12, -v10, v11, 1.0
	s_delay_alu instid0(VALU_DEP_1) | instskip(SKIP_1) | instid1(VALU_DEP_1)
	v_fmac_f32_e32 v11, v12, v11
	v_div_scale_f32 v12, vcc_lo, v9, v0, v9
	v_mul_f32_e32 v13, v12, v11
	s_delay_alu instid0(VALU_DEP_1) | instskip(NEXT) | instid1(VALU_DEP_1)
	v_fma_f32 v14, -v10, v13, v12
	v_fmac_f32_e32 v13, v14, v11
	s_delay_alu instid0(VALU_DEP_1) | instskip(NEXT) | instid1(VALU_DEP_1)
	v_fma_f32 v10, -v10, v13, v12
	v_div_fmas_f32 v10, v10, v11, v13
	s_delay_alu instid0(VALU_DEP_1) | instskip(NEXT) | instid1(VALU_DEP_1)
	v_div_fixup_f32 v9, v10, v0, v9
	v_cvt_f16_f32_e32 v10, v9
.LBB17_2:
	s_or_b32 exec_lo, exec_lo, s2
	v_lshrrev_b32_e32 v4, 16, v4
	s_mov_b32 s2, exec_lo
	s_delay_alu instid0(VALU_DEP_1) | instskip(NEXT) | instid1(VALU_DEP_1)
	v_cvt_f32_f16_e32 v9, v4
	v_mul_f32_e32 v9, v0, v9
	s_delay_alu instid0(VALU_DEP_1)
	v_cmpx_ngt_f32_e32 v9, v1
	s_cbranch_execz .LBB17_4
; %bb.3:
	v_mul_f32_e32 v4, 0x3fb8aa3b, v9
	v_cmp_ngt_f32_e32 vcc_lo, 0xc2ce8ed0, v9
	s_mov_b32 s3, 0x3e9b6dac
	s_delay_alu instid0(VALU_DEP_2) | instskip(SKIP_1) | instid1(VALU_DEP_2)
	v_rndne_f32_e32 v11, v4
	v_fma_f32 v12, 0x3fb8aa3b, v9, -v4
	v_sub_f32_e32 v4, v4, v11
	s_delay_alu instid0(VALU_DEP_2) | instskip(SKIP_1) | instid1(VALU_DEP_2)
	v_fmamk_f32 v12, v9, 0x32a5705f, v12
	v_cvt_i32_f32_e32 v11, v11
	v_add_f32_e32 v4, v4, v12
	s_delay_alu instid0(VALU_DEP_1) | instskip(SKIP_1) | instid1(TRANS32_DEP_1)
	v_exp_f32_e32 v4, v4
	v_nop
	v_ldexp_f32 v4, v4, v11
	s_delay_alu instid0(VALU_DEP_1) | instskip(SKIP_1) | instid1(VALU_DEP_2)
	v_cndmask_b32_e32 v4, 0, v4, vcc_lo
	v_cmp_nlt_f32_e32 vcc_lo, 0x42b17218, v9
	v_cndmask_b32_e32 v11, 0x7f800000, v4, vcc_lo
	s_delay_alu instid0(VALU_DEP_1) | instskip(NEXT) | instid1(VALU_DEP_1)
	v_add_f32_e32 v4, 1.0, v11
	v_cvt_f64_f32_e32 v[12:13], v4
	s_delay_alu instid0(VALU_DEP_1) | instskip(SKIP_1) | instid1(VALU_DEP_1)
	v_frexp_exp_i32_f64_e32 v9, v[12:13]
	v_frexp_mant_f32_e32 v12, v4
	v_cmp_gt_f32_e32 vcc_lo, 0x3f2aaaab, v12
	v_add_f32_e32 v12, -1.0, v4
	s_delay_alu instid0(VALU_DEP_1) | instskip(SKIP_3) | instid1(VALU_DEP_2)
	v_sub_f32_e32 v14, v12, v4
	v_sub_f32_e32 v12, v11, v12
	v_subrev_co_ci_u32_e64 v9, null, 0, v9, vcc_lo
	v_cmp_neq_f32_e32 vcc_lo, 0x7f800000, v11
	v_sub_nc_u32_e32 v13, 0, v9
	s_delay_alu instid0(VALU_DEP_1) | instskip(NEXT) | instid1(VALU_DEP_1)
	v_ldexp_f32 v4, v4, v13
	v_dual_add_f32 v17, -1.0, v4 :: v_dual_add_f32 v14, 1.0, v14
	s_delay_alu instid0(VALU_DEP_1) | instskip(NEXT) | instid1(VALU_DEP_1)
	v_dual_add_f32 v15, 1.0, v4 :: v_dual_add_f32 v12, v12, v14
	v_ldexp_f32 v12, v12, v13
	s_delay_alu instid0(VALU_DEP_2) | instskip(NEXT) | instid1(VALU_DEP_1)
	v_add_f32_e32 v14, -1.0, v15
	v_dual_sub_f32 v13, v4, v14 :: v_dual_add_f32 v14, 1.0, v17
	s_delay_alu instid0(VALU_DEP_1) | instskip(NEXT) | instid1(VALU_DEP_1)
	v_sub_f32_e32 v4, v4, v14
	v_dual_add_f32 v16, v12, v13 :: v_dual_add_f32 v4, v12, v4
	s_delay_alu instid0(VALU_DEP_1) | instskip(NEXT) | instid1(VALU_DEP_2)
	v_add_f32_e32 v13, v17, v4
	v_add_f32_e32 v18, v15, v16
	s_delay_alu instid0(VALU_DEP_1) | instskip(SKIP_1) | instid1(TRANS32_DEP_1)
	v_rcp_f32_e32 v19, v18
	v_nop
	v_dual_mul_f32 v20, v13, v19 :: v_dual_sub_f32 v12, v15, v18
	s_delay_alu instid0(VALU_DEP_1) | instskip(NEXT) | instid1(VALU_DEP_2)
	v_add_f32_e32 v21, v16, v12
	v_mul_f32_e32 v14, v18, v20
	s_delay_alu instid0(VALU_DEP_1) | instskip(NEXT) | instid1(VALU_DEP_1)
	v_dual_fma_f32 v16, v20, v18, -v14 :: v_dual_sub_f32 v22, v17, v13
	v_fmac_f32_e32 v16, v20, v21
	s_delay_alu instid0(VALU_DEP_1) | instskip(NEXT) | instid1(VALU_DEP_1)
	v_dual_add_f32 v4, v4, v22 :: v_dual_add_f32 v12, v14, v16
	v_dual_sub_f32 v15, v13, v12 :: v_dual_mov_b32 v17, v12
	s_delay_alu instid0(VALU_DEP_1) | instskip(NEXT) | instid1(VALU_DEP_1)
	v_pk_add_f32 v[12:13], v[12:13], v[14:15] neg_lo:[0,1] neg_hi:[0,1]
	v_pk_add_f32 v[12:13], v[12:13], v[16:17] neg_lo:[0,1] neg_hi:[0,1]
	s_delay_alu instid0(VALU_DEP_1) | instskip(NEXT) | instid1(VALU_DEP_1)
	v_add_f32_e32 v4, v4, v13
	v_add_f32_e32 v4, v12, v4
	s_delay_alu instid0(VALU_DEP_1) | instskip(NEXT) | instid1(VALU_DEP_1)
	v_add_f32_e32 v13, v15, v4
	v_mul_f32_e32 v22, v19, v13
	s_delay_alu instid0(VALU_DEP_1) | instskip(NEXT) | instid1(VALU_DEP_1)
	v_mul_f32_e32 v16, v18, v22
	v_dual_fma_f32 v14, v22, v18, -v16 :: v_dual_sub_f32 v18, v15, v13
	s_delay_alu instid0(VALU_DEP_1) | instskip(NEXT) | instid1(VALU_DEP_1)
	v_dual_fmac_f32 v14, v22, v21 :: v_dual_add_f32 v4, v4, v18
	v_add_f32_e32 v12, v16, v14
	s_delay_alu instid0(VALU_DEP_1) | instskip(NEXT) | instid1(VALU_DEP_1)
	v_dual_sub_f32 v17, v13, v12 :: v_dual_mov_b32 v15, v12
	v_pk_add_f32 v[12:13], v[12:13], v[16:17] neg_lo:[0,1] neg_hi:[0,1]
	s_delay_alu instid0(VALU_DEP_1) | instskip(SKIP_1) | instid1(VALU_DEP_2)
	v_pk_add_f32 v[12:13], v[12:13], v[14:15] neg_lo:[0,1] neg_hi:[0,1]
	v_cvt_f32_i32_e32 v14, v9
	v_add_f32_e32 v4, v4, v13
	s_delay_alu instid0(VALU_DEP_1) | instskip(NEXT) | instid1(VALU_DEP_1)
	v_add_f32_e32 v4, v12, v4
	v_dual_add_f32 v16, v20, v22 :: v_dual_add_f32 v4, v17, v4
	s_delay_alu instid0(VALU_DEP_1) | instskip(NEXT) | instid1(VALU_DEP_2)
	v_sub_f32_e32 v12, v16, v20
	v_mul_f32_e32 v4, v19, v4
	s_delay_alu instid0(VALU_DEP_2) | instskip(NEXT) | instid1(VALU_DEP_1)
	v_sub_f32_e32 v12, v22, v12
	v_add_f32_e32 v4, v12, v4
	s_delay_alu instid0(VALU_DEP_1) | instskip(NEXT) | instid1(VALU_DEP_1)
	v_add_f32_e32 v17, v16, v4
	v_mul_f32_e32 v13, v17, v17
	s_delay_alu instid0(VALU_DEP_1) | instskip(SKIP_1) | instid1(VALU_DEP_2)
	v_fmaak_f32 v18, s3, v13, 0x3ecc95a3
	v_dual_mov_b32 v12, 0x3f317218 :: v_dual_mul_f32 v15, v17, v13
	v_fmaak_f32 v13, v13, v18, 0x3f2aaada
	s_delay_alu instid0(VALU_DEP_1) | instskip(SKIP_1) | instid1(VALU_DEP_2)
	v_pk_mul_f32 v[12:13], v[14:15], v[12:13]
	v_ldexp_f32 v15, v17, 1
	v_fma_f32 v9, 0x3f317218, v14, -v12
	s_delay_alu instid0(VALU_DEP_1) | instskip(NEXT) | instid1(VALU_DEP_1)
	v_dual_fmamk_f32 v14, v14, 0xb102e308, v9 :: v_dual_sub_f32 v9, v17, v16
	v_pk_add_f32 v[16:17], v[12:13], v[14:15]
	s_delay_alu instid0(VALU_DEP_2) | instskip(NEXT) | instid1(VALU_DEP_2)
	v_sub_f32_e32 v4, v4, v9
	v_dual_mov_b32 v18, v12 :: v_dual_sub_f32 v9, v17, v15
	s_delay_alu instid0(VALU_DEP_2) | instskip(NEXT) | instid1(VALU_DEP_2)
	v_ldexp_f32 v4, v4, 1
	v_dual_mov_b32 v15, v16 :: v_dual_sub_f32 v9, v13, v9
	v_pk_add_f32 v[12:13], v[16:17], v[12:13] neg_lo:[0,1] neg_hi:[0,1]
	s_delay_alu instid0(VALU_DEP_2) | instskip(NEXT) | instid1(VALU_DEP_1)
	v_add_f32_e32 v19, v4, v9
	v_pk_add_f32 v[20:21], v[16:17], v[18:19]
	s_delay_alu instid0(VALU_DEP_1) | instskip(NEXT) | instid1(VALU_DEP_1)
	v_dual_mov_b32 v26, v17 :: v_dual_mov_b32 v13, v21
	v_pk_add_f32 v[22:23], v[14:15], v[12:13]
	v_mov_b32_e32 v22, v21
	v_pk_add_f32 v[12:13], v[14:15], v[12:13] neg_lo:[0,1] neg_hi:[0,1]
	s_delay_alu instid0(VALU_DEP_3) | instskip(NEXT) | instid1(VALU_DEP_1)
	v_dual_mov_b32 v4, v23 :: v_dual_mov_b32 v13, v23
	v_pk_add_f32 v[24:25], v[4:5], v[16:17] neg_lo:[0,1] neg_hi:[0,1]
	v_dual_mov_b32 v17, v16 :: v_dual_mov_b32 v16, v19
	s_delay_alu instid0(VALU_DEP_2) | instskip(NEXT) | instid1(VALU_DEP_1)
	v_dual_mov_b32 v9, v24 :: v_dual_mov_b32 v27, v24
	v_pk_add_f32 v[18:19], v[20:21], v[8:9] neg_lo:[0,1] neg_hi:[0,1]
	s_delay_alu instid0(VALU_DEP_2) | instskip(SKIP_1) | instid1(VALU_DEP_2)
	v_pk_add_f32 v[14:15], v[22:23], v[26:27] neg_lo:[0,1] neg_hi:[0,1]
	v_mov_b32_e32 v18, v12
	v_pk_add_f32 v[14:15], v[16:17], v[14:15] neg_lo:[0,1] neg_hi:[0,1]
	s_delay_alu instid0(VALU_DEP_1) | instskip(NEXT) | instid1(VALU_DEP_1)
	v_pk_add_f32 v[16:17], v[18:19], v[14:15]
	v_mov_b32_e32 v18, v17
	s_delay_alu instid0(VALU_DEP_1) | instskip(NEXT) | instid1(VALU_DEP_1)
	v_pk_add_f32 v[18:19], v[16:17], v[18:19]
	v_pk_add_f32 v[20:21], v[4:5], v[18:19]
	s_delay_alu instid0(VALU_DEP_1) | instskip(NEXT) | instid1(VALU_DEP_1)
	v_mov_b32_e32 v17, v20
	v_pk_add_f32 v[22:23], v[16:17], v[12:13] neg_lo:[0,1] neg_hi:[0,1]
	s_delay_alu instid0(VALU_DEP_1) | instskip(NEXT) | instid1(VALU_DEP_1)
	v_dual_mov_b32 v15, v18 :: v_dual_sub_f32 v4, v16, v22
	v_pk_add_f32 v[14:15], v[14:15], v[22:23] neg_lo:[0,1] neg_hi:[0,1]
	s_delay_alu instid0(VALU_DEP_2) | instskip(NEXT) | instid1(VALU_DEP_1)
	v_sub_f32_e32 v4, v12, v4
	v_add_f32_e32 v4, v14, v4
	s_delay_alu instid0(VALU_DEP_1) | instskip(NEXT) | instid1(VALU_DEP_1)
	v_add_f32_e32 v4, v4, v15
	v_add_f32_e32 v4, v20, v4
	s_delay_alu instid0(VALU_DEP_1) | instskip(SKIP_1) | instid1(VALU_DEP_2)
	v_cndmask_b32_e32 v4, 0x7f800000, v4, vcc_lo
	v_cmp_gt_f32_e64 vcc_lo, 0x33800000, |v11|
	v_cndmask_b32_e32 v4, v4, v11, vcc_lo
	s_delay_alu instid0(VALU_DEP_1) | instskip(NEXT) | instid1(VALU_DEP_1)
	v_div_scale_f32 v9, null, v0, v0, v4
	v_rcp_f32_e32 v11, v9
	v_nop
	s_delay_alu instid0(TRANS32_DEP_1) | instskip(NEXT) | instid1(VALU_DEP_1)
	v_fma_f32 v12, -v9, v11, 1.0
	v_fmac_f32_e32 v11, v12, v11
	v_div_scale_f32 v12, vcc_lo, v4, v0, v4
	s_delay_alu instid0(VALU_DEP_1) | instskip(NEXT) | instid1(VALU_DEP_1)
	v_mul_f32_e32 v13, v12, v11
	v_fma_f32 v14, -v9, v13, v12
	s_delay_alu instid0(VALU_DEP_1) | instskip(NEXT) | instid1(VALU_DEP_1)
	v_fmac_f32_e32 v13, v14, v11
	v_fma_f32 v9, -v9, v13, v12
	s_delay_alu instid0(VALU_DEP_1) | instskip(NEXT) | instid1(VALU_DEP_1)
	v_div_fmas_f32 v9, v9, v11, v13
	v_div_fixup_f32 v4, v9, v0, v4
	s_delay_alu instid0(VALU_DEP_1)
	v_cvt_f16_f32_e32 v4, v4
.LBB17_4:
	s_or_b32 exec_lo, exec_lo, s2
	v_cvt_f32_f16_e32 v9, v5
	s_mov_b32 s2, exec_lo
	s_delay_alu instid0(VALU_DEP_1) | instskip(NEXT) | instid1(VALU_DEP_1)
	v_dual_mov_b32 v11, v5 :: v_dual_mul_f32 v9, v0, v9
	v_cmpx_ngt_f32_e32 v9, v1
	s_cbranch_execz .LBB17_6
; %bb.5:
	v_mul_f32_e32 v11, 0x3fb8aa3b, v9
	v_cmp_ngt_f32_e32 vcc_lo, 0xc2ce8ed0, v9
	s_mov_b32 s3, 0x3e9b6dac
	s_delay_alu instid0(VALU_DEP_2) | instskip(SKIP_1) | instid1(VALU_DEP_2)
	v_rndne_f32_e32 v12, v11
	v_fma_f32 v13, 0x3fb8aa3b, v9, -v11
	v_sub_f32_e32 v11, v11, v12
	s_delay_alu instid0(VALU_DEP_2) | instskip(SKIP_1) | instid1(VALU_DEP_2)
	v_fmamk_f32 v13, v9, 0x32a5705f, v13
	v_cvt_i32_f32_e32 v12, v12
	v_add_f32_e32 v11, v11, v13
	s_delay_alu instid0(VALU_DEP_1) | instskip(SKIP_1) | instid1(TRANS32_DEP_1)
	v_exp_f32_e32 v11, v11
	v_nop
	v_ldexp_f32 v11, v11, v12
	s_delay_alu instid0(VALU_DEP_1) | instskip(SKIP_1) | instid1(VALU_DEP_2)
	v_cndmask_b32_e32 v11, 0, v11, vcc_lo
	v_cmp_nlt_f32_e32 vcc_lo, 0x42b17218, v9
	v_cndmask_b32_e32 v11, 0x7f800000, v11, vcc_lo
	s_delay_alu instid0(VALU_DEP_1) | instskip(NEXT) | instid1(VALU_DEP_1)
	v_add_f32_e32 v9, 1.0, v11
	v_cvt_f64_f32_e32 v[12:13], v9
	s_delay_alu instid0(VALU_DEP_1) | instskip(SKIP_1) | instid1(VALU_DEP_1)
	v_frexp_exp_i32_f64_e32 v12, v[12:13]
	v_frexp_mant_f32_e32 v13, v9
	v_cmp_gt_f32_e32 vcc_lo, 0x3f2aaaab, v13
	s_delay_alu instid0(VALU_DEP_3) | instskip(NEXT) | instid1(VALU_DEP_1)
	v_subrev_co_ci_u32_e64 v18, null, 0, v12, vcc_lo
	v_dual_add_f32 v12, -1.0, v9 :: v_dual_sub_nc_u32 v13, 0, v18
	s_delay_alu instid0(VALU_DEP_1) | instskip(NEXT) | instid1(VALU_DEP_2)
	v_dual_sub_f32 v14, v12, v9 :: v_dual_sub_f32 v12, v11, v12
	v_ldexp_f32 v9, v9, v13
	s_delay_alu instid0(VALU_DEP_1) | instskip(NEXT) | instid1(VALU_DEP_1)
	v_dual_add_f32 v14, 1.0, v14 :: v_dual_add_f32 v15, 1.0, v9
	v_dual_add_f32 v17, -1.0, v9 :: v_dual_add_f32 v12, v12, v14
	v_cmp_neq_f32_e32 vcc_lo, 0x7f800000, v11
	s_delay_alu instid0(VALU_DEP_3) | instskip(NEXT) | instid1(VALU_DEP_3)
	v_add_f32_e32 v14, -1.0, v15
	v_ldexp_f32 v12, v12, v13
	s_delay_alu instid0(VALU_DEP_2) | instskip(NEXT) | instid1(VALU_DEP_1)
	v_dual_sub_f32 v13, v9, v14 :: v_dual_add_f32 v14, 1.0, v17
	v_dual_add_f32 v16, v12, v13 :: v_dual_sub_f32 v9, v9, v14
	s_delay_alu instid0(VALU_DEP_1) | instskip(NEXT) | instid1(VALU_DEP_1)
	v_dual_add_f32 v19, v15, v16 :: v_dual_add_f32 v9, v12, v9
	v_rcp_f32_e32 v20, v19
	s_delay_alu instid0(VALU_DEP_1) | instskip(NEXT) | instid1(VALU_DEP_1)
	v_dual_add_f32 v13, v17, v9 :: v_dual_sub_f32 v12, v15, v19
	v_sub_f32_e32 v23, v17, v13
	s_delay_alu instid0(TRANS32_DEP_1) | instskip(NEXT) | instid1(VALU_DEP_2)
	v_mul_f32_e32 v21, v13, v20
	v_dual_add_f32 v22, v16, v12 :: v_dual_add_f32 v9, v9, v23
	s_delay_alu instid0(VALU_DEP_2) | instskip(NEXT) | instid1(VALU_DEP_1)
	v_mul_f32_e32 v14, v19, v21
	v_fma_f32 v16, v21, v19, -v14
	s_delay_alu instid0(VALU_DEP_1) | instskip(NEXT) | instid1(VALU_DEP_1)
	v_fmac_f32_e32 v16, v21, v22
	v_add_f32_e32 v12, v14, v16
	s_delay_alu instid0(VALU_DEP_1) | instskip(NEXT) | instid1(VALU_DEP_1)
	v_dual_sub_f32 v15, v13, v12 :: v_dual_mov_b32 v17, v12
	v_pk_add_f32 v[12:13], v[12:13], v[14:15] neg_lo:[0,1] neg_hi:[0,1]
	s_delay_alu instid0(VALU_DEP_1) | instskip(NEXT) | instid1(VALU_DEP_1)
	v_pk_add_f32 v[12:13], v[12:13], v[16:17] neg_lo:[0,1] neg_hi:[0,1]
	v_add_f32_e32 v9, v9, v13
	s_delay_alu instid0(VALU_DEP_1) | instskip(NEXT) | instid1(VALU_DEP_1)
	v_add_f32_e32 v9, v12, v9
	v_add_f32_e32 v13, v15, v9
	s_delay_alu instid0(VALU_DEP_1) | instskip(NEXT) | instid1(VALU_DEP_1)
	v_mul_f32_e32 v23, v20, v13
	v_mul_f32_e32 v16, v19, v23
	s_delay_alu instid0(VALU_DEP_1) | instskip(SKIP_1) | instid1(VALU_DEP_1)
	v_fma_f32 v14, v23, v19, -v16
	v_sub_f32_e32 v19, v15, v13
	v_dual_fmac_f32 v14, v23, v22 :: v_dual_add_f32 v9, v9, v19
	s_delay_alu instid0(VALU_DEP_1) | instskip(NEXT) | instid1(VALU_DEP_1)
	v_add_f32_e32 v12, v16, v14
	v_dual_sub_f32 v17, v13, v12 :: v_dual_mov_b32 v15, v12
	s_delay_alu instid0(VALU_DEP_1) | instskip(NEXT) | instid1(VALU_DEP_1)
	v_pk_add_f32 v[12:13], v[12:13], v[16:17] neg_lo:[0,1] neg_hi:[0,1]
	v_pk_add_f32 v[12:13], v[12:13], v[14:15] neg_lo:[0,1] neg_hi:[0,1]
	v_cvt_f32_i32_e32 v14, v18
	s_delay_alu instid0(VALU_DEP_2) | instskip(NEXT) | instid1(VALU_DEP_1)
	v_add_f32_e32 v9, v9, v13
	v_dual_add_f32 v16, v21, v23 :: v_dual_add_f32 v9, v12, v9
	s_delay_alu instid0(VALU_DEP_1) | instskip(NEXT) | instid1(VALU_DEP_1)
	v_sub_f32_e32 v12, v16, v21
	v_dual_add_f32 v9, v17, v9 :: v_dual_sub_f32 v12, v23, v12
	s_delay_alu instid0(VALU_DEP_1) | instskip(NEXT) | instid1(VALU_DEP_1)
	v_mul_f32_e32 v9, v20, v9
	v_dual_add_f32 v9, v12, v9 :: v_dual_mov_b32 v12, 0x3f317218
	s_delay_alu instid0(VALU_DEP_1) | instskip(NEXT) | instid1(VALU_DEP_1)
	v_add_f32_e32 v17, v16, v9
	v_mul_f32_e32 v13, v17, v17
	s_delay_alu instid0(VALU_DEP_1) | instskip(SKIP_1) | instid1(VALU_DEP_2)
	v_fmaak_f32 v19, s3, v13, 0x3ecc95a3
	v_mul_f32_e32 v15, v17, v13
	v_fmaak_f32 v13, v13, v19, 0x3f2aaada
	s_delay_alu instid0(VALU_DEP_1) | instskip(NEXT) | instid1(VALU_DEP_1)
	v_pk_mul_f32 v[12:13], v[14:15], v[12:13]
	v_fma_f32 v18, 0x3f317218, v14, -v12
	s_delay_alu instid0(VALU_DEP_1) | instskip(SKIP_1) | instid1(VALU_DEP_1)
	v_fmamk_f32 v14, v14, 0xb102e308, v18
	v_sub_f32_e32 v18, v17, v16
	v_sub_f32_e32 v9, v9, v18
	v_ldexp_f32 v15, v17, 1
	v_mov_b32_e32 v18, v12
	s_delay_alu instid0(VALU_DEP_3) | instskip(NEXT) | instid1(VALU_DEP_3)
	v_ldexp_f32 v9, v9, 1
	v_pk_add_f32 v[16:17], v[12:13], v[14:15]
	s_delay_alu instid0(VALU_DEP_1) | instskip(NEXT) | instid1(VALU_DEP_1)
	v_dual_sub_f32 v15, v17, v15 :: v_dual_mov_b32 v26, v17
	v_sub_f32_e32 v15, v13, v15
	s_delay_alu instid0(VALU_DEP_3) | instskip(NEXT) | instid1(VALU_DEP_2)
	v_pk_add_f32 v[12:13], v[16:17], v[12:13] neg_lo:[0,1] neg_hi:[0,1]
	v_dual_add_f32 v19, v9, v15 :: v_dual_mov_b32 v15, v16
	s_delay_alu instid0(VALU_DEP_1) | instskip(NEXT) | instid1(VALU_DEP_1)
	v_pk_add_f32 v[20:21], v[16:17], v[18:19]
	v_mov_b32_e32 v13, v21
	s_delay_alu instid0(VALU_DEP_1) | instskip(SKIP_2) | instid1(VALU_DEP_3)
	v_pk_add_f32 v[22:23], v[14:15], v[12:13]
	v_mov_b32_e32 v22, v21
	v_pk_add_f32 v[12:13], v[14:15], v[12:13] neg_lo:[0,1] neg_hi:[0,1]
	v_dual_mov_b32 v18, v23 :: v_dual_mov_b32 v13, v23
	s_delay_alu instid0(VALU_DEP_1) | instskip(SKIP_1) | instid1(VALU_DEP_2)
	v_pk_add_f32 v[24:25], v[18:19], v[16:17] neg_lo:[0,1] neg_hi:[0,1]
	v_dual_mov_b32 v17, v16 :: v_dual_mov_b32 v16, v19
	v_dual_mov_b32 v9, v24 :: v_dual_mov_b32 v27, v24
	s_delay_alu instid0(VALU_DEP_1) | instskip(NEXT) | instid1(VALU_DEP_2)
	v_pk_add_f32 v[20:21], v[20:21], v[8:9] neg_lo:[0,1] neg_hi:[0,1]
	v_pk_add_f32 v[14:15], v[22:23], v[26:27] neg_lo:[0,1] neg_hi:[0,1]
	v_mov_b32_e32 v20, v12
	s_delay_alu instid0(VALU_DEP_2) | instskip(NEXT) | instid1(VALU_DEP_1)
	v_pk_add_f32 v[14:15], v[16:17], v[14:15] neg_lo:[0,1] neg_hi:[0,1]
	v_pk_add_f32 v[16:17], v[20:21], v[14:15]
	s_delay_alu instid0(VALU_DEP_1) | instskip(NEXT) | instid1(VALU_DEP_1)
	v_mov_b32_e32 v20, v17
	v_pk_add_f32 v[20:21], v[16:17], v[20:21]
	s_delay_alu instid0(VALU_DEP_1) | instskip(NEXT) | instid1(VALU_DEP_1)
	v_pk_add_f32 v[18:19], v[18:19], v[20:21]
	v_mov_b32_e32 v17, v18
	s_delay_alu instid0(VALU_DEP_1) | instskip(NEXT) | instid1(VALU_DEP_1)
	v_pk_add_f32 v[22:23], v[16:17], v[12:13] neg_lo:[0,1] neg_hi:[0,1]
	v_sub_f32_e32 v9, v16, v22
	s_delay_alu instid0(VALU_DEP_1) | instskip(SKIP_1) | instid1(VALU_DEP_1)
	v_sub_f32_e32 v9, v12, v9
	v_mov_b32_e32 v15, v20
	v_pk_add_f32 v[14:15], v[14:15], v[22:23] neg_lo:[0,1] neg_hi:[0,1]
	s_delay_alu instid0(VALU_DEP_1) | instskip(NEXT) | instid1(VALU_DEP_1)
	v_add_f32_e32 v9, v14, v9
	v_add_f32_e32 v9, v9, v15
	s_delay_alu instid0(VALU_DEP_1) | instskip(NEXT) | instid1(VALU_DEP_1)
	v_add_f32_e32 v9, v18, v9
	v_cndmask_b32_e32 v9, 0x7f800000, v9, vcc_lo
	v_cmp_gt_f32_e64 vcc_lo, 0x33800000, |v11|
	s_delay_alu instid0(VALU_DEP_2) | instskip(NEXT) | instid1(VALU_DEP_1)
	v_cndmask_b32_e32 v9, v9, v11, vcc_lo
	v_div_scale_f32 v11, null, v0, v0, v9
	s_delay_alu instid0(VALU_DEP_1) | instskip(SKIP_1) | instid1(TRANS32_DEP_1)
	v_rcp_f32_e32 v12, v11
	v_nop
	v_fma_f32 v13, -v11, v12, 1.0
	s_delay_alu instid0(VALU_DEP_1) | instskip(SKIP_1) | instid1(VALU_DEP_1)
	v_fmac_f32_e32 v12, v13, v12
	v_div_scale_f32 v13, vcc_lo, v9, v0, v9
	v_mul_f32_e32 v14, v13, v12
	s_delay_alu instid0(VALU_DEP_1) | instskip(NEXT) | instid1(VALU_DEP_1)
	v_fma_f32 v15, -v11, v14, v13
	v_fmac_f32_e32 v14, v15, v12
	s_delay_alu instid0(VALU_DEP_1) | instskip(NEXT) | instid1(VALU_DEP_1)
	v_fma_f32 v11, -v11, v14, v13
	v_div_fmas_f32 v11, v11, v12, v14
	s_delay_alu instid0(VALU_DEP_1) | instskip(NEXT) | instid1(VALU_DEP_1)
	v_div_fixup_f32 v9, v11, v0, v9
	v_cvt_f16_f32_e32 v11, v9
.LBB17_6:
	s_or_b32 exec_lo, exec_lo, s2
	v_lshrrev_b32_e32 v5, 16, v5
	s_mov_b32 s2, exec_lo
	s_delay_alu instid0(VALU_DEP_1) | instskip(NEXT) | instid1(VALU_DEP_1)
	v_cvt_f32_f16_e32 v9, v5
	v_mul_f32_e32 v9, v0, v9
	s_delay_alu instid0(VALU_DEP_1)
	v_cmpx_ngt_f32_e32 v9, v1
	s_cbranch_execz .LBB17_8
; %bb.7:
	v_mul_f32_e32 v5, 0x3fb8aa3b, v9
	v_cmp_ngt_f32_e32 vcc_lo, 0xc2ce8ed0, v9
	s_mov_b32 s3, 0x3e9b6dac
	s_delay_alu instid0(VALU_DEP_2) | instskip(SKIP_1) | instid1(VALU_DEP_2)
	v_rndne_f32_e32 v12, v5
	v_fma_f32 v13, 0x3fb8aa3b, v9, -v5
	v_sub_f32_e32 v5, v5, v12
	s_delay_alu instid0(VALU_DEP_2) | instskip(SKIP_1) | instid1(VALU_DEP_2)
	v_fmamk_f32 v13, v9, 0x32a5705f, v13
	v_cvt_i32_f32_e32 v12, v12
	v_add_f32_e32 v5, v5, v13
	s_delay_alu instid0(VALU_DEP_1) | instskip(SKIP_1) | instid1(TRANS32_DEP_1)
	v_exp_f32_e32 v5, v5
	v_nop
	v_ldexp_f32 v5, v5, v12
	s_delay_alu instid0(VALU_DEP_1) | instskip(SKIP_1) | instid1(VALU_DEP_2)
	v_cndmask_b32_e32 v5, 0, v5, vcc_lo
	v_cmp_nlt_f32_e32 vcc_lo, 0x42b17218, v9
	v_cndmask_b32_e32 v9, 0x7f800000, v5, vcc_lo
	s_delay_alu instid0(VALU_DEP_1) | instskip(NEXT) | instid1(VALU_DEP_1)
	v_add_f32_e32 v5, 1.0, v9
	v_cvt_f64_f32_e32 v[12:13], v5
	s_delay_alu instid0(VALU_DEP_1) | instskip(SKIP_1) | instid1(VALU_DEP_1)
	v_frexp_exp_i32_f64_e32 v12, v[12:13]
	v_frexp_mant_f32_e32 v13, v5
	v_cmp_gt_f32_e32 vcc_lo, 0x3f2aaaab, v13
	s_delay_alu instid0(VALU_DEP_3) | instskip(NEXT) | instid1(VALU_DEP_1)
	v_subrev_co_ci_u32_e64 v18, null, 0, v12, vcc_lo
	v_dual_add_f32 v12, -1.0, v5 :: v_dual_sub_nc_u32 v13, 0, v18
	s_delay_alu instid0(VALU_DEP_1) | instskip(SKIP_1) | instid1(VALU_DEP_3)
	v_dual_sub_f32 v14, v12, v5 :: v_dual_sub_f32 v12, v9, v12
	v_cmp_neq_f32_e32 vcc_lo, 0x7f800000, v9
	v_ldexp_f32 v5, v5, v13
	s_delay_alu instid0(VALU_DEP_1) | instskip(NEXT) | instid1(VALU_DEP_1)
	v_dual_add_f32 v14, 1.0, v14 :: v_dual_add_f32 v15, 1.0, v5
	v_dual_add_f32 v17, -1.0, v5 :: v_dual_add_f32 v12, v12, v14
	s_delay_alu instid0(VALU_DEP_2) | instskip(NEXT) | instid1(VALU_DEP_2)
	v_add_f32_e32 v14, -1.0, v15
	v_ldexp_f32 v12, v12, v13
	s_delay_alu instid0(VALU_DEP_2) | instskip(NEXT) | instid1(VALU_DEP_1)
	v_dual_sub_f32 v13, v5, v14 :: v_dual_add_f32 v14, 1.0, v17
	v_dual_add_f32 v16, v12, v13 :: v_dual_sub_f32 v5, v5, v14
	s_delay_alu instid0(VALU_DEP_1) | instskip(NEXT) | instid1(VALU_DEP_1)
	v_dual_add_f32 v19, v15, v16 :: v_dual_add_f32 v5, v12, v5
	v_rcp_f32_e32 v20, v19
	s_delay_alu instid0(VALU_DEP_1) | instskip(NEXT) | instid1(VALU_DEP_1)
	v_dual_add_f32 v13, v17, v5 :: v_dual_sub_f32 v12, v15, v19
	v_sub_f32_e32 v23, v17, v13
	s_delay_alu instid0(TRANS32_DEP_1) | instskip(NEXT) | instid1(VALU_DEP_2)
	v_mul_f32_e32 v21, v13, v20
	v_dual_add_f32 v22, v16, v12 :: v_dual_add_f32 v5, v5, v23
	s_delay_alu instid0(VALU_DEP_2) | instskip(NEXT) | instid1(VALU_DEP_1)
	v_mul_f32_e32 v14, v19, v21
	v_fma_f32 v16, v21, v19, -v14
	s_delay_alu instid0(VALU_DEP_1) | instskip(NEXT) | instid1(VALU_DEP_1)
	v_fmac_f32_e32 v16, v21, v22
	v_add_f32_e32 v12, v14, v16
	s_delay_alu instid0(VALU_DEP_1) | instskip(NEXT) | instid1(VALU_DEP_1)
	v_dual_sub_f32 v15, v13, v12 :: v_dual_mov_b32 v17, v12
	v_pk_add_f32 v[12:13], v[12:13], v[14:15] neg_lo:[0,1] neg_hi:[0,1]
	s_delay_alu instid0(VALU_DEP_1) | instskip(NEXT) | instid1(VALU_DEP_1)
	v_pk_add_f32 v[12:13], v[12:13], v[16:17] neg_lo:[0,1] neg_hi:[0,1]
	v_add_f32_e32 v5, v5, v13
	s_delay_alu instid0(VALU_DEP_1) | instskip(NEXT) | instid1(VALU_DEP_1)
	v_add_f32_e32 v5, v12, v5
	v_add_f32_e32 v13, v15, v5
	s_delay_alu instid0(VALU_DEP_1) | instskip(NEXT) | instid1(VALU_DEP_1)
	v_mul_f32_e32 v23, v20, v13
	v_mul_f32_e32 v16, v19, v23
	s_delay_alu instid0(VALU_DEP_1) | instskip(SKIP_1) | instid1(VALU_DEP_1)
	v_fma_f32 v14, v23, v19, -v16
	v_sub_f32_e32 v19, v15, v13
	v_dual_fmac_f32 v14, v23, v22 :: v_dual_add_f32 v5, v5, v19
	s_delay_alu instid0(VALU_DEP_1) | instskip(NEXT) | instid1(VALU_DEP_1)
	v_add_f32_e32 v12, v16, v14
	v_dual_sub_f32 v17, v13, v12 :: v_dual_mov_b32 v15, v12
	s_delay_alu instid0(VALU_DEP_1) | instskip(NEXT) | instid1(VALU_DEP_1)
	v_pk_add_f32 v[12:13], v[12:13], v[16:17] neg_lo:[0,1] neg_hi:[0,1]
	v_pk_add_f32 v[12:13], v[12:13], v[14:15] neg_lo:[0,1] neg_hi:[0,1]
	v_cvt_f32_i32_e32 v14, v18
	s_delay_alu instid0(VALU_DEP_2) | instskip(NEXT) | instid1(VALU_DEP_1)
	v_add_f32_e32 v5, v5, v13
	v_dual_add_f32 v16, v21, v23 :: v_dual_add_f32 v5, v12, v5
	s_delay_alu instid0(VALU_DEP_1) | instskip(NEXT) | instid1(VALU_DEP_1)
	v_sub_f32_e32 v12, v16, v21
	v_dual_add_f32 v5, v17, v5 :: v_dual_sub_f32 v12, v23, v12
	s_delay_alu instid0(VALU_DEP_1) | instskip(NEXT) | instid1(VALU_DEP_1)
	v_mul_f32_e32 v5, v20, v5
	v_dual_add_f32 v5, v12, v5 :: v_dual_mov_b32 v12, 0x3f317218
	s_delay_alu instid0(VALU_DEP_1) | instskip(NEXT) | instid1(VALU_DEP_1)
	v_add_f32_e32 v17, v16, v5
	v_mul_f32_e32 v13, v17, v17
	s_delay_alu instid0(VALU_DEP_1) | instskip(SKIP_1) | instid1(VALU_DEP_2)
	v_fmaak_f32 v19, s3, v13, 0x3ecc95a3
	v_mul_f32_e32 v15, v17, v13
	v_fmaak_f32 v13, v13, v19, 0x3f2aaada
	s_delay_alu instid0(VALU_DEP_1) | instskip(NEXT) | instid1(VALU_DEP_1)
	v_pk_mul_f32 v[12:13], v[14:15], v[12:13]
	v_fma_f32 v18, 0x3f317218, v14, -v12
	s_delay_alu instid0(VALU_DEP_1) | instskip(SKIP_1) | instid1(VALU_DEP_1)
	v_fmamk_f32 v14, v14, 0xb102e308, v18
	v_sub_f32_e32 v18, v17, v16
	v_sub_f32_e32 v5, v5, v18
	v_ldexp_f32 v15, v17, 1
	v_mov_b32_e32 v18, v12
	s_delay_alu instid0(VALU_DEP_3) | instskip(NEXT) | instid1(VALU_DEP_3)
	v_ldexp_f32 v5, v5, 1
	v_pk_add_f32 v[16:17], v[12:13], v[14:15]
	s_delay_alu instid0(VALU_DEP_1) | instskip(NEXT) | instid1(VALU_DEP_1)
	v_dual_sub_f32 v15, v17, v15 :: v_dual_mov_b32 v26, v17
	v_sub_f32_e32 v15, v13, v15
	s_delay_alu instid0(VALU_DEP_3) | instskip(NEXT) | instid1(VALU_DEP_2)
	v_pk_add_f32 v[12:13], v[16:17], v[12:13] neg_lo:[0,1] neg_hi:[0,1]
	v_dual_add_f32 v19, v5, v15 :: v_dual_mov_b32 v15, v16
	s_delay_alu instid0(VALU_DEP_1) | instskip(NEXT) | instid1(VALU_DEP_1)
	v_pk_add_f32 v[20:21], v[16:17], v[18:19]
	v_mov_b32_e32 v13, v21
	s_delay_alu instid0(VALU_DEP_1) | instskip(SKIP_2) | instid1(VALU_DEP_3)
	v_pk_add_f32 v[22:23], v[14:15], v[12:13]
	v_mov_b32_e32 v22, v21
	v_pk_add_f32 v[12:13], v[14:15], v[12:13] neg_lo:[0,1] neg_hi:[0,1]
	v_dual_mov_b32 v18, v23 :: v_dual_mov_b32 v13, v23
	s_delay_alu instid0(VALU_DEP_1) | instskip(SKIP_1) | instid1(VALU_DEP_2)
	v_pk_add_f32 v[24:25], v[18:19], v[16:17] neg_lo:[0,1] neg_hi:[0,1]
	v_dual_mov_b32 v17, v16 :: v_dual_mov_b32 v16, v19
	v_dual_mov_b32 v5, v24 :: v_dual_mov_b32 v27, v24
	s_delay_alu instid0(VALU_DEP_1) | instskip(NEXT) | instid1(VALU_DEP_2)
	v_pk_add_f32 v[20:21], v[20:21], v[4:5] neg_lo:[0,1] neg_hi:[0,1]
	v_pk_add_f32 v[14:15], v[22:23], v[26:27] neg_lo:[0,1] neg_hi:[0,1]
	v_mov_b32_e32 v20, v12
	s_delay_alu instid0(VALU_DEP_2) | instskip(NEXT) | instid1(VALU_DEP_1)
	v_pk_add_f32 v[14:15], v[16:17], v[14:15] neg_lo:[0,1] neg_hi:[0,1]
	v_pk_add_f32 v[16:17], v[20:21], v[14:15]
	s_delay_alu instid0(VALU_DEP_1) | instskip(NEXT) | instid1(VALU_DEP_1)
	v_mov_b32_e32 v20, v17
	v_pk_add_f32 v[20:21], v[16:17], v[20:21]
	s_delay_alu instid0(VALU_DEP_1) | instskip(NEXT) | instid1(VALU_DEP_1)
	v_pk_add_f32 v[18:19], v[18:19], v[20:21]
	v_mov_b32_e32 v17, v18
	s_delay_alu instid0(VALU_DEP_1) | instskip(NEXT) | instid1(VALU_DEP_1)
	v_pk_add_f32 v[22:23], v[16:17], v[12:13] neg_lo:[0,1] neg_hi:[0,1]
	v_sub_f32_e32 v5, v16, v22
	s_delay_alu instid0(VALU_DEP_1) | instskip(SKIP_1) | instid1(VALU_DEP_1)
	v_sub_f32_e32 v5, v12, v5
	v_mov_b32_e32 v15, v20
	v_pk_add_f32 v[14:15], v[14:15], v[22:23] neg_lo:[0,1] neg_hi:[0,1]
	s_delay_alu instid0(VALU_DEP_1) | instskip(NEXT) | instid1(VALU_DEP_1)
	v_add_f32_e32 v5, v14, v5
	v_add_f32_e32 v5, v5, v15
	s_delay_alu instid0(VALU_DEP_1) | instskip(NEXT) | instid1(VALU_DEP_1)
	v_add_f32_e32 v5, v18, v5
	v_cndmask_b32_e32 v5, 0x7f800000, v5, vcc_lo
	v_cmp_gt_f32_e64 vcc_lo, 0x33800000, |v9|
	s_delay_alu instid0(VALU_DEP_2) | instskip(NEXT) | instid1(VALU_DEP_1)
	v_cndmask_b32_e32 v5, v5, v9, vcc_lo
	v_div_scale_f32 v9, null, v0, v0, v5
	s_delay_alu instid0(VALU_DEP_1) | instskip(SKIP_1) | instid1(TRANS32_DEP_1)
	v_rcp_f32_e32 v12, v9
	v_nop
	v_fma_f32 v13, -v9, v12, 1.0
	s_delay_alu instid0(VALU_DEP_1) | instskip(SKIP_1) | instid1(VALU_DEP_1)
	v_fmac_f32_e32 v12, v13, v12
	v_div_scale_f32 v13, vcc_lo, v5, v0, v5
	v_mul_f32_e32 v14, v13, v12
	s_delay_alu instid0(VALU_DEP_1) | instskip(NEXT) | instid1(VALU_DEP_1)
	v_fma_f32 v15, -v9, v14, v13
	v_fmac_f32_e32 v14, v15, v12
	s_delay_alu instid0(VALU_DEP_1) | instskip(NEXT) | instid1(VALU_DEP_1)
	v_fma_f32 v9, -v9, v14, v13
	v_div_fmas_f32 v9, v9, v12, v14
	s_delay_alu instid0(VALU_DEP_1) | instskip(NEXT) | instid1(VALU_DEP_1)
	v_div_fixup_f32 v5, v9, v0, v5
	v_cvt_f16_f32_e32 v5, v5
.LBB17_8:
	s_or_b32 exec_lo, exec_lo, s2
	v_cvt_f32_f16_e32 v9, v6
	s_mov_b32 s2, exec_lo
	s_delay_alu instid0(VALU_DEP_1) | instskip(NEXT) | instid1(VALU_DEP_1)
	v_dual_mov_b32 v12, v6 :: v_dual_mul_f32 v9, v0, v9
	v_cmpx_ngt_f32_e32 v9, v1
	s_cbranch_execz .LBB17_10
; %bb.9:
	v_mul_f32_e32 v12, 0x3fb8aa3b, v9
	v_cmp_ngt_f32_e32 vcc_lo, 0xc2ce8ed0, v9
	s_mov_b32 s3, 0x3e9b6dac
	s_delay_alu instid0(VALU_DEP_2) | instskip(SKIP_1) | instid1(VALU_DEP_2)
	v_rndne_f32_e32 v13, v12
	v_fma_f32 v14, 0x3fb8aa3b, v9, -v12
	v_sub_f32_e32 v12, v12, v13
	s_delay_alu instid0(VALU_DEP_2) | instskip(SKIP_1) | instid1(VALU_DEP_2)
	v_fmamk_f32 v14, v9, 0x32a5705f, v14
	v_cvt_i32_f32_e32 v13, v13
	v_add_f32_e32 v12, v12, v14
	s_delay_alu instid0(VALU_DEP_1) | instskip(SKIP_1) | instid1(TRANS32_DEP_1)
	v_exp_f32_e32 v12, v12
	v_nop
	v_ldexp_f32 v12, v12, v13
	s_delay_alu instid0(VALU_DEP_1) | instskip(SKIP_1) | instid1(VALU_DEP_2)
	v_cndmask_b32_e32 v12, 0, v12, vcc_lo
	v_cmp_nlt_f32_e32 vcc_lo, 0x42b17218, v9
	v_cndmask_b32_e32 v28, 0x7f800000, v12, vcc_lo
	s_delay_alu instid0(VALU_DEP_1) | instskip(NEXT) | instid1(VALU_DEP_1)
	v_add_f32_e32 v9, 1.0, v28
	v_cvt_f64_f32_e32 v[12:13], v9
	s_delay_alu instid0(VALU_DEP_1) | instskip(SKIP_1) | instid1(VALU_DEP_1)
	v_frexp_exp_i32_f64_e32 v12, v[12:13]
	v_frexp_mant_f32_e32 v13, v9
	v_cmp_gt_f32_e32 vcc_lo, 0x3f2aaaab, v13
	s_delay_alu instid0(VALU_DEP_3) | instskip(NEXT) | instid1(VALU_DEP_1)
	v_subrev_co_ci_u32_e64 v18, null, 0, v12, vcc_lo
	v_dual_add_f32 v12, -1.0, v9 :: v_dual_sub_nc_u32 v13, 0, v18
	s_delay_alu instid0(VALU_DEP_1) | instskip(NEXT) | instid1(VALU_DEP_2)
	v_sub_f32_e32 v14, v12, v9
	v_ldexp_f32 v9, v9, v13
	s_delay_alu instid0(VALU_DEP_1) | instskip(SKIP_2) | instid1(VALU_DEP_2)
	v_dual_add_f32 v14, 1.0, v14 :: v_dual_add_f32 v15, 1.0, v9
	v_dual_add_f32 v17, -1.0, v9 :: v_dual_sub_f32 v12, v28, v12
	v_cmp_neq_f32_e32 vcc_lo, 0x7f800000, v28
	v_dual_add_f32 v12, v12, v14 :: v_dual_add_f32 v14, -1.0, v15
	s_delay_alu instid0(VALU_DEP_1) | instskip(NEXT) | instid1(VALU_DEP_2)
	v_ldexp_f32 v12, v12, v13
	v_dual_sub_f32 v13, v9, v14 :: v_dual_add_f32 v14, 1.0, v17
	s_delay_alu instid0(VALU_DEP_1) | instskip(NEXT) | instid1(VALU_DEP_1)
	v_dual_add_f32 v16, v12, v13 :: v_dual_sub_f32 v9, v9, v14
	v_dual_add_f32 v19, v15, v16 :: v_dual_add_f32 v9, v12, v9
	s_delay_alu instid0(VALU_DEP_1) | instskip(SKIP_1) | instid1(VALU_DEP_2)
	v_sub_f32_e32 v12, v15, v19
	v_rcp_f32_e32 v20, v19
	v_add_f32_e32 v13, v17, v9
	s_delay_alu instid0(TRANS32_DEP_1) | instid1(VALU_DEP_1)
	v_mul_f32_e32 v21, v13, v20
	s_delay_alu instid0(VALU_DEP_3) | instskip(NEXT) | instid1(VALU_DEP_1)
	v_dual_add_f32 v22, v16, v12 :: v_dual_sub_f32 v23, v17, v13
	v_dual_mul_f32 v14, v19, v21 :: v_dual_add_f32 v9, v9, v23
	s_delay_alu instid0(VALU_DEP_1) | instskip(NEXT) | instid1(VALU_DEP_1)
	v_fma_f32 v16, v21, v19, -v14
	v_fmac_f32_e32 v16, v21, v22
	s_delay_alu instid0(VALU_DEP_1) | instskip(NEXT) | instid1(VALU_DEP_1)
	v_add_f32_e32 v12, v14, v16
	v_dual_sub_f32 v15, v13, v12 :: v_dual_mov_b32 v17, v12
	s_delay_alu instid0(VALU_DEP_1) | instskip(NEXT) | instid1(VALU_DEP_1)
	v_pk_add_f32 v[12:13], v[12:13], v[14:15] neg_lo:[0,1] neg_hi:[0,1]
	v_pk_add_f32 v[12:13], v[12:13], v[16:17] neg_lo:[0,1] neg_hi:[0,1]
	s_delay_alu instid0(VALU_DEP_1) | instskip(NEXT) | instid1(VALU_DEP_1)
	v_add_f32_e32 v9, v9, v13
	v_add_f32_e32 v9, v12, v9
	s_delay_alu instid0(VALU_DEP_1) | instskip(NEXT) | instid1(VALU_DEP_1)
	v_add_f32_e32 v13, v15, v9
	v_mul_f32_e32 v23, v20, v13
	s_delay_alu instid0(VALU_DEP_1) | instskip(NEXT) | instid1(VALU_DEP_1)
	v_mul_f32_e32 v16, v19, v23
	v_fma_f32 v14, v23, v19, -v16
	s_delay_alu instid0(VALU_DEP_1) | instskip(NEXT) | instid1(VALU_DEP_1)
	v_fmac_f32_e32 v14, v23, v22
	v_dual_add_f32 v12, v16, v14 :: v_dual_sub_f32 v19, v15, v13
	s_delay_alu instid0(VALU_DEP_1) | instskip(NEXT) | instid1(VALU_DEP_1)
	v_dual_sub_f32 v17, v13, v12 :: v_dual_mov_b32 v15, v12
	v_pk_add_f32 v[12:13], v[12:13], v[16:17] neg_lo:[0,1] neg_hi:[0,1]
	s_delay_alu instid0(VALU_DEP_1) | instskip(SKIP_3) | instid1(VALU_DEP_2)
	v_pk_add_f32 v[12:13], v[12:13], v[14:15] neg_lo:[0,1] neg_hi:[0,1]
	v_add_f32_e32 v16, v21, v23
	v_add_f32_e32 v9, v9, v19
	v_cvt_f32_i32_e32 v14, v18
	v_add_f32_e32 v9, v9, v13
	s_delay_alu instid0(VALU_DEP_1) | instskip(SKIP_1) | instid1(VALU_DEP_1)
	v_add_f32_e32 v9, v12, v9
	v_sub_f32_e32 v12, v16, v21
	v_dual_add_f32 v9, v17, v9 :: v_dual_sub_f32 v12, v23, v12
	s_delay_alu instid0(VALU_DEP_1) | instskip(NEXT) | instid1(VALU_DEP_1)
	v_mul_f32_e32 v9, v20, v9
	v_dual_add_f32 v9, v12, v9 :: v_dual_mov_b32 v12, 0x3f317218
	s_delay_alu instid0(VALU_DEP_1) | instskip(NEXT) | instid1(VALU_DEP_1)
	v_add_f32_e32 v17, v16, v9
	v_mul_f32_e32 v13, v17, v17
	s_delay_alu instid0(VALU_DEP_1) | instskip(SKIP_1) | instid1(VALU_DEP_2)
	v_fmaak_f32 v19, s3, v13, 0x3ecc95a3
	v_mul_f32_e32 v15, v17, v13
	v_fmaak_f32 v13, v13, v19, 0x3f2aaada
	s_delay_alu instid0(VALU_DEP_1) | instskip(NEXT) | instid1(VALU_DEP_1)
	v_pk_mul_f32 v[12:13], v[14:15], v[12:13]
	v_fma_f32 v18, 0x3f317218, v14, -v12
	s_delay_alu instid0(VALU_DEP_1) | instskip(SKIP_1) | instid1(VALU_DEP_1)
	v_fmamk_f32 v14, v14, 0xb102e308, v18
	v_sub_f32_e32 v18, v17, v16
	v_sub_f32_e32 v9, v9, v18
	v_ldexp_f32 v15, v17, 1
	v_mov_b32_e32 v18, v12
	s_delay_alu instid0(VALU_DEP_3) | instskip(NEXT) | instid1(VALU_DEP_3)
	v_ldexp_f32 v9, v9, 1
	v_pk_add_f32 v[16:17], v[12:13], v[14:15]
	s_delay_alu instid0(VALU_DEP_1) | instskip(NEXT) | instid1(VALU_DEP_1)
	v_dual_sub_f32 v15, v17, v15 :: v_dual_mov_b32 v26, v17
	v_sub_f32_e32 v15, v13, v15
	s_delay_alu instid0(VALU_DEP_3) | instskip(NEXT) | instid1(VALU_DEP_2)
	v_pk_add_f32 v[12:13], v[16:17], v[12:13] neg_lo:[0,1] neg_hi:[0,1]
	v_dual_add_f32 v19, v9, v15 :: v_dual_mov_b32 v15, v16
	s_delay_alu instid0(VALU_DEP_1) | instskip(NEXT) | instid1(VALU_DEP_1)
	v_pk_add_f32 v[20:21], v[16:17], v[18:19]
	v_mov_b32_e32 v13, v21
	s_delay_alu instid0(VALU_DEP_1) | instskip(SKIP_2) | instid1(VALU_DEP_3)
	v_pk_add_f32 v[22:23], v[14:15], v[12:13]
	v_mov_b32_e32 v22, v21
	v_pk_add_f32 v[12:13], v[14:15], v[12:13] neg_lo:[0,1] neg_hi:[0,1]
	v_dual_mov_b32 v18, v23 :: v_dual_mov_b32 v13, v23
	s_delay_alu instid0(VALU_DEP_1) | instskip(SKIP_1) | instid1(VALU_DEP_2)
	v_pk_add_f32 v[24:25], v[18:19], v[16:17] neg_lo:[0,1] neg_hi:[0,1]
	v_dual_mov_b32 v17, v16 :: v_dual_mov_b32 v16, v19
	v_dual_mov_b32 v27, v24 :: v_dual_mov_b32 v9, v24
	s_delay_alu instid0(VALU_DEP_1) | instskip(NEXT) | instid1(VALU_DEP_2)
	v_pk_add_f32 v[14:15], v[22:23], v[26:27] neg_lo:[0,1] neg_hi:[0,1]
	v_pk_add_f32 v[20:21], v[20:21], v[8:9] neg_lo:[0,1] neg_hi:[0,1]
	v_mov_b32_e32 v20, v12
	s_delay_alu instid0(VALU_DEP_3) | instskip(NEXT) | instid1(VALU_DEP_1)
	v_pk_add_f32 v[14:15], v[16:17], v[14:15] neg_lo:[0,1] neg_hi:[0,1]
	v_pk_add_f32 v[16:17], v[20:21], v[14:15]
	s_delay_alu instid0(VALU_DEP_1) | instskip(NEXT) | instid1(VALU_DEP_1)
	v_mov_b32_e32 v20, v17
	v_pk_add_f32 v[20:21], v[16:17], v[20:21]
	s_delay_alu instid0(VALU_DEP_1) | instskip(NEXT) | instid1(VALU_DEP_1)
	v_pk_add_f32 v[18:19], v[18:19], v[20:21]
	v_mov_b32_e32 v17, v18
	s_delay_alu instid0(VALU_DEP_1) | instskip(NEXT) | instid1(VALU_DEP_1)
	v_pk_add_f32 v[22:23], v[16:17], v[12:13] neg_lo:[0,1] neg_hi:[0,1]
	v_sub_f32_e32 v9, v16, v22
	s_delay_alu instid0(VALU_DEP_1) | instskip(SKIP_1) | instid1(VALU_DEP_1)
	v_sub_f32_e32 v9, v12, v9
	v_mov_b32_e32 v15, v20
	v_pk_add_f32 v[14:15], v[14:15], v[22:23] neg_lo:[0,1] neg_hi:[0,1]
	s_delay_alu instid0(VALU_DEP_1) | instskip(NEXT) | instid1(VALU_DEP_1)
	v_add_f32_e32 v9, v14, v9
	v_add_f32_e32 v9, v9, v15
	s_delay_alu instid0(VALU_DEP_1) | instskip(NEXT) | instid1(VALU_DEP_1)
	v_add_f32_e32 v9, v18, v9
	v_cndmask_b32_e32 v9, 0x7f800000, v9, vcc_lo
	v_cmp_gt_f32_e64 vcc_lo, 0x33800000, |v28|
	s_delay_alu instid0(VALU_DEP_2) | instskip(NEXT) | instid1(VALU_DEP_1)
	v_cndmask_b32_e32 v9, v9, v28, vcc_lo
	v_div_scale_f32 v12, null, v0, v0, v9
	s_delay_alu instid0(VALU_DEP_1) | instskip(SKIP_1) | instid1(TRANS32_DEP_1)
	v_rcp_f32_e32 v13, v12
	v_nop
	v_fma_f32 v14, -v12, v13, 1.0
	s_delay_alu instid0(VALU_DEP_1) | instskip(SKIP_1) | instid1(VALU_DEP_1)
	v_fmac_f32_e32 v13, v14, v13
	v_div_scale_f32 v14, vcc_lo, v9, v0, v9
	v_mul_f32_e32 v15, v14, v13
	s_delay_alu instid0(VALU_DEP_1) | instskip(NEXT) | instid1(VALU_DEP_1)
	v_fma_f32 v16, -v12, v15, v14
	v_fmac_f32_e32 v15, v16, v13
	s_delay_alu instid0(VALU_DEP_1) | instskip(NEXT) | instid1(VALU_DEP_1)
	v_fma_f32 v12, -v12, v15, v14
	v_div_fmas_f32 v12, v12, v13, v15
	s_delay_alu instid0(VALU_DEP_1) | instskip(NEXT) | instid1(VALU_DEP_1)
	v_div_fixup_f32 v9, v12, v0, v9
	v_cvt_f16_f32_e32 v12, v9
.LBB17_10:
	s_or_b32 exec_lo, exec_lo, s2
	v_lshrrev_b32_e32 v6, 16, v6
	s_mov_b32 s2, exec_lo
	s_delay_alu instid0(VALU_DEP_1) | instskip(NEXT) | instid1(VALU_DEP_1)
	v_cvt_f32_f16_e32 v9, v6
	v_mul_f32_e32 v9, v0, v9
	s_delay_alu instid0(VALU_DEP_1)
	v_cmpx_ngt_f32_e32 v9, v1
	s_cbranch_execz .LBB17_12
; %bb.11:
	v_mul_f32_e32 v6, 0x3fb8aa3b, v9
	v_cmp_ngt_f32_e32 vcc_lo, 0xc2ce8ed0, v9
	s_mov_b32 s3, 0x3e9b6dac
	s_delay_alu instid0(VALU_DEP_2) | instskip(SKIP_1) | instid1(VALU_DEP_2)
	v_rndne_f32_e32 v13, v6
	v_fma_f32 v14, 0x3fb8aa3b, v9, -v6
	v_sub_f32_e32 v6, v6, v13
	s_delay_alu instid0(VALU_DEP_2) | instskip(SKIP_1) | instid1(VALU_DEP_2)
	v_fmamk_f32 v14, v9, 0x32a5705f, v14
	v_cvt_i32_f32_e32 v13, v13
	v_add_f32_e32 v6, v6, v14
	s_delay_alu instid0(VALU_DEP_1) | instskip(SKIP_1) | instid1(TRANS32_DEP_1)
	v_exp_f32_e32 v6, v6
	v_nop
	v_ldexp_f32 v6, v6, v13
	s_delay_alu instid0(VALU_DEP_1) | instskip(SKIP_1) | instid1(VALU_DEP_2)
	v_cndmask_b32_e32 v6, 0, v6, vcc_lo
	v_cmp_nlt_f32_e32 vcc_lo, 0x42b17218, v9
	v_cndmask_b32_e32 v13, 0x7f800000, v6, vcc_lo
	s_delay_alu instid0(VALU_DEP_1) | instskip(NEXT) | instid1(VALU_DEP_1)
	v_add_f32_e32 v6, 1.0, v13
	v_cvt_f64_f32_e32 v[14:15], v6
	s_delay_alu instid0(VALU_DEP_1) | instskip(SKIP_1) | instid1(VALU_DEP_1)
	v_frexp_exp_i32_f64_e32 v9, v[14:15]
	v_frexp_mant_f32_e32 v14, v6
	v_cmp_gt_f32_e32 vcc_lo, 0x3f2aaaab, v14
	v_add_f32_e32 v14, -1.0, v6
	s_delay_alu instid0(VALU_DEP_1) | instskip(SKIP_3) | instid1(VALU_DEP_2)
	v_sub_f32_e32 v16, v14, v6
	v_sub_f32_e32 v14, v13, v14
	v_subrev_co_ci_u32_e64 v9, null, 0, v9, vcc_lo
	v_cmp_neq_f32_e32 vcc_lo, 0x7f800000, v13
	v_sub_nc_u32_e32 v15, 0, v9
	s_delay_alu instid0(VALU_DEP_1) | instskip(NEXT) | instid1(VALU_DEP_1)
	v_ldexp_f32 v6, v6, v15
	v_dual_add_f32 v19, -1.0, v6 :: v_dual_add_f32 v16, 1.0, v16
	s_delay_alu instid0(VALU_DEP_1) | instskip(NEXT) | instid1(VALU_DEP_1)
	v_dual_add_f32 v17, 1.0, v6 :: v_dual_add_f32 v14, v14, v16
	v_ldexp_f32 v14, v14, v15
	s_delay_alu instid0(VALU_DEP_2) | instskip(NEXT) | instid1(VALU_DEP_1)
	v_add_f32_e32 v16, -1.0, v17
	v_dual_sub_f32 v15, v6, v16 :: v_dual_add_f32 v16, 1.0, v19
	s_delay_alu instid0(VALU_DEP_1) | instskip(NEXT) | instid1(VALU_DEP_1)
	v_sub_f32_e32 v6, v6, v16
	v_dual_add_f32 v18, v14, v15 :: v_dual_add_f32 v6, v14, v6
	s_delay_alu instid0(VALU_DEP_1) | instskip(NEXT) | instid1(VALU_DEP_2)
	v_add_f32_e32 v15, v19, v6
	v_add_f32_e32 v20, v17, v18
	s_delay_alu instid0(VALU_DEP_1) | instskip(SKIP_1) | instid1(TRANS32_DEP_1)
	v_rcp_f32_e32 v21, v20
	v_nop
	v_dual_mul_f32 v22, v15, v21 :: v_dual_sub_f32 v14, v17, v20
	s_delay_alu instid0(VALU_DEP_1) | instskip(NEXT) | instid1(VALU_DEP_2)
	v_add_f32_e32 v23, v18, v14
	v_mul_f32_e32 v16, v20, v22
	s_delay_alu instid0(VALU_DEP_1) | instskip(NEXT) | instid1(VALU_DEP_1)
	v_dual_fma_f32 v18, v22, v20, -v16 :: v_dual_sub_f32 v24, v19, v15
	v_fmac_f32_e32 v18, v22, v23
	s_delay_alu instid0(VALU_DEP_1) | instskip(NEXT) | instid1(VALU_DEP_1)
	v_dual_add_f32 v6, v6, v24 :: v_dual_add_f32 v14, v16, v18
	v_dual_sub_f32 v17, v15, v14 :: v_dual_mov_b32 v19, v14
	s_delay_alu instid0(VALU_DEP_1) | instskip(NEXT) | instid1(VALU_DEP_1)
	v_pk_add_f32 v[14:15], v[14:15], v[16:17] neg_lo:[0,1] neg_hi:[0,1]
	v_pk_add_f32 v[14:15], v[14:15], v[18:19] neg_lo:[0,1] neg_hi:[0,1]
	s_delay_alu instid0(VALU_DEP_1) | instskip(NEXT) | instid1(VALU_DEP_1)
	v_add_f32_e32 v6, v6, v15
	v_add_f32_e32 v6, v14, v6
	s_delay_alu instid0(VALU_DEP_1) | instskip(NEXT) | instid1(VALU_DEP_1)
	v_add_f32_e32 v15, v17, v6
	v_mul_f32_e32 v24, v21, v15
	s_delay_alu instid0(VALU_DEP_1) | instskip(NEXT) | instid1(VALU_DEP_1)
	v_mul_f32_e32 v18, v20, v24
	v_dual_fma_f32 v16, v24, v20, -v18 :: v_dual_sub_f32 v20, v17, v15
	s_delay_alu instid0(VALU_DEP_1) | instskip(NEXT) | instid1(VALU_DEP_1)
	v_dual_fmac_f32 v16, v24, v23 :: v_dual_add_f32 v6, v6, v20
	v_add_f32_e32 v14, v18, v16
	s_delay_alu instid0(VALU_DEP_1) | instskip(NEXT) | instid1(VALU_DEP_1)
	v_dual_sub_f32 v19, v15, v14 :: v_dual_mov_b32 v17, v14
	v_pk_add_f32 v[14:15], v[14:15], v[18:19] neg_lo:[0,1] neg_hi:[0,1]
	s_delay_alu instid0(VALU_DEP_1) | instskip(SKIP_1) | instid1(VALU_DEP_2)
	v_pk_add_f32 v[14:15], v[14:15], v[16:17] neg_lo:[0,1] neg_hi:[0,1]
	v_cvt_f32_i32_e32 v16, v9
	v_add_f32_e32 v6, v6, v15
	s_delay_alu instid0(VALU_DEP_1) | instskip(NEXT) | instid1(VALU_DEP_1)
	v_add_f32_e32 v6, v14, v6
	v_dual_add_f32 v18, v22, v24 :: v_dual_add_f32 v6, v19, v6
	s_delay_alu instid0(VALU_DEP_1) | instskip(NEXT) | instid1(VALU_DEP_2)
	v_sub_f32_e32 v14, v18, v22
	v_mul_f32_e32 v6, v21, v6
	s_delay_alu instid0(VALU_DEP_2) | instskip(NEXT) | instid1(VALU_DEP_1)
	v_sub_f32_e32 v14, v24, v14
	v_add_f32_e32 v6, v14, v6
	s_delay_alu instid0(VALU_DEP_1) | instskip(NEXT) | instid1(VALU_DEP_1)
	v_add_f32_e32 v19, v18, v6
	v_mul_f32_e32 v15, v19, v19
	s_delay_alu instid0(VALU_DEP_1) | instskip(SKIP_1) | instid1(VALU_DEP_2)
	v_fmaak_f32 v20, s3, v15, 0x3ecc95a3
	v_dual_mov_b32 v14, 0x3f317218 :: v_dual_mul_f32 v17, v19, v15
	v_fmaak_f32 v15, v15, v20, 0x3f2aaada
	s_delay_alu instid0(VALU_DEP_1) | instskip(SKIP_1) | instid1(VALU_DEP_2)
	v_pk_mul_f32 v[14:15], v[16:17], v[14:15]
	v_ldexp_f32 v17, v19, 1
	v_fma_f32 v9, 0x3f317218, v16, -v14
	s_delay_alu instid0(VALU_DEP_1) | instskip(NEXT) | instid1(VALU_DEP_1)
	v_dual_fmamk_f32 v16, v16, 0xb102e308, v9 :: v_dual_sub_f32 v9, v19, v18
	v_pk_add_f32 v[18:19], v[14:15], v[16:17]
	s_delay_alu instid0(VALU_DEP_2) | instskip(NEXT) | instid1(VALU_DEP_2)
	v_sub_f32_e32 v6, v6, v9
	v_dual_mov_b32 v20, v14 :: v_dual_sub_f32 v9, v19, v17
	s_delay_alu instid0(VALU_DEP_2) | instskip(NEXT) | instid1(VALU_DEP_2)
	v_ldexp_f32 v6, v6, 1
	v_dual_mov_b32 v17, v18 :: v_dual_sub_f32 v9, v15, v9
	v_pk_add_f32 v[14:15], v[18:19], v[14:15] neg_lo:[0,1] neg_hi:[0,1]
	s_delay_alu instid0(VALU_DEP_2) | instskip(NEXT) | instid1(VALU_DEP_1)
	v_add_f32_e32 v21, v6, v9
	v_pk_add_f32 v[22:23], v[18:19], v[20:21]
	s_delay_alu instid0(VALU_DEP_1) | instskip(NEXT) | instid1(VALU_DEP_1)
	v_dual_mov_b32 v28, v19 :: v_dual_mov_b32 v15, v23
	v_pk_add_f32 v[24:25], v[16:17], v[14:15]
	v_mov_b32_e32 v24, v23
	v_pk_add_f32 v[14:15], v[16:17], v[14:15] neg_lo:[0,1] neg_hi:[0,1]
	s_delay_alu instid0(VALU_DEP_3) | instskip(NEXT) | instid1(VALU_DEP_1)
	v_dual_mov_b32 v6, v25 :: v_dual_mov_b32 v15, v25
	v_pk_add_f32 v[26:27], v[6:7], v[18:19] neg_lo:[0,1] neg_hi:[0,1]
	v_dual_mov_b32 v19, v18 :: v_dual_mov_b32 v18, v21
	s_delay_alu instid0(VALU_DEP_2) | instskip(NEXT) | instid1(VALU_DEP_1)
	v_dual_mov_b32 v9, v26 :: v_dual_mov_b32 v29, v26
	v_pk_add_f32 v[20:21], v[22:23], v[8:9] neg_lo:[0,1] neg_hi:[0,1]
	s_delay_alu instid0(VALU_DEP_2) | instskip(SKIP_1) | instid1(VALU_DEP_2)
	v_pk_add_f32 v[16:17], v[24:25], v[28:29] neg_lo:[0,1] neg_hi:[0,1]
	v_mov_b32_e32 v20, v14
	v_pk_add_f32 v[16:17], v[18:19], v[16:17] neg_lo:[0,1] neg_hi:[0,1]
	s_delay_alu instid0(VALU_DEP_1) | instskip(NEXT) | instid1(VALU_DEP_1)
	v_pk_add_f32 v[18:19], v[20:21], v[16:17]
	v_mov_b32_e32 v20, v19
	s_delay_alu instid0(VALU_DEP_1) | instskip(NEXT) | instid1(VALU_DEP_1)
	v_pk_add_f32 v[20:21], v[18:19], v[20:21]
	v_pk_add_f32 v[22:23], v[6:7], v[20:21]
	s_delay_alu instid0(VALU_DEP_1) | instskip(NEXT) | instid1(VALU_DEP_1)
	v_mov_b32_e32 v19, v22
	v_pk_add_f32 v[24:25], v[18:19], v[14:15] neg_lo:[0,1] neg_hi:[0,1]
	s_delay_alu instid0(VALU_DEP_1) | instskip(NEXT) | instid1(VALU_DEP_1)
	v_dual_mov_b32 v17, v20 :: v_dual_sub_f32 v6, v18, v24
	v_pk_add_f32 v[16:17], v[16:17], v[24:25] neg_lo:[0,1] neg_hi:[0,1]
	s_delay_alu instid0(VALU_DEP_2) | instskip(NEXT) | instid1(VALU_DEP_1)
	v_sub_f32_e32 v6, v14, v6
	v_add_f32_e32 v6, v16, v6
	s_delay_alu instid0(VALU_DEP_1) | instskip(NEXT) | instid1(VALU_DEP_1)
	v_add_f32_e32 v6, v6, v17
	v_add_f32_e32 v6, v22, v6
	s_delay_alu instid0(VALU_DEP_1) | instskip(SKIP_1) | instid1(VALU_DEP_2)
	v_cndmask_b32_e32 v6, 0x7f800000, v6, vcc_lo
	v_cmp_gt_f32_e64 vcc_lo, 0x33800000, |v13|
	v_cndmask_b32_e32 v6, v6, v13, vcc_lo
	s_delay_alu instid0(VALU_DEP_1) | instskip(NEXT) | instid1(VALU_DEP_1)
	v_div_scale_f32 v9, null, v0, v0, v6
	v_rcp_f32_e32 v13, v9
	v_nop
	s_delay_alu instid0(TRANS32_DEP_1) | instskip(NEXT) | instid1(VALU_DEP_1)
	v_fma_f32 v14, -v9, v13, 1.0
	v_fmac_f32_e32 v13, v14, v13
	v_div_scale_f32 v14, vcc_lo, v6, v0, v6
	s_delay_alu instid0(VALU_DEP_1) | instskip(NEXT) | instid1(VALU_DEP_1)
	v_mul_f32_e32 v15, v14, v13
	v_fma_f32 v16, -v9, v15, v14
	s_delay_alu instid0(VALU_DEP_1) | instskip(NEXT) | instid1(VALU_DEP_1)
	v_fmac_f32_e32 v15, v16, v13
	v_fma_f32 v9, -v9, v15, v14
	s_delay_alu instid0(VALU_DEP_1) | instskip(NEXT) | instid1(VALU_DEP_1)
	v_div_fmas_f32 v9, v9, v13, v15
	v_div_fixup_f32 v6, v9, v0, v6
	s_delay_alu instid0(VALU_DEP_1)
	v_cvt_f16_f32_e32 v6, v6
.LBB17_12:
	s_or_b32 exec_lo, exec_lo, s2
	v_cvt_f32_f16_e32 v9, v7
	s_mov_b32 s2, exec_lo
	s_delay_alu instid0(VALU_DEP_1) | instskip(NEXT) | instid1(VALU_DEP_1)
	v_dual_mov_b32 v13, v7 :: v_dual_mul_f32 v9, v0, v9
	v_cmpx_ngt_f32_e32 v9, v1
	s_cbranch_execz .LBB17_14
; %bb.13:
	v_mul_f32_e32 v13, 0x3fb8aa3b, v9
	v_cmp_ngt_f32_e32 vcc_lo, 0xc2ce8ed0, v9
	s_mov_b32 s3, 0x3e9b6dac
	s_delay_alu instid0(VALU_DEP_2) | instskip(SKIP_1) | instid1(VALU_DEP_2)
	v_rndne_f32_e32 v14, v13
	v_fma_f32 v15, 0x3fb8aa3b, v9, -v13
	v_sub_f32_e32 v13, v13, v14
	s_delay_alu instid0(VALU_DEP_2) | instskip(SKIP_1) | instid1(VALU_DEP_2)
	v_fmamk_f32 v15, v9, 0x32a5705f, v15
	v_cvt_i32_f32_e32 v14, v14
	v_add_f32_e32 v13, v13, v15
	s_delay_alu instid0(VALU_DEP_1) | instskip(SKIP_1) | instid1(TRANS32_DEP_1)
	v_exp_f32_e32 v13, v13
	v_nop
	v_ldexp_f32 v13, v13, v14
	s_delay_alu instid0(VALU_DEP_1) | instskip(SKIP_1) | instid1(VALU_DEP_2)
	v_cndmask_b32_e32 v13, 0, v13, vcc_lo
	v_cmp_nlt_f32_e32 vcc_lo, 0x42b17218, v9
	v_cndmask_b32_e32 v13, 0x7f800000, v13, vcc_lo
	s_delay_alu instid0(VALU_DEP_1) | instskip(NEXT) | instid1(VALU_DEP_1)
	v_add_f32_e32 v9, 1.0, v13
	v_cvt_f64_f32_e32 v[14:15], v9
	s_delay_alu instid0(VALU_DEP_1) | instskip(SKIP_1) | instid1(VALU_DEP_1)
	v_frexp_exp_i32_f64_e32 v14, v[14:15]
	v_frexp_mant_f32_e32 v15, v9
	v_cmp_gt_f32_e32 vcc_lo, 0x3f2aaaab, v15
	s_delay_alu instid0(VALU_DEP_3) | instskip(NEXT) | instid1(VALU_DEP_1)
	v_subrev_co_ci_u32_e64 v20, null, 0, v14, vcc_lo
	v_dual_add_f32 v14, -1.0, v9 :: v_dual_sub_nc_u32 v15, 0, v20
	s_delay_alu instid0(VALU_DEP_1) | instskip(NEXT) | instid1(VALU_DEP_2)
	v_dual_sub_f32 v16, v14, v9 :: v_dual_sub_f32 v14, v13, v14
	v_ldexp_f32 v9, v9, v15
	s_delay_alu instid0(VALU_DEP_1) | instskip(NEXT) | instid1(VALU_DEP_1)
	v_dual_add_f32 v16, 1.0, v16 :: v_dual_add_f32 v17, 1.0, v9
	v_dual_add_f32 v19, -1.0, v9 :: v_dual_add_f32 v14, v14, v16
	s_delay_alu instid0(VALU_DEP_1) | instskip(NEXT) | instid1(VALU_DEP_3)
	v_ldexp_f32 v14, v14, v15
	v_add_f32_e32 v16, -1.0, v17
	s_delay_alu instid0(VALU_DEP_1) | instskip(SKIP_1) | instid1(VALU_DEP_2)
	v_dual_sub_f32 v15, v9, v16 :: v_dual_add_f32 v16, 1.0, v19
	v_cmp_neq_f32_e32 vcc_lo, 0x7f800000, v13
	v_dual_sub_f32 v9, v9, v16 :: v_dual_add_f32 v18, v14, v15
	s_delay_alu instid0(VALU_DEP_1) | instskip(NEXT) | instid1(VALU_DEP_1)
	v_dual_add_f32 v9, v14, v9 :: v_dual_add_f32 v21, v17, v18
	v_add_f32_e32 v15, v19, v9
	s_delay_alu instid0(VALU_DEP_2) | instskip(SKIP_1) | instid1(TRANS32_DEP_1)
	v_rcp_f32_e32 v22, v21
	v_nop
	v_dual_sub_f32 v14, v17, v21 :: v_dual_mul_f32 v23, v15, v22
	s_delay_alu instid0(VALU_DEP_1) | instskip(SKIP_1) | instid1(VALU_DEP_2)
	v_dual_mul_f32 v16, v21, v23 :: v_dual_add_f32 v24, v18, v14
	v_sub_f32_e32 v25, v19, v15
	v_fma_f32 v18, v23, v21, -v16
	s_delay_alu instid0(VALU_DEP_1) | instskip(NEXT) | instid1(VALU_DEP_1)
	v_dual_add_f32 v9, v9, v25 :: v_dual_fmac_f32 v18, v23, v24
	v_add_f32_e32 v14, v16, v18
	s_delay_alu instid0(VALU_DEP_1) | instskip(NEXT) | instid1(VALU_DEP_1)
	v_dual_sub_f32 v17, v15, v14 :: v_dual_mov_b32 v19, v14
	v_pk_add_f32 v[14:15], v[14:15], v[16:17] neg_lo:[0,1] neg_hi:[0,1]
	s_delay_alu instid0(VALU_DEP_1) | instskip(NEXT) | instid1(VALU_DEP_1)
	v_pk_add_f32 v[14:15], v[14:15], v[18:19] neg_lo:[0,1] neg_hi:[0,1]
	v_add_f32_e32 v9, v9, v15
	s_delay_alu instid0(VALU_DEP_1) | instskip(NEXT) | instid1(VALU_DEP_1)
	v_add_f32_e32 v9, v14, v9
	v_add_f32_e32 v15, v17, v9
	s_delay_alu instid0(VALU_DEP_1) | instskip(NEXT) | instid1(VALU_DEP_1)
	v_mul_f32_e32 v25, v22, v15
	v_mul_f32_e32 v18, v21, v25
	s_delay_alu instid0(VALU_DEP_1) | instskip(NEXT) | instid1(VALU_DEP_1)
	v_fma_f32 v16, v25, v21, -v18
	v_fmac_f32_e32 v16, v25, v24
	s_delay_alu instid0(VALU_DEP_1) | instskip(NEXT) | instid1(VALU_DEP_1)
	v_dual_add_f32 v14, v18, v16 :: v_dual_sub_f32 v21, v17, v15
	v_dual_sub_f32 v19, v15, v14 :: v_dual_mov_b32 v17, v14
	s_delay_alu instid0(VALU_DEP_1) | instskip(SKIP_1) | instid1(VALU_DEP_4)
	v_pk_add_f32 v[14:15], v[14:15], v[18:19] neg_lo:[0,1] neg_hi:[0,1]
	v_add_f32_e32 v18, v23, v25
	v_add_f32_e32 v9, v9, v21
	s_delay_alu instid0(VALU_DEP_3) | instskip(SKIP_1) | instid1(VALU_DEP_2)
	v_pk_add_f32 v[14:15], v[14:15], v[16:17] neg_lo:[0,1] neg_hi:[0,1]
	v_cvt_f32_i32_e32 v16, v20
	v_add_f32_e32 v9, v9, v15
	s_delay_alu instid0(VALU_DEP_1) | instskip(SKIP_1) | instid1(VALU_DEP_1)
	v_add_f32_e32 v9, v14, v9
	v_sub_f32_e32 v14, v18, v23
	v_dual_sub_f32 v14, v25, v14 :: v_dual_add_f32 v9, v19, v9
	s_delay_alu instid0(VALU_DEP_1) | instskip(NEXT) | instid1(VALU_DEP_1)
	v_mul_f32_e32 v9, v22, v9
	v_dual_add_f32 v9, v14, v9 :: v_dual_mov_b32 v14, 0x3f317218
	s_delay_alu instid0(VALU_DEP_1) | instskip(NEXT) | instid1(VALU_DEP_1)
	v_add_f32_e32 v19, v18, v9
	v_mul_f32_e32 v15, v19, v19
	s_delay_alu instid0(VALU_DEP_1) | instskip(SKIP_1) | instid1(VALU_DEP_2)
	v_fmaak_f32 v21, s3, v15, 0x3ecc95a3
	v_mul_f32_e32 v17, v19, v15
	v_fmaak_f32 v15, v15, v21, 0x3f2aaada
	s_delay_alu instid0(VALU_DEP_1) | instskip(NEXT) | instid1(VALU_DEP_1)
	v_pk_mul_f32 v[14:15], v[16:17], v[14:15]
	v_fma_f32 v20, 0x3f317218, v16, -v14
	s_delay_alu instid0(VALU_DEP_1) | instskip(SKIP_1) | instid1(VALU_DEP_1)
	v_fmamk_f32 v16, v16, 0xb102e308, v20
	v_sub_f32_e32 v20, v19, v18
	v_sub_f32_e32 v9, v9, v20
	v_ldexp_f32 v17, v19, 1
	v_mov_b32_e32 v20, v14
	s_delay_alu instid0(VALU_DEP_3) | instskip(NEXT) | instid1(VALU_DEP_3)
	v_ldexp_f32 v9, v9, 1
	v_pk_add_f32 v[18:19], v[14:15], v[16:17]
	s_delay_alu instid0(VALU_DEP_1) | instskip(NEXT) | instid1(VALU_DEP_1)
	v_dual_sub_f32 v17, v19, v17 :: v_dual_mov_b32 v28, v19
	v_sub_f32_e32 v17, v15, v17
	s_delay_alu instid0(VALU_DEP_3) | instskip(NEXT) | instid1(VALU_DEP_2)
	v_pk_add_f32 v[14:15], v[18:19], v[14:15] neg_lo:[0,1] neg_hi:[0,1]
	v_dual_add_f32 v21, v9, v17 :: v_dual_mov_b32 v17, v18
	s_delay_alu instid0(VALU_DEP_1) | instskip(NEXT) | instid1(VALU_DEP_1)
	v_pk_add_f32 v[22:23], v[18:19], v[20:21]
	v_mov_b32_e32 v15, v23
	s_delay_alu instid0(VALU_DEP_1) | instskip(SKIP_2) | instid1(VALU_DEP_3)
	v_pk_add_f32 v[24:25], v[16:17], v[14:15]
	v_mov_b32_e32 v24, v23
	v_pk_add_f32 v[14:15], v[16:17], v[14:15] neg_lo:[0,1] neg_hi:[0,1]
	v_dual_mov_b32 v20, v25 :: v_dual_mov_b32 v15, v25
	s_delay_alu instid0(VALU_DEP_1) | instskip(SKIP_1) | instid1(VALU_DEP_2)
	v_pk_add_f32 v[26:27], v[20:21], v[18:19] neg_lo:[0,1] neg_hi:[0,1]
	v_dual_mov_b32 v19, v18 :: v_dual_mov_b32 v18, v21
	v_dual_mov_b32 v9, v26 :: v_dual_mov_b32 v29, v26
	s_delay_alu instid0(VALU_DEP_1) | instskip(NEXT) | instid1(VALU_DEP_2)
	v_pk_add_f32 v[22:23], v[22:23], v[8:9] neg_lo:[0,1] neg_hi:[0,1]
	v_pk_add_f32 v[16:17], v[24:25], v[28:29] neg_lo:[0,1] neg_hi:[0,1]
	v_mov_b32_e32 v22, v14
	s_delay_alu instid0(VALU_DEP_2) | instskip(NEXT) | instid1(VALU_DEP_1)
	v_pk_add_f32 v[16:17], v[18:19], v[16:17] neg_lo:[0,1] neg_hi:[0,1]
	v_pk_add_f32 v[18:19], v[22:23], v[16:17]
	s_delay_alu instid0(VALU_DEP_1) | instskip(NEXT) | instid1(VALU_DEP_1)
	v_mov_b32_e32 v22, v19
	v_pk_add_f32 v[22:23], v[18:19], v[22:23]
	s_delay_alu instid0(VALU_DEP_1) | instskip(NEXT) | instid1(VALU_DEP_1)
	v_pk_add_f32 v[20:21], v[20:21], v[22:23]
	v_mov_b32_e32 v19, v20
	s_delay_alu instid0(VALU_DEP_1) | instskip(NEXT) | instid1(VALU_DEP_1)
	v_pk_add_f32 v[24:25], v[18:19], v[14:15] neg_lo:[0,1] neg_hi:[0,1]
	v_sub_f32_e32 v9, v18, v24
	s_delay_alu instid0(VALU_DEP_1) | instskip(SKIP_1) | instid1(VALU_DEP_1)
	v_sub_f32_e32 v9, v14, v9
	v_mov_b32_e32 v17, v22
	v_pk_add_f32 v[16:17], v[16:17], v[24:25] neg_lo:[0,1] neg_hi:[0,1]
	s_delay_alu instid0(VALU_DEP_1) | instskip(NEXT) | instid1(VALU_DEP_1)
	v_add_f32_e32 v9, v16, v9
	v_add_f32_e32 v9, v9, v17
	s_delay_alu instid0(VALU_DEP_1) | instskip(NEXT) | instid1(VALU_DEP_1)
	v_add_f32_e32 v9, v20, v9
	v_cndmask_b32_e32 v9, 0x7f800000, v9, vcc_lo
	v_cmp_gt_f32_e64 vcc_lo, 0x33800000, |v13|
	s_delay_alu instid0(VALU_DEP_2) | instskip(NEXT) | instid1(VALU_DEP_1)
	v_cndmask_b32_e32 v9, v9, v13, vcc_lo
	v_div_scale_f32 v13, null, v0, v0, v9
	s_delay_alu instid0(VALU_DEP_1) | instskip(SKIP_1) | instid1(TRANS32_DEP_1)
	v_rcp_f32_e32 v14, v13
	v_nop
	v_fma_f32 v15, -v13, v14, 1.0
	s_delay_alu instid0(VALU_DEP_1) | instskip(SKIP_1) | instid1(VALU_DEP_1)
	v_fmac_f32_e32 v14, v15, v14
	v_div_scale_f32 v15, vcc_lo, v9, v0, v9
	v_mul_f32_e32 v16, v15, v14
	s_delay_alu instid0(VALU_DEP_1) | instskip(NEXT) | instid1(VALU_DEP_1)
	v_fma_f32 v17, -v13, v16, v15
	v_fmac_f32_e32 v16, v17, v14
	s_delay_alu instid0(VALU_DEP_1) | instskip(NEXT) | instid1(VALU_DEP_1)
	v_fma_f32 v13, -v13, v16, v15
	v_div_fmas_f32 v13, v13, v14, v16
	s_delay_alu instid0(VALU_DEP_1) | instskip(NEXT) | instid1(VALU_DEP_1)
	v_div_fixup_f32 v9, v13, v0, v9
	v_cvt_f16_f32_e32 v13, v9
.LBB17_14:
	s_or_b32 exec_lo, exec_lo, s2
	v_lshrrev_b32_e32 v14, 16, v7
	s_mov_b32 s2, exec_lo
	s_delay_alu instid0(VALU_DEP_1) | instskip(NEXT) | instid1(VALU_DEP_1)
	v_cvt_f32_f16_e32 v7, v14
	v_mul_f32_e32 v7, v0, v7
	s_delay_alu instid0(VALU_DEP_1)
	v_cmpx_ngt_f32_e32 v7, v1
	s_cbranch_execz .LBB17_16
; %bb.15:
	v_mul_f32_e32 v1, 0x3fb8aa3b, v7
	v_cmp_ngt_f32_e32 vcc_lo, 0xc2ce8ed0, v7
	s_mov_b32 s3, 0x3e9b6dac
	s_delay_alu instid0(VALU_DEP_2) | instskip(SKIP_1) | instid1(VALU_DEP_1)
	v_rndne_f32_e32 v9, v1
	v_fma_f32 v14, 0x3fb8aa3b, v7, -v1
	v_dual_sub_f32 v1, v1, v9 :: v_dual_fmamk_f32 v14, v7, 0x32a5705f, v14
	v_cvt_i32_f32_e32 v9, v9
	s_delay_alu instid0(VALU_DEP_2) | instskip(NEXT) | instid1(VALU_DEP_1)
	v_add_f32_e32 v1, v1, v14
	v_exp_f32_e32 v1, v1
	v_nop
	s_delay_alu instid0(TRANS32_DEP_1) | instskip(NEXT) | instid1(VALU_DEP_1)
	v_ldexp_f32 v1, v1, v9
	v_cndmask_b32_e32 v1, 0, v1, vcc_lo
	v_cmp_nlt_f32_e32 vcc_lo, 0x42b17218, v7
	s_delay_alu instid0(VALU_DEP_2) | instskip(NEXT) | instid1(VALU_DEP_1)
	v_cndmask_b32_e32 v7, 0x7f800000, v1, vcc_lo
	v_add_f32_e32 v1, 1.0, v7
	s_delay_alu instid0(VALU_DEP_1) | instskip(NEXT) | instid1(VALU_DEP_1)
	v_cvt_f64_f32_e32 v[14:15], v1
	v_frexp_exp_i32_f64_e32 v9, v[14:15]
	v_frexp_mant_f32_e32 v14, v1
	s_delay_alu instid0(VALU_DEP_1) | instskip(SKIP_1) | instid1(VALU_DEP_1)
	v_cmp_gt_f32_e32 vcc_lo, 0x3f2aaaab, v14
	v_add_f32_e32 v14, -1.0, v1
	v_dual_sub_f32 v16, v14, v1 :: v_dual_sub_f32 v14, v7, v14
	s_delay_alu instid0(VALU_DEP_1) | instskip(NEXT) | instid1(VALU_DEP_1)
	v_add_f32_e32 v16, 1.0, v16
	v_add_f32_e32 v14, v14, v16
	v_subrev_co_ci_u32_e64 v9, null, 0, v9, vcc_lo
	v_cmp_neq_f32_e32 vcc_lo, 0x7f800000, v7
	s_delay_alu instid0(VALU_DEP_2) | instskip(NEXT) | instid1(VALU_DEP_1)
	v_sub_nc_u32_e32 v15, 0, v9
	v_ldexp_f32 v1, v1, v15
	v_ldexp_f32 v14, v14, v15
	s_delay_alu instid0(VALU_DEP_2) | instskip(NEXT) | instid1(VALU_DEP_1)
	v_add_f32_e32 v17, 1.0, v1
	v_add_f32_e32 v16, -1.0, v17
	s_delay_alu instid0(VALU_DEP_1) | instskip(NEXT) | instid1(VALU_DEP_1)
	v_dual_add_f32 v19, -1.0, v1 :: v_dual_sub_f32 v15, v1, v16
	v_add_f32_e32 v18, v14, v15
	s_delay_alu instid0(VALU_DEP_1) | instskip(NEXT) | instid1(VALU_DEP_1)
	v_dual_add_f32 v16, 1.0, v19 :: v_dual_add_f32 v20, v17, v18
	v_rcp_f32_e32 v21, v20
	s_delay_alu instid0(VALU_DEP_1) | instskip(NEXT) | instid1(VALU_DEP_1)
	v_sub_f32_e32 v1, v1, v16
	v_dual_add_f32 v1, v14, v1 :: v_dual_sub_f32 v14, v17, v20
	s_delay_alu instid0(VALU_DEP_1)
	v_add_f32_e32 v15, v19, v1
	s_delay_alu instid0(TRANS32_DEP_1) | instid1(VALU_DEP_1)
	v_mul_f32_e32 v22, v15, v21
	s_delay_alu instid0(VALU_DEP_1) | instskip(NEXT) | instid1(VALU_DEP_4)
	v_mul_f32_e32 v16, v20, v22
	v_dual_add_f32 v23, v18, v14 :: v_dual_sub_f32 v24, v19, v15
	s_delay_alu instid0(VALU_DEP_2) | instskip(NEXT) | instid1(VALU_DEP_1)
	v_fma_f32 v18, v22, v20, -v16
	v_dual_add_f32 v1, v1, v24 :: v_dual_fmac_f32 v18, v22, v23
	s_delay_alu instid0(VALU_DEP_1) | instskip(NEXT) | instid1(VALU_DEP_1)
	v_add_f32_e32 v14, v16, v18
	v_dual_sub_f32 v17, v15, v14 :: v_dual_mov_b32 v19, v14
	s_delay_alu instid0(VALU_DEP_1) | instskip(NEXT) | instid1(VALU_DEP_1)
	v_pk_add_f32 v[14:15], v[14:15], v[16:17] neg_lo:[0,1] neg_hi:[0,1]
	v_pk_add_f32 v[14:15], v[14:15], v[18:19] neg_lo:[0,1] neg_hi:[0,1]
	s_delay_alu instid0(VALU_DEP_1) | instskip(NEXT) | instid1(VALU_DEP_1)
	v_add_f32_e32 v1, v1, v15
	v_add_f32_e32 v1, v14, v1
	s_delay_alu instid0(VALU_DEP_1) | instskip(NEXT) | instid1(VALU_DEP_1)
	v_add_f32_e32 v15, v17, v1
	v_mul_f32_e32 v24, v21, v15
	s_delay_alu instid0(VALU_DEP_1) | instskip(NEXT) | instid1(VALU_DEP_1)
	v_mul_f32_e32 v18, v20, v24
	v_dual_fma_f32 v16, v24, v20, -v18 :: v_dual_sub_f32 v20, v17, v15
	s_delay_alu instid0(VALU_DEP_1) | instskip(NEXT) | instid1(VALU_DEP_1)
	v_fmac_f32_e32 v16, v24, v23
	v_add_f32_e32 v14, v18, v16
	s_delay_alu instid0(VALU_DEP_1) | instskip(NEXT) | instid1(VALU_DEP_1)
	v_dual_sub_f32 v19, v15, v14 :: v_dual_mov_b32 v17, v14
	v_pk_add_f32 v[14:15], v[14:15], v[18:19] neg_lo:[0,1] neg_hi:[0,1]
	v_add_f32_e32 v18, v22, v24
	v_add_f32_e32 v1, v1, v20
	s_delay_alu instid0(VALU_DEP_3) | instskip(SKIP_1) | instid1(VALU_DEP_2)
	v_pk_add_f32 v[14:15], v[14:15], v[16:17] neg_lo:[0,1] neg_hi:[0,1]
	v_cvt_f32_i32_e32 v16, v9
	v_add_f32_e32 v1, v1, v15
	s_delay_alu instid0(VALU_DEP_1) | instskip(NEXT) | instid1(VALU_DEP_1)
	v_add_f32_e32 v1, v14, v1
	v_dual_sub_f32 v14, v18, v22 :: v_dual_add_f32 v1, v19, v1
	s_delay_alu instid0(VALU_DEP_1) | instskip(NEXT) | instid1(VALU_DEP_1)
	v_dual_sub_f32 v14, v24, v14 :: v_dual_mul_f32 v1, v21, v1
	v_dual_add_f32 v1, v14, v1 :: v_dual_mov_b32 v14, 0x3f317218
	s_delay_alu instid0(VALU_DEP_1) | instskip(NEXT) | instid1(VALU_DEP_1)
	v_add_f32_e32 v19, v18, v1
	v_mul_f32_e32 v15, v19, v19
	s_delay_alu instid0(VALU_DEP_1) | instskip(NEXT) | instid1(VALU_DEP_1)
	v_dual_fmaak_f32 v20, s3, v15, 0x3ecc95a3 :: v_dual_mul_f32 v17, v19, v15
	v_fmaak_f32 v15, v15, v20, 0x3f2aaada
	s_delay_alu instid0(VALU_DEP_1) | instskip(NEXT) | instid1(VALU_DEP_1)
	v_pk_mul_f32 v[14:15], v[16:17], v[14:15]
	v_fma_f32 v9, 0x3f317218, v16, -v14
	v_mov_b32_e32 v20, v14
	s_delay_alu instid0(VALU_DEP_2) | instskip(SKIP_2) | instid1(VALU_DEP_2)
	v_fmamk_f32 v16, v16, 0xb102e308, v9
	v_ldexp_f32 v17, v19, 1
	v_sub_f32_e32 v9, v19, v18
	v_pk_add_f32 v[18:19], v[14:15], v[16:17]
	s_delay_alu instid0(VALU_DEP_2) | instskip(NEXT) | instid1(VALU_DEP_2)
	v_sub_f32_e32 v1, v1, v9
	v_dual_sub_f32 v9, v19, v17 :: v_dual_mov_b32 v17, v18
	s_delay_alu instid0(VALU_DEP_1) | instskip(NEXT) | instid1(VALU_DEP_3)
	v_sub_f32_e32 v9, v15, v9
	v_ldexp_f32 v1, v1, 1
	v_pk_add_f32 v[14:15], v[18:19], v[14:15] neg_lo:[0,1] neg_hi:[0,1]
	s_delay_alu instid0(VALU_DEP_2) | instskip(NEXT) | instid1(VALU_DEP_1)
	v_add_f32_e32 v21, v1, v9
	v_pk_add_f32 v[22:23], v[18:19], v[20:21]
	s_delay_alu instid0(VALU_DEP_1) | instskip(NEXT) | instid1(VALU_DEP_1)
	v_dual_mov_b32 v28, v19 :: v_dual_mov_b32 v15, v23
	v_pk_add_f32 v[24:25], v[16:17], v[14:15]
	v_mov_b32_e32 v24, v23
	v_pk_add_f32 v[14:15], v[16:17], v[14:15] neg_lo:[0,1] neg_hi:[0,1]
	s_delay_alu instid0(VALU_DEP_3) | instskip(NEXT) | instid1(VALU_DEP_1)
	v_dual_mov_b32 v20, v25 :: v_dual_mov_b32 v15, v25
	v_pk_add_f32 v[26:27], v[20:21], v[18:19] neg_lo:[0,1] neg_hi:[0,1]
	v_dual_mov_b32 v19, v18 :: v_dual_mov_b32 v18, v21
	s_delay_alu instid0(VALU_DEP_2) | instskip(NEXT) | instid1(VALU_DEP_1)
	v_dual_mov_b32 v1, v26 :: v_dual_mov_b32 v29, v26
	v_pk_add_f32 v[22:23], v[22:23], v[0:1] neg_lo:[0,1] neg_hi:[0,1]
	s_delay_alu instid0(VALU_DEP_2) | instskip(SKIP_1) | instid1(VALU_DEP_2)
	v_pk_add_f32 v[16:17], v[24:25], v[28:29] neg_lo:[0,1] neg_hi:[0,1]
	v_mov_b32_e32 v22, v14
	v_pk_add_f32 v[16:17], v[18:19], v[16:17] neg_lo:[0,1] neg_hi:[0,1]
	s_delay_alu instid0(VALU_DEP_1) | instskip(NEXT) | instid1(VALU_DEP_1)
	v_pk_add_f32 v[18:19], v[22:23], v[16:17]
	v_mov_b32_e32 v22, v19
	s_delay_alu instid0(VALU_DEP_1) | instskip(NEXT) | instid1(VALU_DEP_1)
	v_pk_add_f32 v[22:23], v[18:19], v[22:23]
	v_pk_add_f32 v[20:21], v[20:21], v[22:23]
	s_delay_alu instid0(VALU_DEP_1) | instskip(NEXT) | instid1(VALU_DEP_1)
	v_mov_b32_e32 v19, v20
	v_pk_add_f32 v[24:25], v[18:19], v[14:15] neg_lo:[0,1] neg_hi:[0,1]
	s_delay_alu instid0(VALU_DEP_1) | instskip(NEXT) | instid1(VALU_DEP_1)
	v_sub_f32_e32 v1, v18, v24
	v_sub_f32_e32 v1, v14, v1
	v_mov_b32_e32 v17, v22
	s_delay_alu instid0(VALU_DEP_1) | instskip(NEXT) | instid1(VALU_DEP_1)
	v_pk_add_f32 v[16:17], v[16:17], v[24:25] neg_lo:[0,1] neg_hi:[0,1]
	v_add_f32_e32 v1, v16, v1
	s_delay_alu instid0(VALU_DEP_1) | instskip(NEXT) | instid1(VALU_DEP_1)
	v_add_f32_e32 v1, v1, v17
	v_add_f32_e32 v1, v20, v1
	s_delay_alu instid0(VALU_DEP_1) | instskip(SKIP_1) | instid1(VALU_DEP_2)
	v_cndmask_b32_e32 v1, 0x7f800000, v1, vcc_lo
	v_cmp_gt_f32_e64 vcc_lo, 0x33800000, |v7|
	v_cndmask_b32_e32 v1, v1, v7, vcc_lo
	s_delay_alu instid0(VALU_DEP_1) | instskip(NEXT) | instid1(VALU_DEP_1)
	v_div_scale_f32 v7, null, v0, v0, v1
	v_rcp_f32_e32 v9, v7
	v_nop
	s_delay_alu instid0(TRANS32_DEP_1) | instskip(NEXT) | instid1(VALU_DEP_1)
	v_fma_f32 v14, -v7, v9, 1.0
	v_fmac_f32_e32 v9, v14, v9
	v_div_scale_f32 v14, vcc_lo, v1, v0, v1
	s_delay_alu instid0(VALU_DEP_1) | instskip(NEXT) | instid1(VALU_DEP_1)
	v_mul_f32_e32 v15, v14, v9
	v_fma_f32 v16, -v7, v15, v14
	s_delay_alu instid0(VALU_DEP_1) | instskip(NEXT) | instid1(VALU_DEP_1)
	v_fmac_f32_e32 v15, v16, v9
	v_fma_f32 v7, -v7, v15, v14
	s_delay_alu instid0(VALU_DEP_1) | instskip(NEXT) | instid1(VALU_DEP_1)
	v_div_fmas_f32 v7, v7, v9, v15
	v_div_fixup_f32 v0, v7, v0, v1
	s_delay_alu instid0(VALU_DEP_1)
	v_cvt_f16_f32_e32 v14, v0
.LBB17_16:
	s_or_b32 exec_lo, exec_lo, s2
	v_lshl_add_u64 v[0:1], s[0:1], 1, v[2:3]
	v_mov_b32_e32 v9, 0
	s_delay_alu instid0(VALU_DEP_3) | instskip(SKIP_1) | instid1(VALU_DEP_3)
	v_perm_b32 v3, v14, v13, 0x5040100
	v_perm_b32 v2, v6, v12, 0x5040100
	v_add_nc_u64_e32 v[8:9], v[0:1], v[8:9]
	v_perm_b32 v1, v5, v11, 0x5040100
	v_perm_b32 v0, v4, v10, 0x5040100
	flat_store_b128 v[8:9], v[0:3]
	s_wait_dscnt 0x0
	s_set_pc_i64 s[30:31]
.Lfunc_end17:
	.size	_ZN2at6native25elementwise_kernel_helperILb0EZZZNS0_12_GLOBAL__N_115softplus_kernelERNS_18TensorIteratorBaseERKN3c106ScalarES8_ENKUlvE_clEvENKUlvE1_clEvEUlNS5_4HalfEE_NS0_6memory8policies10vectorizedILi8ESt5arrayIPcLm2EELi8EEEEEvT0_T1_, .Lfunc_end17-_ZN2at6native25elementwise_kernel_helperILb0EZZZNS0_12_GLOBAL__N_115softplus_kernelERNS_18TensorIteratorBaseERKN3c106ScalarES8_ENKUlvE_clEvENKUlvE1_clEvEUlNS5_4HalfEE_NS0_6memory8policies10vectorizedILi8ESt5arrayIPcLm2EELi8EEEEEvT0_T1_
                                        ; -- End function
	.set .L_ZN2at6native25elementwise_kernel_helperILb0EZZZNS0_12_GLOBAL__N_115softplus_kernelERNS_18TensorIteratorBaseERKN3c106ScalarES8_ENKUlvE_clEvENKUlvE1_clEvEUlNS5_4HalfEE_NS0_6memory8policies10vectorizedILi8ESt5arrayIPcLm2EELi8EEEEEvT0_T1_.num_vgpr, 32
	.set .L_ZN2at6native25elementwise_kernel_helperILb0EZZZNS0_12_GLOBAL__N_115softplus_kernelERNS_18TensorIteratorBaseERKN3c106ScalarES8_ENKUlvE_clEvENKUlvE1_clEvEUlNS5_4HalfEE_NS0_6memory8policies10vectorizedILi8ESt5arrayIPcLm2EELi8EEEEEvT0_T1_.num_agpr, 0
	.set .L_ZN2at6native25elementwise_kernel_helperILb0EZZZNS0_12_GLOBAL__N_115softplus_kernelERNS_18TensorIteratorBaseERKN3c106ScalarES8_ENKUlvE_clEvENKUlvE1_clEvEUlNS5_4HalfEE_NS0_6memory8policies10vectorizedILi8ESt5arrayIPcLm2EELi8EEEEEvT0_T1_.numbered_sgpr, 32
	.set .L_ZN2at6native25elementwise_kernel_helperILb0EZZZNS0_12_GLOBAL__N_115softplus_kernelERNS_18TensorIteratorBaseERKN3c106ScalarES8_ENKUlvE_clEvENKUlvE1_clEvEUlNS5_4HalfEE_NS0_6memory8policies10vectorizedILi8ESt5arrayIPcLm2EELi8EEEEEvT0_T1_.num_named_barrier, 0
	.set .L_ZN2at6native25elementwise_kernel_helperILb0EZZZNS0_12_GLOBAL__N_115softplus_kernelERNS_18TensorIteratorBaseERKN3c106ScalarES8_ENKUlvE_clEvENKUlvE1_clEvEUlNS5_4HalfEE_NS0_6memory8policies10vectorizedILi8ESt5arrayIPcLm2EELi8EEEEEvT0_T1_.private_seg_size, 0
	.set .L_ZN2at6native25elementwise_kernel_helperILb0EZZZNS0_12_GLOBAL__N_115softplus_kernelERNS_18TensorIteratorBaseERKN3c106ScalarES8_ENKUlvE_clEvENKUlvE1_clEvEUlNS5_4HalfEE_NS0_6memory8policies10vectorizedILi8ESt5arrayIPcLm2EELi8EEEEEvT0_T1_.uses_vcc, 1
	.set .L_ZN2at6native25elementwise_kernel_helperILb0EZZZNS0_12_GLOBAL__N_115softplus_kernelERNS_18TensorIteratorBaseERKN3c106ScalarES8_ENKUlvE_clEvENKUlvE1_clEvEUlNS5_4HalfEE_NS0_6memory8policies10vectorizedILi8ESt5arrayIPcLm2EELi8EEEEEvT0_T1_.uses_flat_scratch, 0
	.set .L_ZN2at6native25elementwise_kernel_helperILb0EZZZNS0_12_GLOBAL__N_115softplus_kernelERNS_18TensorIteratorBaseERKN3c106ScalarES8_ENKUlvE_clEvENKUlvE1_clEvEUlNS5_4HalfEE_NS0_6memory8policies10vectorizedILi8ESt5arrayIPcLm2EELi8EEEEEvT0_T1_.has_dyn_sized_stack, 0
	.set .L_ZN2at6native25elementwise_kernel_helperILb0EZZZNS0_12_GLOBAL__N_115softplus_kernelERNS_18TensorIteratorBaseERKN3c106ScalarES8_ENKUlvE_clEvENKUlvE1_clEvEUlNS5_4HalfEE_NS0_6memory8policies10vectorizedILi8ESt5arrayIPcLm2EELi8EEEEEvT0_T1_.has_recursion, 0
	.set .L_ZN2at6native25elementwise_kernel_helperILb0EZZZNS0_12_GLOBAL__N_115softplus_kernelERNS_18TensorIteratorBaseERKN3c106ScalarES8_ENKUlvE_clEvENKUlvE1_clEvEUlNS5_4HalfEE_NS0_6memory8policies10vectorizedILi8ESt5arrayIPcLm2EELi8EEEEEvT0_T1_.has_indirect_call, 0
	.section	.AMDGPU.csdata,"",@progbits
; Function info:
; codeLenInByte = 8572
; TotalNumSgprs: 34
; NumVgprs: 32
; ScratchSize: 0
; MemoryBound: 0
	.section	.text._ZN2at6native29vectorized_elementwise_kernelILi16EZZZNS0_12_GLOBAL__N_115softplus_kernelERNS_18TensorIteratorBaseERKN3c106ScalarES8_ENKUlvE_clEvENKUlvE1_clEvEUlNS5_4HalfEE_St5arrayIPcLm2EEEEviT0_T1_,"axG",@progbits,_ZN2at6native29vectorized_elementwise_kernelILi16EZZZNS0_12_GLOBAL__N_115softplus_kernelERNS_18TensorIteratorBaseERKN3c106ScalarES8_ENKUlvE_clEvENKUlvE1_clEvEUlNS5_4HalfEE_St5arrayIPcLm2EEEEviT0_T1_,comdat
	.globl	_ZN2at6native29vectorized_elementwise_kernelILi16EZZZNS0_12_GLOBAL__N_115softplus_kernelERNS_18TensorIteratorBaseERKN3c106ScalarES8_ENKUlvE_clEvENKUlvE1_clEvEUlNS5_4HalfEE_St5arrayIPcLm2EEEEviT0_T1_ ; -- Begin function _ZN2at6native29vectorized_elementwise_kernelILi16EZZZNS0_12_GLOBAL__N_115softplus_kernelERNS_18TensorIteratorBaseERKN3c106ScalarES8_ENKUlvE_clEvENKUlvE1_clEvEUlNS5_4HalfEE_St5arrayIPcLm2EEEEviT0_T1_
	.p2align	8
	.type	_ZN2at6native29vectorized_elementwise_kernelILi16EZZZNS0_12_GLOBAL__N_115softplus_kernelERNS_18TensorIteratorBaseERKN3c106ScalarES8_ENKUlvE_clEvENKUlvE1_clEvEUlNS5_4HalfEE_St5arrayIPcLm2EEEEviT0_T1_,@function
_ZN2at6native29vectorized_elementwise_kernelILi16EZZZNS0_12_GLOBAL__N_115softplus_kernelERNS_18TensorIteratorBaseERKN3c106ScalarES8_ENKUlvE_clEvENKUlvE1_clEvEUlNS5_4HalfEE_St5arrayIPcLm2EEEEviT0_T1_: ; @_ZN2at6native29vectorized_elementwise_kernelILi16EZZZNS0_12_GLOBAL__N_115softplus_kernelERNS_18TensorIteratorBaseERKN3c106ScalarES8_ENKUlvE_clEvENKUlvE1_clEvEUlNS5_4HalfEE_St5arrayIPcLm2EEEEviT0_T1_
; %bb.0:
	s_clause 0x1
	s_load_b96 s[8:10], s[0:1], 0x0
	s_load_b128 s[4:7], s[0:1], 0x10
	s_wait_xcnt 0x0
	s_bfe_u32 s0, ttmp6, 0x4000c
	s_and_b32 s1, ttmp6, 15
	s_add_co_i32 s0, s0, 1
	s_getreg_b32 s2, hwreg(HW_REG_IB_STS2, 6, 4)
	s_mul_i32 s0, ttmp9, s0
	v_mov_b32_e32 v31, v0
	s_add_co_i32 s1, s1, s0
	s_cmp_eq_u32 s2, 0
	s_mov_b32 s32, 0
	s_cselect_b32 s0, ttmp9, s1
	s_delay_alu instid0(SALU_CYCLE_1)
	s_lshl_b32 s0, s0, 11
	s_wait_kmcnt 0x0
	s_sub_co_i32 s8, s8, s0
	s_mov_b32 s0, -1
	s_cmp_gt_i32 s8, 0x7ff
	s_cbranch_scc1 .LBB18_3
; %bb.1:
	s_and_not1_b32 vcc_lo, exec_lo, s0
	s_cbranch_vccz .LBB18_4
.LBB18_2:
	s_endpgm
.LBB18_3:
	v_dual_mov_b32 v0, s9 :: v_dual_mov_b32 v1, s10
	v_dual_mov_b32 v2, s4 :: v_dual_mov_b32 v3, s5
	;; [unrolled: 1-line block ×3, first 2 shown]
	s_get_pc_i64 s[0:1]
	s_add_nc_u64 s[0:1], s[0:1], _ZN2at6native25elementwise_kernel_helperILb0EZZZNS0_12_GLOBAL__N_115softplus_kernelERNS_18TensorIteratorBaseERKN3c106ScalarES8_ENKUlvE_clEvENKUlvE1_clEvEUlNS5_4HalfEE_NS0_6memory8policies10vectorizedILi8ESt5arrayIPcLm2EELi8EEEEEvT0_T1_@rel64+4
	s_delay_alu instid0(SALU_CYCLE_1)
	s_swap_pc_i64 s[30:31], s[0:1]
	s_cbranch_execnz .LBB18_2
.LBB18_4:
	v_dual_mov_b32 v0, s9 :: v_dual_mov_b32 v1, s10
	v_dual_mov_b32 v2, s4 :: v_dual_mov_b32 v3, s5
	;; [unrolled: 1-line block ×3, first 2 shown]
	v_mov_b32_e32 v6, s8
	s_get_pc_i64 s[0:1]
	s_add_nc_u64 s[0:1], s[0:1], _ZN2at6native25elementwise_kernel_helperILb0EZZZNS0_12_GLOBAL__N_115softplus_kernelERNS_18TensorIteratorBaseERKN3c106ScalarES8_ENKUlvE_clEvENKUlvE1_clEvEUlNS5_4HalfEE_NS0_6memory8policies11unroll_baseILi256ESt5arrayIPcLm2EE23TrivialOffsetCalculatorILi1EjESK_NSD_15LoadWithoutCastENSD_16StoreWithoutCastELi8ELi1EEEEEvT0_T1_@rel64+4
	s_delay_alu instid0(SALU_CYCLE_1)
	s_swap_pc_i64 s[30:31], s[0:1]
	s_endpgm
	.section	.rodata,"a",@progbits
	.p2align	6, 0x0
	.amdhsa_kernel _ZN2at6native29vectorized_elementwise_kernelILi16EZZZNS0_12_GLOBAL__N_115softplus_kernelERNS_18TensorIteratorBaseERKN3c106ScalarES8_ENKUlvE_clEvENKUlvE1_clEvEUlNS5_4HalfEE_St5arrayIPcLm2EEEEviT0_T1_
		.amdhsa_group_segment_fixed_size 0
		.amdhsa_private_segment_fixed_size 0
		.amdhsa_kernarg_size 32
		.amdhsa_user_sgpr_count 2
		.amdhsa_user_sgpr_dispatch_ptr 0
		.amdhsa_user_sgpr_queue_ptr 0
		.amdhsa_user_sgpr_kernarg_segment_ptr 1
		.amdhsa_user_sgpr_dispatch_id 0
		.amdhsa_user_sgpr_kernarg_preload_length 0
		.amdhsa_user_sgpr_kernarg_preload_offset 0
		.amdhsa_user_sgpr_private_segment_size 0
		.amdhsa_wavefront_size32 1
		.amdhsa_uses_dynamic_stack 0
		.amdhsa_enable_private_segment 0
		.amdhsa_system_sgpr_workgroup_id_x 1
		.amdhsa_system_sgpr_workgroup_id_y 0
		.amdhsa_system_sgpr_workgroup_id_z 0
		.amdhsa_system_sgpr_workgroup_info 0
		.amdhsa_system_vgpr_workitem_id 0
		.amdhsa_next_free_vgpr 34
		.amdhsa_next_free_sgpr 33
		.amdhsa_named_barrier_count 0
		.amdhsa_reserve_vcc 1
		.amdhsa_float_round_mode_32 0
		.amdhsa_float_round_mode_16_64 0
		.amdhsa_float_denorm_mode_32 3
		.amdhsa_float_denorm_mode_16_64 3
		.amdhsa_fp16_overflow 0
		.amdhsa_memory_ordered 1
		.amdhsa_forward_progress 1
		.amdhsa_inst_pref_size 2
		.amdhsa_round_robin_scheduling 0
		.amdhsa_exception_fp_ieee_invalid_op 0
		.amdhsa_exception_fp_denorm_src 0
		.amdhsa_exception_fp_ieee_div_zero 0
		.amdhsa_exception_fp_ieee_overflow 0
		.amdhsa_exception_fp_ieee_underflow 0
		.amdhsa_exception_fp_ieee_inexact 0
		.amdhsa_exception_int_div_zero 0
	.end_amdhsa_kernel
	.section	.text._ZN2at6native29vectorized_elementwise_kernelILi16EZZZNS0_12_GLOBAL__N_115softplus_kernelERNS_18TensorIteratorBaseERKN3c106ScalarES8_ENKUlvE_clEvENKUlvE1_clEvEUlNS5_4HalfEE_St5arrayIPcLm2EEEEviT0_T1_,"axG",@progbits,_ZN2at6native29vectorized_elementwise_kernelILi16EZZZNS0_12_GLOBAL__N_115softplus_kernelERNS_18TensorIteratorBaseERKN3c106ScalarES8_ENKUlvE_clEvENKUlvE1_clEvEUlNS5_4HalfEE_St5arrayIPcLm2EEEEviT0_T1_,comdat
.Lfunc_end18:
	.size	_ZN2at6native29vectorized_elementwise_kernelILi16EZZZNS0_12_GLOBAL__N_115softplus_kernelERNS_18TensorIteratorBaseERKN3c106ScalarES8_ENKUlvE_clEvENKUlvE1_clEvEUlNS5_4HalfEE_St5arrayIPcLm2EEEEviT0_T1_, .Lfunc_end18-_ZN2at6native29vectorized_elementwise_kernelILi16EZZZNS0_12_GLOBAL__N_115softplus_kernelERNS_18TensorIteratorBaseERKN3c106ScalarES8_ENKUlvE_clEvENKUlvE1_clEvEUlNS5_4HalfEE_St5arrayIPcLm2EEEEviT0_T1_
                                        ; -- End function
	.set _ZN2at6native29vectorized_elementwise_kernelILi16EZZZNS0_12_GLOBAL__N_115softplus_kernelERNS_18TensorIteratorBaseERKN3c106ScalarES8_ENKUlvE_clEvENKUlvE1_clEvEUlNS5_4HalfEE_St5arrayIPcLm2EEEEviT0_T1_.num_vgpr, max(32, .L_ZN2at6native25elementwise_kernel_helperILb0EZZZNS0_12_GLOBAL__N_115softplus_kernelERNS_18TensorIteratorBaseERKN3c106ScalarES8_ENKUlvE_clEvENKUlvE1_clEvEUlNS5_4HalfEE_NS0_6memory8policies10vectorizedILi8ESt5arrayIPcLm2EELi8EEEEEvT0_T1_.num_vgpr, .L_ZN2at6native25elementwise_kernel_helperILb0EZZZNS0_12_GLOBAL__N_115softplus_kernelERNS_18TensorIteratorBaseERKN3c106ScalarES8_ENKUlvE_clEvENKUlvE1_clEvEUlNS5_4HalfEE_NS0_6memory8policies11unroll_baseILi256ESt5arrayIPcLm2EE23TrivialOffsetCalculatorILi1EjESK_NSD_15LoadWithoutCastENSD_16StoreWithoutCastELi8ELi1EEEEEvT0_T1_.num_vgpr)
	.set _ZN2at6native29vectorized_elementwise_kernelILi16EZZZNS0_12_GLOBAL__N_115softplus_kernelERNS_18TensorIteratorBaseERKN3c106ScalarES8_ENKUlvE_clEvENKUlvE1_clEvEUlNS5_4HalfEE_St5arrayIPcLm2EEEEviT0_T1_.num_agpr, max(0, .L_ZN2at6native25elementwise_kernel_helperILb0EZZZNS0_12_GLOBAL__N_115softplus_kernelERNS_18TensorIteratorBaseERKN3c106ScalarES8_ENKUlvE_clEvENKUlvE1_clEvEUlNS5_4HalfEE_NS0_6memory8policies10vectorizedILi8ESt5arrayIPcLm2EELi8EEEEEvT0_T1_.num_agpr, .L_ZN2at6native25elementwise_kernel_helperILb0EZZZNS0_12_GLOBAL__N_115softplus_kernelERNS_18TensorIteratorBaseERKN3c106ScalarES8_ENKUlvE_clEvENKUlvE1_clEvEUlNS5_4HalfEE_NS0_6memory8policies11unroll_baseILi256ESt5arrayIPcLm2EE23TrivialOffsetCalculatorILi1EjESK_NSD_15LoadWithoutCastENSD_16StoreWithoutCastELi8ELi1EEEEEvT0_T1_.num_agpr)
	.set _ZN2at6native29vectorized_elementwise_kernelILi16EZZZNS0_12_GLOBAL__N_115softplus_kernelERNS_18TensorIteratorBaseERKN3c106ScalarES8_ENKUlvE_clEvENKUlvE1_clEvEUlNS5_4HalfEE_St5arrayIPcLm2EEEEviT0_T1_.numbered_sgpr, max(33, .L_ZN2at6native25elementwise_kernel_helperILb0EZZZNS0_12_GLOBAL__N_115softplus_kernelERNS_18TensorIteratorBaseERKN3c106ScalarES8_ENKUlvE_clEvENKUlvE1_clEvEUlNS5_4HalfEE_NS0_6memory8policies10vectorizedILi8ESt5arrayIPcLm2EELi8EEEEEvT0_T1_.numbered_sgpr, .L_ZN2at6native25elementwise_kernel_helperILb0EZZZNS0_12_GLOBAL__N_115softplus_kernelERNS_18TensorIteratorBaseERKN3c106ScalarES8_ENKUlvE_clEvENKUlvE1_clEvEUlNS5_4HalfEE_NS0_6memory8policies11unroll_baseILi256ESt5arrayIPcLm2EE23TrivialOffsetCalculatorILi1EjESK_NSD_15LoadWithoutCastENSD_16StoreWithoutCastELi8ELi1EEEEEvT0_T1_.numbered_sgpr)
	.set _ZN2at6native29vectorized_elementwise_kernelILi16EZZZNS0_12_GLOBAL__N_115softplus_kernelERNS_18TensorIteratorBaseERKN3c106ScalarES8_ENKUlvE_clEvENKUlvE1_clEvEUlNS5_4HalfEE_St5arrayIPcLm2EEEEviT0_T1_.num_named_barrier, max(0, .L_ZN2at6native25elementwise_kernel_helperILb0EZZZNS0_12_GLOBAL__N_115softplus_kernelERNS_18TensorIteratorBaseERKN3c106ScalarES8_ENKUlvE_clEvENKUlvE1_clEvEUlNS5_4HalfEE_NS0_6memory8policies10vectorizedILi8ESt5arrayIPcLm2EELi8EEEEEvT0_T1_.num_named_barrier, .L_ZN2at6native25elementwise_kernel_helperILb0EZZZNS0_12_GLOBAL__N_115softplus_kernelERNS_18TensorIteratorBaseERKN3c106ScalarES8_ENKUlvE_clEvENKUlvE1_clEvEUlNS5_4HalfEE_NS0_6memory8policies11unroll_baseILi256ESt5arrayIPcLm2EE23TrivialOffsetCalculatorILi1EjESK_NSD_15LoadWithoutCastENSD_16StoreWithoutCastELi8ELi1EEEEEvT0_T1_.num_named_barrier)
	.set _ZN2at6native29vectorized_elementwise_kernelILi16EZZZNS0_12_GLOBAL__N_115softplus_kernelERNS_18TensorIteratorBaseERKN3c106ScalarES8_ENKUlvE_clEvENKUlvE1_clEvEUlNS5_4HalfEE_St5arrayIPcLm2EEEEviT0_T1_.private_seg_size, 0+max(.L_ZN2at6native25elementwise_kernel_helperILb0EZZZNS0_12_GLOBAL__N_115softplus_kernelERNS_18TensorIteratorBaseERKN3c106ScalarES8_ENKUlvE_clEvENKUlvE1_clEvEUlNS5_4HalfEE_NS0_6memory8policies10vectorizedILi8ESt5arrayIPcLm2EELi8EEEEEvT0_T1_.private_seg_size, .L_ZN2at6native25elementwise_kernel_helperILb0EZZZNS0_12_GLOBAL__N_115softplus_kernelERNS_18TensorIteratorBaseERKN3c106ScalarES8_ENKUlvE_clEvENKUlvE1_clEvEUlNS5_4HalfEE_NS0_6memory8policies11unroll_baseILi256ESt5arrayIPcLm2EE23TrivialOffsetCalculatorILi1EjESK_NSD_15LoadWithoutCastENSD_16StoreWithoutCastELi8ELi1EEEEEvT0_T1_.private_seg_size)
	.set _ZN2at6native29vectorized_elementwise_kernelILi16EZZZNS0_12_GLOBAL__N_115softplus_kernelERNS_18TensorIteratorBaseERKN3c106ScalarES8_ENKUlvE_clEvENKUlvE1_clEvEUlNS5_4HalfEE_St5arrayIPcLm2EEEEviT0_T1_.uses_vcc, or(1, .L_ZN2at6native25elementwise_kernel_helperILb0EZZZNS0_12_GLOBAL__N_115softplus_kernelERNS_18TensorIteratorBaseERKN3c106ScalarES8_ENKUlvE_clEvENKUlvE1_clEvEUlNS5_4HalfEE_NS0_6memory8policies10vectorizedILi8ESt5arrayIPcLm2EELi8EEEEEvT0_T1_.uses_vcc, .L_ZN2at6native25elementwise_kernel_helperILb0EZZZNS0_12_GLOBAL__N_115softplus_kernelERNS_18TensorIteratorBaseERKN3c106ScalarES8_ENKUlvE_clEvENKUlvE1_clEvEUlNS5_4HalfEE_NS0_6memory8policies11unroll_baseILi256ESt5arrayIPcLm2EE23TrivialOffsetCalculatorILi1EjESK_NSD_15LoadWithoutCastENSD_16StoreWithoutCastELi8ELi1EEEEEvT0_T1_.uses_vcc)
	.set _ZN2at6native29vectorized_elementwise_kernelILi16EZZZNS0_12_GLOBAL__N_115softplus_kernelERNS_18TensorIteratorBaseERKN3c106ScalarES8_ENKUlvE_clEvENKUlvE1_clEvEUlNS5_4HalfEE_St5arrayIPcLm2EEEEviT0_T1_.uses_flat_scratch, or(0, .L_ZN2at6native25elementwise_kernel_helperILb0EZZZNS0_12_GLOBAL__N_115softplus_kernelERNS_18TensorIteratorBaseERKN3c106ScalarES8_ENKUlvE_clEvENKUlvE1_clEvEUlNS5_4HalfEE_NS0_6memory8policies10vectorizedILi8ESt5arrayIPcLm2EELi8EEEEEvT0_T1_.uses_flat_scratch, .L_ZN2at6native25elementwise_kernel_helperILb0EZZZNS0_12_GLOBAL__N_115softplus_kernelERNS_18TensorIteratorBaseERKN3c106ScalarES8_ENKUlvE_clEvENKUlvE1_clEvEUlNS5_4HalfEE_NS0_6memory8policies11unroll_baseILi256ESt5arrayIPcLm2EE23TrivialOffsetCalculatorILi1EjESK_NSD_15LoadWithoutCastENSD_16StoreWithoutCastELi8ELi1EEEEEvT0_T1_.uses_flat_scratch)
	.set _ZN2at6native29vectorized_elementwise_kernelILi16EZZZNS0_12_GLOBAL__N_115softplus_kernelERNS_18TensorIteratorBaseERKN3c106ScalarES8_ENKUlvE_clEvENKUlvE1_clEvEUlNS5_4HalfEE_St5arrayIPcLm2EEEEviT0_T1_.has_dyn_sized_stack, or(0, .L_ZN2at6native25elementwise_kernel_helperILb0EZZZNS0_12_GLOBAL__N_115softplus_kernelERNS_18TensorIteratorBaseERKN3c106ScalarES8_ENKUlvE_clEvENKUlvE1_clEvEUlNS5_4HalfEE_NS0_6memory8policies10vectorizedILi8ESt5arrayIPcLm2EELi8EEEEEvT0_T1_.has_dyn_sized_stack, .L_ZN2at6native25elementwise_kernel_helperILb0EZZZNS0_12_GLOBAL__N_115softplus_kernelERNS_18TensorIteratorBaseERKN3c106ScalarES8_ENKUlvE_clEvENKUlvE1_clEvEUlNS5_4HalfEE_NS0_6memory8policies11unroll_baseILi256ESt5arrayIPcLm2EE23TrivialOffsetCalculatorILi1EjESK_NSD_15LoadWithoutCastENSD_16StoreWithoutCastELi8ELi1EEEEEvT0_T1_.has_dyn_sized_stack)
	.set _ZN2at6native29vectorized_elementwise_kernelILi16EZZZNS0_12_GLOBAL__N_115softplus_kernelERNS_18TensorIteratorBaseERKN3c106ScalarES8_ENKUlvE_clEvENKUlvE1_clEvEUlNS5_4HalfEE_St5arrayIPcLm2EEEEviT0_T1_.has_recursion, or(0, .L_ZN2at6native25elementwise_kernel_helperILb0EZZZNS0_12_GLOBAL__N_115softplus_kernelERNS_18TensorIteratorBaseERKN3c106ScalarES8_ENKUlvE_clEvENKUlvE1_clEvEUlNS5_4HalfEE_NS0_6memory8policies10vectorizedILi8ESt5arrayIPcLm2EELi8EEEEEvT0_T1_.has_recursion, .L_ZN2at6native25elementwise_kernel_helperILb0EZZZNS0_12_GLOBAL__N_115softplus_kernelERNS_18TensorIteratorBaseERKN3c106ScalarES8_ENKUlvE_clEvENKUlvE1_clEvEUlNS5_4HalfEE_NS0_6memory8policies11unroll_baseILi256ESt5arrayIPcLm2EE23TrivialOffsetCalculatorILi1EjESK_NSD_15LoadWithoutCastENSD_16StoreWithoutCastELi8ELi1EEEEEvT0_T1_.has_recursion)
	.set _ZN2at6native29vectorized_elementwise_kernelILi16EZZZNS0_12_GLOBAL__N_115softplus_kernelERNS_18TensorIteratorBaseERKN3c106ScalarES8_ENKUlvE_clEvENKUlvE1_clEvEUlNS5_4HalfEE_St5arrayIPcLm2EEEEviT0_T1_.has_indirect_call, or(0, .L_ZN2at6native25elementwise_kernel_helperILb0EZZZNS0_12_GLOBAL__N_115softplus_kernelERNS_18TensorIteratorBaseERKN3c106ScalarES8_ENKUlvE_clEvENKUlvE1_clEvEUlNS5_4HalfEE_NS0_6memory8policies10vectorizedILi8ESt5arrayIPcLm2EELi8EEEEEvT0_T1_.has_indirect_call, .L_ZN2at6native25elementwise_kernel_helperILb0EZZZNS0_12_GLOBAL__N_115softplus_kernelERNS_18TensorIteratorBaseERKN3c106ScalarES8_ENKUlvE_clEvENKUlvE1_clEvEUlNS5_4HalfEE_NS0_6memory8policies11unroll_baseILi256ESt5arrayIPcLm2EE23TrivialOffsetCalculatorILi1EjESK_NSD_15LoadWithoutCastENSD_16StoreWithoutCastELi8ELi1EEEEEvT0_T1_.has_indirect_call)
	.section	.AMDGPU.csdata,"",@progbits
; Kernel info:
; codeLenInByte = 220
; TotalNumSgprs: 35
; NumVgprs: 34
; ScratchSize: 0
; MemoryBound: 0
; FloatMode: 240
; IeeeMode: 1
; LDSByteSize: 0 bytes/workgroup (compile time only)
; SGPRBlocks: 0
; VGPRBlocks: 2
; NumSGPRsForWavesPerEU: 35
; NumVGPRsForWavesPerEU: 34
; NamedBarCnt: 0
; Occupancy: 16
; WaveLimiterHint : 0
; COMPUTE_PGM_RSRC2:SCRATCH_EN: 0
; COMPUTE_PGM_RSRC2:USER_SGPR: 2
; COMPUTE_PGM_RSRC2:TRAP_HANDLER: 0
; COMPUTE_PGM_RSRC2:TGID_X_EN: 1
; COMPUTE_PGM_RSRC2:TGID_Y_EN: 0
; COMPUTE_PGM_RSRC2:TGID_Z_EN: 0
; COMPUTE_PGM_RSRC2:TIDIG_COMP_CNT: 0
	.section	.text._ZN2at6native29vectorized_elementwise_kernelILi8EZZZNS0_12_GLOBAL__N_115softplus_kernelERNS_18TensorIteratorBaseERKN3c106ScalarES8_ENKUlvE_clEvENKUlvE1_clEvEUlNS5_4HalfEE_St5arrayIPcLm2EEEEviT0_T1_,"axG",@progbits,_ZN2at6native29vectorized_elementwise_kernelILi8EZZZNS0_12_GLOBAL__N_115softplus_kernelERNS_18TensorIteratorBaseERKN3c106ScalarES8_ENKUlvE_clEvENKUlvE1_clEvEUlNS5_4HalfEE_St5arrayIPcLm2EEEEviT0_T1_,comdat
	.globl	_ZN2at6native29vectorized_elementwise_kernelILi8EZZZNS0_12_GLOBAL__N_115softplus_kernelERNS_18TensorIteratorBaseERKN3c106ScalarES8_ENKUlvE_clEvENKUlvE1_clEvEUlNS5_4HalfEE_St5arrayIPcLm2EEEEviT0_T1_ ; -- Begin function _ZN2at6native29vectorized_elementwise_kernelILi8EZZZNS0_12_GLOBAL__N_115softplus_kernelERNS_18TensorIteratorBaseERKN3c106ScalarES8_ENKUlvE_clEvENKUlvE1_clEvEUlNS5_4HalfEE_St5arrayIPcLm2EEEEviT0_T1_
	.p2align	8
	.type	_ZN2at6native29vectorized_elementwise_kernelILi8EZZZNS0_12_GLOBAL__N_115softplus_kernelERNS_18TensorIteratorBaseERKN3c106ScalarES8_ENKUlvE_clEvENKUlvE1_clEvEUlNS5_4HalfEE_St5arrayIPcLm2EEEEviT0_T1_,@function
_ZN2at6native29vectorized_elementwise_kernelILi8EZZZNS0_12_GLOBAL__N_115softplus_kernelERNS_18TensorIteratorBaseERKN3c106ScalarES8_ENKUlvE_clEvENKUlvE1_clEvEUlNS5_4HalfEE_St5arrayIPcLm2EEEEviT0_T1_: ; @_ZN2at6native29vectorized_elementwise_kernelILi8EZZZNS0_12_GLOBAL__N_115softplus_kernelERNS_18TensorIteratorBaseERKN3c106ScalarES8_ENKUlvE_clEvENKUlvE1_clEvEUlNS5_4HalfEE_St5arrayIPcLm2EEEEviT0_T1_
; %bb.0:
	s_clause 0x1
	s_load_b96 s[8:10], s[0:1], 0x0
	s_load_b128 s[4:7], s[0:1], 0x10
	s_wait_xcnt 0x0
	s_bfe_u32 s0, ttmp6, 0x4000c
	s_and_b32 s1, ttmp6, 15
	s_add_co_i32 s0, s0, 1
	s_getreg_b32 s2, hwreg(HW_REG_IB_STS2, 6, 4)
	s_mul_i32 s0, ttmp9, s0
	v_mov_b32_e32 v31, v0
	s_add_co_i32 s1, s1, s0
	s_cmp_eq_u32 s2, 0
	s_mov_b32 s32, 0
	s_cselect_b32 s0, ttmp9, s1
	s_delay_alu instid0(SALU_CYCLE_1)
	s_lshl_b32 s0, s0, 11
	s_wait_kmcnt 0x0
	s_sub_co_i32 s8, s8, s0
	s_mov_b32 s0, -1
	s_cmp_gt_i32 s8, 0x7ff
	s_cbranch_scc1 .LBB19_3
; %bb.1:
	s_and_not1_b32 vcc_lo, exec_lo, s0
	s_cbranch_vccz .LBB19_4
.LBB19_2:
	s_endpgm
.LBB19_3:
	v_dual_mov_b32 v0, s9 :: v_dual_mov_b32 v1, s10
	v_dual_mov_b32 v2, s4 :: v_dual_mov_b32 v3, s5
	;; [unrolled: 1-line block ×3, first 2 shown]
	s_get_pc_i64 s[0:1]
	s_add_nc_u64 s[0:1], s[0:1], _ZN2at6native25elementwise_kernel_helperILb0EZZZNS0_12_GLOBAL__N_115softplus_kernelERNS_18TensorIteratorBaseERKN3c106ScalarES8_ENKUlvE_clEvENKUlvE1_clEvEUlNS5_4HalfEE_NS0_6memory8policies10vectorizedILi8ESt5arrayIPcLm2EELi8EEEEEvT0_T1_@rel64+4
	s_delay_alu instid0(SALU_CYCLE_1)
	s_swap_pc_i64 s[30:31], s[0:1]
	s_cbranch_execnz .LBB19_2
.LBB19_4:
	v_dual_mov_b32 v0, s9 :: v_dual_mov_b32 v1, s10
	v_dual_mov_b32 v2, s4 :: v_dual_mov_b32 v3, s5
	v_dual_mov_b32 v4, s6 :: v_dual_mov_b32 v5, s7
	v_mov_b32_e32 v6, s8
	s_get_pc_i64 s[0:1]
	s_add_nc_u64 s[0:1], s[0:1], _ZN2at6native25elementwise_kernel_helperILb0EZZZNS0_12_GLOBAL__N_115softplus_kernelERNS_18TensorIteratorBaseERKN3c106ScalarES8_ENKUlvE_clEvENKUlvE1_clEvEUlNS5_4HalfEE_NS0_6memory8policies11unroll_baseILi256ESt5arrayIPcLm2EE23TrivialOffsetCalculatorILi1EjESK_NSD_15LoadWithoutCastENSD_16StoreWithoutCastELi8ELi1EEEEEvT0_T1_@rel64+4
	s_delay_alu instid0(SALU_CYCLE_1)
	s_swap_pc_i64 s[30:31], s[0:1]
	s_endpgm
	.section	.rodata,"a",@progbits
	.p2align	6, 0x0
	.amdhsa_kernel _ZN2at6native29vectorized_elementwise_kernelILi8EZZZNS0_12_GLOBAL__N_115softplus_kernelERNS_18TensorIteratorBaseERKN3c106ScalarES8_ENKUlvE_clEvENKUlvE1_clEvEUlNS5_4HalfEE_St5arrayIPcLm2EEEEviT0_T1_
		.amdhsa_group_segment_fixed_size 0
		.amdhsa_private_segment_fixed_size 0
		.amdhsa_kernarg_size 32
		.amdhsa_user_sgpr_count 2
		.amdhsa_user_sgpr_dispatch_ptr 0
		.amdhsa_user_sgpr_queue_ptr 0
		.amdhsa_user_sgpr_kernarg_segment_ptr 1
		.amdhsa_user_sgpr_dispatch_id 0
		.amdhsa_user_sgpr_kernarg_preload_length 0
		.amdhsa_user_sgpr_kernarg_preload_offset 0
		.amdhsa_user_sgpr_private_segment_size 0
		.amdhsa_wavefront_size32 1
		.amdhsa_uses_dynamic_stack 0
		.amdhsa_enable_private_segment 0
		.amdhsa_system_sgpr_workgroup_id_x 1
		.amdhsa_system_sgpr_workgroup_id_y 0
		.amdhsa_system_sgpr_workgroup_id_z 0
		.amdhsa_system_sgpr_workgroup_info 0
		.amdhsa_system_vgpr_workitem_id 0
		.amdhsa_next_free_vgpr 34
		.amdhsa_next_free_sgpr 33
		.amdhsa_named_barrier_count 0
		.amdhsa_reserve_vcc 1
		.amdhsa_float_round_mode_32 0
		.amdhsa_float_round_mode_16_64 0
		.amdhsa_float_denorm_mode_32 3
		.amdhsa_float_denorm_mode_16_64 3
		.amdhsa_fp16_overflow 0
		.amdhsa_memory_ordered 1
		.amdhsa_forward_progress 1
		.amdhsa_inst_pref_size 2
		.amdhsa_round_robin_scheduling 0
		.amdhsa_exception_fp_ieee_invalid_op 0
		.amdhsa_exception_fp_denorm_src 0
		.amdhsa_exception_fp_ieee_div_zero 0
		.amdhsa_exception_fp_ieee_overflow 0
		.amdhsa_exception_fp_ieee_underflow 0
		.amdhsa_exception_fp_ieee_inexact 0
		.amdhsa_exception_int_div_zero 0
	.end_amdhsa_kernel
	.section	.text._ZN2at6native29vectorized_elementwise_kernelILi8EZZZNS0_12_GLOBAL__N_115softplus_kernelERNS_18TensorIteratorBaseERKN3c106ScalarES8_ENKUlvE_clEvENKUlvE1_clEvEUlNS5_4HalfEE_St5arrayIPcLm2EEEEviT0_T1_,"axG",@progbits,_ZN2at6native29vectorized_elementwise_kernelILi8EZZZNS0_12_GLOBAL__N_115softplus_kernelERNS_18TensorIteratorBaseERKN3c106ScalarES8_ENKUlvE_clEvENKUlvE1_clEvEUlNS5_4HalfEE_St5arrayIPcLm2EEEEviT0_T1_,comdat
.Lfunc_end19:
	.size	_ZN2at6native29vectorized_elementwise_kernelILi8EZZZNS0_12_GLOBAL__N_115softplus_kernelERNS_18TensorIteratorBaseERKN3c106ScalarES8_ENKUlvE_clEvENKUlvE1_clEvEUlNS5_4HalfEE_St5arrayIPcLm2EEEEviT0_T1_, .Lfunc_end19-_ZN2at6native29vectorized_elementwise_kernelILi8EZZZNS0_12_GLOBAL__N_115softplus_kernelERNS_18TensorIteratorBaseERKN3c106ScalarES8_ENKUlvE_clEvENKUlvE1_clEvEUlNS5_4HalfEE_St5arrayIPcLm2EEEEviT0_T1_
                                        ; -- End function
	.set _ZN2at6native29vectorized_elementwise_kernelILi8EZZZNS0_12_GLOBAL__N_115softplus_kernelERNS_18TensorIteratorBaseERKN3c106ScalarES8_ENKUlvE_clEvENKUlvE1_clEvEUlNS5_4HalfEE_St5arrayIPcLm2EEEEviT0_T1_.num_vgpr, max(32, .L_ZN2at6native25elementwise_kernel_helperILb0EZZZNS0_12_GLOBAL__N_115softplus_kernelERNS_18TensorIteratorBaseERKN3c106ScalarES8_ENKUlvE_clEvENKUlvE1_clEvEUlNS5_4HalfEE_NS0_6memory8policies10vectorizedILi8ESt5arrayIPcLm2EELi8EEEEEvT0_T1_.num_vgpr, .L_ZN2at6native25elementwise_kernel_helperILb0EZZZNS0_12_GLOBAL__N_115softplus_kernelERNS_18TensorIteratorBaseERKN3c106ScalarES8_ENKUlvE_clEvENKUlvE1_clEvEUlNS5_4HalfEE_NS0_6memory8policies11unroll_baseILi256ESt5arrayIPcLm2EE23TrivialOffsetCalculatorILi1EjESK_NSD_15LoadWithoutCastENSD_16StoreWithoutCastELi8ELi1EEEEEvT0_T1_.num_vgpr)
	.set _ZN2at6native29vectorized_elementwise_kernelILi8EZZZNS0_12_GLOBAL__N_115softplus_kernelERNS_18TensorIteratorBaseERKN3c106ScalarES8_ENKUlvE_clEvENKUlvE1_clEvEUlNS5_4HalfEE_St5arrayIPcLm2EEEEviT0_T1_.num_agpr, max(0, .L_ZN2at6native25elementwise_kernel_helperILb0EZZZNS0_12_GLOBAL__N_115softplus_kernelERNS_18TensorIteratorBaseERKN3c106ScalarES8_ENKUlvE_clEvENKUlvE1_clEvEUlNS5_4HalfEE_NS0_6memory8policies10vectorizedILi8ESt5arrayIPcLm2EELi8EEEEEvT0_T1_.num_agpr, .L_ZN2at6native25elementwise_kernel_helperILb0EZZZNS0_12_GLOBAL__N_115softplus_kernelERNS_18TensorIteratorBaseERKN3c106ScalarES8_ENKUlvE_clEvENKUlvE1_clEvEUlNS5_4HalfEE_NS0_6memory8policies11unroll_baseILi256ESt5arrayIPcLm2EE23TrivialOffsetCalculatorILi1EjESK_NSD_15LoadWithoutCastENSD_16StoreWithoutCastELi8ELi1EEEEEvT0_T1_.num_agpr)
	.set _ZN2at6native29vectorized_elementwise_kernelILi8EZZZNS0_12_GLOBAL__N_115softplus_kernelERNS_18TensorIteratorBaseERKN3c106ScalarES8_ENKUlvE_clEvENKUlvE1_clEvEUlNS5_4HalfEE_St5arrayIPcLm2EEEEviT0_T1_.numbered_sgpr, max(33, .L_ZN2at6native25elementwise_kernel_helperILb0EZZZNS0_12_GLOBAL__N_115softplus_kernelERNS_18TensorIteratorBaseERKN3c106ScalarES8_ENKUlvE_clEvENKUlvE1_clEvEUlNS5_4HalfEE_NS0_6memory8policies10vectorizedILi8ESt5arrayIPcLm2EELi8EEEEEvT0_T1_.numbered_sgpr, .L_ZN2at6native25elementwise_kernel_helperILb0EZZZNS0_12_GLOBAL__N_115softplus_kernelERNS_18TensorIteratorBaseERKN3c106ScalarES8_ENKUlvE_clEvENKUlvE1_clEvEUlNS5_4HalfEE_NS0_6memory8policies11unroll_baseILi256ESt5arrayIPcLm2EE23TrivialOffsetCalculatorILi1EjESK_NSD_15LoadWithoutCastENSD_16StoreWithoutCastELi8ELi1EEEEEvT0_T1_.numbered_sgpr)
	.set _ZN2at6native29vectorized_elementwise_kernelILi8EZZZNS0_12_GLOBAL__N_115softplus_kernelERNS_18TensorIteratorBaseERKN3c106ScalarES8_ENKUlvE_clEvENKUlvE1_clEvEUlNS5_4HalfEE_St5arrayIPcLm2EEEEviT0_T1_.num_named_barrier, max(0, .L_ZN2at6native25elementwise_kernel_helperILb0EZZZNS0_12_GLOBAL__N_115softplus_kernelERNS_18TensorIteratorBaseERKN3c106ScalarES8_ENKUlvE_clEvENKUlvE1_clEvEUlNS5_4HalfEE_NS0_6memory8policies10vectorizedILi8ESt5arrayIPcLm2EELi8EEEEEvT0_T1_.num_named_barrier, .L_ZN2at6native25elementwise_kernel_helperILb0EZZZNS0_12_GLOBAL__N_115softplus_kernelERNS_18TensorIteratorBaseERKN3c106ScalarES8_ENKUlvE_clEvENKUlvE1_clEvEUlNS5_4HalfEE_NS0_6memory8policies11unroll_baseILi256ESt5arrayIPcLm2EE23TrivialOffsetCalculatorILi1EjESK_NSD_15LoadWithoutCastENSD_16StoreWithoutCastELi8ELi1EEEEEvT0_T1_.num_named_barrier)
	.set _ZN2at6native29vectorized_elementwise_kernelILi8EZZZNS0_12_GLOBAL__N_115softplus_kernelERNS_18TensorIteratorBaseERKN3c106ScalarES8_ENKUlvE_clEvENKUlvE1_clEvEUlNS5_4HalfEE_St5arrayIPcLm2EEEEviT0_T1_.private_seg_size, 0+max(.L_ZN2at6native25elementwise_kernel_helperILb0EZZZNS0_12_GLOBAL__N_115softplus_kernelERNS_18TensorIteratorBaseERKN3c106ScalarES8_ENKUlvE_clEvENKUlvE1_clEvEUlNS5_4HalfEE_NS0_6memory8policies10vectorizedILi8ESt5arrayIPcLm2EELi8EEEEEvT0_T1_.private_seg_size, .L_ZN2at6native25elementwise_kernel_helperILb0EZZZNS0_12_GLOBAL__N_115softplus_kernelERNS_18TensorIteratorBaseERKN3c106ScalarES8_ENKUlvE_clEvENKUlvE1_clEvEUlNS5_4HalfEE_NS0_6memory8policies11unroll_baseILi256ESt5arrayIPcLm2EE23TrivialOffsetCalculatorILi1EjESK_NSD_15LoadWithoutCastENSD_16StoreWithoutCastELi8ELi1EEEEEvT0_T1_.private_seg_size)
	.set _ZN2at6native29vectorized_elementwise_kernelILi8EZZZNS0_12_GLOBAL__N_115softplus_kernelERNS_18TensorIteratorBaseERKN3c106ScalarES8_ENKUlvE_clEvENKUlvE1_clEvEUlNS5_4HalfEE_St5arrayIPcLm2EEEEviT0_T1_.uses_vcc, or(1, .L_ZN2at6native25elementwise_kernel_helperILb0EZZZNS0_12_GLOBAL__N_115softplus_kernelERNS_18TensorIteratorBaseERKN3c106ScalarES8_ENKUlvE_clEvENKUlvE1_clEvEUlNS5_4HalfEE_NS0_6memory8policies10vectorizedILi8ESt5arrayIPcLm2EELi8EEEEEvT0_T1_.uses_vcc, .L_ZN2at6native25elementwise_kernel_helperILb0EZZZNS0_12_GLOBAL__N_115softplus_kernelERNS_18TensorIteratorBaseERKN3c106ScalarES8_ENKUlvE_clEvENKUlvE1_clEvEUlNS5_4HalfEE_NS0_6memory8policies11unroll_baseILi256ESt5arrayIPcLm2EE23TrivialOffsetCalculatorILi1EjESK_NSD_15LoadWithoutCastENSD_16StoreWithoutCastELi8ELi1EEEEEvT0_T1_.uses_vcc)
	.set _ZN2at6native29vectorized_elementwise_kernelILi8EZZZNS0_12_GLOBAL__N_115softplus_kernelERNS_18TensorIteratorBaseERKN3c106ScalarES8_ENKUlvE_clEvENKUlvE1_clEvEUlNS5_4HalfEE_St5arrayIPcLm2EEEEviT0_T1_.uses_flat_scratch, or(0, .L_ZN2at6native25elementwise_kernel_helperILb0EZZZNS0_12_GLOBAL__N_115softplus_kernelERNS_18TensorIteratorBaseERKN3c106ScalarES8_ENKUlvE_clEvENKUlvE1_clEvEUlNS5_4HalfEE_NS0_6memory8policies10vectorizedILi8ESt5arrayIPcLm2EELi8EEEEEvT0_T1_.uses_flat_scratch, .L_ZN2at6native25elementwise_kernel_helperILb0EZZZNS0_12_GLOBAL__N_115softplus_kernelERNS_18TensorIteratorBaseERKN3c106ScalarES8_ENKUlvE_clEvENKUlvE1_clEvEUlNS5_4HalfEE_NS0_6memory8policies11unroll_baseILi256ESt5arrayIPcLm2EE23TrivialOffsetCalculatorILi1EjESK_NSD_15LoadWithoutCastENSD_16StoreWithoutCastELi8ELi1EEEEEvT0_T1_.uses_flat_scratch)
	.set _ZN2at6native29vectorized_elementwise_kernelILi8EZZZNS0_12_GLOBAL__N_115softplus_kernelERNS_18TensorIteratorBaseERKN3c106ScalarES8_ENKUlvE_clEvENKUlvE1_clEvEUlNS5_4HalfEE_St5arrayIPcLm2EEEEviT0_T1_.has_dyn_sized_stack, or(0, .L_ZN2at6native25elementwise_kernel_helperILb0EZZZNS0_12_GLOBAL__N_115softplus_kernelERNS_18TensorIteratorBaseERKN3c106ScalarES8_ENKUlvE_clEvENKUlvE1_clEvEUlNS5_4HalfEE_NS0_6memory8policies10vectorizedILi8ESt5arrayIPcLm2EELi8EEEEEvT0_T1_.has_dyn_sized_stack, .L_ZN2at6native25elementwise_kernel_helperILb0EZZZNS0_12_GLOBAL__N_115softplus_kernelERNS_18TensorIteratorBaseERKN3c106ScalarES8_ENKUlvE_clEvENKUlvE1_clEvEUlNS5_4HalfEE_NS0_6memory8policies11unroll_baseILi256ESt5arrayIPcLm2EE23TrivialOffsetCalculatorILi1EjESK_NSD_15LoadWithoutCastENSD_16StoreWithoutCastELi8ELi1EEEEEvT0_T1_.has_dyn_sized_stack)
	.set _ZN2at6native29vectorized_elementwise_kernelILi8EZZZNS0_12_GLOBAL__N_115softplus_kernelERNS_18TensorIteratorBaseERKN3c106ScalarES8_ENKUlvE_clEvENKUlvE1_clEvEUlNS5_4HalfEE_St5arrayIPcLm2EEEEviT0_T1_.has_recursion, or(0, .L_ZN2at6native25elementwise_kernel_helperILb0EZZZNS0_12_GLOBAL__N_115softplus_kernelERNS_18TensorIteratorBaseERKN3c106ScalarES8_ENKUlvE_clEvENKUlvE1_clEvEUlNS5_4HalfEE_NS0_6memory8policies10vectorizedILi8ESt5arrayIPcLm2EELi8EEEEEvT0_T1_.has_recursion, .L_ZN2at6native25elementwise_kernel_helperILb0EZZZNS0_12_GLOBAL__N_115softplus_kernelERNS_18TensorIteratorBaseERKN3c106ScalarES8_ENKUlvE_clEvENKUlvE1_clEvEUlNS5_4HalfEE_NS0_6memory8policies11unroll_baseILi256ESt5arrayIPcLm2EE23TrivialOffsetCalculatorILi1EjESK_NSD_15LoadWithoutCastENSD_16StoreWithoutCastELi8ELi1EEEEEvT0_T1_.has_recursion)
	.set _ZN2at6native29vectorized_elementwise_kernelILi8EZZZNS0_12_GLOBAL__N_115softplus_kernelERNS_18TensorIteratorBaseERKN3c106ScalarES8_ENKUlvE_clEvENKUlvE1_clEvEUlNS5_4HalfEE_St5arrayIPcLm2EEEEviT0_T1_.has_indirect_call, or(0, .L_ZN2at6native25elementwise_kernel_helperILb0EZZZNS0_12_GLOBAL__N_115softplus_kernelERNS_18TensorIteratorBaseERKN3c106ScalarES8_ENKUlvE_clEvENKUlvE1_clEvEUlNS5_4HalfEE_NS0_6memory8policies10vectorizedILi8ESt5arrayIPcLm2EELi8EEEEEvT0_T1_.has_indirect_call, .L_ZN2at6native25elementwise_kernel_helperILb0EZZZNS0_12_GLOBAL__N_115softplus_kernelERNS_18TensorIteratorBaseERKN3c106ScalarES8_ENKUlvE_clEvENKUlvE1_clEvEUlNS5_4HalfEE_NS0_6memory8policies11unroll_baseILi256ESt5arrayIPcLm2EE23TrivialOffsetCalculatorILi1EjESK_NSD_15LoadWithoutCastENSD_16StoreWithoutCastELi8ELi1EEEEEvT0_T1_.has_indirect_call)
	.section	.AMDGPU.csdata,"",@progbits
; Kernel info:
; codeLenInByte = 220
; TotalNumSgprs: 35
; NumVgprs: 34
; ScratchSize: 0
; MemoryBound: 0
; FloatMode: 240
; IeeeMode: 1
; LDSByteSize: 0 bytes/workgroup (compile time only)
; SGPRBlocks: 0
; VGPRBlocks: 2
; NumSGPRsForWavesPerEU: 35
; NumVGPRsForWavesPerEU: 34
; NamedBarCnt: 0
; Occupancy: 16
; WaveLimiterHint : 0
; COMPUTE_PGM_RSRC2:SCRATCH_EN: 0
; COMPUTE_PGM_RSRC2:USER_SGPR: 2
; COMPUTE_PGM_RSRC2:TRAP_HANDLER: 0
; COMPUTE_PGM_RSRC2:TGID_X_EN: 1
; COMPUTE_PGM_RSRC2:TGID_Y_EN: 0
; COMPUTE_PGM_RSRC2:TGID_Z_EN: 0
; COMPUTE_PGM_RSRC2:TIDIG_COMP_CNT: 0
	.section	.text._ZN2at6native29vectorized_elementwise_kernelILi4EZZZNS0_12_GLOBAL__N_115softplus_kernelERNS_18TensorIteratorBaseERKN3c106ScalarES8_ENKUlvE_clEvENKUlvE1_clEvEUlNS5_4HalfEE_St5arrayIPcLm2EEEEviT0_T1_,"axG",@progbits,_ZN2at6native29vectorized_elementwise_kernelILi4EZZZNS0_12_GLOBAL__N_115softplus_kernelERNS_18TensorIteratorBaseERKN3c106ScalarES8_ENKUlvE_clEvENKUlvE1_clEvEUlNS5_4HalfEE_St5arrayIPcLm2EEEEviT0_T1_,comdat
	.globl	_ZN2at6native29vectorized_elementwise_kernelILi4EZZZNS0_12_GLOBAL__N_115softplus_kernelERNS_18TensorIteratorBaseERKN3c106ScalarES8_ENKUlvE_clEvENKUlvE1_clEvEUlNS5_4HalfEE_St5arrayIPcLm2EEEEviT0_T1_ ; -- Begin function _ZN2at6native29vectorized_elementwise_kernelILi4EZZZNS0_12_GLOBAL__N_115softplus_kernelERNS_18TensorIteratorBaseERKN3c106ScalarES8_ENKUlvE_clEvENKUlvE1_clEvEUlNS5_4HalfEE_St5arrayIPcLm2EEEEviT0_T1_
	.p2align	8
	.type	_ZN2at6native29vectorized_elementwise_kernelILi4EZZZNS0_12_GLOBAL__N_115softplus_kernelERNS_18TensorIteratorBaseERKN3c106ScalarES8_ENKUlvE_clEvENKUlvE1_clEvEUlNS5_4HalfEE_St5arrayIPcLm2EEEEviT0_T1_,@function
_ZN2at6native29vectorized_elementwise_kernelILi4EZZZNS0_12_GLOBAL__N_115softplus_kernelERNS_18TensorIteratorBaseERKN3c106ScalarES8_ENKUlvE_clEvENKUlvE1_clEvEUlNS5_4HalfEE_St5arrayIPcLm2EEEEviT0_T1_: ; @_ZN2at6native29vectorized_elementwise_kernelILi4EZZZNS0_12_GLOBAL__N_115softplus_kernelERNS_18TensorIteratorBaseERKN3c106ScalarES8_ENKUlvE_clEvENKUlvE1_clEvEUlNS5_4HalfEE_St5arrayIPcLm2EEEEviT0_T1_
; %bb.0:
	s_clause 0x1
	s_load_b96 s[8:10], s[0:1], 0x0
	s_load_b128 s[4:7], s[0:1], 0x10
	s_wait_xcnt 0x0
	s_bfe_u32 s0, ttmp6, 0x4000c
	s_and_b32 s1, ttmp6, 15
	s_add_co_i32 s0, s0, 1
	s_getreg_b32 s2, hwreg(HW_REG_IB_STS2, 6, 4)
	s_mul_i32 s0, ttmp9, s0
	s_mov_b32 s32, 0
	s_add_co_i32 s1, s1, s0
	s_cmp_eq_u32 s2, 0
	s_cselect_b32 s0, ttmp9, s1
	s_mov_b32 s1, -1
	s_lshl_b32 s0, s0, 11
	s_wait_kmcnt 0x0
	s_sub_co_i32 s2, s8, s0
	s_delay_alu instid0(SALU_CYCLE_1)
	s_cmp_gt_i32 s2, 0x7ff
	s_cbranch_scc1 .LBB20_3
; %bb.1:
	s_and_b32 vcc_lo, exec_lo, s1
	s_cbranch_vccnz .LBB20_20
.LBB20_2:
	s_sendmsg sendmsg(MSG_DEALLOC_VGPRS)
	s_endpgm
.LBB20_3:
	s_ashr_i32 s1, s0, 31
	s_mov_b32 s3, exec_lo
	s_lshl_b64 s[0:1], s[0:1], 1
	s_delay_alu instid0(SALU_CYCLE_1)
	s_add_nc_u64 s[12:13], s[6:7], s[0:1]
	s_clause 0x1
	global_load_b64 v[4:5], v0, s[12:13] scale_offset
	global_load_b64 v[2:3], v0, s[12:13] offset:2048 scale_offset
	s_wait_loadcnt 0x1
	v_cvt_f32_f16_e32 v1, v4
	s_delay_alu instid0(VALU_DEP_1) | instskip(SKIP_1) | instid1(VALU_DEP_1)
	v_dual_mul_f32 v6, s9, v1 :: v_dual_mov_b32 v1, v4
	s_wait_xcnt 0x0
	v_cmpx_nlt_f32_e32 s10, v6
	s_cbranch_execz .LBB20_5
; %bb.4:
	v_mul_f32_e32 v1, 0x3fb8aa3b, v6
	v_cmp_ngt_f32_e32 vcc_lo, 0xc2ce8ed0, v6
	s_mov_b32 s8, 0x3e9b6dac
	s_delay_alu instid0(VALU_DEP_2) | instskip(SKIP_1) | instid1(VALU_DEP_1)
	v_rndne_f32_e32 v7, v1
	v_fma_f32 v8, 0x3fb8aa3b, v6, -v1
	v_dual_sub_f32 v1, v1, v7 :: v_dual_fmamk_f32 v8, v6, 0x32a5705f, v8
	v_cvt_i32_f32_e32 v7, v7
	s_delay_alu instid0(VALU_DEP_2) | instskip(NEXT) | instid1(VALU_DEP_1)
	v_add_f32_e32 v1, v1, v8
	v_exp_f32_e32 v1, v1
	v_nop
	s_delay_alu instid0(TRANS32_DEP_1) | instskip(NEXT) | instid1(VALU_DEP_1)
	v_ldexp_f32 v1, v1, v7
	v_cndmask_b32_e32 v1, 0, v1, vcc_lo
	v_cmp_nlt_f32_e32 vcc_lo, 0x42b17218, v6
	s_delay_alu instid0(VALU_DEP_2) | instskip(NEXT) | instid1(VALU_DEP_1)
	v_cndmask_b32_e32 v22, 0x7f800000, v1, vcc_lo
	v_add_f32_e32 v1, 1.0, v22
	s_delay_alu instid0(VALU_DEP_1) | instskip(NEXT) | instid1(VALU_DEP_1)
	v_cvt_f64_f32_e32 v[6:7], v1
	v_frexp_exp_i32_f64_e32 v6, v[6:7]
	v_frexp_mant_f32_e32 v7, v1
	s_delay_alu instid0(VALU_DEP_1) | instskip(NEXT) | instid1(VALU_DEP_3)
	v_cmp_gt_f32_e32 vcc_lo, 0x3f2aaaab, v7
	v_subrev_co_ci_u32_e64 v12, null, 0, v6, vcc_lo
	s_delay_alu instid0(VALU_DEP_1) | instskip(NEXT) | instid1(VALU_DEP_1)
	v_dual_add_f32 v6, -1.0, v1 :: v_dual_sub_nc_u32 v7, 0, v12
	v_sub_f32_e32 v8, v6, v1
	s_delay_alu instid0(VALU_DEP_2) | instskip(NEXT) | instid1(VALU_DEP_1)
	v_ldexp_f32 v1, v1, v7
	v_dual_add_f32 v8, 1.0, v8 :: v_dual_add_f32 v9, 1.0, v1
	v_dual_add_f32 v11, -1.0, v1 :: v_dual_sub_f32 v6, v22, v6
	v_cmp_neq_f32_e32 vcc_lo, 0x7f800000, v22
	s_delay_alu instid0(VALU_DEP_2) | instskip(NEXT) | instid1(VALU_DEP_1)
	v_dual_add_f32 v6, v6, v8 :: v_dual_add_f32 v8, -1.0, v9
	v_ldexp_f32 v6, v6, v7
	s_delay_alu instid0(VALU_DEP_2) | instskip(NEXT) | instid1(VALU_DEP_1)
	v_dual_sub_f32 v7, v1, v8 :: v_dual_add_f32 v8, 1.0, v11
	v_add_f32_e32 v10, v6, v7
	s_delay_alu instid0(VALU_DEP_1) | instskip(NEXT) | instid1(VALU_DEP_1)
	v_add_f32_e32 v13, v9, v10
	v_rcp_f32_e32 v14, v13
	s_delay_alu instid0(VALU_DEP_3) | instskip(NEXT) | instid1(VALU_DEP_1)
	v_sub_f32_e32 v1, v1, v8
	v_add_f32_e32 v1, v6, v1
	v_sub_f32_e32 v6, v9, v13
	s_delay_alu instid0(VALU_DEP_1)
	v_dual_add_f32 v7, v11, v1 :: v_dual_add_f32 v16, v10, v6
	s_delay_alu instid0(TRANS32_DEP_1) | instid1(VALU_DEP_1)
	v_mul_f32_e32 v15, v7, v14
	v_sub_f32_e32 v17, v11, v7
	s_delay_alu instid0(VALU_DEP_2) | instskip(NEXT) | instid1(VALU_DEP_2)
	v_mul_f32_e32 v8, v13, v15
	v_add_f32_e32 v1, v1, v17
	s_delay_alu instid0(VALU_DEP_2) | instskip(NEXT) | instid1(VALU_DEP_1)
	v_fma_f32 v10, v15, v13, -v8
	v_fmac_f32_e32 v10, v15, v16
	s_delay_alu instid0(VALU_DEP_1) | instskip(NEXT) | instid1(VALU_DEP_1)
	v_add_f32_e32 v6, v8, v10
	v_dual_sub_f32 v9, v7, v6 :: v_dual_mov_b32 v11, v6
	s_delay_alu instid0(VALU_DEP_1) | instskip(NEXT) | instid1(VALU_DEP_1)
	v_pk_add_f32 v[6:7], v[6:7], v[8:9] neg_lo:[0,1] neg_hi:[0,1]
	v_pk_add_f32 v[6:7], v[6:7], v[10:11] neg_lo:[0,1] neg_hi:[0,1]
	s_delay_alu instid0(VALU_DEP_1) | instskip(NEXT) | instid1(VALU_DEP_1)
	v_add_f32_e32 v1, v1, v7
	v_add_f32_e32 v1, v6, v1
	s_delay_alu instid0(VALU_DEP_1) | instskip(NEXT) | instid1(VALU_DEP_1)
	v_add_f32_e32 v7, v9, v1
	v_mul_f32_e32 v17, v14, v7
	s_delay_alu instid0(VALU_DEP_1) | instskip(NEXT) | instid1(VALU_DEP_1)
	v_mul_f32_e32 v10, v13, v17
	v_fma_f32 v8, v17, v13, -v10
	s_delay_alu instid0(VALU_DEP_1) | instskip(NEXT) | instid1(VALU_DEP_1)
	v_fmac_f32_e32 v8, v17, v16
	v_dual_add_f32 v6, v10, v8 :: v_dual_sub_f32 v13, v9, v7
	s_delay_alu instid0(VALU_DEP_1) | instskip(NEXT) | instid1(VALU_DEP_1)
	v_dual_sub_f32 v11, v7, v6 :: v_dual_mov_b32 v9, v6
	v_pk_add_f32 v[6:7], v[6:7], v[10:11] neg_lo:[0,1] neg_hi:[0,1]
	v_add_f32_e32 v10, v15, v17
	s_delay_alu instid0(VALU_DEP_4) | instskip(NEXT) | instid1(VALU_DEP_3)
	v_add_f32_e32 v1, v1, v13
	v_pk_add_f32 v[6:7], v[6:7], v[8:9] neg_lo:[0,1] neg_hi:[0,1]
	v_cvt_f32_i32_e32 v8, v12
	s_delay_alu instid0(VALU_DEP_2) | instskip(NEXT) | instid1(VALU_DEP_1)
	v_add_f32_e32 v1, v1, v7
	v_add_f32_e32 v1, v6, v1
	v_sub_f32_e32 v6, v10, v15
	s_delay_alu instid0(VALU_DEP_1) | instskip(NEXT) | instid1(VALU_DEP_1)
	v_dual_sub_f32 v6, v17, v6 :: v_dual_add_f32 v1, v11, v1
	v_mul_f32_e32 v1, v14, v1
	s_delay_alu instid0(VALU_DEP_1) | instskip(NEXT) | instid1(VALU_DEP_1)
	v_dual_add_f32 v1, v6, v1 :: v_dual_mov_b32 v6, 0x3f317218
	v_add_f32_e32 v11, v10, v1
	s_delay_alu instid0(VALU_DEP_1) | instskip(NEXT) | instid1(VALU_DEP_1)
	v_mul_f32_e32 v7, v11, v11
	v_fmaak_f32 v13, s8, v7, 0x3ecc95a3
	v_mul_f32_e32 v9, v11, v7
	s_delay_alu instid0(VALU_DEP_2) | instskip(NEXT) | instid1(VALU_DEP_1)
	v_fmaak_f32 v7, v7, v13, 0x3f2aaada
	v_pk_mul_f32 v[6:7], v[8:9], v[6:7]
	s_delay_alu instid0(VALU_DEP_1) | instskip(NEXT) | instid1(VALU_DEP_1)
	v_fma_f32 v12, 0x3f317218, v8, -v6
	v_fmamk_f32 v8, v8, 0xb102e308, v12
	v_sub_f32_e32 v12, v11, v10
	s_delay_alu instid0(VALU_DEP_1) | instskip(SKIP_2) | instid1(VALU_DEP_3)
	v_sub_f32_e32 v1, v1, v12
	v_ldexp_f32 v9, v11, 1
	v_mov_b32_e32 v12, v6
	v_ldexp_f32 v1, v1, 1
	s_delay_alu instid0(VALU_DEP_3) | instskip(NEXT) | instid1(VALU_DEP_1)
	v_pk_add_f32 v[10:11], v[6:7], v[8:9]
	v_dual_sub_f32 v9, v11, v9 :: v_dual_mov_b32 v20, v11
	s_delay_alu instid0(VALU_DEP_1) | instskip(NEXT) | instid1(VALU_DEP_3)
	v_sub_f32_e32 v9, v7, v9
	v_pk_add_f32 v[6:7], v[10:11], v[6:7] neg_lo:[0,1] neg_hi:[0,1]
	s_delay_alu instid0(VALU_DEP_2) | instskip(NEXT) | instid1(VALU_DEP_1)
	v_dual_add_f32 v13, v1, v9 :: v_dual_mov_b32 v9, v10
	v_pk_add_f32 v[14:15], v[10:11], v[12:13]
	s_delay_alu instid0(VALU_DEP_1) | instskip(NEXT) | instid1(VALU_DEP_1)
	v_mov_b32_e32 v7, v15
	v_pk_add_f32 v[16:17], v[8:9], v[6:7]
	v_mov_b32_e32 v16, v15
	v_pk_add_f32 v[6:7], v[8:9], v[6:7] neg_lo:[0,1] neg_hi:[0,1]
	s_delay_alu instid0(VALU_DEP_3) | instskip(NEXT) | instid1(VALU_DEP_1)
	v_dual_mov_b32 v12, v17 :: v_dual_mov_b32 v7, v17
	v_pk_add_f32 v[18:19], v[12:13], v[10:11] neg_lo:[0,1] neg_hi:[0,1]
	v_dual_mov_b32 v11, v10 :: v_dual_mov_b32 v10, v13
	s_delay_alu instid0(VALU_DEP_2) | instskip(NEXT) | instid1(VALU_DEP_1)
	v_dual_mov_b32 v1, v18 :: v_dual_mov_b32 v21, v18
	v_pk_add_f32 v[14:15], v[14:15], v[0:1] neg_lo:[0,1] neg_hi:[0,1]
	s_delay_alu instid0(VALU_DEP_2) | instskip(SKIP_1) | instid1(VALU_DEP_2)
	v_pk_add_f32 v[8:9], v[16:17], v[20:21] neg_lo:[0,1] neg_hi:[0,1]
	v_mov_b32_e32 v14, v6
	v_pk_add_f32 v[8:9], v[10:11], v[8:9] neg_lo:[0,1] neg_hi:[0,1]
	s_delay_alu instid0(VALU_DEP_1) | instskip(NEXT) | instid1(VALU_DEP_1)
	v_pk_add_f32 v[10:11], v[14:15], v[8:9]
	v_mov_b32_e32 v14, v11
	s_delay_alu instid0(VALU_DEP_1) | instskip(NEXT) | instid1(VALU_DEP_1)
	v_pk_add_f32 v[14:15], v[10:11], v[14:15]
	v_pk_add_f32 v[12:13], v[12:13], v[14:15]
	s_delay_alu instid0(VALU_DEP_1) | instskip(NEXT) | instid1(VALU_DEP_1)
	v_mov_b32_e32 v11, v12
	v_pk_add_f32 v[16:17], v[10:11], v[6:7] neg_lo:[0,1] neg_hi:[0,1]
	s_delay_alu instid0(VALU_DEP_1) | instskip(NEXT) | instid1(VALU_DEP_1)
	v_sub_f32_e32 v1, v10, v16
	v_sub_f32_e32 v1, v6, v1
	v_mov_b32_e32 v9, v14
	s_delay_alu instid0(VALU_DEP_1) | instskip(NEXT) | instid1(VALU_DEP_1)
	v_pk_add_f32 v[8:9], v[8:9], v[16:17] neg_lo:[0,1] neg_hi:[0,1]
	v_add_f32_e32 v1, v8, v1
	s_delay_alu instid0(VALU_DEP_1) | instskip(NEXT) | instid1(VALU_DEP_1)
	v_add_f32_e32 v1, v1, v9
	v_add_f32_e32 v1, v12, v1
	s_delay_alu instid0(VALU_DEP_1) | instskip(SKIP_1) | instid1(VALU_DEP_2)
	v_cndmask_b32_e32 v1, 0x7f800000, v1, vcc_lo
	v_cmp_gt_f32_e64 vcc_lo, 0x33800000, |v22|
	v_cndmask_b32_e32 v1, v1, v22, vcc_lo
	s_delay_alu instid0(VALU_DEP_1) | instskip(NEXT) | instid1(VALU_DEP_1)
	v_div_scale_f32 v6, null, s9, s9, v1
	v_rcp_f32_e32 v7, v6
	v_nop
	s_delay_alu instid0(TRANS32_DEP_1) | instskip(NEXT) | instid1(VALU_DEP_1)
	v_fma_f32 v8, -v6, v7, 1.0
	v_fmac_f32_e32 v7, v8, v7
	v_div_scale_f32 v8, vcc_lo, v1, s9, v1
	s_delay_alu instid0(VALU_DEP_1) | instskip(NEXT) | instid1(VALU_DEP_1)
	v_mul_f32_e32 v9, v8, v7
	v_fma_f32 v10, -v6, v9, v8
	s_delay_alu instid0(VALU_DEP_1) | instskip(NEXT) | instid1(VALU_DEP_1)
	v_fmac_f32_e32 v9, v10, v7
	v_fma_f32 v6, -v6, v9, v8
	s_delay_alu instid0(VALU_DEP_1) | instskip(NEXT) | instid1(VALU_DEP_1)
	v_div_fmas_f32 v6, v6, v7, v9
	v_div_fixup_f32 v1, v6, s9, v1
	s_delay_alu instid0(VALU_DEP_1)
	v_cvt_f16_f32_e32 v1, v1
.LBB20_5:
	s_or_b32 exec_lo, exec_lo, s3
	v_lshrrev_b32_e32 v4, 16, v4
	s_mov_b32 s3, exec_lo
	s_delay_alu instid0(VALU_DEP_1) | instskip(NEXT) | instid1(VALU_DEP_1)
	v_cvt_f32_f16_e32 v6, v4
	v_mul_f32_e32 v6, s9, v6
	s_delay_alu instid0(VALU_DEP_1)
	v_cmpx_nlt_f32_e32 s10, v6
	s_cbranch_execz .LBB20_7
; %bb.6:
	v_mul_f32_e32 v4, 0x3fb8aa3b, v6
	v_cmp_ngt_f32_e32 vcc_lo, 0xc2ce8ed0, v6
	s_mov_b32 s8, 0x3e9b6dac
	s_delay_alu instid0(VALU_DEP_2) | instskip(SKIP_1) | instid1(VALU_DEP_2)
	v_rndne_f32_e32 v7, v4
	v_fma_f32 v8, 0x3fb8aa3b, v6, -v4
	v_sub_f32_e32 v4, v4, v7
	s_delay_alu instid0(VALU_DEP_2) | instskip(SKIP_1) | instid1(VALU_DEP_2)
	v_fmamk_f32 v8, v6, 0x32a5705f, v8
	v_cvt_i32_f32_e32 v7, v7
	v_add_f32_e32 v4, v4, v8
	s_delay_alu instid0(VALU_DEP_1) | instskip(SKIP_1) | instid1(TRANS32_DEP_1)
	v_exp_f32_e32 v4, v4
	v_nop
	v_ldexp_f32 v4, v4, v7
	s_delay_alu instid0(VALU_DEP_1) | instskip(SKIP_1) | instid1(VALU_DEP_2)
	v_cndmask_b32_e32 v4, 0, v4, vcc_lo
	v_cmp_nlt_f32_e32 vcc_lo, 0x42b17218, v6
	v_cndmask_b32_e32 v22, 0x7f800000, v4, vcc_lo
	s_delay_alu instid0(VALU_DEP_1) | instskip(NEXT) | instid1(VALU_DEP_1)
	v_add_f32_e32 v4, 1.0, v22
	v_cvt_f64_f32_e32 v[6:7], v4
	s_delay_alu instid0(VALU_DEP_1) | instskip(SKIP_1) | instid1(VALU_DEP_1)
	v_frexp_exp_i32_f64_e32 v6, v[6:7]
	v_frexp_mant_f32_e32 v7, v4
	v_cmp_gt_f32_e32 vcc_lo, 0x3f2aaaab, v7
	s_delay_alu instid0(VALU_DEP_3) | instskip(SKIP_1) | instid1(VALU_DEP_2)
	v_subrev_co_ci_u32_e64 v12, null, 0, v6, vcc_lo
	v_add_f32_e32 v6, -1.0, v4
	v_sub_nc_u32_e32 v7, 0, v12
	s_delay_alu instid0(VALU_DEP_2) | instskip(NEXT) | instid1(VALU_DEP_2)
	v_sub_f32_e32 v8, v6, v4
	v_ldexp_f32 v4, v4, v7
	s_delay_alu instid0(VALU_DEP_2) | instskip(NEXT) | instid1(VALU_DEP_2)
	v_add_f32_e32 v8, 1.0, v8
	v_dual_add_f32 v9, 1.0, v4 :: v_dual_add_f32 v11, -1.0, v4
	v_sub_f32_e32 v6, v22, v6
	v_cmp_neq_f32_e32 vcc_lo, 0x7f800000, v22
	s_delay_alu instid0(VALU_DEP_2) | instskip(NEXT) | instid1(VALU_DEP_1)
	v_dual_add_f32 v6, v6, v8 :: v_dual_add_f32 v8, -1.0, v9
	v_ldexp_f32 v6, v6, v7
	s_delay_alu instid0(VALU_DEP_2) | instskip(NEXT) | instid1(VALU_DEP_1)
	v_dual_sub_f32 v7, v4, v8 :: v_dual_add_f32 v8, 1.0, v11
	v_dual_sub_f32 v4, v4, v8 :: v_dual_add_f32 v10, v6, v7
	s_delay_alu instid0(VALU_DEP_1) | instskip(NEXT) | instid1(VALU_DEP_1)
	v_dual_add_f32 v4, v6, v4 :: v_dual_add_f32 v13, v9, v10
	v_dual_add_f32 v7, v11, v4 :: v_dual_sub_f32 v6, v9, v13
	v_rcp_f32_e32 v14, v13
	s_delay_alu instid0(VALU_DEP_1)
	v_dual_sub_f32 v17, v11, v7 :: v_dual_add_f32 v16, v10, v6
	s_delay_alu instid0(TRANS32_DEP_1) | instid1(VALU_DEP_1)
	v_dual_mul_f32 v15, v7, v14 :: v_dual_add_f32 v4, v4, v17
	s_delay_alu instid0(VALU_DEP_1) | instskip(NEXT) | instid1(VALU_DEP_1)
	v_mul_f32_e32 v8, v13, v15
	v_fma_f32 v10, v15, v13, -v8
	s_delay_alu instid0(VALU_DEP_1) | instskip(NEXT) | instid1(VALU_DEP_1)
	v_fmac_f32_e32 v10, v15, v16
	v_add_f32_e32 v6, v8, v10
	s_delay_alu instid0(VALU_DEP_1) | instskip(NEXT) | instid1(VALU_DEP_1)
	v_dual_sub_f32 v9, v7, v6 :: v_dual_mov_b32 v11, v6
	v_pk_add_f32 v[6:7], v[6:7], v[8:9] neg_lo:[0,1] neg_hi:[0,1]
	s_delay_alu instid0(VALU_DEP_1) | instskip(NEXT) | instid1(VALU_DEP_1)
	v_pk_add_f32 v[6:7], v[6:7], v[10:11] neg_lo:[0,1] neg_hi:[0,1]
	v_add_f32_e32 v4, v4, v7
	s_delay_alu instid0(VALU_DEP_1) | instskip(NEXT) | instid1(VALU_DEP_1)
	v_add_f32_e32 v4, v6, v4
	v_add_f32_e32 v7, v9, v4
	s_delay_alu instid0(VALU_DEP_1) | instskip(NEXT) | instid1(VALU_DEP_1)
	v_mul_f32_e32 v17, v14, v7
	v_mul_f32_e32 v10, v13, v17
	s_delay_alu instid0(VALU_DEP_1) | instskip(SKIP_1) | instid1(VALU_DEP_2)
	v_fma_f32 v8, v17, v13, -v10
	v_sub_f32_e32 v13, v9, v7
	v_fmac_f32_e32 v8, v17, v16
	s_delay_alu instid0(VALU_DEP_1) | instskip(NEXT) | instid1(VALU_DEP_1)
	v_add_f32_e32 v6, v10, v8
	v_dual_sub_f32 v11, v7, v6 :: v_dual_mov_b32 v9, v6
	s_delay_alu instid0(VALU_DEP_1) | instskip(NEXT) | instid1(VALU_DEP_1)
	v_pk_add_f32 v[6:7], v[6:7], v[10:11] neg_lo:[0,1] neg_hi:[0,1]
	v_pk_add_f32 v[6:7], v[6:7], v[8:9] neg_lo:[0,1] neg_hi:[0,1]
	v_add_f32_e32 v10, v15, v17
	v_add_f32_e32 v4, v4, v13
	v_cvt_f32_i32_e32 v8, v12
	s_delay_alu instid0(VALU_DEP_2) | instskip(NEXT) | instid1(VALU_DEP_1)
	v_add_f32_e32 v4, v4, v7
	v_add_f32_e32 v4, v6, v4
	s_delay_alu instid0(VALU_DEP_1) | instskip(NEXT) | instid1(VALU_DEP_1)
	v_dual_sub_f32 v6, v10, v15 :: v_dual_add_f32 v4, v11, v4
	v_dual_sub_f32 v6, v17, v6 :: v_dual_mul_f32 v4, v14, v4
	s_delay_alu instid0(VALU_DEP_1) | instskip(NEXT) | instid1(VALU_DEP_1)
	v_add_f32_e32 v4, v6, v4
	v_dual_mov_b32 v6, 0x3f317218 :: v_dual_add_f32 v11, v10, v4
	s_delay_alu instid0(VALU_DEP_1) | instskip(NEXT) | instid1(VALU_DEP_1)
	v_mul_f32_e32 v7, v11, v11
	v_fmaak_f32 v13, s8, v7, 0x3ecc95a3
	v_mul_f32_e32 v9, v11, v7
	s_delay_alu instid0(VALU_DEP_2) | instskip(NEXT) | instid1(VALU_DEP_1)
	v_fmaak_f32 v7, v7, v13, 0x3f2aaada
	v_pk_mul_f32 v[6:7], v[8:9], v[6:7]
	v_ldexp_f32 v9, v11, 1
	s_delay_alu instid0(VALU_DEP_2) | instskip(NEXT) | instid1(VALU_DEP_1)
	v_fma_f32 v12, 0x3f317218, v8, -v6
	v_fmamk_f32 v8, v8, 0xb102e308, v12
	v_sub_f32_e32 v12, v11, v10
	s_delay_alu instid0(VALU_DEP_2) | instskip(NEXT) | instid1(VALU_DEP_1)
	v_pk_add_f32 v[10:11], v[6:7], v[8:9]
	v_dual_sub_f32 v9, v11, v9 :: v_dual_sub_f32 v4, v4, v12
	s_delay_alu instid0(VALU_DEP_1) | instskip(NEXT) | instid1(VALU_DEP_2)
	v_dual_mov_b32 v12, v6 :: v_dual_sub_f32 v9, v7, v9
	v_ldexp_f32 v4, v4, 1
	s_delay_alu instid0(VALU_DEP_4) | instskip(NEXT) | instid1(VALU_DEP_2)
	v_pk_add_f32 v[6:7], v[10:11], v[6:7] neg_lo:[0,1] neg_hi:[0,1]
	v_dual_add_f32 v13, v4, v9 :: v_dual_mov_b32 v9, v10
	s_delay_alu instid0(VALU_DEP_1) | instskip(NEXT) | instid1(VALU_DEP_1)
	v_pk_add_f32 v[14:15], v[10:11], v[12:13]
	v_dual_mov_b32 v20, v11 :: v_dual_mov_b32 v7, v15
	s_delay_alu instid0(VALU_DEP_1) | instskip(NEXT) | instid1(VALU_DEP_1)
	v_pk_add_f32 v[16:17], v[8:9], v[6:7]
	v_dual_mov_b32 v16, v15 :: v_dual_mov_b32 v4, v17
	v_pk_add_f32 v[6:7], v[8:9], v[6:7] neg_lo:[0,1] neg_hi:[0,1]
	v_mov_b32_e32 v7, v17
	s_delay_alu instid0(VALU_DEP_3) | instskip(SKIP_1) | instid1(VALU_DEP_2)
	v_pk_add_f32 v[18:19], v[4:5], v[10:11] neg_lo:[0,1] neg_hi:[0,1]
	v_dual_mov_b32 v11, v10 :: v_dual_mov_b32 v10, v13
	v_dual_mov_b32 v13, v18 :: v_dual_mov_b32 v21, v18
	s_delay_alu instid0(VALU_DEP_1) | instskip(NEXT) | instid1(VALU_DEP_2)
	v_pk_add_f32 v[12:13], v[14:15], v[12:13] neg_lo:[0,1] neg_hi:[0,1]
	v_pk_add_f32 v[8:9], v[16:17], v[20:21] neg_lo:[0,1] neg_hi:[0,1]
	v_mov_b32_e32 v12, v6
	s_delay_alu instid0(VALU_DEP_2) | instskip(NEXT) | instid1(VALU_DEP_1)
	v_pk_add_f32 v[8:9], v[10:11], v[8:9] neg_lo:[0,1] neg_hi:[0,1]
	v_pk_add_f32 v[10:11], v[12:13], v[8:9]
	s_delay_alu instid0(VALU_DEP_1) | instskip(NEXT) | instid1(VALU_DEP_1)
	v_mov_b32_e32 v12, v11
	v_pk_add_f32 v[12:13], v[10:11], v[12:13]
	s_delay_alu instid0(VALU_DEP_1) | instskip(NEXT) | instid1(VALU_DEP_1)
	v_pk_add_f32 v[14:15], v[4:5], v[12:13]
	v_mov_b32_e32 v11, v14
	s_delay_alu instid0(VALU_DEP_1) | instskip(NEXT) | instid1(VALU_DEP_1)
	v_pk_add_f32 v[16:17], v[10:11], v[6:7] neg_lo:[0,1] neg_hi:[0,1]
	v_dual_mov_b32 v9, v12 :: v_dual_sub_f32 v4, v10, v16
	s_delay_alu instid0(VALU_DEP_1) | instskip(NEXT) | instid1(VALU_DEP_2)
	v_pk_add_f32 v[8:9], v[8:9], v[16:17] neg_lo:[0,1] neg_hi:[0,1]
	v_sub_f32_e32 v4, v6, v4
	s_delay_alu instid0(VALU_DEP_1) | instskip(NEXT) | instid1(VALU_DEP_1)
	v_add_f32_e32 v4, v8, v4
	v_add_f32_e32 v4, v4, v9
	s_delay_alu instid0(VALU_DEP_1) | instskip(NEXT) | instid1(VALU_DEP_1)
	v_add_f32_e32 v4, v14, v4
	v_cndmask_b32_e32 v4, 0x7f800000, v4, vcc_lo
	v_cmp_gt_f32_e64 vcc_lo, 0x33800000, |v22|
	s_delay_alu instid0(VALU_DEP_2) | instskip(NEXT) | instid1(VALU_DEP_1)
	v_cndmask_b32_e32 v4, v4, v22, vcc_lo
	v_div_scale_f32 v6, null, s9, s9, v4
	s_delay_alu instid0(VALU_DEP_1) | instskip(SKIP_1) | instid1(TRANS32_DEP_1)
	v_rcp_f32_e32 v7, v6
	v_nop
	v_fma_f32 v8, -v6, v7, 1.0
	s_delay_alu instid0(VALU_DEP_1) | instskip(SKIP_1) | instid1(VALU_DEP_1)
	v_fmac_f32_e32 v7, v8, v7
	v_div_scale_f32 v8, vcc_lo, v4, s9, v4
	v_mul_f32_e32 v9, v8, v7
	s_delay_alu instid0(VALU_DEP_1) | instskip(NEXT) | instid1(VALU_DEP_1)
	v_fma_f32 v10, -v6, v9, v8
	v_fmac_f32_e32 v9, v10, v7
	s_delay_alu instid0(VALU_DEP_1) | instskip(NEXT) | instid1(VALU_DEP_1)
	v_fma_f32 v6, -v6, v9, v8
	v_div_fmas_f32 v6, v6, v7, v9
	s_delay_alu instid0(VALU_DEP_1) | instskip(NEXT) | instid1(VALU_DEP_1)
	v_div_fixup_f32 v4, v6, s9, v4
	v_cvt_f16_f32_e32 v4, v4
.LBB20_7:
	s_or_b32 exec_lo, exec_lo, s3
	v_cvt_f32_f16_e32 v6, v5
	s_mov_b32 s3, exec_lo
	s_delay_alu instid0(VALU_DEP_1) | instskip(NEXT) | instid1(VALU_DEP_1)
	v_dual_mul_f32 v7, s9, v6 :: v_dual_mov_b32 v6, v5
	v_cmpx_nlt_f32_e32 s10, v7
	s_cbranch_execz .LBB20_9
; %bb.8:
	v_mul_f32_e32 v6, 0x3fb8aa3b, v7
	v_cmp_ngt_f32_e32 vcc_lo, 0xc2ce8ed0, v7
	s_mov_b32 s8, 0x3e9b6dac
	s_delay_alu instid0(VALU_DEP_2) | instskip(SKIP_1) | instid1(VALU_DEP_1)
	v_rndne_f32_e32 v8, v6
	v_fma_f32 v9, 0x3fb8aa3b, v7, -v6
	v_dual_sub_f32 v6, v6, v8 :: v_dual_fmamk_f32 v9, v7, 0x32a5705f, v9
	v_cvt_i32_f32_e32 v8, v8
	s_delay_alu instid0(VALU_DEP_2) | instskip(NEXT) | instid1(VALU_DEP_1)
	v_add_f32_e32 v6, v6, v9
	v_exp_f32_e32 v6, v6
	v_nop
	s_delay_alu instid0(TRANS32_DEP_1) | instskip(NEXT) | instid1(VALU_DEP_1)
	v_ldexp_f32 v6, v6, v8
	v_cndmask_b32_e32 v6, 0, v6, vcc_lo
	v_cmp_nlt_f32_e32 vcc_lo, 0x42b17218, v7
	s_delay_alu instid0(VALU_DEP_2) | instskip(NEXT) | instid1(VALU_DEP_1)
	v_cndmask_b32_e32 v22, 0x7f800000, v6, vcc_lo
	v_add_f32_e32 v8, 1.0, v22
	s_delay_alu instid0(VALU_DEP_1) | instskip(NEXT) | instid1(VALU_DEP_1)
	v_cvt_f64_f32_e32 v[6:7], v8
	v_frexp_exp_i32_f64_e32 v6, v[6:7]
	v_frexp_mant_f32_e32 v7, v8
	s_delay_alu instid0(VALU_DEP_1) | instskip(NEXT) | instid1(VALU_DEP_3)
	v_cmp_gt_f32_e32 vcc_lo, 0x3f2aaaab, v7
	v_subrev_co_ci_u32_e64 v12, null, 0, v6, vcc_lo
	v_add_f32_e32 v6, -1.0, v8
	s_delay_alu instid0(VALU_DEP_2) | instskip(NEXT) | instid1(VALU_DEP_2)
	v_sub_nc_u32_e32 v7, 0, v12
	v_sub_f32_e32 v9, v6, v8
	v_cmp_neq_f32_e32 vcc_lo, 0x7f800000, v22
	s_delay_alu instid0(VALU_DEP_3) | instskip(NEXT) | instid1(VALU_DEP_1)
	v_ldexp_f32 v8, v8, v7
	v_dual_add_f32 v9, 1.0, v9 :: v_dual_add_f32 v10, 1.0, v8
	v_dual_sub_f32 v6, v22, v6 :: v_dual_add_f32 v11, -1.0, v8
	s_delay_alu instid0(VALU_DEP_1) | instskip(NEXT) | instid1(VALU_DEP_1)
	v_dual_add_f32 v6, v6, v9 :: v_dual_add_f32 v9, -1.0, v10
	v_ldexp_f32 v6, v6, v7
	s_delay_alu instid0(VALU_DEP_2) | instskip(NEXT) | instid1(VALU_DEP_1)
	v_dual_sub_f32 v7, v8, v9 :: v_dual_add_f32 v9, 1.0, v11
	v_dual_add_f32 v13, v6, v7 :: v_dual_sub_f32 v7, v8, v9
	s_delay_alu instid0(VALU_DEP_1) | instskip(NEXT) | instid1(VALU_DEP_1)
	v_add_f32_e32 v15, v6, v7
	v_dual_add_f32 v14, v10, v13 :: v_dual_add_f32 v7, v11, v15
	s_delay_alu instid0(VALU_DEP_1) | instskip(NEXT) | instid1(VALU_DEP_1)
	v_rcp_f32_e32 v16, v14
	v_sub_f32_e32 v18, v11, v7
	s_delay_alu instid0(TRANS32_DEP_1) | instskip(NEXT) | instid1(VALU_DEP_1)
	v_mul_f32_e32 v17, v7, v16
	v_mul_f32_e32 v8, v14, v17
	s_delay_alu instid0(VALU_DEP_1) | instskip(NEXT) | instid1(VALU_DEP_1)
	v_dual_sub_f32 v6, v10, v14 :: v_dual_fma_f32 v10, v17, v14, -v8
	v_add_f32_e32 v13, v13, v6
	s_delay_alu instid0(VALU_DEP_1) | instskip(NEXT) | instid1(VALU_DEP_1)
	v_fmac_f32_e32 v10, v17, v13
	v_add_f32_e32 v6, v8, v10
	s_delay_alu instid0(VALU_DEP_1) | instskip(NEXT) | instid1(VALU_DEP_1)
	v_dual_sub_f32 v9, v7, v6 :: v_dual_mov_b32 v11, v6
	v_pk_add_f32 v[6:7], v[6:7], v[8:9] neg_lo:[0,1] neg_hi:[0,1]
	v_add_f32_e32 v8, v15, v18
	s_delay_alu instid0(VALU_DEP_2) | instskip(NEXT) | instid1(VALU_DEP_1)
	v_pk_add_f32 v[6:7], v[6:7], v[10:11] neg_lo:[0,1] neg_hi:[0,1]
	v_add_f32_e32 v7, v8, v7
	s_delay_alu instid0(VALU_DEP_1) | instskip(NEXT) | instid1(VALU_DEP_1)
	v_add_f32_e32 v15, v6, v7
	v_add_f32_e32 v7, v9, v15
	s_delay_alu instid0(VALU_DEP_1) | instskip(NEXT) | instid1(VALU_DEP_1)
	v_mul_f32_e32 v18, v16, v7
	v_mul_f32_e32 v10, v14, v18
	s_delay_alu instid0(VALU_DEP_1) | instskip(NEXT) | instid1(VALU_DEP_1)
	v_fma_f32 v8, v18, v14, -v10
	v_dual_fmac_f32 v8, v18, v13 :: v_dual_sub_f32 v13, v9, v7
	s_delay_alu instid0(VALU_DEP_1) | instskip(NEXT) | instid1(VALU_DEP_1)
	v_add_f32_e32 v6, v10, v8
	v_dual_sub_f32 v11, v7, v6 :: v_dual_mov_b32 v9, v6
	s_delay_alu instid0(VALU_DEP_1) | instskip(NEXT) | instid1(VALU_DEP_4)
	v_pk_add_f32 v[6:7], v[6:7], v[10:11] neg_lo:[0,1] neg_hi:[0,1]
	v_add_f32_e32 v10, v15, v13
	s_delay_alu instid0(VALU_DEP_2) | instskip(SKIP_1) | instid1(VALU_DEP_2)
	v_pk_add_f32 v[6:7], v[6:7], v[8:9] neg_lo:[0,1] neg_hi:[0,1]
	v_cvt_f32_i32_e32 v8, v12
	v_dual_add_f32 v7, v10, v7 :: v_dual_add_f32 v10, v17, v18
	s_delay_alu instid0(VALU_DEP_1) | instskip(NEXT) | instid1(VALU_DEP_1)
	v_add_f32_e32 v6, v6, v7
	v_dual_sub_f32 v7, v10, v17 :: v_dual_add_f32 v6, v11, v6
	s_delay_alu instid0(VALU_DEP_1) | instskip(NEXT) | instid1(VALU_DEP_1)
	v_dual_sub_f32 v7, v18, v7 :: v_dual_mul_f32 v6, v16, v6
	v_dual_add_f32 v13, v7, v6 :: v_dual_mov_b32 v6, 0x3f317218
	s_delay_alu instid0(VALU_DEP_1) | instskip(NEXT) | instid1(VALU_DEP_1)
	v_add_f32_e32 v11, v10, v13
	v_mul_f32_e32 v7, v11, v11
	s_delay_alu instid0(VALU_DEP_1) | instskip(NEXT) | instid1(VALU_DEP_1)
	v_dual_fmaak_f32 v14, s8, v7, 0x3ecc95a3 :: v_dual_mul_f32 v9, v11, v7
	v_fmaak_f32 v7, v7, v14, 0x3f2aaada
	s_delay_alu instid0(VALU_DEP_1) | instskip(SKIP_1) | instid1(VALU_DEP_2)
	v_pk_mul_f32 v[6:7], v[8:9], v[6:7]
	v_ldexp_f32 v9, v11, 1
	v_fma_f32 v12, 0x3f317218, v8, -v6
	s_delay_alu instid0(VALU_DEP_1) | instskip(SKIP_1) | instid1(VALU_DEP_2)
	v_fmamk_f32 v8, v8, 0xb102e308, v12
	v_sub_f32_e32 v12, v11, v10
	v_pk_add_f32 v[10:11], v[6:7], v[8:9]
	s_delay_alu instid0(VALU_DEP_1) | instskip(NEXT) | instid1(VALU_DEP_1)
	v_dual_sub_f32 v9, v11, v9 :: v_dual_sub_f32 v12, v13, v12
	v_sub_f32_e32 v9, v7, v9
	s_delay_alu instid0(VALU_DEP_2) | instskip(SKIP_2) | instid1(VALU_DEP_3)
	v_ldexp_f32 v13, v12, 1
	v_mov_b32_e32 v12, v6
	v_pk_add_f32 v[6:7], v[10:11], v[6:7] neg_lo:[0,1] neg_hi:[0,1]
	v_dual_add_f32 v13, v13, v9 :: v_dual_mov_b32 v9, v10
	s_delay_alu instid0(VALU_DEP_1) | instskip(NEXT) | instid1(VALU_DEP_1)
	v_pk_add_f32 v[14:15], v[10:11], v[12:13]
	v_dual_mov_b32 v20, v11 :: v_dual_mov_b32 v7, v15
	s_delay_alu instid0(VALU_DEP_1) | instskip(NEXT) | instid1(VALU_DEP_1)
	v_pk_add_f32 v[16:17], v[8:9], v[6:7]
	v_dual_mov_b32 v16, v15 :: v_dual_mov_b32 v12, v17
	v_pk_add_f32 v[6:7], v[8:9], v[6:7] neg_lo:[0,1] neg_hi:[0,1]
	v_mov_b32_e32 v7, v17
	s_delay_alu instid0(VALU_DEP_3) | instskip(SKIP_1) | instid1(VALU_DEP_2)
	v_pk_add_f32 v[18:19], v[12:13], v[10:11] neg_lo:[0,1] neg_hi:[0,1]
	v_dual_mov_b32 v11, v10 :: v_dual_mov_b32 v10, v13
	v_dual_mov_b32 v13, v18 :: v_dual_mov_b32 v21, v18
	s_delay_alu instid0(VALU_DEP_1) | instskip(NEXT) | instid1(VALU_DEP_2)
	v_pk_add_f32 v[14:15], v[14:15], v[12:13] neg_lo:[0,1] neg_hi:[0,1]
	v_pk_add_f32 v[8:9], v[16:17], v[20:21] neg_lo:[0,1] neg_hi:[0,1]
	v_mov_b32_e32 v14, v6
	s_delay_alu instid0(VALU_DEP_2) | instskip(NEXT) | instid1(VALU_DEP_1)
	v_pk_add_f32 v[8:9], v[10:11], v[8:9] neg_lo:[0,1] neg_hi:[0,1]
	v_pk_add_f32 v[10:11], v[14:15], v[8:9]
	s_delay_alu instid0(VALU_DEP_1) | instskip(NEXT) | instid1(VALU_DEP_1)
	v_mov_b32_e32 v14, v11
	v_pk_add_f32 v[14:15], v[10:11], v[14:15]
	s_delay_alu instid0(VALU_DEP_1) | instskip(NEXT) | instid1(VALU_DEP_1)
	v_pk_add_f32 v[12:13], v[12:13], v[14:15]
	v_mov_b32_e32 v11, v12
	s_delay_alu instid0(VALU_DEP_1) | instskip(NEXT) | instid1(VALU_DEP_1)
	v_pk_add_f32 v[16:17], v[10:11], v[6:7] neg_lo:[0,1] neg_hi:[0,1]
	v_sub_f32_e32 v7, v10, v16
	s_delay_alu instid0(VALU_DEP_1) | instskip(SKIP_1) | instid1(VALU_DEP_1)
	v_sub_f32_e32 v6, v6, v7
	v_mov_b32_e32 v9, v14
	v_pk_add_f32 v[8:9], v[8:9], v[16:17] neg_lo:[0,1] neg_hi:[0,1]
	s_delay_alu instid0(VALU_DEP_1) | instskip(NEXT) | instid1(VALU_DEP_1)
	v_add_f32_e32 v6, v8, v6
	v_add_f32_e32 v6, v6, v9
	s_delay_alu instid0(VALU_DEP_1) | instskip(NEXT) | instid1(VALU_DEP_1)
	v_add_f32_e32 v6, v12, v6
	v_cndmask_b32_e32 v6, 0x7f800000, v6, vcc_lo
	v_cmp_gt_f32_e64 vcc_lo, 0x33800000, |v22|
	s_delay_alu instid0(VALU_DEP_2) | instskip(NEXT) | instid1(VALU_DEP_1)
	v_cndmask_b32_e32 v6, v6, v22, vcc_lo
	v_div_scale_f32 v7, null, s9, s9, v6
	s_delay_alu instid0(VALU_DEP_1) | instskip(SKIP_1) | instid1(TRANS32_DEP_1)
	v_rcp_f32_e32 v8, v7
	v_nop
	v_fma_f32 v9, -v7, v8, 1.0
	s_delay_alu instid0(VALU_DEP_1) | instskip(SKIP_1) | instid1(VALU_DEP_1)
	v_fmac_f32_e32 v8, v9, v8
	v_div_scale_f32 v9, vcc_lo, v6, s9, v6
	v_mul_f32_e32 v10, v9, v8
	s_delay_alu instid0(VALU_DEP_1) | instskip(NEXT) | instid1(VALU_DEP_1)
	v_fma_f32 v11, -v7, v10, v9
	v_fmac_f32_e32 v10, v11, v8
	s_delay_alu instid0(VALU_DEP_1) | instskip(NEXT) | instid1(VALU_DEP_1)
	v_fma_f32 v7, -v7, v10, v9
	v_div_fmas_f32 v7, v7, v8, v10
	s_delay_alu instid0(VALU_DEP_1) | instskip(NEXT) | instid1(VALU_DEP_1)
	v_div_fixup_f32 v6, v7, s9, v6
	v_cvt_f16_f32_e32 v6, v6
.LBB20_9:
	s_or_b32 exec_lo, exec_lo, s3
	v_lshrrev_b32_e32 v5, 16, v5
	s_mov_b32 s3, exec_lo
	s_delay_alu instid0(VALU_DEP_1) | instskip(NEXT) | instid1(VALU_DEP_1)
	v_cvt_f32_f16_e32 v7, v5
	v_mul_f32_e32 v7, s9, v7
	s_delay_alu instid0(VALU_DEP_1)
	v_cmpx_nlt_f32_e32 s10, v7
	s_cbranch_execz .LBB20_11
; %bb.10:
	v_mul_f32_e32 v5, 0x3fb8aa3b, v7
	v_cmp_ngt_f32_e32 vcc_lo, 0xc2ce8ed0, v7
	s_mov_b32 s8, 0x3e9b6dac
	s_delay_alu instid0(VALU_DEP_2) | instskip(SKIP_1) | instid1(VALU_DEP_2)
	v_rndne_f32_e32 v8, v5
	v_fma_f32 v9, 0x3fb8aa3b, v7, -v5
	v_sub_f32_e32 v5, v5, v8
	s_delay_alu instid0(VALU_DEP_2) | instskip(SKIP_1) | instid1(VALU_DEP_2)
	v_fmamk_f32 v9, v7, 0x32a5705f, v9
	v_cvt_i32_f32_e32 v8, v8
	v_add_f32_e32 v5, v5, v9
	s_delay_alu instid0(VALU_DEP_1) | instskip(SKIP_1) | instid1(TRANS32_DEP_1)
	v_exp_f32_e32 v5, v5
	v_nop
	v_ldexp_f32 v5, v5, v8
	s_delay_alu instid0(VALU_DEP_1) | instskip(SKIP_1) | instid1(VALU_DEP_2)
	v_cndmask_b32_e32 v5, 0, v5, vcc_lo
	v_cmp_nlt_f32_e32 vcc_lo, 0x42b17218, v7
	v_cndmask_b32_e32 v7, 0x7f800000, v5, vcc_lo
	s_delay_alu instid0(VALU_DEP_1) | instskip(NEXT) | instid1(VALU_DEP_1)
	v_add_f32_e32 v5, 1.0, v7
	v_cvt_f64_f32_e32 v[8:9], v5
	s_delay_alu instid0(VALU_DEP_1) | instskip(SKIP_1) | instid1(VALU_DEP_1)
	v_frexp_exp_i32_f64_e32 v8, v[8:9]
	v_frexp_mant_f32_e32 v9, v5
	v_cmp_gt_f32_e32 vcc_lo, 0x3f2aaaab, v9
	s_delay_alu instid0(VALU_DEP_3) | instskip(NEXT) | instid1(VALU_DEP_1)
	v_subrev_co_ci_u32_e64 v14, null, 0, v8, vcc_lo
	v_dual_add_f32 v8, -1.0, v5 :: v_dual_sub_nc_u32 v9, 0, v14
	s_delay_alu instid0(VALU_DEP_1) | instskip(SKIP_1) | instid1(VALU_DEP_3)
	v_dual_sub_f32 v10, v8, v5 :: v_dual_sub_f32 v8, v7, v8
	v_cmp_neq_f32_e32 vcc_lo, 0x7f800000, v7
	v_ldexp_f32 v5, v5, v9
	s_delay_alu instid0(VALU_DEP_1) | instskip(NEXT) | instid1(VALU_DEP_1)
	v_dual_add_f32 v10, 1.0, v10 :: v_dual_add_f32 v11, 1.0, v5
	v_dual_add_f32 v13, -1.0, v5 :: v_dual_add_f32 v8, v8, v10
	s_delay_alu instid0(VALU_DEP_1) | instskip(NEXT) | instid1(VALU_DEP_3)
	v_ldexp_f32 v8, v8, v9
	v_add_f32_e32 v10, -1.0, v11
	s_delay_alu instid0(VALU_DEP_1) | instskip(NEXT) | instid1(VALU_DEP_1)
	v_dual_sub_f32 v9, v5, v10 :: v_dual_add_f32 v10, 1.0, v13
	v_dual_sub_f32 v5, v5, v10 :: v_dual_add_f32 v12, v8, v9
	s_delay_alu instid0(VALU_DEP_1) | instskip(NEXT) | instid1(VALU_DEP_1)
	v_dual_add_f32 v5, v8, v5 :: v_dual_add_f32 v15, v11, v12
	v_dual_add_f32 v9, v13, v5 :: v_dual_sub_f32 v8, v11, v15
	v_rcp_f32_e32 v16, v15
	s_delay_alu instid0(VALU_DEP_1) | instskip(NEXT) | instid1(TRANS32_DEP_1)
	v_dual_sub_f32 v19, v13, v9 :: v_dual_add_f32 v18, v12, v8
	v_mul_f32_e32 v17, v9, v16
	s_delay_alu instid0(VALU_DEP_1) | instskip(NEXT) | instid1(VALU_DEP_1)
	v_dual_add_f32 v5, v5, v19 :: v_dual_mul_f32 v10, v15, v17
	v_fma_f32 v12, v17, v15, -v10
	s_delay_alu instid0(VALU_DEP_1) | instskip(NEXT) | instid1(VALU_DEP_1)
	v_fmac_f32_e32 v12, v17, v18
	v_add_f32_e32 v8, v10, v12
	s_delay_alu instid0(VALU_DEP_1) | instskip(NEXT) | instid1(VALU_DEP_1)
	v_dual_sub_f32 v11, v9, v8 :: v_dual_mov_b32 v13, v8
	v_pk_add_f32 v[8:9], v[8:9], v[10:11] neg_lo:[0,1] neg_hi:[0,1]
	s_delay_alu instid0(VALU_DEP_1) | instskip(NEXT) | instid1(VALU_DEP_1)
	v_pk_add_f32 v[8:9], v[8:9], v[12:13] neg_lo:[0,1] neg_hi:[0,1]
	v_add_f32_e32 v5, v5, v9
	s_delay_alu instid0(VALU_DEP_1) | instskip(NEXT) | instid1(VALU_DEP_1)
	v_add_f32_e32 v5, v8, v5
	v_add_f32_e32 v9, v11, v5
	s_delay_alu instid0(VALU_DEP_1) | instskip(NEXT) | instid1(VALU_DEP_1)
	v_mul_f32_e32 v19, v16, v9
	v_mul_f32_e32 v12, v15, v19
	s_delay_alu instid0(VALU_DEP_1) | instskip(SKIP_1) | instid1(VALU_DEP_1)
	v_fma_f32 v10, v19, v15, -v12
	v_sub_f32_e32 v15, v11, v9
	v_dual_fmac_f32 v10, v19, v18 :: v_dual_add_f32 v5, v5, v15
	s_delay_alu instid0(VALU_DEP_1) | instskip(NEXT) | instid1(VALU_DEP_1)
	v_add_f32_e32 v8, v12, v10
	v_dual_sub_f32 v13, v9, v8 :: v_dual_mov_b32 v11, v8
	s_delay_alu instid0(VALU_DEP_1) | instskip(NEXT) | instid1(VALU_DEP_1)
	v_pk_add_f32 v[8:9], v[8:9], v[12:13] neg_lo:[0,1] neg_hi:[0,1]
	v_pk_add_f32 v[8:9], v[8:9], v[10:11] neg_lo:[0,1] neg_hi:[0,1]
	v_cvt_f32_i32_e32 v10, v14
	s_delay_alu instid0(VALU_DEP_2) | instskip(NEXT) | instid1(VALU_DEP_1)
	v_add_f32_e32 v5, v5, v9
	v_dual_add_f32 v12, v17, v19 :: v_dual_add_f32 v5, v8, v5
	s_delay_alu instid0(VALU_DEP_1) | instskip(NEXT) | instid1(VALU_DEP_1)
	v_sub_f32_e32 v8, v12, v17
	v_dual_add_f32 v5, v13, v5 :: v_dual_sub_f32 v8, v19, v8
	s_delay_alu instid0(VALU_DEP_1) | instskip(NEXT) | instid1(VALU_DEP_1)
	v_mul_f32_e32 v5, v16, v5
	v_dual_add_f32 v5, v8, v5 :: v_dual_mov_b32 v8, 0x3f317218
	s_delay_alu instid0(VALU_DEP_1) | instskip(NEXT) | instid1(VALU_DEP_1)
	v_add_f32_e32 v13, v12, v5
	v_mul_f32_e32 v9, v13, v13
	s_delay_alu instid0(VALU_DEP_1) | instskip(SKIP_1) | instid1(VALU_DEP_2)
	v_fmaak_f32 v15, s8, v9, 0x3ecc95a3
	v_mul_f32_e32 v11, v13, v9
	v_fmaak_f32 v9, v9, v15, 0x3f2aaada
	s_delay_alu instid0(VALU_DEP_1) | instskip(NEXT) | instid1(VALU_DEP_1)
	v_pk_mul_f32 v[8:9], v[10:11], v[8:9]
	v_fma_f32 v14, 0x3f317218, v10, -v8
	s_delay_alu instid0(VALU_DEP_1) | instskip(SKIP_1) | instid1(VALU_DEP_1)
	v_fmamk_f32 v10, v10, 0xb102e308, v14
	v_sub_f32_e32 v14, v13, v12
	v_sub_f32_e32 v5, v5, v14
	v_ldexp_f32 v11, v13, 1
	v_mov_b32_e32 v14, v8
	s_delay_alu instid0(VALU_DEP_3) | instskip(NEXT) | instid1(VALU_DEP_3)
	v_ldexp_f32 v5, v5, 1
	v_pk_add_f32 v[12:13], v[8:9], v[10:11]
	s_delay_alu instid0(VALU_DEP_1) | instskip(NEXT) | instid1(VALU_DEP_1)
	v_dual_sub_f32 v11, v13, v11 :: v_dual_mov_b32 v22, v13
	v_sub_f32_e32 v11, v9, v11
	s_delay_alu instid0(VALU_DEP_3) | instskip(NEXT) | instid1(VALU_DEP_2)
	v_pk_add_f32 v[8:9], v[12:13], v[8:9] neg_lo:[0,1] neg_hi:[0,1]
	v_dual_add_f32 v15, v5, v11 :: v_dual_mov_b32 v11, v12
	s_delay_alu instid0(VALU_DEP_1) | instskip(NEXT) | instid1(VALU_DEP_1)
	v_pk_add_f32 v[16:17], v[12:13], v[14:15]
	v_mov_b32_e32 v9, v17
	s_delay_alu instid0(VALU_DEP_1) | instskip(SKIP_2) | instid1(VALU_DEP_3)
	v_pk_add_f32 v[18:19], v[10:11], v[8:9]
	v_mov_b32_e32 v18, v17
	v_pk_add_f32 v[8:9], v[10:11], v[8:9] neg_lo:[0,1] neg_hi:[0,1]
	v_dual_mov_b32 v14, v19 :: v_dual_mov_b32 v9, v19
	s_delay_alu instid0(VALU_DEP_1) | instskip(SKIP_1) | instid1(VALU_DEP_2)
	v_pk_add_f32 v[20:21], v[14:15], v[12:13] neg_lo:[0,1] neg_hi:[0,1]
	v_dual_mov_b32 v13, v12 :: v_dual_mov_b32 v12, v15
	v_dual_mov_b32 v5, v20 :: v_dual_mov_b32 v23, v20
	s_delay_alu instid0(VALU_DEP_1) | instskip(NEXT) | instid1(VALU_DEP_2)
	v_pk_add_f32 v[16:17], v[16:17], v[4:5] neg_lo:[0,1] neg_hi:[0,1]
	v_pk_add_f32 v[10:11], v[18:19], v[22:23] neg_lo:[0,1] neg_hi:[0,1]
	v_mov_b32_e32 v16, v8
	s_delay_alu instid0(VALU_DEP_2) | instskip(NEXT) | instid1(VALU_DEP_1)
	v_pk_add_f32 v[10:11], v[12:13], v[10:11] neg_lo:[0,1] neg_hi:[0,1]
	v_pk_add_f32 v[12:13], v[16:17], v[10:11]
	s_delay_alu instid0(VALU_DEP_1) | instskip(NEXT) | instid1(VALU_DEP_1)
	v_mov_b32_e32 v16, v13
	v_pk_add_f32 v[16:17], v[12:13], v[16:17]
	s_delay_alu instid0(VALU_DEP_1) | instskip(NEXT) | instid1(VALU_DEP_1)
	v_pk_add_f32 v[14:15], v[14:15], v[16:17]
	v_mov_b32_e32 v13, v14
	s_delay_alu instid0(VALU_DEP_1) | instskip(NEXT) | instid1(VALU_DEP_1)
	v_pk_add_f32 v[18:19], v[12:13], v[8:9] neg_lo:[0,1] neg_hi:[0,1]
	v_sub_f32_e32 v5, v12, v18
	s_delay_alu instid0(VALU_DEP_1) | instskip(SKIP_1) | instid1(VALU_DEP_1)
	v_sub_f32_e32 v5, v8, v5
	v_mov_b32_e32 v11, v16
	v_pk_add_f32 v[10:11], v[10:11], v[18:19] neg_lo:[0,1] neg_hi:[0,1]
	s_delay_alu instid0(VALU_DEP_1) | instskip(NEXT) | instid1(VALU_DEP_1)
	v_add_f32_e32 v5, v10, v5
	v_add_f32_e32 v5, v5, v11
	s_delay_alu instid0(VALU_DEP_1) | instskip(NEXT) | instid1(VALU_DEP_1)
	v_add_f32_e32 v5, v14, v5
	v_cndmask_b32_e32 v5, 0x7f800000, v5, vcc_lo
	v_cmp_gt_f32_e64 vcc_lo, 0x33800000, |v7|
	s_delay_alu instid0(VALU_DEP_2) | instskip(NEXT) | instid1(VALU_DEP_1)
	v_cndmask_b32_e32 v5, v5, v7, vcc_lo
	v_div_scale_f32 v7, null, s9, s9, v5
	s_delay_alu instid0(VALU_DEP_1) | instskip(SKIP_1) | instid1(TRANS32_DEP_1)
	v_rcp_f32_e32 v8, v7
	v_nop
	v_fma_f32 v9, -v7, v8, 1.0
	s_delay_alu instid0(VALU_DEP_1) | instskip(SKIP_1) | instid1(VALU_DEP_1)
	v_fmac_f32_e32 v8, v9, v8
	v_div_scale_f32 v9, vcc_lo, v5, s9, v5
	v_mul_f32_e32 v10, v9, v8
	s_delay_alu instid0(VALU_DEP_1) | instskip(NEXT) | instid1(VALU_DEP_1)
	v_fma_f32 v11, -v7, v10, v9
	v_fmac_f32_e32 v10, v11, v8
	s_delay_alu instid0(VALU_DEP_1) | instskip(NEXT) | instid1(VALU_DEP_1)
	v_fma_f32 v7, -v7, v10, v9
	v_div_fmas_f32 v7, v7, v8, v10
	s_delay_alu instid0(VALU_DEP_1) | instskip(NEXT) | instid1(VALU_DEP_1)
	v_div_fixup_f32 v5, v7, s9, v5
	v_cvt_f16_f32_e32 v5, v5
.LBB20_11:
	s_or_b32 exec_lo, exec_lo, s3
	s_wait_loadcnt 0x0
	v_cvt_f32_f16_e32 v7, v2
	s_mov_b32 s3, exec_lo
	s_delay_alu instid0(VALU_DEP_1) | instskip(NEXT) | instid1(VALU_DEP_1)
	v_dual_mul_f32 v8, s9, v7 :: v_dual_mov_b32 v7, v2
	v_cmpx_nlt_f32_e32 s10, v8
	s_cbranch_execz .LBB20_13
; %bb.12:
	v_mul_f32_e32 v7, 0x3fb8aa3b, v8
	v_cmp_ngt_f32_e32 vcc_lo, 0xc2ce8ed0, v8
	s_mov_b32 s8, 0x3e9b6dac
	s_delay_alu instid0(VALU_DEP_2) | instskip(SKIP_1) | instid1(VALU_DEP_1)
	v_rndne_f32_e32 v9, v7
	v_fma_f32 v10, 0x3fb8aa3b, v8, -v7
	v_dual_sub_f32 v7, v7, v9 :: v_dual_fmamk_f32 v10, v8, 0x32a5705f, v10
	v_cvt_i32_f32_e32 v9, v9
	s_delay_alu instid0(VALU_DEP_2) | instskip(NEXT) | instid1(VALU_DEP_1)
	v_add_f32_e32 v7, v7, v10
	v_exp_f32_e32 v7, v7
	v_nop
	s_delay_alu instid0(TRANS32_DEP_1) | instskip(NEXT) | instid1(VALU_DEP_1)
	v_ldexp_f32 v7, v7, v9
	v_cndmask_b32_e32 v7, 0, v7, vcc_lo
	v_cmp_nlt_f32_e32 vcc_lo, 0x42b17218, v8
	s_delay_alu instid0(VALU_DEP_2) | instskip(NEXT) | instid1(VALU_DEP_1)
	v_cndmask_b32_e32 v24, 0x7f800000, v7, vcc_lo
	v_add_f32_e32 v7, 1.0, v24
	s_delay_alu instid0(VALU_DEP_1) | instskip(NEXT) | instid1(VALU_DEP_1)
	v_cvt_f64_f32_e32 v[8:9], v7
	v_frexp_exp_i32_f64_e32 v8, v[8:9]
	v_frexp_mant_f32_e32 v9, v7
	s_delay_alu instid0(VALU_DEP_1) | instskip(NEXT) | instid1(VALU_DEP_3)
	v_cmp_gt_f32_e32 vcc_lo, 0x3f2aaaab, v9
	v_subrev_co_ci_u32_e64 v14, null, 0, v8, vcc_lo
	s_delay_alu instid0(VALU_DEP_1) | instskip(NEXT) | instid1(VALU_DEP_1)
	v_dual_add_f32 v8, -1.0, v7 :: v_dual_sub_nc_u32 v9, 0, v14
	v_sub_f32_e32 v10, v8, v7
	s_delay_alu instid0(VALU_DEP_2) | instskip(NEXT) | instid1(VALU_DEP_1)
	v_ldexp_f32 v7, v7, v9
	v_dual_add_f32 v10, 1.0, v10 :: v_dual_add_f32 v11, 1.0, v7
	v_dual_add_f32 v13, -1.0, v7 :: v_dual_sub_f32 v8, v24, v8
	v_cmp_neq_f32_e32 vcc_lo, 0x7f800000, v24
	s_delay_alu instid0(VALU_DEP_2) | instskip(NEXT) | instid1(VALU_DEP_1)
	v_dual_add_f32 v8, v8, v10 :: v_dual_add_f32 v10, -1.0, v11
	v_ldexp_f32 v8, v8, v9
	s_delay_alu instid0(VALU_DEP_2) | instskip(NEXT) | instid1(VALU_DEP_1)
	v_dual_sub_f32 v9, v7, v10 :: v_dual_add_f32 v10, 1.0, v13
	v_add_f32_e32 v12, v8, v9
	s_delay_alu instid0(VALU_DEP_1) | instskip(NEXT) | instid1(VALU_DEP_1)
	v_add_f32_e32 v15, v11, v12
	v_rcp_f32_e32 v16, v15
	s_delay_alu instid0(VALU_DEP_3) | instskip(NEXT) | instid1(VALU_DEP_1)
	v_sub_f32_e32 v7, v7, v10
	v_add_f32_e32 v7, v8, v7
	v_sub_f32_e32 v8, v11, v15
	s_delay_alu instid0(VALU_DEP_1)
	v_dual_add_f32 v9, v13, v7 :: v_dual_add_f32 v18, v12, v8
	s_delay_alu instid0(TRANS32_DEP_1) | instid1(VALU_DEP_1)
	v_mul_f32_e32 v17, v9, v16
	v_sub_f32_e32 v19, v13, v9
	s_delay_alu instid0(VALU_DEP_2) | instskip(NEXT) | instid1(VALU_DEP_2)
	v_mul_f32_e32 v10, v15, v17
	v_add_f32_e32 v7, v7, v19
	s_delay_alu instid0(VALU_DEP_2) | instskip(NEXT) | instid1(VALU_DEP_1)
	v_fma_f32 v12, v17, v15, -v10
	v_fmac_f32_e32 v12, v17, v18
	s_delay_alu instid0(VALU_DEP_1) | instskip(NEXT) | instid1(VALU_DEP_1)
	v_add_f32_e32 v8, v10, v12
	v_dual_sub_f32 v11, v9, v8 :: v_dual_mov_b32 v13, v8
	s_delay_alu instid0(VALU_DEP_1) | instskip(NEXT) | instid1(VALU_DEP_1)
	v_pk_add_f32 v[8:9], v[8:9], v[10:11] neg_lo:[0,1] neg_hi:[0,1]
	v_pk_add_f32 v[8:9], v[8:9], v[12:13] neg_lo:[0,1] neg_hi:[0,1]
	s_delay_alu instid0(VALU_DEP_1) | instskip(NEXT) | instid1(VALU_DEP_1)
	v_add_f32_e32 v7, v7, v9
	v_add_f32_e32 v7, v8, v7
	s_delay_alu instid0(VALU_DEP_1) | instskip(NEXT) | instid1(VALU_DEP_1)
	v_add_f32_e32 v9, v11, v7
	v_mul_f32_e32 v19, v16, v9
	s_delay_alu instid0(VALU_DEP_1) | instskip(NEXT) | instid1(VALU_DEP_1)
	v_mul_f32_e32 v12, v15, v19
	v_fma_f32 v10, v19, v15, -v12
	s_delay_alu instid0(VALU_DEP_1) | instskip(NEXT) | instid1(VALU_DEP_1)
	v_fmac_f32_e32 v10, v19, v18
	v_dual_add_f32 v8, v12, v10 :: v_dual_sub_f32 v15, v11, v9
	s_delay_alu instid0(VALU_DEP_1) | instskip(NEXT) | instid1(VALU_DEP_1)
	v_dual_sub_f32 v13, v9, v8 :: v_dual_mov_b32 v11, v8
	v_pk_add_f32 v[8:9], v[8:9], v[12:13] neg_lo:[0,1] neg_hi:[0,1]
	v_add_f32_e32 v12, v17, v19
	s_delay_alu instid0(VALU_DEP_4) | instskip(NEXT) | instid1(VALU_DEP_3)
	v_add_f32_e32 v7, v7, v15
	v_pk_add_f32 v[8:9], v[8:9], v[10:11] neg_lo:[0,1] neg_hi:[0,1]
	v_cvt_f32_i32_e32 v10, v14
	s_delay_alu instid0(VALU_DEP_2) | instskip(NEXT) | instid1(VALU_DEP_1)
	v_add_f32_e32 v7, v7, v9
	v_add_f32_e32 v7, v8, v7
	v_sub_f32_e32 v8, v12, v17
	s_delay_alu instid0(VALU_DEP_1) | instskip(NEXT) | instid1(VALU_DEP_1)
	v_dual_sub_f32 v8, v19, v8 :: v_dual_add_f32 v7, v13, v7
	v_mul_f32_e32 v7, v16, v7
	s_delay_alu instid0(VALU_DEP_1) | instskip(NEXT) | instid1(VALU_DEP_1)
	v_dual_add_f32 v7, v8, v7 :: v_dual_mov_b32 v8, 0x3f317218
	v_add_f32_e32 v13, v12, v7
	s_delay_alu instid0(VALU_DEP_1) | instskip(NEXT) | instid1(VALU_DEP_1)
	v_mul_f32_e32 v9, v13, v13
	v_fmaak_f32 v15, s8, v9, 0x3ecc95a3
	v_mul_f32_e32 v11, v13, v9
	s_delay_alu instid0(VALU_DEP_2) | instskip(NEXT) | instid1(VALU_DEP_1)
	v_fmaak_f32 v9, v9, v15, 0x3f2aaada
	v_pk_mul_f32 v[8:9], v[10:11], v[8:9]
	s_delay_alu instid0(VALU_DEP_1) | instskip(NEXT) | instid1(VALU_DEP_1)
	v_fma_f32 v14, 0x3f317218, v10, -v8
	v_fmamk_f32 v10, v10, 0xb102e308, v14
	v_sub_f32_e32 v14, v13, v12
	s_delay_alu instid0(VALU_DEP_1) | instskip(SKIP_2) | instid1(VALU_DEP_3)
	v_sub_f32_e32 v7, v7, v14
	v_ldexp_f32 v11, v13, 1
	v_mov_b32_e32 v14, v8
	v_ldexp_f32 v7, v7, 1
	s_delay_alu instid0(VALU_DEP_3) | instskip(NEXT) | instid1(VALU_DEP_1)
	v_pk_add_f32 v[12:13], v[8:9], v[10:11]
	v_dual_sub_f32 v11, v13, v11 :: v_dual_mov_b32 v22, v13
	s_delay_alu instid0(VALU_DEP_1) | instskip(NEXT) | instid1(VALU_DEP_3)
	v_sub_f32_e32 v11, v9, v11
	v_pk_add_f32 v[8:9], v[12:13], v[8:9] neg_lo:[0,1] neg_hi:[0,1]
	s_delay_alu instid0(VALU_DEP_2) | instskip(NEXT) | instid1(VALU_DEP_1)
	v_dual_add_f32 v15, v7, v11 :: v_dual_mov_b32 v11, v12
	v_pk_add_f32 v[16:17], v[12:13], v[14:15]
	s_delay_alu instid0(VALU_DEP_1) | instskip(NEXT) | instid1(VALU_DEP_1)
	v_mov_b32_e32 v9, v17
	v_pk_add_f32 v[18:19], v[10:11], v[8:9]
	v_mov_b32_e32 v18, v17
	v_pk_add_f32 v[8:9], v[10:11], v[8:9] neg_lo:[0,1] neg_hi:[0,1]
	s_delay_alu instid0(VALU_DEP_3) | instskip(NEXT) | instid1(VALU_DEP_1)
	v_dual_mov_b32 v14, v19 :: v_dual_mov_b32 v9, v19
	v_pk_add_f32 v[20:21], v[14:15], v[12:13] neg_lo:[0,1] neg_hi:[0,1]
	v_dual_mov_b32 v13, v12 :: v_dual_mov_b32 v12, v15
	s_delay_alu instid0(VALU_DEP_2) | instskip(NEXT) | instid1(VALU_DEP_1)
	v_dual_mov_b32 v7, v20 :: v_dual_mov_b32 v23, v20
	v_pk_add_f32 v[16:17], v[16:17], v[6:7] neg_lo:[0,1] neg_hi:[0,1]
	s_delay_alu instid0(VALU_DEP_2) | instskip(SKIP_1) | instid1(VALU_DEP_2)
	v_pk_add_f32 v[10:11], v[18:19], v[22:23] neg_lo:[0,1] neg_hi:[0,1]
	v_mov_b32_e32 v16, v8
	v_pk_add_f32 v[10:11], v[12:13], v[10:11] neg_lo:[0,1] neg_hi:[0,1]
	s_delay_alu instid0(VALU_DEP_1) | instskip(NEXT) | instid1(VALU_DEP_1)
	v_pk_add_f32 v[12:13], v[16:17], v[10:11]
	v_mov_b32_e32 v16, v13
	s_delay_alu instid0(VALU_DEP_1) | instskip(NEXT) | instid1(VALU_DEP_1)
	v_pk_add_f32 v[16:17], v[12:13], v[16:17]
	v_pk_add_f32 v[14:15], v[14:15], v[16:17]
	s_delay_alu instid0(VALU_DEP_1) | instskip(NEXT) | instid1(VALU_DEP_1)
	v_mov_b32_e32 v13, v14
	v_pk_add_f32 v[18:19], v[12:13], v[8:9] neg_lo:[0,1] neg_hi:[0,1]
	s_delay_alu instid0(VALU_DEP_1) | instskip(NEXT) | instid1(VALU_DEP_1)
	v_sub_f32_e32 v7, v12, v18
	v_sub_f32_e32 v7, v8, v7
	v_mov_b32_e32 v11, v16
	s_delay_alu instid0(VALU_DEP_1) | instskip(NEXT) | instid1(VALU_DEP_1)
	v_pk_add_f32 v[10:11], v[10:11], v[18:19] neg_lo:[0,1] neg_hi:[0,1]
	v_add_f32_e32 v7, v10, v7
	s_delay_alu instid0(VALU_DEP_1) | instskip(NEXT) | instid1(VALU_DEP_1)
	v_add_f32_e32 v7, v7, v11
	v_add_f32_e32 v7, v14, v7
	s_delay_alu instid0(VALU_DEP_1) | instskip(SKIP_1) | instid1(VALU_DEP_2)
	v_cndmask_b32_e32 v7, 0x7f800000, v7, vcc_lo
	v_cmp_gt_f32_e64 vcc_lo, 0x33800000, |v24|
	v_cndmask_b32_e32 v7, v7, v24, vcc_lo
	s_delay_alu instid0(VALU_DEP_1) | instskip(NEXT) | instid1(VALU_DEP_1)
	v_div_scale_f32 v8, null, s9, s9, v7
	v_rcp_f32_e32 v9, v8
	v_nop
	s_delay_alu instid0(TRANS32_DEP_1) | instskip(NEXT) | instid1(VALU_DEP_1)
	v_fma_f32 v10, -v8, v9, 1.0
	v_fmac_f32_e32 v9, v10, v9
	v_div_scale_f32 v10, vcc_lo, v7, s9, v7
	s_delay_alu instid0(VALU_DEP_1) | instskip(NEXT) | instid1(VALU_DEP_1)
	v_mul_f32_e32 v11, v10, v9
	v_fma_f32 v12, -v8, v11, v10
	s_delay_alu instid0(VALU_DEP_1) | instskip(NEXT) | instid1(VALU_DEP_1)
	v_fmac_f32_e32 v11, v12, v9
	v_fma_f32 v8, -v8, v11, v10
	s_delay_alu instid0(VALU_DEP_1) | instskip(NEXT) | instid1(VALU_DEP_1)
	v_div_fmas_f32 v8, v8, v9, v11
	v_div_fixup_f32 v7, v8, s9, v7
	s_delay_alu instid0(VALU_DEP_1)
	v_cvt_f16_f32_e32 v7, v7
.LBB20_13:
	s_or_b32 exec_lo, exec_lo, s3
	v_lshrrev_b32_e32 v2, 16, v2
	s_mov_b32 s3, exec_lo
	s_delay_alu instid0(VALU_DEP_1) | instskip(NEXT) | instid1(VALU_DEP_1)
	v_cvt_f32_f16_e32 v8, v2
	v_mul_f32_e32 v8, s9, v8
	s_delay_alu instid0(VALU_DEP_1)
	v_cmpx_nlt_f32_e32 s10, v8
	s_cbranch_execz .LBB20_15
; %bb.14:
	v_mul_f32_e32 v2, 0x3fb8aa3b, v8
	v_cmp_ngt_f32_e32 vcc_lo, 0xc2ce8ed0, v8
	s_mov_b32 s8, 0x3e9b6dac
	s_delay_alu instid0(VALU_DEP_2) | instskip(SKIP_1) | instid1(VALU_DEP_2)
	v_rndne_f32_e32 v9, v2
	v_fma_f32 v10, 0x3fb8aa3b, v8, -v2
	v_sub_f32_e32 v2, v2, v9
	s_delay_alu instid0(VALU_DEP_2) | instskip(SKIP_1) | instid1(VALU_DEP_2)
	v_fmamk_f32 v10, v8, 0x32a5705f, v10
	v_cvt_i32_f32_e32 v9, v9
	v_add_f32_e32 v2, v2, v10
	s_delay_alu instid0(VALU_DEP_1) | instskip(SKIP_1) | instid1(TRANS32_DEP_1)
	v_exp_f32_e32 v2, v2
	v_nop
	v_ldexp_f32 v2, v2, v9
	s_delay_alu instid0(VALU_DEP_1) | instskip(SKIP_1) | instid1(VALU_DEP_2)
	v_cndmask_b32_e32 v2, 0, v2, vcc_lo
	v_cmp_nlt_f32_e32 vcc_lo, 0x42b17218, v8
	v_cndmask_b32_e32 v24, 0x7f800000, v2, vcc_lo
	s_delay_alu instid0(VALU_DEP_1) | instskip(NEXT) | instid1(VALU_DEP_1)
	v_add_f32_e32 v2, 1.0, v24
	v_cvt_f64_f32_e32 v[8:9], v2
	s_delay_alu instid0(VALU_DEP_1) | instskip(SKIP_1) | instid1(VALU_DEP_1)
	v_frexp_exp_i32_f64_e32 v8, v[8:9]
	v_frexp_mant_f32_e32 v9, v2
	v_cmp_gt_f32_e32 vcc_lo, 0x3f2aaaab, v9
	s_delay_alu instid0(VALU_DEP_3) | instskip(SKIP_1) | instid1(VALU_DEP_2)
	v_subrev_co_ci_u32_e64 v14, null, 0, v8, vcc_lo
	v_add_f32_e32 v8, -1.0, v2
	v_sub_nc_u32_e32 v9, 0, v14
	s_delay_alu instid0(VALU_DEP_2) | instskip(NEXT) | instid1(VALU_DEP_2)
	v_sub_f32_e32 v10, v8, v2
	v_ldexp_f32 v2, v2, v9
	s_delay_alu instid0(VALU_DEP_2) | instskip(NEXT) | instid1(VALU_DEP_2)
	v_add_f32_e32 v10, 1.0, v10
	v_dual_add_f32 v11, 1.0, v2 :: v_dual_add_f32 v13, -1.0, v2
	v_sub_f32_e32 v8, v24, v8
	v_cmp_neq_f32_e32 vcc_lo, 0x7f800000, v24
	s_delay_alu instid0(VALU_DEP_2) | instskip(NEXT) | instid1(VALU_DEP_1)
	v_dual_add_f32 v8, v8, v10 :: v_dual_add_f32 v10, -1.0, v11
	v_ldexp_f32 v8, v8, v9
	s_delay_alu instid0(VALU_DEP_2) | instskip(NEXT) | instid1(VALU_DEP_1)
	v_dual_sub_f32 v9, v2, v10 :: v_dual_add_f32 v10, 1.0, v13
	v_dual_sub_f32 v2, v2, v10 :: v_dual_add_f32 v12, v8, v9
	s_delay_alu instid0(VALU_DEP_1) | instskip(NEXT) | instid1(VALU_DEP_1)
	v_dual_add_f32 v2, v8, v2 :: v_dual_add_f32 v15, v11, v12
	v_dual_add_f32 v9, v13, v2 :: v_dual_sub_f32 v8, v11, v15
	v_rcp_f32_e32 v16, v15
	s_delay_alu instid0(VALU_DEP_1)
	v_dual_sub_f32 v19, v13, v9 :: v_dual_add_f32 v18, v12, v8
	s_delay_alu instid0(TRANS32_DEP_1) | instid1(VALU_DEP_1)
	v_dual_mul_f32 v17, v9, v16 :: v_dual_add_f32 v2, v2, v19
	s_delay_alu instid0(VALU_DEP_1) | instskip(NEXT) | instid1(VALU_DEP_1)
	v_mul_f32_e32 v10, v15, v17
	v_fma_f32 v12, v17, v15, -v10
	s_delay_alu instid0(VALU_DEP_1) | instskip(NEXT) | instid1(VALU_DEP_1)
	v_fmac_f32_e32 v12, v17, v18
	v_add_f32_e32 v8, v10, v12
	s_delay_alu instid0(VALU_DEP_1) | instskip(NEXT) | instid1(VALU_DEP_1)
	v_dual_sub_f32 v11, v9, v8 :: v_dual_mov_b32 v13, v8
	v_pk_add_f32 v[8:9], v[8:9], v[10:11] neg_lo:[0,1] neg_hi:[0,1]
	s_delay_alu instid0(VALU_DEP_1) | instskip(NEXT) | instid1(VALU_DEP_1)
	v_pk_add_f32 v[8:9], v[8:9], v[12:13] neg_lo:[0,1] neg_hi:[0,1]
	v_add_f32_e32 v2, v2, v9
	s_delay_alu instid0(VALU_DEP_1) | instskip(NEXT) | instid1(VALU_DEP_1)
	v_add_f32_e32 v2, v8, v2
	v_add_f32_e32 v9, v11, v2
	s_delay_alu instid0(VALU_DEP_1) | instskip(NEXT) | instid1(VALU_DEP_1)
	v_mul_f32_e32 v19, v16, v9
	v_mul_f32_e32 v12, v15, v19
	s_delay_alu instid0(VALU_DEP_1) | instskip(SKIP_1) | instid1(VALU_DEP_2)
	v_fma_f32 v10, v19, v15, -v12
	v_sub_f32_e32 v15, v11, v9
	v_fmac_f32_e32 v10, v19, v18
	s_delay_alu instid0(VALU_DEP_1) | instskip(NEXT) | instid1(VALU_DEP_1)
	v_add_f32_e32 v8, v12, v10
	v_dual_sub_f32 v13, v9, v8 :: v_dual_mov_b32 v11, v8
	s_delay_alu instid0(VALU_DEP_1) | instskip(NEXT) | instid1(VALU_DEP_1)
	v_pk_add_f32 v[8:9], v[8:9], v[12:13] neg_lo:[0,1] neg_hi:[0,1]
	v_pk_add_f32 v[8:9], v[8:9], v[10:11] neg_lo:[0,1] neg_hi:[0,1]
	v_add_f32_e32 v12, v17, v19
	v_add_f32_e32 v2, v2, v15
	v_cvt_f32_i32_e32 v10, v14
	s_delay_alu instid0(VALU_DEP_2) | instskip(NEXT) | instid1(VALU_DEP_1)
	v_add_f32_e32 v2, v2, v9
	v_add_f32_e32 v2, v8, v2
	s_delay_alu instid0(VALU_DEP_1) | instskip(NEXT) | instid1(VALU_DEP_1)
	v_dual_sub_f32 v8, v12, v17 :: v_dual_add_f32 v2, v13, v2
	v_dual_sub_f32 v8, v19, v8 :: v_dual_mul_f32 v2, v16, v2
	s_delay_alu instid0(VALU_DEP_1) | instskip(NEXT) | instid1(VALU_DEP_1)
	v_add_f32_e32 v2, v8, v2
	v_dual_mov_b32 v8, 0x3f317218 :: v_dual_add_f32 v13, v12, v2
	s_delay_alu instid0(VALU_DEP_1) | instskip(NEXT) | instid1(VALU_DEP_1)
	v_mul_f32_e32 v9, v13, v13
	v_fmaak_f32 v15, s8, v9, 0x3ecc95a3
	v_mul_f32_e32 v11, v13, v9
	s_delay_alu instid0(VALU_DEP_2) | instskip(NEXT) | instid1(VALU_DEP_1)
	v_fmaak_f32 v9, v9, v15, 0x3f2aaada
	v_pk_mul_f32 v[8:9], v[10:11], v[8:9]
	v_ldexp_f32 v11, v13, 1
	s_delay_alu instid0(VALU_DEP_2) | instskip(NEXT) | instid1(VALU_DEP_1)
	v_fma_f32 v14, 0x3f317218, v10, -v8
	v_fmamk_f32 v10, v10, 0xb102e308, v14
	v_sub_f32_e32 v14, v13, v12
	s_delay_alu instid0(VALU_DEP_2) | instskip(NEXT) | instid1(VALU_DEP_1)
	v_pk_add_f32 v[12:13], v[8:9], v[10:11]
	v_dual_sub_f32 v11, v13, v11 :: v_dual_sub_f32 v2, v2, v14
	s_delay_alu instid0(VALU_DEP_1) | instskip(NEXT) | instid1(VALU_DEP_2)
	v_dual_mov_b32 v14, v8 :: v_dual_sub_f32 v11, v9, v11
	v_ldexp_f32 v2, v2, 1
	s_delay_alu instid0(VALU_DEP_4) | instskip(NEXT) | instid1(VALU_DEP_2)
	v_pk_add_f32 v[8:9], v[12:13], v[8:9] neg_lo:[0,1] neg_hi:[0,1]
	v_dual_add_f32 v15, v2, v11 :: v_dual_mov_b32 v11, v12
	s_delay_alu instid0(VALU_DEP_1) | instskip(NEXT) | instid1(VALU_DEP_1)
	v_pk_add_f32 v[16:17], v[12:13], v[14:15]
	v_dual_mov_b32 v22, v13 :: v_dual_mov_b32 v9, v17
	s_delay_alu instid0(VALU_DEP_1) | instskip(NEXT) | instid1(VALU_DEP_1)
	v_pk_add_f32 v[18:19], v[10:11], v[8:9]
	v_dual_mov_b32 v18, v17 :: v_dual_mov_b32 v2, v19
	v_pk_add_f32 v[8:9], v[10:11], v[8:9] neg_lo:[0,1] neg_hi:[0,1]
	v_mov_b32_e32 v9, v19
	s_delay_alu instid0(VALU_DEP_3) | instskip(SKIP_1) | instid1(VALU_DEP_2)
	v_pk_add_f32 v[20:21], v[2:3], v[12:13] neg_lo:[0,1] neg_hi:[0,1]
	v_dual_mov_b32 v13, v12 :: v_dual_mov_b32 v12, v15
	v_dual_mov_b32 v15, v20 :: v_dual_mov_b32 v23, v20
	s_delay_alu instid0(VALU_DEP_1) | instskip(NEXT) | instid1(VALU_DEP_2)
	v_pk_add_f32 v[14:15], v[16:17], v[14:15] neg_lo:[0,1] neg_hi:[0,1]
	v_pk_add_f32 v[10:11], v[18:19], v[22:23] neg_lo:[0,1] neg_hi:[0,1]
	v_mov_b32_e32 v14, v8
	s_delay_alu instid0(VALU_DEP_2) | instskip(NEXT) | instid1(VALU_DEP_1)
	v_pk_add_f32 v[10:11], v[12:13], v[10:11] neg_lo:[0,1] neg_hi:[0,1]
	v_pk_add_f32 v[12:13], v[14:15], v[10:11]
	s_delay_alu instid0(VALU_DEP_1) | instskip(NEXT) | instid1(VALU_DEP_1)
	v_mov_b32_e32 v14, v13
	v_pk_add_f32 v[14:15], v[12:13], v[14:15]
	s_delay_alu instid0(VALU_DEP_1) | instskip(NEXT) | instid1(VALU_DEP_1)
	v_pk_add_f32 v[16:17], v[2:3], v[14:15]
	v_mov_b32_e32 v13, v16
	s_delay_alu instid0(VALU_DEP_1) | instskip(NEXT) | instid1(VALU_DEP_1)
	v_pk_add_f32 v[18:19], v[12:13], v[8:9] neg_lo:[0,1] neg_hi:[0,1]
	v_dual_mov_b32 v11, v14 :: v_dual_sub_f32 v2, v12, v18
	s_delay_alu instid0(VALU_DEP_1) | instskip(NEXT) | instid1(VALU_DEP_2)
	v_pk_add_f32 v[10:11], v[10:11], v[18:19] neg_lo:[0,1] neg_hi:[0,1]
	v_sub_f32_e32 v2, v8, v2
	s_delay_alu instid0(VALU_DEP_1) | instskip(NEXT) | instid1(VALU_DEP_1)
	v_add_f32_e32 v2, v10, v2
	v_add_f32_e32 v2, v2, v11
	s_delay_alu instid0(VALU_DEP_1) | instskip(NEXT) | instid1(VALU_DEP_1)
	v_add_f32_e32 v2, v16, v2
	v_cndmask_b32_e32 v2, 0x7f800000, v2, vcc_lo
	v_cmp_gt_f32_e64 vcc_lo, 0x33800000, |v24|
	s_delay_alu instid0(VALU_DEP_2) | instskip(NEXT) | instid1(VALU_DEP_1)
	v_cndmask_b32_e32 v2, v2, v24, vcc_lo
	v_div_scale_f32 v8, null, s9, s9, v2
	s_delay_alu instid0(VALU_DEP_1) | instskip(SKIP_1) | instid1(TRANS32_DEP_1)
	v_rcp_f32_e32 v9, v8
	v_nop
	v_fma_f32 v10, -v8, v9, 1.0
	s_delay_alu instid0(VALU_DEP_1) | instskip(SKIP_1) | instid1(VALU_DEP_1)
	v_fmac_f32_e32 v9, v10, v9
	v_div_scale_f32 v10, vcc_lo, v2, s9, v2
	v_mul_f32_e32 v11, v10, v9
	s_delay_alu instid0(VALU_DEP_1) | instskip(NEXT) | instid1(VALU_DEP_1)
	v_fma_f32 v12, -v8, v11, v10
	v_fmac_f32_e32 v11, v12, v9
	s_delay_alu instid0(VALU_DEP_1) | instskip(NEXT) | instid1(VALU_DEP_1)
	v_fma_f32 v8, -v8, v11, v10
	v_div_fmas_f32 v8, v8, v9, v11
	s_delay_alu instid0(VALU_DEP_1) | instskip(NEXT) | instid1(VALU_DEP_1)
	v_div_fixup_f32 v2, v8, s9, v2
	v_cvt_f16_f32_e32 v2, v2
.LBB20_15:
	s_or_b32 exec_lo, exec_lo, s3
	v_cvt_f32_f16_e32 v8, v3
	s_mov_b32 s3, exec_lo
	s_delay_alu instid0(VALU_DEP_1) | instskip(NEXT) | instid1(VALU_DEP_1)
	v_dual_mul_f32 v9, s9, v8 :: v_dual_mov_b32 v8, v3
	v_cmpx_nlt_f32_e32 s10, v9
	s_cbranch_execz .LBB20_17
; %bb.16:
	v_mul_f32_e32 v8, 0x3fb8aa3b, v9
	v_cmp_ngt_f32_e32 vcc_lo, 0xc2ce8ed0, v9
	s_mov_b32 s8, 0x3e9b6dac
	s_delay_alu instid0(VALU_DEP_2) | instskip(SKIP_1) | instid1(VALU_DEP_1)
	v_rndne_f32_e32 v10, v8
	v_fma_f32 v11, 0x3fb8aa3b, v9, -v8
	v_dual_sub_f32 v8, v8, v10 :: v_dual_fmamk_f32 v11, v9, 0x32a5705f, v11
	v_cvt_i32_f32_e32 v10, v10
	s_delay_alu instid0(VALU_DEP_2) | instskip(NEXT) | instid1(VALU_DEP_1)
	v_add_f32_e32 v8, v8, v11
	v_exp_f32_e32 v8, v8
	v_nop
	s_delay_alu instid0(TRANS32_DEP_1) | instskip(NEXT) | instid1(VALU_DEP_1)
	v_ldexp_f32 v8, v8, v10
	v_cndmask_b32_e32 v8, 0, v8, vcc_lo
	v_cmp_nlt_f32_e32 vcc_lo, 0x42b17218, v9
	s_delay_alu instid0(VALU_DEP_2) | instskip(NEXT) | instid1(VALU_DEP_1)
	v_cndmask_b32_e32 v24, 0x7f800000, v8, vcc_lo
	v_add_f32_e32 v10, 1.0, v24
	s_delay_alu instid0(VALU_DEP_1) | instskip(NEXT) | instid1(VALU_DEP_1)
	v_cvt_f64_f32_e32 v[8:9], v10
	v_frexp_exp_i32_f64_e32 v8, v[8:9]
	v_frexp_mant_f32_e32 v9, v10
	s_delay_alu instid0(VALU_DEP_1) | instskip(NEXT) | instid1(VALU_DEP_3)
	v_cmp_gt_f32_e32 vcc_lo, 0x3f2aaaab, v9
	v_subrev_co_ci_u32_e64 v14, null, 0, v8, vcc_lo
	v_add_f32_e32 v8, -1.0, v10
	s_delay_alu instid0(VALU_DEP_2) | instskip(NEXT) | instid1(VALU_DEP_2)
	v_sub_nc_u32_e32 v9, 0, v14
	v_sub_f32_e32 v11, v8, v10
	v_cmp_neq_f32_e32 vcc_lo, 0x7f800000, v24
	s_delay_alu instid0(VALU_DEP_3) | instskip(NEXT) | instid1(VALU_DEP_1)
	v_ldexp_f32 v10, v10, v9
	v_dual_add_f32 v11, 1.0, v11 :: v_dual_add_f32 v12, 1.0, v10
	v_dual_sub_f32 v8, v24, v8 :: v_dual_add_f32 v13, -1.0, v10
	s_delay_alu instid0(VALU_DEP_1) | instskip(NEXT) | instid1(VALU_DEP_1)
	v_dual_add_f32 v8, v8, v11 :: v_dual_add_f32 v11, -1.0, v12
	v_ldexp_f32 v8, v8, v9
	s_delay_alu instid0(VALU_DEP_2) | instskip(NEXT) | instid1(VALU_DEP_1)
	v_dual_sub_f32 v9, v10, v11 :: v_dual_add_f32 v11, 1.0, v13
	v_dual_add_f32 v15, v8, v9 :: v_dual_sub_f32 v9, v10, v11
	s_delay_alu instid0(VALU_DEP_1) | instskip(NEXT) | instid1(VALU_DEP_1)
	v_add_f32_e32 v17, v8, v9
	v_dual_add_f32 v16, v12, v15 :: v_dual_add_f32 v9, v13, v17
	s_delay_alu instid0(VALU_DEP_1) | instskip(NEXT) | instid1(VALU_DEP_1)
	v_rcp_f32_e32 v18, v16
	v_sub_f32_e32 v20, v13, v9
	s_delay_alu instid0(TRANS32_DEP_1) | instskip(NEXT) | instid1(VALU_DEP_1)
	v_mul_f32_e32 v19, v9, v18
	v_mul_f32_e32 v10, v16, v19
	s_delay_alu instid0(VALU_DEP_1) | instskip(NEXT) | instid1(VALU_DEP_1)
	v_dual_sub_f32 v8, v12, v16 :: v_dual_fma_f32 v12, v19, v16, -v10
	v_add_f32_e32 v15, v15, v8
	s_delay_alu instid0(VALU_DEP_1) | instskip(NEXT) | instid1(VALU_DEP_1)
	v_fmac_f32_e32 v12, v19, v15
	v_add_f32_e32 v8, v10, v12
	s_delay_alu instid0(VALU_DEP_1) | instskip(NEXT) | instid1(VALU_DEP_1)
	v_dual_sub_f32 v11, v9, v8 :: v_dual_mov_b32 v13, v8
	v_pk_add_f32 v[8:9], v[8:9], v[10:11] neg_lo:[0,1] neg_hi:[0,1]
	v_add_f32_e32 v10, v17, v20
	s_delay_alu instid0(VALU_DEP_2) | instskip(NEXT) | instid1(VALU_DEP_1)
	v_pk_add_f32 v[8:9], v[8:9], v[12:13] neg_lo:[0,1] neg_hi:[0,1]
	v_add_f32_e32 v9, v10, v9
	s_delay_alu instid0(VALU_DEP_1) | instskip(NEXT) | instid1(VALU_DEP_1)
	v_add_f32_e32 v17, v8, v9
	v_add_f32_e32 v9, v11, v17
	s_delay_alu instid0(VALU_DEP_1) | instskip(NEXT) | instid1(VALU_DEP_1)
	v_mul_f32_e32 v20, v18, v9
	v_mul_f32_e32 v12, v16, v20
	s_delay_alu instid0(VALU_DEP_1) | instskip(NEXT) | instid1(VALU_DEP_1)
	v_fma_f32 v10, v20, v16, -v12
	v_dual_fmac_f32 v10, v20, v15 :: v_dual_sub_f32 v15, v11, v9
	s_delay_alu instid0(VALU_DEP_1) | instskip(NEXT) | instid1(VALU_DEP_1)
	v_add_f32_e32 v8, v12, v10
	v_dual_sub_f32 v13, v9, v8 :: v_dual_mov_b32 v11, v8
	s_delay_alu instid0(VALU_DEP_1) | instskip(NEXT) | instid1(VALU_DEP_4)
	v_pk_add_f32 v[8:9], v[8:9], v[12:13] neg_lo:[0,1] neg_hi:[0,1]
	v_add_f32_e32 v12, v17, v15
	s_delay_alu instid0(VALU_DEP_2) | instskip(SKIP_1) | instid1(VALU_DEP_2)
	v_pk_add_f32 v[8:9], v[8:9], v[10:11] neg_lo:[0,1] neg_hi:[0,1]
	v_cvt_f32_i32_e32 v10, v14
	v_dual_add_f32 v9, v12, v9 :: v_dual_add_f32 v12, v19, v20
	s_delay_alu instid0(VALU_DEP_1) | instskip(NEXT) | instid1(VALU_DEP_1)
	v_add_f32_e32 v8, v8, v9
	v_dual_sub_f32 v9, v12, v19 :: v_dual_add_f32 v8, v13, v8
	s_delay_alu instid0(VALU_DEP_1) | instskip(NEXT) | instid1(VALU_DEP_1)
	v_dual_sub_f32 v9, v20, v9 :: v_dual_mul_f32 v8, v18, v8
	v_dual_add_f32 v15, v9, v8 :: v_dual_mov_b32 v8, 0x3f317218
	s_delay_alu instid0(VALU_DEP_1) | instskip(NEXT) | instid1(VALU_DEP_1)
	v_add_f32_e32 v13, v12, v15
	v_mul_f32_e32 v9, v13, v13
	s_delay_alu instid0(VALU_DEP_1) | instskip(NEXT) | instid1(VALU_DEP_1)
	v_dual_fmaak_f32 v16, s8, v9, 0x3ecc95a3 :: v_dual_mul_f32 v11, v13, v9
	v_fmaak_f32 v9, v9, v16, 0x3f2aaada
	s_delay_alu instid0(VALU_DEP_1) | instskip(SKIP_1) | instid1(VALU_DEP_2)
	v_pk_mul_f32 v[8:9], v[10:11], v[8:9]
	v_ldexp_f32 v11, v13, 1
	v_fma_f32 v14, 0x3f317218, v10, -v8
	s_delay_alu instid0(VALU_DEP_1) | instskip(SKIP_1) | instid1(VALU_DEP_2)
	v_fmamk_f32 v10, v10, 0xb102e308, v14
	v_sub_f32_e32 v14, v13, v12
	v_pk_add_f32 v[12:13], v[8:9], v[10:11]
	s_delay_alu instid0(VALU_DEP_1) | instskip(NEXT) | instid1(VALU_DEP_1)
	v_dual_sub_f32 v11, v13, v11 :: v_dual_sub_f32 v14, v15, v14
	v_sub_f32_e32 v11, v9, v11
	s_delay_alu instid0(VALU_DEP_2) | instskip(SKIP_2) | instid1(VALU_DEP_3)
	v_ldexp_f32 v15, v14, 1
	v_mov_b32_e32 v14, v8
	v_pk_add_f32 v[8:9], v[12:13], v[8:9] neg_lo:[0,1] neg_hi:[0,1]
	v_dual_add_f32 v15, v15, v11 :: v_dual_mov_b32 v11, v12
	s_delay_alu instid0(VALU_DEP_1) | instskip(NEXT) | instid1(VALU_DEP_1)
	v_pk_add_f32 v[16:17], v[12:13], v[14:15]
	v_dual_mov_b32 v22, v13 :: v_dual_mov_b32 v9, v17
	s_delay_alu instid0(VALU_DEP_1) | instskip(NEXT) | instid1(VALU_DEP_1)
	v_pk_add_f32 v[18:19], v[10:11], v[8:9]
	v_dual_mov_b32 v18, v17 :: v_dual_mov_b32 v14, v19
	v_pk_add_f32 v[8:9], v[10:11], v[8:9] neg_lo:[0,1] neg_hi:[0,1]
	v_mov_b32_e32 v9, v19
	s_delay_alu instid0(VALU_DEP_3) | instskip(SKIP_1) | instid1(VALU_DEP_2)
	v_pk_add_f32 v[20:21], v[14:15], v[12:13] neg_lo:[0,1] neg_hi:[0,1]
	v_dual_mov_b32 v13, v12 :: v_dual_mov_b32 v12, v15
	v_dual_mov_b32 v15, v20 :: v_dual_mov_b32 v23, v20
	s_delay_alu instid0(VALU_DEP_1) | instskip(NEXT) | instid1(VALU_DEP_2)
	v_pk_add_f32 v[16:17], v[16:17], v[14:15] neg_lo:[0,1] neg_hi:[0,1]
	v_pk_add_f32 v[10:11], v[18:19], v[22:23] neg_lo:[0,1] neg_hi:[0,1]
	v_mov_b32_e32 v16, v8
	s_delay_alu instid0(VALU_DEP_2) | instskip(NEXT) | instid1(VALU_DEP_1)
	v_pk_add_f32 v[10:11], v[12:13], v[10:11] neg_lo:[0,1] neg_hi:[0,1]
	v_pk_add_f32 v[12:13], v[16:17], v[10:11]
	s_delay_alu instid0(VALU_DEP_1) | instskip(NEXT) | instid1(VALU_DEP_1)
	v_mov_b32_e32 v16, v13
	v_pk_add_f32 v[16:17], v[12:13], v[16:17]
	s_delay_alu instid0(VALU_DEP_1) | instskip(NEXT) | instid1(VALU_DEP_1)
	v_pk_add_f32 v[14:15], v[14:15], v[16:17]
	v_mov_b32_e32 v13, v14
	s_delay_alu instid0(VALU_DEP_1) | instskip(NEXT) | instid1(VALU_DEP_1)
	v_pk_add_f32 v[18:19], v[12:13], v[8:9] neg_lo:[0,1] neg_hi:[0,1]
	v_sub_f32_e32 v9, v12, v18
	s_delay_alu instid0(VALU_DEP_1) | instskip(SKIP_1) | instid1(VALU_DEP_1)
	v_sub_f32_e32 v8, v8, v9
	v_mov_b32_e32 v11, v16
	v_pk_add_f32 v[10:11], v[10:11], v[18:19] neg_lo:[0,1] neg_hi:[0,1]
	s_delay_alu instid0(VALU_DEP_1) | instskip(NEXT) | instid1(VALU_DEP_1)
	v_add_f32_e32 v8, v10, v8
	v_add_f32_e32 v8, v8, v11
	s_delay_alu instid0(VALU_DEP_1) | instskip(NEXT) | instid1(VALU_DEP_1)
	v_add_f32_e32 v8, v14, v8
	v_cndmask_b32_e32 v8, 0x7f800000, v8, vcc_lo
	v_cmp_gt_f32_e64 vcc_lo, 0x33800000, |v24|
	s_delay_alu instid0(VALU_DEP_2) | instskip(NEXT) | instid1(VALU_DEP_1)
	v_cndmask_b32_e32 v8, v8, v24, vcc_lo
	v_div_scale_f32 v9, null, s9, s9, v8
	s_delay_alu instid0(VALU_DEP_1) | instskip(SKIP_1) | instid1(TRANS32_DEP_1)
	v_rcp_f32_e32 v10, v9
	v_nop
	v_fma_f32 v11, -v9, v10, 1.0
	s_delay_alu instid0(VALU_DEP_1) | instskip(SKIP_1) | instid1(VALU_DEP_1)
	v_fmac_f32_e32 v10, v11, v10
	v_div_scale_f32 v11, vcc_lo, v8, s9, v8
	v_mul_f32_e32 v12, v11, v10
	s_delay_alu instid0(VALU_DEP_1) | instskip(NEXT) | instid1(VALU_DEP_1)
	v_fma_f32 v13, -v9, v12, v11
	v_fmac_f32_e32 v12, v13, v10
	s_delay_alu instid0(VALU_DEP_1) | instskip(NEXT) | instid1(VALU_DEP_1)
	v_fma_f32 v9, -v9, v12, v11
	v_div_fmas_f32 v9, v9, v10, v12
	s_delay_alu instid0(VALU_DEP_1) | instskip(NEXT) | instid1(VALU_DEP_1)
	v_div_fixup_f32 v8, v9, s9, v8
	v_cvt_f16_f32_e32 v8, v8
.LBB20_17:
	s_or_b32 exec_lo, exec_lo, s3
	v_lshrrev_b32_e32 v3, 16, v3
	s_mov_b32 s3, exec_lo
	s_delay_alu instid0(VALU_DEP_1) | instskip(NEXT) | instid1(VALU_DEP_1)
	v_cvt_f32_f16_e32 v9, v3
	v_mul_f32_e32 v9, s9, v9
	s_delay_alu instid0(VALU_DEP_1)
	v_cmpx_nlt_f32_e32 s10, v9
	s_cbranch_execz .LBB20_19
; %bb.18:
	v_mul_f32_e32 v3, 0x3fb8aa3b, v9
	v_cmp_ngt_f32_e32 vcc_lo, 0xc2ce8ed0, v9
	s_mov_b32 s8, 0x3e9b6dac
	s_delay_alu instid0(VALU_DEP_2) | instskip(SKIP_1) | instid1(VALU_DEP_2)
	v_rndne_f32_e32 v10, v3
	v_fma_f32 v11, 0x3fb8aa3b, v9, -v3
	v_sub_f32_e32 v3, v3, v10
	s_delay_alu instid0(VALU_DEP_2) | instskip(SKIP_1) | instid1(VALU_DEP_2)
	v_fmamk_f32 v11, v9, 0x32a5705f, v11
	v_cvt_i32_f32_e32 v10, v10
	v_add_f32_e32 v3, v3, v11
	s_delay_alu instid0(VALU_DEP_1) | instskip(SKIP_1) | instid1(TRANS32_DEP_1)
	v_exp_f32_e32 v3, v3
	v_nop
	v_ldexp_f32 v3, v3, v10
	s_delay_alu instid0(VALU_DEP_1) | instskip(SKIP_1) | instid1(VALU_DEP_2)
	v_cndmask_b32_e32 v3, 0, v3, vcc_lo
	v_cmp_nlt_f32_e32 vcc_lo, 0x42b17218, v9
	v_cndmask_b32_e32 v9, 0x7f800000, v3, vcc_lo
	s_delay_alu instid0(VALU_DEP_1) | instskip(NEXT) | instid1(VALU_DEP_1)
	v_add_f32_e32 v3, 1.0, v9
	v_cvt_f64_f32_e32 v[10:11], v3
	s_delay_alu instid0(VALU_DEP_1) | instskip(SKIP_1) | instid1(VALU_DEP_1)
	v_frexp_exp_i32_f64_e32 v10, v[10:11]
	v_frexp_mant_f32_e32 v11, v3
	v_cmp_gt_f32_e32 vcc_lo, 0x3f2aaaab, v11
	s_delay_alu instid0(VALU_DEP_3) | instskip(NEXT) | instid1(VALU_DEP_1)
	v_subrev_co_ci_u32_e64 v16, null, 0, v10, vcc_lo
	v_dual_add_f32 v10, -1.0, v3 :: v_dual_sub_nc_u32 v11, 0, v16
	s_delay_alu instid0(VALU_DEP_1) | instskip(SKIP_1) | instid1(VALU_DEP_3)
	v_dual_sub_f32 v12, v10, v3 :: v_dual_sub_f32 v10, v9, v10
	v_cmp_neq_f32_e32 vcc_lo, 0x7f800000, v9
	v_ldexp_f32 v3, v3, v11
	s_delay_alu instid0(VALU_DEP_1) | instskip(NEXT) | instid1(VALU_DEP_1)
	v_dual_add_f32 v12, 1.0, v12 :: v_dual_add_f32 v13, 1.0, v3
	v_dual_add_f32 v15, -1.0, v3 :: v_dual_add_f32 v10, v10, v12
	s_delay_alu instid0(VALU_DEP_1) | instskip(NEXT) | instid1(VALU_DEP_3)
	v_ldexp_f32 v10, v10, v11
	v_add_f32_e32 v12, -1.0, v13
	s_delay_alu instid0(VALU_DEP_1) | instskip(NEXT) | instid1(VALU_DEP_1)
	v_dual_sub_f32 v11, v3, v12 :: v_dual_add_f32 v12, 1.0, v15
	v_dual_sub_f32 v3, v3, v12 :: v_dual_add_f32 v14, v10, v11
	s_delay_alu instid0(VALU_DEP_1) | instskip(NEXT) | instid1(VALU_DEP_1)
	v_dual_add_f32 v3, v10, v3 :: v_dual_add_f32 v17, v13, v14
	v_dual_add_f32 v11, v15, v3 :: v_dual_sub_f32 v10, v13, v17
	v_rcp_f32_e32 v18, v17
	s_delay_alu instid0(VALU_DEP_1) | instskip(NEXT) | instid1(TRANS32_DEP_1)
	v_dual_sub_f32 v21, v15, v11 :: v_dual_add_f32 v20, v14, v10
	v_mul_f32_e32 v19, v11, v18
	s_delay_alu instid0(VALU_DEP_1) | instskip(NEXT) | instid1(VALU_DEP_1)
	v_dual_add_f32 v3, v3, v21 :: v_dual_mul_f32 v12, v17, v19
	v_fma_f32 v14, v19, v17, -v12
	s_delay_alu instid0(VALU_DEP_1) | instskip(NEXT) | instid1(VALU_DEP_1)
	v_fmac_f32_e32 v14, v19, v20
	v_add_f32_e32 v10, v12, v14
	s_delay_alu instid0(VALU_DEP_1) | instskip(NEXT) | instid1(VALU_DEP_1)
	v_dual_sub_f32 v13, v11, v10 :: v_dual_mov_b32 v15, v10
	v_pk_add_f32 v[10:11], v[10:11], v[12:13] neg_lo:[0,1] neg_hi:[0,1]
	s_delay_alu instid0(VALU_DEP_1) | instskip(NEXT) | instid1(VALU_DEP_1)
	v_pk_add_f32 v[10:11], v[10:11], v[14:15] neg_lo:[0,1] neg_hi:[0,1]
	v_add_f32_e32 v3, v3, v11
	s_delay_alu instid0(VALU_DEP_1) | instskip(NEXT) | instid1(VALU_DEP_1)
	v_add_f32_e32 v3, v10, v3
	v_add_f32_e32 v11, v13, v3
	s_delay_alu instid0(VALU_DEP_1) | instskip(NEXT) | instid1(VALU_DEP_1)
	v_mul_f32_e32 v21, v18, v11
	v_mul_f32_e32 v14, v17, v21
	s_delay_alu instid0(VALU_DEP_1) | instskip(SKIP_1) | instid1(VALU_DEP_1)
	v_fma_f32 v12, v21, v17, -v14
	v_sub_f32_e32 v17, v13, v11
	v_dual_fmac_f32 v12, v21, v20 :: v_dual_add_f32 v3, v3, v17
	s_delay_alu instid0(VALU_DEP_1) | instskip(NEXT) | instid1(VALU_DEP_1)
	v_add_f32_e32 v10, v14, v12
	v_dual_sub_f32 v15, v11, v10 :: v_dual_mov_b32 v13, v10
	s_delay_alu instid0(VALU_DEP_1) | instskip(NEXT) | instid1(VALU_DEP_1)
	v_pk_add_f32 v[10:11], v[10:11], v[14:15] neg_lo:[0,1] neg_hi:[0,1]
	v_pk_add_f32 v[10:11], v[10:11], v[12:13] neg_lo:[0,1] neg_hi:[0,1]
	v_cvt_f32_i32_e32 v12, v16
	s_delay_alu instid0(VALU_DEP_2) | instskip(NEXT) | instid1(VALU_DEP_1)
	v_add_f32_e32 v3, v3, v11
	v_dual_add_f32 v14, v19, v21 :: v_dual_add_f32 v3, v10, v3
	s_delay_alu instid0(VALU_DEP_1) | instskip(NEXT) | instid1(VALU_DEP_1)
	v_sub_f32_e32 v10, v14, v19
	v_dual_add_f32 v3, v15, v3 :: v_dual_sub_f32 v10, v21, v10
	s_delay_alu instid0(VALU_DEP_1) | instskip(NEXT) | instid1(VALU_DEP_1)
	v_mul_f32_e32 v3, v18, v3
	v_dual_add_f32 v3, v10, v3 :: v_dual_mov_b32 v10, 0x3f317218
	s_delay_alu instid0(VALU_DEP_1) | instskip(NEXT) | instid1(VALU_DEP_1)
	v_add_f32_e32 v15, v14, v3
	v_mul_f32_e32 v11, v15, v15
	s_delay_alu instid0(VALU_DEP_1) | instskip(SKIP_1) | instid1(VALU_DEP_2)
	v_fmaak_f32 v17, s8, v11, 0x3ecc95a3
	v_mul_f32_e32 v13, v15, v11
	v_fmaak_f32 v11, v11, v17, 0x3f2aaada
	s_delay_alu instid0(VALU_DEP_1) | instskip(NEXT) | instid1(VALU_DEP_1)
	v_pk_mul_f32 v[10:11], v[12:13], v[10:11]
	v_fma_f32 v16, 0x3f317218, v12, -v10
	s_delay_alu instid0(VALU_DEP_1) | instskip(SKIP_1) | instid1(VALU_DEP_1)
	v_fmamk_f32 v12, v12, 0xb102e308, v16
	v_sub_f32_e32 v16, v15, v14
	v_sub_f32_e32 v3, v3, v16
	v_ldexp_f32 v13, v15, 1
	v_mov_b32_e32 v16, v10
	s_delay_alu instid0(VALU_DEP_3) | instskip(NEXT) | instid1(VALU_DEP_3)
	v_ldexp_f32 v3, v3, 1
	v_pk_add_f32 v[14:15], v[10:11], v[12:13]
	s_delay_alu instid0(VALU_DEP_1) | instskip(NEXT) | instid1(VALU_DEP_1)
	v_dual_sub_f32 v13, v15, v13 :: v_dual_mov_b32 v24, v15
	v_sub_f32_e32 v13, v11, v13
	s_delay_alu instid0(VALU_DEP_3) | instskip(NEXT) | instid1(VALU_DEP_2)
	v_pk_add_f32 v[10:11], v[14:15], v[10:11] neg_lo:[0,1] neg_hi:[0,1]
	v_dual_add_f32 v17, v3, v13 :: v_dual_mov_b32 v13, v14
	s_delay_alu instid0(VALU_DEP_1) | instskip(NEXT) | instid1(VALU_DEP_1)
	v_pk_add_f32 v[18:19], v[14:15], v[16:17]
	v_mov_b32_e32 v11, v19
	s_delay_alu instid0(VALU_DEP_1) | instskip(SKIP_2) | instid1(VALU_DEP_3)
	v_pk_add_f32 v[20:21], v[12:13], v[10:11]
	v_mov_b32_e32 v20, v19
	v_pk_add_f32 v[10:11], v[12:13], v[10:11] neg_lo:[0,1] neg_hi:[0,1]
	v_dual_mov_b32 v16, v21 :: v_dual_mov_b32 v11, v21
	s_delay_alu instid0(VALU_DEP_1) | instskip(SKIP_1) | instid1(VALU_DEP_2)
	v_pk_add_f32 v[22:23], v[16:17], v[14:15] neg_lo:[0,1] neg_hi:[0,1]
	v_dual_mov_b32 v15, v14 :: v_dual_mov_b32 v14, v17
	v_dual_mov_b32 v3, v22 :: v_dual_mov_b32 v25, v22
	s_delay_alu instid0(VALU_DEP_1) | instskip(NEXT) | instid1(VALU_DEP_2)
	v_pk_add_f32 v[18:19], v[18:19], v[2:3] neg_lo:[0,1] neg_hi:[0,1]
	v_pk_add_f32 v[12:13], v[20:21], v[24:25] neg_lo:[0,1] neg_hi:[0,1]
	v_mov_b32_e32 v18, v10
	s_delay_alu instid0(VALU_DEP_2) | instskip(NEXT) | instid1(VALU_DEP_1)
	v_pk_add_f32 v[12:13], v[14:15], v[12:13] neg_lo:[0,1] neg_hi:[0,1]
	v_pk_add_f32 v[14:15], v[18:19], v[12:13]
	s_delay_alu instid0(VALU_DEP_1) | instskip(NEXT) | instid1(VALU_DEP_1)
	v_mov_b32_e32 v18, v15
	v_pk_add_f32 v[18:19], v[14:15], v[18:19]
	s_delay_alu instid0(VALU_DEP_1) | instskip(NEXT) | instid1(VALU_DEP_1)
	v_pk_add_f32 v[16:17], v[16:17], v[18:19]
	v_mov_b32_e32 v15, v16
	s_delay_alu instid0(VALU_DEP_1) | instskip(NEXT) | instid1(VALU_DEP_1)
	v_pk_add_f32 v[20:21], v[14:15], v[10:11] neg_lo:[0,1] neg_hi:[0,1]
	v_sub_f32_e32 v3, v14, v20
	s_delay_alu instid0(VALU_DEP_1) | instskip(SKIP_1) | instid1(VALU_DEP_1)
	v_sub_f32_e32 v3, v10, v3
	v_mov_b32_e32 v13, v18
	v_pk_add_f32 v[12:13], v[12:13], v[20:21] neg_lo:[0,1] neg_hi:[0,1]
	s_delay_alu instid0(VALU_DEP_1) | instskip(NEXT) | instid1(VALU_DEP_1)
	v_add_f32_e32 v3, v12, v3
	v_add_f32_e32 v3, v3, v13
	s_delay_alu instid0(VALU_DEP_1) | instskip(NEXT) | instid1(VALU_DEP_1)
	v_add_f32_e32 v3, v16, v3
	v_cndmask_b32_e32 v3, 0x7f800000, v3, vcc_lo
	v_cmp_gt_f32_e64 vcc_lo, 0x33800000, |v9|
	s_delay_alu instid0(VALU_DEP_2) | instskip(NEXT) | instid1(VALU_DEP_1)
	v_cndmask_b32_e32 v3, v3, v9, vcc_lo
	v_div_scale_f32 v9, null, s9, s9, v3
	s_delay_alu instid0(VALU_DEP_1) | instskip(SKIP_1) | instid1(TRANS32_DEP_1)
	v_rcp_f32_e32 v10, v9
	v_nop
	v_fma_f32 v11, -v9, v10, 1.0
	s_delay_alu instid0(VALU_DEP_1) | instskip(SKIP_1) | instid1(VALU_DEP_1)
	v_fmac_f32_e32 v10, v11, v10
	v_div_scale_f32 v11, vcc_lo, v3, s9, v3
	v_mul_f32_e32 v12, v11, v10
	s_delay_alu instid0(VALU_DEP_1) | instskip(NEXT) | instid1(VALU_DEP_1)
	v_fma_f32 v13, -v9, v12, v11
	v_fmac_f32_e32 v12, v13, v10
	s_delay_alu instid0(VALU_DEP_1) | instskip(NEXT) | instid1(VALU_DEP_1)
	v_fma_f32 v9, -v9, v12, v11
	v_div_fmas_f32 v9, v9, v10, v12
	s_delay_alu instid0(VALU_DEP_1) | instskip(NEXT) | instid1(VALU_DEP_1)
	v_div_fixup_f32 v3, v9, s9, v3
	v_cvt_f16_f32_e32 v3, v3
.LBB20_19:
	s_or_b32 exec_lo, exec_lo, s3
	v_dual_lshlrev_b32 v2, 16, v2 :: v_dual_lshlrev_b32 v4, 16, v4
	v_and_b32_e32 v1, 0xffff, v1
	v_and_b32_e32 v7, 0xffff, v7
	;; [unrolled: 1-line block ×3, first 2 shown]
	v_lshlrev_b32_e32 v5, 16, v5
	v_and_b32_e32 v8, 0xffff, v8
	v_dual_lshlrev_b32 v4, 16, v3 :: v_dual_bitop2_b32 v1, v4, v1 bitop3:0x54
	v_or_b32_e32 v7, v2, v7
	s_delay_alu instid0(VALU_DEP_4) | instskip(SKIP_1) | instid1(VALU_DEP_3)
	v_or3_b32 v3, v6, 0, v5
	s_add_nc_u64 s[12:13], s[4:5], s[0:1]
	v_or3_b32 v2, 0, v1, 0
	v_or3_b32 v5, v8, 0, v4
	v_or3_b32 v4, 0, v7, 0
	s_clause 0x1
	global_store_b64 v0, v[2:3], s[12:13] scale_offset
	global_store_b64 v0, v[4:5], s[12:13] offset:2048 scale_offset
	s_branch .LBB20_2
.LBB20_20:
	s_wait_xcnt 0x0
	v_dual_mov_b32 v31, v0 :: v_dual_mov_b32 v0, s9
	v_dual_mov_b32 v1, s10 :: v_dual_mov_b32 v2, s4
	;; [unrolled: 1-line block ×4, first 2 shown]
	s_get_pc_i64 s[0:1]
	s_add_nc_u64 s[0:1], s[0:1], _ZN2at6native25elementwise_kernel_helperILb0EZZZNS0_12_GLOBAL__N_115softplus_kernelERNS_18TensorIteratorBaseERKN3c106ScalarES8_ENKUlvE_clEvENKUlvE1_clEvEUlNS5_4HalfEE_NS0_6memory8policies11unroll_baseILi256ESt5arrayIPcLm2EE23TrivialOffsetCalculatorILi1EjESK_NSD_15LoadWithoutCastENSD_16StoreWithoutCastELi8ELi1EEEEEvT0_T1_@rel64+4
	s_delay_alu instid0(SALU_CYCLE_1)
	s_swap_pc_i64 s[30:31], s[0:1]
	s_endpgm
	.section	.rodata,"a",@progbits
	.p2align	6, 0x0
	.amdhsa_kernel _ZN2at6native29vectorized_elementwise_kernelILi4EZZZNS0_12_GLOBAL__N_115softplus_kernelERNS_18TensorIteratorBaseERKN3c106ScalarES8_ENKUlvE_clEvENKUlvE1_clEvEUlNS5_4HalfEE_St5arrayIPcLm2EEEEviT0_T1_
		.amdhsa_group_segment_fixed_size 0
		.amdhsa_private_segment_fixed_size 0
		.amdhsa_kernarg_size 32
		.amdhsa_user_sgpr_count 2
		.amdhsa_user_sgpr_dispatch_ptr 0
		.amdhsa_user_sgpr_queue_ptr 0
		.amdhsa_user_sgpr_kernarg_segment_ptr 1
		.amdhsa_user_sgpr_dispatch_id 0
		.amdhsa_user_sgpr_kernarg_preload_length 0
		.amdhsa_user_sgpr_kernarg_preload_offset 0
		.amdhsa_user_sgpr_private_segment_size 0
		.amdhsa_wavefront_size32 1
		.amdhsa_uses_dynamic_stack 0
		.amdhsa_enable_private_segment 0
		.amdhsa_system_sgpr_workgroup_id_x 1
		.amdhsa_system_sgpr_workgroup_id_y 0
		.amdhsa_system_sgpr_workgroup_id_z 0
		.amdhsa_system_sgpr_workgroup_info 0
		.amdhsa_system_vgpr_workitem_id 0
		.amdhsa_next_free_vgpr 34
		.amdhsa_next_free_sgpr 33
		.amdhsa_named_barrier_count 0
		.amdhsa_reserve_vcc 1
		.amdhsa_float_round_mode_32 0
		.amdhsa_float_round_mode_16_64 0
		.amdhsa_float_denorm_mode_32 3
		.amdhsa_float_denorm_mode_16_64 3
		.amdhsa_fp16_overflow 0
		.amdhsa_memory_ordered 1
		.amdhsa_forward_progress 1
		.amdhsa_inst_pref_size 69
		.amdhsa_round_robin_scheduling 0
		.amdhsa_exception_fp_ieee_invalid_op 0
		.amdhsa_exception_fp_denorm_src 0
		.amdhsa_exception_fp_ieee_div_zero 0
		.amdhsa_exception_fp_ieee_overflow 0
		.amdhsa_exception_fp_ieee_underflow 0
		.amdhsa_exception_fp_ieee_inexact 0
		.amdhsa_exception_int_div_zero 0
	.end_amdhsa_kernel
	.section	.text._ZN2at6native29vectorized_elementwise_kernelILi4EZZZNS0_12_GLOBAL__N_115softplus_kernelERNS_18TensorIteratorBaseERKN3c106ScalarES8_ENKUlvE_clEvENKUlvE1_clEvEUlNS5_4HalfEE_St5arrayIPcLm2EEEEviT0_T1_,"axG",@progbits,_ZN2at6native29vectorized_elementwise_kernelILi4EZZZNS0_12_GLOBAL__N_115softplus_kernelERNS_18TensorIteratorBaseERKN3c106ScalarES8_ENKUlvE_clEvENKUlvE1_clEvEUlNS5_4HalfEE_St5arrayIPcLm2EEEEviT0_T1_,comdat
.Lfunc_end20:
	.size	_ZN2at6native29vectorized_elementwise_kernelILi4EZZZNS0_12_GLOBAL__N_115softplus_kernelERNS_18TensorIteratorBaseERKN3c106ScalarES8_ENKUlvE_clEvENKUlvE1_clEvEUlNS5_4HalfEE_St5arrayIPcLm2EEEEviT0_T1_, .Lfunc_end20-_ZN2at6native29vectorized_elementwise_kernelILi4EZZZNS0_12_GLOBAL__N_115softplus_kernelERNS_18TensorIteratorBaseERKN3c106ScalarES8_ENKUlvE_clEvENKUlvE1_clEvEUlNS5_4HalfEE_St5arrayIPcLm2EEEEviT0_T1_
                                        ; -- End function
	.set _ZN2at6native29vectorized_elementwise_kernelILi4EZZZNS0_12_GLOBAL__N_115softplus_kernelERNS_18TensorIteratorBaseERKN3c106ScalarES8_ENKUlvE_clEvENKUlvE1_clEvEUlNS5_4HalfEE_St5arrayIPcLm2EEEEviT0_T1_.num_vgpr, max(32, .L_ZN2at6native25elementwise_kernel_helperILb0EZZZNS0_12_GLOBAL__N_115softplus_kernelERNS_18TensorIteratorBaseERKN3c106ScalarES8_ENKUlvE_clEvENKUlvE1_clEvEUlNS5_4HalfEE_NS0_6memory8policies11unroll_baseILi256ESt5arrayIPcLm2EE23TrivialOffsetCalculatorILi1EjESK_NSD_15LoadWithoutCastENSD_16StoreWithoutCastELi8ELi1EEEEEvT0_T1_.num_vgpr)
	.set _ZN2at6native29vectorized_elementwise_kernelILi4EZZZNS0_12_GLOBAL__N_115softplus_kernelERNS_18TensorIteratorBaseERKN3c106ScalarES8_ENKUlvE_clEvENKUlvE1_clEvEUlNS5_4HalfEE_St5arrayIPcLm2EEEEviT0_T1_.num_agpr, max(0, .L_ZN2at6native25elementwise_kernel_helperILb0EZZZNS0_12_GLOBAL__N_115softplus_kernelERNS_18TensorIteratorBaseERKN3c106ScalarES8_ENKUlvE_clEvENKUlvE1_clEvEUlNS5_4HalfEE_NS0_6memory8policies11unroll_baseILi256ESt5arrayIPcLm2EE23TrivialOffsetCalculatorILi1EjESK_NSD_15LoadWithoutCastENSD_16StoreWithoutCastELi8ELi1EEEEEvT0_T1_.num_agpr)
	.set _ZN2at6native29vectorized_elementwise_kernelILi4EZZZNS0_12_GLOBAL__N_115softplus_kernelERNS_18TensorIteratorBaseERKN3c106ScalarES8_ENKUlvE_clEvENKUlvE1_clEvEUlNS5_4HalfEE_St5arrayIPcLm2EEEEviT0_T1_.numbered_sgpr, max(33, .L_ZN2at6native25elementwise_kernel_helperILb0EZZZNS0_12_GLOBAL__N_115softplus_kernelERNS_18TensorIteratorBaseERKN3c106ScalarES8_ENKUlvE_clEvENKUlvE1_clEvEUlNS5_4HalfEE_NS0_6memory8policies11unroll_baseILi256ESt5arrayIPcLm2EE23TrivialOffsetCalculatorILi1EjESK_NSD_15LoadWithoutCastENSD_16StoreWithoutCastELi8ELi1EEEEEvT0_T1_.numbered_sgpr)
	.set _ZN2at6native29vectorized_elementwise_kernelILi4EZZZNS0_12_GLOBAL__N_115softplus_kernelERNS_18TensorIteratorBaseERKN3c106ScalarES8_ENKUlvE_clEvENKUlvE1_clEvEUlNS5_4HalfEE_St5arrayIPcLm2EEEEviT0_T1_.num_named_barrier, max(0, .L_ZN2at6native25elementwise_kernel_helperILb0EZZZNS0_12_GLOBAL__N_115softplus_kernelERNS_18TensorIteratorBaseERKN3c106ScalarES8_ENKUlvE_clEvENKUlvE1_clEvEUlNS5_4HalfEE_NS0_6memory8policies11unroll_baseILi256ESt5arrayIPcLm2EE23TrivialOffsetCalculatorILi1EjESK_NSD_15LoadWithoutCastENSD_16StoreWithoutCastELi8ELi1EEEEEvT0_T1_.num_named_barrier)
	.set _ZN2at6native29vectorized_elementwise_kernelILi4EZZZNS0_12_GLOBAL__N_115softplus_kernelERNS_18TensorIteratorBaseERKN3c106ScalarES8_ENKUlvE_clEvENKUlvE1_clEvEUlNS5_4HalfEE_St5arrayIPcLm2EEEEviT0_T1_.private_seg_size, 0+max(.L_ZN2at6native25elementwise_kernel_helperILb0EZZZNS0_12_GLOBAL__N_115softplus_kernelERNS_18TensorIteratorBaseERKN3c106ScalarES8_ENKUlvE_clEvENKUlvE1_clEvEUlNS5_4HalfEE_NS0_6memory8policies11unroll_baseILi256ESt5arrayIPcLm2EE23TrivialOffsetCalculatorILi1EjESK_NSD_15LoadWithoutCastENSD_16StoreWithoutCastELi8ELi1EEEEEvT0_T1_.private_seg_size)
	.set _ZN2at6native29vectorized_elementwise_kernelILi4EZZZNS0_12_GLOBAL__N_115softplus_kernelERNS_18TensorIteratorBaseERKN3c106ScalarES8_ENKUlvE_clEvENKUlvE1_clEvEUlNS5_4HalfEE_St5arrayIPcLm2EEEEviT0_T1_.uses_vcc, or(1, .L_ZN2at6native25elementwise_kernel_helperILb0EZZZNS0_12_GLOBAL__N_115softplus_kernelERNS_18TensorIteratorBaseERKN3c106ScalarES8_ENKUlvE_clEvENKUlvE1_clEvEUlNS5_4HalfEE_NS0_6memory8policies11unroll_baseILi256ESt5arrayIPcLm2EE23TrivialOffsetCalculatorILi1EjESK_NSD_15LoadWithoutCastENSD_16StoreWithoutCastELi8ELi1EEEEEvT0_T1_.uses_vcc)
	.set _ZN2at6native29vectorized_elementwise_kernelILi4EZZZNS0_12_GLOBAL__N_115softplus_kernelERNS_18TensorIteratorBaseERKN3c106ScalarES8_ENKUlvE_clEvENKUlvE1_clEvEUlNS5_4HalfEE_St5arrayIPcLm2EEEEviT0_T1_.uses_flat_scratch, or(0, .L_ZN2at6native25elementwise_kernel_helperILb0EZZZNS0_12_GLOBAL__N_115softplus_kernelERNS_18TensorIteratorBaseERKN3c106ScalarES8_ENKUlvE_clEvENKUlvE1_clEvEUlNS5_4HalfEE_NS0_6memory8policies11unroll_baseILi256ESt5arrayIPcLm2EE23TrivialOffsetCalculatorILi1EjESK_NSD_15LoadWithoutCastENSD_16StoreWithoutCastELi8ELi1EEEEEvT0_T1_.uses_flat_scratch)
	.set _ZN2at6native29vectorized_elementwise_kernelILi4EZZZNS0_12_GLOBAL__N_115softplus_kernelERNS_18TensorIteratorBaseERKN3c106ScalarES8_ENKUlvE_clEvENKUlvE1_clEvEUlNS5_4HalfEE_St5arrayIPcLm2EEEEviT0_T1_.has_dyn_sized_stack, or(0, .L_ZN2at6native25elementwise_kernel_helperILb0EZZZNS0_12_GLOBAL__N_115softplus_kernelERNS_18TensorIteratorBaseERKN3c106ScalarES8_ENKUlvE_clEvENKUlvE1_clEvEUlNS5_4HalfEE_NS0_6memory8policies11unroll_baseILi256ESt5arrayIPcLm2EE23TrivialOffsetCalculatorILi1EjESK_NSD_15LoadWithoutCastENSD_16StoreWithoutCastELi8ELi1EEEEEvT0_T1_.has_dyn_sized_stack)
	.set _ZN2at6native29vectorized_elementwise_kernelILi4EZZZNS0_12_GLOBAL__N_115softplus_kernelERNS_18TensorIteratorBaseERKN3c106ScalarES8_ENKUlvE_clEvENKUlvE1_clEvEUlNS5_4HalfEE_St5arrayIPcLm2EEEEviT0_T1_.has_recursion, or(0, .L_ZN2at6native25elementwise_kernel_helperILb0EZZZNS0_12_GLOBAL__N_115softplus_kernelERNS_18TensorIteratorBaseERKN3c106ScalarES8_ENKUlvE_clEvENKUlvE1_clEvEUlNS5_4HalfEE_NS0_6memory8policies11unroll_baseILi256ESt5arrayIPcLm2EE23TrivialOffsetCalculatorILi1EjESK_NSD_15LoadWithoutCastENSD_16StoreWithoutCastELi8ELi1EEEEEvT0_T1_.has_recursion)
	.set _ZN2at6native29vectorized_elementwise_kernelILi4EZZZNS0_12_GLOBAL__N_115softplus_kernelERNS_18TensorIteratorBaseERKN3c106ScalarES8_ENKUlvE_clEvENKUlvE1_clEvEUlNS5_4HalfEE_St5arrayIPcLm2EEEEviT0_T1_.has_indirect_call, or(0, .L_ZN2at6native25elementwise_kernel_helperILb0EZZZNS0_12_GLOBAL__N_115softplus_kernelERNS_18TensorIteratorBaseERKN3c106ScalarES8_ENKUlvE_clEvENKUlvE1_clEvEUlNS5_4HalfEE_NS0_6memory8policies11unroll_baseILi256ESt5arrayIPcLm2EE23TrivialOffsetCalculatorILi1EjESK_NSD_15LoadWithoutCastENSD_16StoreWithoutCastELi8ELi1EEEEEvT0_T1_.has_indirect_call)
	.section	.AMDGPU.csdata,"",@progbits
; Kernel info:
; codeLenInByte = 8712
; TotalNumSgprs: 35
; NumVgprs: 34
; ScratchSize: 0
; MemoryBound: 0
; FloatMode: 240
; IeeeMode: 1
; LDSByteSize: 0 bytes/workgroup (compile time only)
; SGPRBlocks: 0
; VGPRBlocks: 2
; NumSGPRsForWavesPerEU: 35
; NumVGPRsForWavesPerEU: 34
; NamedBarCnt: 0
; Occupancy: 16
; WaveLimiterHint : 1
; COMPUTE_PGM_RSRC2:SCRATCH_EN: 0
; COMPUTE_PGM_RSRC2:USER_SGPR: 2
; COMPUTE_PGM_RSRC2:TRAP_HANDLER: 0
; COMPUTE_PGM_RSRC2:TGID_X_EN: 1
; COMPUTE_PGM_RSRC2:TGID_Y_EN: 0
; COMPUTE_PGM_RSRC2:TGID_Z_EN: 0
; COMPUTE_PGM_RSRC2:TIDIG_COMP_CNT: 0
	.section	.text._ZN2at6native29vectorized_elementwise_kernelILi2EZZZNS0_12_GLOBAL__N_115softplus_kernelERNS_18TensorIteratorBaseERKN3c106ScalarES8_ENKUlvE_clEvENKUlvE1_clEvEUlNS5_4HalfEE_St5arrayIPcLm2EEEEviT0_T1_,"axG",@progbits,_ZN2at6native29vectorized_elementwise_kernelILi2EZZZNS0_12_GLOBAL__N_115softplus_kernelERNS_18TensorIteratorBaseERKN3c106ScalarES8_ENKUlvE_clEvENKUlvE1_clEvEUlNS5_4HalfEE_St5arrayIPcLm2EEEEviT0_T1_,comdat
	.globl	_ZN2at6native29vectorized_elementwise_kernelILi2EZZZNS0_12_GLOBAL__N_115softplus_kernelERNS_18TensorIteratorBaseERKN3c106ScalarES8_ENKUlvE_clEvENKUlvE1_clEvEUlNS5_4HalfEE_St5arrayIPcLm2EEEEviT0_T1_ ; -- Begin function _ZN2at6native29vectorized_elementwise_kernelILi2EZZZNS0_12_GLOBAL__N_115softplus_kernelERNS_18TensorIteratorBaseERKN3c106ScalarES8_ENKUlvE_clEvENKUlvE1_clEvEUlNS5_4HalfEE_St5arrayIPcLm2EEEEviT0_T1_
	.p2align	8
	.type	_ZN2at6native29vectorized_elementwise_kernelILi2EZZZNS0_12_GLOBAL__N_115softplus_kernelERNS_18TensorIteratorBaseERKN3c106ScalarES8_ENKUlvE_clEvENKUlvE1_clEvEUlNS5_4HalfEE_St5arrayIPcLm2EEEEviT0_T1_,@function
_ZN2at6native29vectorized_elementwise_kernelILi2EZZZNS0_12_GLOBAL__N_115softplus_kernelERNS_18TensorIteratorBaseERKN3c106ScalarES8_ENKUlvE_clEvENKUlvE1_clEvEUlNS5_4HalfEE_St5arrayIPcLm2EEEEviT0_T1_: ; @_ZN2at6native29vectorized_elementwise_kernelILi2EZZZNS0_12_GLOBAL__N_115softplus_kernelERNS_18TensorIteratorBaseERKN3c106ScalarES8_ENKUlvE_clEvENKUlvE1_clEvEUlNS5_4HalfEE_St5arrayIPcLm2EEEEviT0_T1_
; %bb.0:
	s_clause 0x1
	s_load_b96 s[8:10], s[0:1], 0x0
	s_load_b128 s[4:7], s[0:1], 0x10
	s_wait_xcnt 0x0
	s_bfe_u32 s0, ttmp6, 0x4000c
	s_and_b32 s1, ttmp6, 15
	s_add_co_i32 s0, s0, 1
	s_getreg_b32 s2, hwreg(HW_REG_IB_STS2, 6, 4)
	s_mul_i32 s0, ttmp9, s0
	s_mov_b32 s32, 0
	s_add_co_i32 s1, s1, s0
	s_cmp_eq_u32 s2, 0
	s_cselect_b32 s0, ttmp9, s1
	s_mov_b32 s1, -1
	s_lshl_b32 s0, s0, 11
	s_wait_kmcnt 0x0
	s_sub_co_i32 s2, s8, s0
	s_delay_alu instid0(SALU_CYCLE_1)
	s_cmp_gt_i32 s2, 0x7ff
	s_cbranch_scc1 .LBB21_3
; %bb.1:
	s_and_b32 vcc_lo, exec_lo, s1
	s_cbranch_vccnz .LBB21_20
.LBB21_2:
	s_sendmsg sendmsg(MSG_DEALLOC_VGPRS)
	s_endpgm
.LBB21_3:
	s_ashr_i32 s1, s0, 31
	s_mov_b32 s3, exec_lo
	s_lshl_b64 s[0:1], s[0:1], 1
	s_delay_alu instid0(SALU_CYCLE_1)
	s_add_nc_u64 s[12:13], s[6:7], s[0:1]
	s_clause 0x3
	global_load_b32 v3, v0, s[12:13] scale_offset
	global_load_b32 v6, v0, s[12:13] offset:1024 scale_offset
	global_load_b32 v5, v0, s[12:13] offset:2048 scale_offset
	;; [unrolled: 1-line block ×3, first 2 shown]
	s_wait_loadcnt 0x3
	v_cvt_f32_f16_e32 v1, v3
	s_delay_alu instid0(VALU_DEP_1) | instskip(SKIP_1) | instid1(VALU_DEP_1)
	v_dual_mul_f32 v4, s9, v1 :: v_dual_mov_b32 v1, v3
	s_wait_xcnt 0x0
	v_cmpx_nlt_f32_e32 s10, v4
	s_cbranch_execz .LBB21_5
; %bb.4:
	v_mul_f32_e32 v1, 0x3fb8aa3b, v4
	v_cmp_ngt_f32_e32 vcc_lo, 0xc2ce8ed0, v4
	s_mov_b32 s8, 0x3e9b6dac
	s_delay_alu instid0(VALU_DEP_2) | instskip(SKIP_1) | instid1(VALU_DEP_1)
	v_rndne_f32_e32 v7, v1
	v_fma_f32 v8, 0x3fb8aa3b, v4, -v1
	v_dual_sub_f32 v1, v1, v7 :: v_dual_fmamk_f32 v8, v4, 0x32a5705f, v8
	v_cvt_i32_f32_e32 v7, v7
	s_delay_alu instid0(VALU_DEP_2) | instskip(NEXT) | instid1(VALU_DEP_1)
	v_add_f32_e32 v1, v1, v8
	v_exp_f32_e32 v1, v1
	v_nop
	s_delay_alu instid0(TRANS32_DEP_1) | instskip(NEXT) | instid1(VALU_DEP_1)
	v_ldexp_f32 v1, v1, v7
	v_cndmask_b32_e32 v1, 0, v1, vcc_lo
	v_cmp_nlt_f32_e32 vcc_lo, 0x42b17218, v4
	s_delay_alu instid0(VALU_DEP_2) | instskip(NEXT) | instid1(VALU_DEP_1)
	v_cndmask_b32_e32 v7, 0x7f800000, v1, vcc_lo
	v_add_f32_e32 v1, 1.0, v7
	s_delay_alu instid0(VALU_DEP_1) | instskip(NEXT) | instid1(VALU_DEP_1)
	v_cvt_f64_f32_e32 v[8:9], v1
	v_frexp_exp_i32_f64_e32 v4, v[8:9]
	v_frexp_mant_f32_e32 v8, v1
	s_delay_alu instid0(VALU_DEP_1) | instskip(SKIP_1) | instid1(VALU_DEP_1)
	v_cmp_gt_f32_e32 vcc_lo, 0x3f2aaaab, v8
	v_add_f32_e32 v8, -1.0, v1
	v_dual_sub_f32 v10, v8, v1 :: v_dual_sub_f32 v8, v7, v8
	s_delay_alu instid0(VALU_DEP_1) | instskip(NEXT) | instid1(VALU_DEP_1)
	v_add_f32_e32 v10, 1.0, v10
	v_add_f32_e32 v8, v8, v10
	v_subrev_co_ci_u32_e64 v4, null, 0, v4, vcc_lo
	v_cmp_neq_f32_e32 vcc_lo, 0x7f800000, v7
	s_delay_alu instid0(VALU_DEP_2) | instskip(NEXT) | instid1(VALU_DEP_1)
	v_sub_nc_u32_e32 v9, 0, v4
	v_ldexp_f32 v1, v1, v9
	v_ldexp_f32 v8, v8, v9
	s_delay_alu instid0(VALU_DEP_2) | instskip(NEXT) | instid1(VALU_DEP_1)
	v_dual_add_f32 v11, 1.0, v1 :: v_dual_add_f32 v13, -1.0, v1
	v_add_f32_e32 v10, -1.0, v11
	s_delay_alu instid0(VALU_DEP_1) | instskip(NEXT) | instid1(VALU_DEP_1)
	v_dual_sub_f32 v9, v1, v10 :: v_dual_add_f32 v10, 1.0, v13
	v_dual_add_f32 v12, v8, v9 :: v_dual_sub_f32 v1, v1, v10
	s_delay_alu instid0(VALU_DEP_1) | instskip(NEXT) | instid1(VALU_DEP_1)
	v_dual_add_f32 v14, v11, v12 :: v_dual_add_f32 v1, v8, v1
	v_rcp_f32_e32 v15, v14
	s_delay_alu instid0(VALU_DEP_1) | instskip(NEXT) | instid1(VALU_DEP_1)
	v_dual_add_f32 v9, v13, v1 :: v_dual_sub_f32 v8, v11, v14
	v_sub_f32_e32 v18, v13, v9
	s_delay_alu instid0(TRANS32_DEP_1) | instid1(VALU_DEP_2)
	v_dual_mul_f32 v16, v9, v15 :: v_dual_add_f32 v17, v12, v8
	s_delay_alu instid0(VALU_DEP_1) | instskip(NEXT) | instid1(VALU_DEP_1)
	v_dual_add_f32 v1, v1, v18 :: v_dual_mul_f32 v10, v14, v16
	v_fma_f32 v12, v16, v14, -v10
	s_delay_alu instid0(VALU_DEP_1) | instskip(NEXT) | instid1(VALU_DEP_1)
	v_fmac_f32_e32 v12, v16, v17
	v_add_f32_e32 v8, v10, v12
	s_delay_alu instid0(VALU_DEP_1) | instskip(NEXT) | instid1(VALU_DEP_1)
	v_dual_sub_f32 v11, v9, v8 :: v_dual_mov_b32 v13, v8
	v_pk_add_f32 v[8:9], v[8:9], v[10:11] neg_lo:[0,1] neg_hi:[0,1]
	s_delay_alu instid0(VALU_DEP_1) | instskip(NEXT) | instid1(VALU_DEP_1)
	v_pk_add_f32 v[8:9], v[8:9], v[12:13] neg_lo:[0,1] neg_hi:[0,1]
	v_add_f32_e32 v1, v1, v9
	s_delay_alu instid0(VALU_DEP_1) | instskip(NEXT) | instid1(VALU_DEP_1)
	v_add_f32_e32 v1, v8, v1
	v_add_f32_e32 v9, v11, v1
	s_delay_alu instid0(VALU_DEP_1) | instskip(NEXT) | instid1(VALU_DEP_1)
	v_mul_f32_e32 v18, v15, v9
	v_mul_f32_e32 v12, v14, v18
	s_delay_alu instid0(VALU_DEP_1) | instskip(NEXT) | instid1(VALU_DEP_1)
	v_dual_fma_f32 v10, v18, v14, -v12 :: v_dual_sub_f32 v14, v11, v9
	v_dual_fmac_f32 v10, v18, v17 :: v_dual_add_f32 v1, v1, v14
	s_delay_alu instid0(VALU_DEP_1) | instskip(NEXT) | instid1(VALU_DEP_1)
	v_add_f32_e32 v8, v12, v10
	v_dual_sub_f32 v13, v9, v8 :: v_dual_mov_b32 v11, v8
	s_delay_alu instid0(VALU_DEP_1) | instskip(SKIP_1) | instid1(VALU_DEP_2)
	v_pk_add_f32 v[8:9], v[8:9], v[12:13] neg_lo:[0,1] neg_hi:[0,1]
	v_add_f32_e32 v12, v16, v18
	v_pk_add_f32 v[8:9], v[8:9], v[10:11] neg_lo:[0,1] neg_hi:[0,1]
	v_cvt_f32_i32_e32 v10, v4
	s_delay_alu instid0(VALU_DEP_2) | instskip(NEXT) | instid1(VALU_DEP_1)
	v_add_f32_e32 v1, v1, v9
	v_add_f32_e32 v1, v8, v1
	v_sub_f32_e32 v8, v12, v16
	s_delay_alu instid0(VALU_DEP_1) | instskip(NEXT) | instid1(VALU_DEP_1)
	v_dual_sub_f32 v8, v18, v8 :: v_dual_add_f32 v1, v13, v1
	v_mul_f32_e32 v1, v15, v1
	s_delay_alu instid0(VALU_DEP_1) | instskip(NEXT) | instid1(VALU_DEP_1)
	v_dual_add_f32 v1, v8, v1 :: v_dual_mov_b32 v8, 0x3f317218
	v_add_f32_e32 v13, v12, v1
	s_delay_alu instid0(VALU_DEP_1) | instskip(NEXT) | instid1(VALU_DEP_1)
	v_mul_f32_e32 v9, v13, v13
	v_dual_fmaak_f32 v14, s8, v9, 0x3ecc95a3 :: v_dual_mul_f32 v11, v13, v9
	s_delay_alu instid0(VALU_DEP_1) | instskip(NEXT) | instid1(VALU_DEP_1)
	v_fmaak_f32 v9, v9, v14, 0x3f2aaada
	v_pk_mul_f32 v[8:9], v[10:11], v[8:9]
	s_delay_alu instid0(VALU_DEP_1) | instskip(SKIP_1) | instid1(VALU_DEP_2)
	v_fma_f32 v4, 0x3f317218, v10, -v8
	v_mov_b32_e32 v14, v8
	v_fmamk_f32 v10, v10, 0xb102e308, v4
	v_sub_f32_e32 v4, v13, v12
	s_delay_alu instid0(VALU_DEP_1) | instskip(SKIP_1) | instid1(VALU_DEP_2)
	v_sub_f32_e32 v1, v1, v4
	v_ldexp_f32 v11, v13, 1
	v_ldexp_f32 v1, v1, 1
	s_delay_alu instid0(VALU_DEP_2) | instskip(NEXT) | instid1(VALU_DEP_1)
	v_pk_add_f32 v[12:13], v[8:9], v[10:11]
	v_dual_sub_f32 v4, v13, v11 :: v_dual_mov_b32 v11, v12
	v_mov_b32_e32 v22, v13
	s_delay_alu instid0(VALU_DEP_2) | instskip(SKIP_1) | instid1(VALU_DEP_2)
	v_sub_f32_e32 v4, v9, v4
	v_pk_add_f32 v[8:9], v[12:13], v[8:9] neg_lo:[0,1] neg_hi:[0,1]
	v_add_f32_e32 v15, v1, v4
	s_delay_alu instid0(VALU_DEP_1) | instskip(NEXT) | instid1(VALU_DEP_1)
	v_pk_add_f32 v[16:17], v[12:13], v[14:15]
	v_mov_b32_e32 v9, v17
	s_delay_alu instid0(VALU_DEP_1) | instskip(SKIP_2) | instid1(VALU_DEP_3)
	v_pk_add_f32 v[18:19], v[10:11], v[8:9]
	v_mov_b32_e32 v18, v17
	v_pk_add_f32 v[8:9], v[10:11], v[8:9] neg_lo:[0,1] neg_hi:[0,1]
	v_dual_mov_b32 v4, v19 :: v_dual_mov_b32 v9, v19
	s_wait_loadcnt 0x1
	s_delay_alu instid0(VALU_DEP_1) | instskip(SKIP_1) | instid1(VALU_DEP_2)
	v_pk_add_f32 v[20:21], v[4:5], v[12:13] neg_lo:[0,1] neg_hi:[0,1]
	v_dual_mov_b32 v13, v12 :: v_dual_mov_b32 v12, v15
	v_dual_mov_b32 v1, v20 :: v_dual_mov_b32 v23, v20
	s_delay_alu instid0(VALU_DEP_1) | instskip(NEXT) | instid1(VALU_DEP_2)
	v_pk_add_f32 v[14:15], v[16:17], v[0:1] neg_lo:[0,1] neg_hi:[0,1]
	v_pk_add_f32 v[10:11], v[18:19], v[22:23] neg_lo:[0,1] neg_hi:[0,1]
	v_mov_b32_e32 v14, v8
	s_delay_alu instid0(VALU_DEP_2) | instskip(NEXT) | instid1(VALU_DEP_1)
	v_pk_add_f32 v[10:11], v[12:13], v[10:11] neg_lo:[0,1] neg_hi:[0,1]
	v_pk_add_f32 v[12:13], v[14:15], v[10:11]
	s_delay_alu instid0(VALU_DEP_1) | instskip(NEXT) | instid1(VALU_DEP_1)
	v_mov_b32_e32 v14, v13
	v_pk_add_f32 v[14:15], v[12:13], v[14:15]
	s_delay_alu instid0(VALU_DEP_1) | instskip(NEXT) | instid1(VALU_DEP_1)
	v_pk_add_f32 v[16:17], v[4:5], v[14:15]
	v_mov_b32_e32 v13, v16
	s_delay_alu instid0(VALU_DEP_1) | instskip(NEXT) | instid1(VALU_DEP_1)
	v_pk_add_f32 v[18:19], v[12:13], v[8:9] neg_lo:[0,1] neg_hi:[0,1]
	v_dual_mov_b32 v11, v14 :: v_dual_sub_f32 v1, v12, v18
	s_delay_alu instid0(VALU_DEP_1) | instskip(NEXT) | instid1(VALU_DEP_2)
	v_pk_add_f32 v[10:11], v[10:11], v[18:19] neg_lo:[0,1] neg_hi:[0,1]
	v_sub_f32_e32 v1, v8, v1
	s_delay_alu instid0(VALU_DEP_1) | instskip(NEXT) | instid1(VALU_DEP_1)
	v_add_f32_e32 v1, v10, v1
	v_add_f32_e32 v1, v1, v11
	s_delay_alu instid0(VALU_DEP_1) | instskip(NEXT) | instid1(VALU_DEP_1)
	v_add_f32_e32 v1, v16, v1
	v_cndmask_b32_e32 v1, 0x7f800000, v1, vcc_lo
	v_cmp_gt_f32_e64 vcc_lo, 0x33800000, |v7|
	s_delay_alu instid0(VALU_DEP_2) | instskip(NEXT) | instid1(VALU_DEP_1)
	v_cndmask_b32_e32 v1, v1, v7, vcc_lo
	v_div_scale_f32 v4, null, s9, s9, v1
	s_delay_alu instid0(VALU_DEP_1) | instskip(SKIP_1) | instid1(TRANS32_DEP_1)
	v_rcp_f32_e32 v7, v4
	v_nop
	v_fma_f32 v8, -v4, v7, 1.0
	s_delay_alu instid0(VALU_DEP_1) | instskip(SKIP_1) | instid1(VALU_DEP_1)
	v_fmac_f32_e32 v7, v8, v7
	v_div_scale_f32 v8, vcc_lo, v1, s9, v1
	v_mul_f32_e32 v9, v8, v7
	s_delay_alu instid0(VALU_DEP_1) | instskip(NEXT) | instid1(VALU_DEP_1)
	v_fma_f32 v10, -v4, v9, v8
	v_fmac_f32_e32 v9, v10, v7
	s_delay_alu instid0(VALU_DEP_1) | instskip(NEXT) | instid1(VALU_DEP_1)
	v_fma_f32 v4, -v4, v9, v8
	v_div_fmas_f32 v4, v4, v7, v9
	s_delay_alu instid0(VALU_DEP_1) | instskip(NEXT) | instid1(VALU_DEP_1)
	v_div_fixup_f32 v1, v4, s9, v1
	v_cvt_f16_f32_e32 v1, v1
.LBB21_5:
	s_or_b32 exec_lo, exec_lo, s3
	v_lshrrev_b32_e32 v3, 16, v3
	s_mov_b32 s3, exec_lo
	s_delay_alu instid0(VALU_DEP_1) | instskip(NEXT) | instid1(VALU_DEP_1)
	v_cvt_f32_f16_e32 v4, v3
	v_mul_f32_e32 v4, s9, v4
	s_delay_alu instid0(VALU_DEP_1)
	v_cmpx_nlt_f32_e32 s10, v4
	s_cbranch_execz .LBB21_7
; %bb.6:
	v_mul_f32_e32 v3, 0x3fb8aa3b, v4
	v_cmp_ngt_f32_e32 vcc_lo, 0xc2ce8ed0, v4
	s_mov_b32 s8, 0x3e9b6dac
	s_delay_alu instid0(VALU_DEP_2) | instskip(SKIP_1) | instid1(VALU_DEP_1)
	v_rndne_f32_e32 v7, v3
	v_fma_f32 v8, 0x3fb8aa3b, v4, -v3
	v_dual_sub_f32 v3, v3, v7 :: v_dual_fmamk_f32 v8, v4, 0x32a5705f, v8
	v_cvt_i32_f32_e32 v7, v7
	s_delay_alu instid0(VALU_DEP_2) | instskip(NEXT) | instid1(VALU_DEP_1)
	v_add_f32_e32 v3, v3, v8
	v_exp_f32_e32 v3, v3
	v_nop
	s_delay_alu instid0(TRANS32_DEP_1) | instskip(NEXT) | instid1(VALU_DEP_1)
	v_ldexp_f32 v3, v3, v7
	v_cndmask_b32_e32 v3, 0, v3, vcc_lo
	v_cmp_nlt_f32_e32 vcc_lo, 0x42b17218, v4
	s_delay_alu instid0(VALU_DEP_2) | instskip(NEXT) | instid1(VALU_DEP_1)
	v_cndmask_b32_e32 v7, 0x7f800000, v3, vcc_lo
	v_add_f32_e32 v3, 1.0, v7
	s_delay_alu instid0(VALU_DEP_1) | instskip(NEXT) | instid1(VALU_DEP_1)
	v_cvt_f64_f32_e32 v[8:9], v3
	v_frexp_exp_i32_f64_e32 v4, v[8:9]
	v_frexp_mant_f32_e32 v8, v3
	s_delay_alu instid0(VALU_DEP_1) | instskip(SKIP_1) | instid1(VALU_DEP_1)
	v_cmp_gt_f32_e32 vcc_lo, 0x3f2aaaab, v8
	v_add_f32_e32 v8, -1.0, v3
	v_dual_sub_f32 v10, v8, v3 :: v_dual_sub_f32 v8, v7, v8
	v_subrev_co_ci_u32_e64 v4, null, 0, v4, vcc_lo
	v_cmp_neq_f32_e32 vcc_lo, 0x7f800000, v7
	s_delay_alu instid0(VALU_DEP_2) | instskip(NEXT) | instid1(VALU_DEP_1)
	v_sub_nc_u32_e32 v9, 0, v4
	v_ldexp_f32 v3, v3, v9
	s_delay_alu instid0(VALU_DEP_1) | instskip(NEXT) | instid1(VALU_DEP_1)
	v_dual_add_f32 v11, 1.0, v3 :: v_dual_add_f32 v10, 1.0, v10
	v_add_f32_e32 v8, v8, v10
	s_delay_alu instid0(VALU_DEP_1) | instskip(NEXT) | instid1(VALU_DEP_3)
	v_ldexp_f32 v8, v8, v9
	v_add_f32_e32 v10, -1.0, v11
	s_delay_alu instid0(VALU_DEP_1) | instskip(NEXT) | instid1(VALU_DEP_1)
	v_dual_add_f32 v13, -1.0, v3 :: v_dual_sub_f32 v9, v3, v10
	v_add_f32_e32 v12, v8, v9
	s_delay_alu instid0(VALU_DEP_1) | instskip(NEXT) | instid1(VALU_DEP_1)
	v_dual_add_f32 v10, 1.0, v13 :: v_dual_add_f32 v14, v11, v12
	v_rcp_f32_e32 v15, v14
	s_delay_alu instid0(VALU_DEP_1) | instskip(NEXT) | instid1(VALU_DEP_1)
	v_sub_f32_e32 v3, v3, v10
	v_dual_add_f32 v3, v8, v3 :: v_dual_sub_f32 v8, v11, v14
	s_delay_alu instid0(VALU_DEP_1)
	v_add_f32_e32 v9, v13, v3
	s_delay_alu instid0(TRANS32_DEP_1) | instid1(VALU_DEP_1)
	v_mul_f32_e32 v16, v9, v15
	s_delay_alu instid0(VALU_DEP_1) | instskip(NEXT) | instid1(VALU_DEP_4)
	v_mul_f32_e32 v10, v14, v16
	v_dual_add_f32 v17, v12, v8 :: v_dual_sub_f32 v18, v13, v9
	s_delay_alu instid0(VALU_DEP_2) | instskip(NEXT) | instid1(VALU_DEP_1)
	v_fma_f32 v12, v16, v14, -v10
	v_dual_add_f32 v3, v3, v18 :: v_dual_fmac_f32 v12, v16, v17
	s_delay_alu instid0(VALU_DEP_1) | instskip(NEXT) | instid1(VALU_DEP_1)
	v_add_f32_e32 v8, v10, v12
	v_dual_sub_f32 v11, v9, v8 :: v_dual_mov_b32 v13, v8
	s_delay_alu instid0(VALU_DEP_1) | instskip(NEXT) | instid1(VALU_DEP_1)
	v_pk_add_f32 v[8:9], v[8:9], v[10:11] neg_lo:[0,1] neg_hi:[0,1]
	v_pk_add_f32 v[8:9], v[8:9], v[12:13] neg_lo:[0,1] neg_hi:[0,1]
	s_delay_alu instid0(VALU_DEP_1) | instskip(NEXT) | instid1(VALU_DEP_1)
	v_add_f32_e32 v3, v3, v9
	v_add_f32_e32 v3, v8, v3
	s_delay_alu instid0(VALU_DEP_1) | instskip(NEXT) | instid1(VALU_DEP_1)
	v_add_f32_e32 v9, v11, v3
	v_mul_f32_e32 v18, v15, v9
	s_delay_alu instid0(VALU_DEP_1) | instskip(NEXT) | instid1(VALU_DEP_1)
	v_mul_f32_e32 v12, v14, v18
	v_dual_fma_f32 v10, v18, v14, -v12 :: v_dual_sub_f32 v14, v11, v9
	s_delay_alu instid0(VALU_DEP_1) | instskip(NEXT) | instid1(VALU_DEP_1)
	v_fmac_f32_e32 v10, v18, v17
	v_add_f32_e32 v8, v12, v10
	s_delay_alu instid0(VALU_DEP_1) | instskip(NEXT) | instid1(VALU_DEP_1)
	v_dual_sub_f32 v13, v9, v8 :: v_dual_mov_b32 v11, v8
	v_pk_add_f32 v[8:9], v[8:9], v[12:13] neg_lo:[0,1] neg_hi:[0,1]
	v_add_f32_e32 v12, v16, v18
	v_add_f32_e32 v3, v3, v14
	s_delay_alu instid0(VALU_DEP_3) | instskip(SKIP_1) | instid1(VALU_DEP_2)
	v_pk_add_f32 v[8:9], v[8:9], v[10:11] neg_lo:[0,1] neg_hi:[0,1]
	v_cvt_f32_i32_e32 v10, v4
	v_add_f32_e32 v3, v3, v9
	s_delay_alu instid0(VALU_DEP_1) | instskip(NEXT) | instid1(VALU_DEP_1)
	v_add_f32_e32 v3, v8, v3
	v_dual_sub_f32 v8, v12, v16 :: v_dual_add_f32 v3, v13, v3
	s_delay_alu instid0(VALU_DEP_1) | instskip(NEXT) | instid1(VALU_DEP_1)
	v_dual_sub_f32 v8, v18, v8 :: v_dual_mul_f32 v3, v15, v3
	v_dual_add_f32 v3, v8, v3 :: v_dual_mov_b32 v8, 0x3f317218
	s_delay_alu instid0(VALU_DEP_1) | instskip(NEXT) | instid1(VALU_DEP_1)
	v_add_f32_e32 v13, v12, v3
	v_mul_f32_e32 v9, v13, v13
	s_delay_alu instid0(VALU_DEP_1) | instskip(NEXT) | instid1(VALU_DEP_1)
	v_dual_fmaak_f32 v14, s8, v9, 0x3ecc95a3 :: v_dual_mul_f32 v11, v13, v9
	v_fmaak_f32 v9, v9, v14, 0x3f2aaada
	s_delay_alu instid0(VALU_DEP_1) | instskip(NEXT) | instid1(VALU_DEP_1)
	v_pk_mul_f32 v[8:9], v[10:11], v[8:9]
	v_fma_f32 v4, 0x3f317218, v10, -v8
	v_mov_b32_e32 v14, v8
	s_delay_alu instid0(VALU_DEP_2) | instskip(SKIP_2) | instid1(VALU_DEP_2)
	v_fmamk_f32 v10, v10, 0xb102e308, v4
	v_ldexp_f32 v11, v13, 1
	v_sub_f32_e32 v4, v13, v12
	v_pk_add_f32 v[12:13], v[8:9], v[10:11]
	s_delay_alu instid0(VALU_DEP_1) | instskip(NEXT) | instid1(VALU_DEP_1)
	v_dual_sub_f32 v3, v3, v4 :: v_dual_sub_f32 v4, v13, v11
	v_ldexp_f32 v3, v3, 1
	s_delay_alu instid0(VALU_DEP_3) | instskip(NEXT) | instid1(VALU_DEP_3)
	v_dual_mov_b32 v11, v12 :: v_dual_mov_b32 v22, v13
	v_sub_f32_e32 v4, v9, v4
	v_pk_add_f32 v[8:9], v[12:13], v[8:9] neg_lo:[0,1] neg_hi:[0,1]
	s_delay_alu instid0(VALU_DEP_2) | instskip(NEXT) | instid1(VALU_DEP_1)
	v_add_f32_e32 v15, v3, v4
	v_pk_add_f32 v[16:17], v[12:13], v[14:15]
	s_delay_alu instid0(VALU_DEP_1) | instskip(NEXT) | instid1(VALU_DEP_1)
	v_mov_b32_e32 v9, v17
	v_pk_add_f32 v[18:19], v[10:11], v[8:9]
	v_mov_b32_e32 v18, v17
	v_pk_add_f32 v[8:9], v[10:11], v[8:9] neg_lo:[0,1] neg_hi:[0,1]
	s_delay_alu instid0(VALU_DEP_3) | instskip(SKIP_1) | instid1(VALU_DEP_1)
	v_dual_mov_b32 v4, v19 :: v_dual_mov_b32 v9, v19
	s_wait_loadcnt 0x1
	v_pk_add_f32 v[20:21], v[4:5], v[12:13] neg_lo:[0,1] neg_hi:[0,1]
	v_dual_mov_b32 v13, v12 :: v_dual_mov_b32 v12, v15
	s_delay_alu instid0(VALU_DEP_2) | instskip(SKIP_1) | instid1(VALU_DEP_1)
	v_dual_mov_b32 v3, v20 :: v_dual_mov_b32 v23, v20
	s_wait_loadcnt 0x0
	v_pk_add_f32 v[14:15], v[16:17], v[2:3] neg_lo:[0,1] neg_hi:[0,1]
	s_delay_alu instid0(VALU_DEP_2) | instskip(SKIP_1) | instid1(VALU_DEP_2)
	v_pk_add_f32 v[10:11], v[18:19], v[22:23] neg_lo:[0,1] neg_hi:[0,1]
	v_mov_b32_e32 v14, v8
	v_pk_add_f32 v[10:11], v[12:13], v[10:11] neg_lo:[0,1] neg_hi:[0,1]
	s_delay_alu instid0(VALU_DEP_1) | instskip(NEXT) | instid1(VALU_DEP_1)
	v_pk_add_f32 v[12:13], v[14:15], v[10:11]
	v_mov_b32_e32 v14, v13
	s_delay_alu instid0(VALU_DEP_1) | instskip(NEXT) | instid1(VALU_DEP_1)
	v_pk_add_f32 v[14:15], v[12:13], v[14:15]
	v_pk_add_f32 v[16:17], v[4:5], v[14:15]
	s_delay_alu instid0(VALU_DEP_1) | instskip(NEXT) | instid1(VALU_DEP_1)
	v_mov_b32_e32 v13, v16
	v_pk_add_f32 v[18:19], v[12:13], v[8:9] neg_lo:[0,1] neg_hi:[0,1]
	s_delay_alu instid0(VALU_DEP_1) | instskip(NEXT) | instid1(VALU_DEP_1)
	v_dual_mov_b32 v11, v14 :: v_dual_sub_f32 v3, v12, v18
	v_pk_add_f32 v[10:11], v[10:11], v[18:19] neg_lo:[0,1] neg_hi:[0,1]
	s_delay_alu instid0(VALU_DEP_2) | instskip(NEXT) | instid1(VALU_DEP_1)
	v_sub_f32_e32 v3, v8, v3
	v_add_f32_e32 v3, v10, v3
	s_delay_alu instid0(VALU_DEP_1) | instskip(NEXT) | instid1(VALU_DEP_1)
	v_add_f32_e32 v3, v3, v11
	v_add_f32_e32 v3, v16, v3
	s_delay_alu instid0(VALU_DEP_1) | instskip(SKIP_1) | instid1(VALU_DEP_2)
	v_cndmask_b32_e32 v3, 0x7f800000, v3, vcc_lo
	v_cmp_gt_f32_e64 vcc_lo, 0x33800000, |v7|
	v_cndmask_b32_e32 v3, v3, v7, vcc_lo
	s_delay_alu instid0(VALU_DEP_1) | instskip(NEXT) | instid1(VALU_DEP_1)
	v_div_scale_f32 v4, null, s9, s9, v3
	v_rcp_f32_e32 v7, v4
	v_nop
	s_delay_alu instid0(TRANS32_DEP_1) | instskip(NEXT) | instid1(VALU_DEP_1)
	v_fma_f32 v8, -v4, v7, 1.0
	v_fmac_f32_e32 v7, v8, v7
	v_div_scale_f32 v8, vcc_lo, v3, s9, v3
	s_delay_alu instid0(VALU_DEP_1) | instskip(NEXT) | instid1(VALU_DEP_1)
	v_mul_f32_e32 v9, v8, v7
	v_fma_f32 v10, -v4, v9, v8
	s_delay_alu instid0(VALU_DEP_1) | instskip(NEXT) | instid1(VALU_DEP_1)
	v_fmac_f32_e32 v9, v10, v7
	v_fma_f32 v4, -v4, v9, v8
	s_delay_alu instid0(VALU_DEP_1) | instskip(NEXT) | instid1(VALU_DEP_1)
	v_div_fmas_f32 v4, v4, v7, v9
	v_div_fixup_f32 v3, v4, s9, v3
	s_delay_alu instid0(VALU_DEP_1)
	v_cvt_f16_f32_e32 v3, v3
.LBB21_7:
	s_or_b32 exec_lo, exec_lo, s3
	s_wait_loadcnt 0x2
	v_cvt_f32_f16_e32 v4, v6
	s_mov_b32 s3, exec_lo
	s_delay_alu instid0(VALU_DEP_1) | instskip(NEXT) | instid1(VALU_DEP_1)
	v_dual_mul_f32 v7, s9, v4 :: v_dual_mov_b32 v4, v6
	v_cmpx_nlt_f32_e32 s10, v7
	s_cbranch_execz .LBB21_9
; %bb.8:
	v_mul_f32_e32 v4, 0x3fb8aa3b, v7
	v_cmp_ngt_f32_e32 vcc_lo, 0xc2ce8ed0, v7
	s_mov_b32 s8, 0x3e9b6dac
	s_delay_alu instid0(VALU_DEP_2) | instskip(SKIP_1) | instid1(VALU_DEP_1)
	v_rndne_f32_e32 v8, v4
	v_fma_f32 v9, 0x3fb8aa3b, v7, -v4
	v_dual_sub_f32 v4, v4, v8 :: v_dual_fmamk_f32 v9, v7, 0x32a5705f, v9
	v_cvt_i32_f32_e32 v8, v8
	s_delay_alu instid0(VALU_DEP_2) | instskip(NEXT) | instid1(VALU_DEP_1)
	v_add_f32_e32 v4, v4, v9
	v_exp_f32_e32 v4, v4
	v_nop
	s_delay_alu instid0(TRANS32_DEP_1) | instskip(NEXT) | instid1(VALU_DEP_1)
	v_ldexp_f32 v4, v4, v8
	v_cndmask_b32_e32 v4, 0, v4, vcc_lo
	v_cmp_nlt_f32_e32 vcc_lo, 0x42b17218, v7
	s_delay_alu instid0(VALU_DEP_2) | instskip(NEXT) | instid1(VALU_DEP_1)
	v_cndmask_b32_e32 v24, 0x7f800000, v4, vcc_lo
	v_add_f32_e32 v4, 1.0, v24
	s_delay_alu instid0(VALU_DEP_1) | instskip(NEXT) | instid1(VALU_DEP_1)
	v_cvt_f64_f32_e32 v[8:9], v4
	v_frexp_exp_i32_f64_e32 v7, v[8:9]
	v_frexp_mant_f32_e32 v8, v4
	s_delay_alu instid0(VALU_DEP_1) | instskip(SKIP_1) | instid1(VALU_DEP_1)
	v_cmp_gt_f32_e32 vcc_lo, 0x3f2aaaab, v8
	v_add_f32_e32 v8, -1.0, v4
	v_sub_f32_e32 v10, v8, v4
	s_delay_alu instid0(VALU_DEP_1) | instskip(SKIP_1) | instid1(VALU_DEP_1)
	v_add_f32_e32 v10, 1.0, v10
	v_subrev_co_ci_u32_e64 v7, null, 0, v7, vcc_lo
	v_sub_nc_u32_e32 v9, 0, v7
	s_delay_alu instid0(VALU_DEP_1) | instskip(NEXT) | instid1(VALU_DEP_1)
	v_ldexp_f32 v4, v4, v9
	v_dual_add_f32 v11, 1.0, v4 :: v_dual_add_f32 v13, -1.0, v4
	v_sub_f32_e32 v8, v24, v8
	v_cmp_neq_f32_e32 vcc_lo, 0x7f800000, v24
	s_delay_alu instid0(VALU_DEP_2) | instskip(NEXT) | instid1(VALU_DEP_1)
	v_dual_add_f32 v8, v8, v10 :: v_dual_add_f32 v10, -1.0, v11
	v_ldexp_f32 v8, v8, v9
	s_delay_alu instid0(VALU_DEP_2) | instskip(NEXT) | instid1(VALU_DEP_1)
	v_dual_sub_f32 v9, v4, v10 :: v_dual_add_f32 v10, 1.0, v13
	v_sub_f32_e32 v4, v4, v10
	s_delay_alu instid0(VALU_DEP_1) | instskip(NEXT) | instid1(VALU_DEP_1)
	v_dual_add_f32 v12, v8, v9 :: v_dual_add_f32 v4, v8, v4
	v_add_f32_e32 v9, v13, v4
	s_delay_alu instid0(VALU_DEP_2) | instskip(NEXT) | instid1(VALU_DEP_1)
	v_add_f32_e32 v14, v11, v12
	v_rcp_f32_e32 v15, v14
	v_nop
	s_delay_alu instid0(TRANS32_DEP_1) | instskip(NEXT) | instid1(VALU_DEP_1)
	v_dual_mul_f32 v16, v9, v15 :: v_dual_sub_f32 v8, v11, v14
	v_add_f32_e32 v17, v12, v8
	s_delay_alu instid0(VALU_DEP_2) | instskip(NEXT) | instid1(VALU_DEP_1)
	v_mul_f32_e32 v10, v14, v16
	v_dual_fma_f32 v12, v16, v14, -v10 :: v_dual_sub_f32 v18, v13, v9
	s_delay_alu instid0(VALU_DEP_1) | instskip(NEXT) | instid1(VALU_DEP_1)
	v_fmac_f32_e32 v12, v16, v17
	v_dual_add_f32 v4, v4, v18 :: v_dual_add_f32 v8, v10, v12
	s_delay_alu instid0(VALU_DEP_1) | instskip(NEXT) | instid1(VALU_DEP_1)
	v_dual_sub_f32 v11, v9, v8 :: v_dual_mov_b32 v13, v8
	v_pk_add_f32 v[8:9], v[8:9], v[10:11] neg_lo:[0,1] neg_hi:[0,1]
	s_delay_alu instid0(VALU_DEP_1) | instskip(NEXT) | instid1(VALU_DEP_1)
	v_pk_add_f32 v[8:9], v[8:9], v[12:13] neg_lo:[0,1] neg_hi:[0,1]
	v_add_f32_e32 v4, v4, v9
	s_delay_alu instid0(VALU_DEP_1) | instskip(NEXT) | instid1(VALU_DEP_1)
	v_add_f32_e32 v4, v8, v4
	v_add_f32_e32 v9, v11, v4
	s_delay_alu instid0(VALU_DEP_1) | instskip(NEXT) | instid1(VALU_DEP_1)
	v_mul_f32_e32 v18, v15, v9
	v_mul_f32_e32 v12, v14, v18
	s_delay_alu instid0(VALU_DEP_1) | instskip(NEXT) | instid1(VALU_DEP_1)
	v_dual_fma_f32 v10, v18, v14, -v12 :: v_dual_sub_f32 v14, v11, v9
	v_dual_fmac_f32 v10, v18, v17 :: v_dual_add_f32 v4, v4, v14
	s_delay_alu instid0(VALU_DEP_1) | instskip(NEXT) | instid1(VALU_DEP_1)
	v_add_f32_e32 v8, v12, v10
	v_dual_sub_f32 v13, v9, v8 :: v_dual_mov_b32 v11, v8
	s_delay_alu instid0(VALU_DEP_1) | instskip(NEXT) | instid1(VALU_DEP_1)
	v_pk_add_f32 v[8:9], v[8:9], v[12:13] neg_lo:[0,1] neg_hi:[0,1]
	v_pk_add_f32 v[8:9], v[8:9], v[10:11] neg_lo:[0,1] neg_hi:[0,1]
	v_cvt_f32_i32_e32 v10, v7
	s_delay_alu instid0(VALU_DEP_2) | instskip(NEXT) | instid1(VALU_DEP_1)
	v_add_f32_e32 v4, v4, v9
	v_add_f32_e32 v4, v8, v4
	s_delay_alu instid0(VALU_DEP_1) | instskip(NEXT) | instid1(VALU_DEP_1)
	v_dual_add_f32 v12, v16, v18 :: v_dual_add_f32 v4, v13, v4
	v_sub_f32_e32 v8, v12, v16
	s_delay_alu instid0(VALU_DEP_2) | instskip(NEXT) | instid1(VALU_DEP_2)
	v_mul_f32_e32 v4, v15, v4
	v_sub_f32_e32 v8, v18, v8
	s_delay_alu instid0(VALU_DEP_1) | instskip(NEXT) | instid1(VALU_DEP_1)
	v_add_f32_e32 v4, v8, v4
	v_add_f32_e32 v13, v12, v4
	s_delay_alu instid0(VALU_DEP_1) | instskip(NEXT) | instid1(VALU_DEP_1)
	v_mul_f32_e32 v9, v13, v13
	v_fmaak_f32 v14, s8, v9, 0x3ecc95a3
	v_dual_mov_b32 v8, 0x3f317218 :: v_dual_mul_f32 v11, v13, v9
	s_delay_alu instid0(VALU_DEP_2) | instskip(NEXT) | instid1(VALU_DEP_1)
	v_fmaak_f32 v9, v9, v14, 0x3f2aaada
	v_pk_mul_f32 v[8:9], v[10:11], v[8:9]
	v_ldexp_f32 v11, v13, 1
	s_delay_alu instid0(VALU_DEP_2) | instskip(NEXT) | instid1(VALU_DEP_1)
	v_fma_f32 v7, 0x3f317218, v10, -v8
	v_dual_fmamk_f32 v10, v10, 0xb102e308, v7 :: v_dual_sub_f32 v7, v13, v12
	s_delay_alu instid0(VALU_DEP_1) | instskip(NEXT) | instid1(VALU_DEP_2)
	v_pk_add_f32 v[12:13], v[8:9], v[10:11]
	v_sub_f32_e32 v4, v4, v7
	s_delay_alu instid0(VALU_DEP_2) | instskip(NEXT) | instid1(VALU_DEP_2)
	v_dual_mov_b32 v14, v8 :: v_dual_sub_f32 v7, v13, v11
	v_ldexp_f32 v4, v4, 1
	s_delay_alu instid0(VALU_DEP_2) | instskip(SKIP_1) | instid1(VALU_DEP_2)
	v_dual_mov_b32 v11, v12 :: v_dual_sub_f32 v7, v9, v7
	v_pk_add_f32 v[8:9], v[12:13], v[8:9] neg_lo:[0,1] neg_hi:[0,1]
	v_add_f32_e32 v15, v4, v7
	s_delay_alu instid0(VALU_DEP_1) | instskip(NEXT) | instid1(VALU_DEP_1)
	v_pk_add_f32 v[16:17], v[12:13], v[14:15]
	v_dual_mov_b32 v22, v13 :: v_dual_mov_b32 v9, v17
	s_delay_alu instid0(VALU_DEP_1) | instskip(SKIP_2) | instid1(VALU_DEP_3)
	v_pk_add_f32 v[18:19], v[10:11], v[8:9]
	v_mov_b32_e32 v18, v17
	v_pk_add_f32 v[8:9], v[10:11], v[8:9] neg_lo:[0,1] neg_hi:[0,1]
	v_dual_mov_b32 v4, v19 :: v_dual_mov_b32 v9, v19
	s_wait_loadcnt 0x1
	s_delay_alu instid0(VALU_DEP_1) | instskip(SKIP_1) | instid1(VALU_DEP_2)
	v_pk_add_f32 v[20:21], v[4:5], v[12:13] neg_lo:[0,1] neg_hi:[0,1]
	v_dual_mov_b32 v13, v12 :: v_dual_mov_b32 v12, v15
	v_dual_mov_b32 v7, v20 :: v_dual_mov_b32 v23, v20
	s_delay_alu instid0(VALU_DEP_1) | instskip(NEXT) | instid1(VALU_DEP_2)
	v_pk_add_f32 v[14:15], v[16:17], v[6:7] neg_lo:[0,1] neg_hi:[0,1]
	v_pk_add_f32 v[10:11], v[18:19], v[22:23] neg_lo:[0,1] neg_hi:[0,1]
	v_mov_b32_e32 v14, v8
	s_delay_alu instid0(VALU_DEP_2) | instskip(NEXT) | instid1(VALU_DEP_1)
	v_pk_add_f32 v[10:11], v[12:13], v[10:11] neg_lo:[0,1] neg_hi:[0,1]
	v_pk_add_f32 v[12:13], v[14:15], v[10:11]
	s_delay_alu instid0(VALU_DEP_1) | instskip(NEXT) | instid1(VALU_DEP_1)
	v_mov_b32_e32 v14, v13
	v_pk_add_f32 v[14:15], v[12:13], v[14:15]
	s_delay_alu instid0(VALU_DEP_1) | instskip(NEXT) | instid1(VALU_DEP_1)
	v_pk_add_f32 v[16:17], v[4:5], v[14:15]
	v_mov_b32_e32 v13, v16
	s_delay_alu instid0(VALU_DEP_1) | instskip(NEXT) | instid1(VALU_DEP_1)
	v_pk_add_f32 v[18:19], v[12:13], v[8:9] neg_lo:[0,1] neg_hi:[0,1]
	v_dual_mov_b32 v11, v14 :: v_dual_sub_f32 v4, v12, v18
	s_delay_alu instid0(VALU_DEP_1) | instskip(NEXT) | instid1(VALU_DEP_2)
	v_pk_add_f32 v[10:11], v[10:11], v[18:19] neg_lo:[0,1] neg_hi:[0,1]
	v_sub_f32_e32 v4, v8, v4
	s_delay_alu instid0(VALU_DEP_1) | instskip(NEXT) | instid1(VALU_DEP_1)
	v_add_f32_e32 v4, v10, v4
	v_add_f32_e32 v4, v4, v11
	s_delay_alu instid0(VALU_DEP_1) | instskip(NEXT) | instid1(VALU_DEP_1)
	v_add_f32_e32 v4, v16, v4
	v_cndmask_b32_e32 v4, 0x7f800000, v4, vcc_lo
	v_cmp_gt_f32_e64 vcc_lo, 0x33800000, |v24|
	s_delay_alu instid0(VALU_DEP_2) | instskip(NEXT) | instid1(VALU_DEP_1)
	v_cndmask_b32_e32 v4, v4, v24, vcc_lo
	v_div_scale_f32 v7, null, s9, s9, v4
	s_delay_alu instid0(VALU_DEP_1) | instskip(SKIP_1) | instid1(TRANS32_DEP_1)
	v_rcp_f32_e32 v8, v7
	v_nop
	v_fma_f32 v9, -v7, v8, 1.0
	s_delay_alu instid0(VALU_DEP_1) | instskip(SKIP_1) | instid1(VALU_DEP_1)
	v_fmac_f32_e32 v8, v9, v8
	v_div_scale_f32 v9, vcc_lo, v4, s9, v4
	v_mul_f32_e32 v10, v9, v8
	s_delay_alu instid0(VALU_DEP_1) | instskip(NEXT) | instid1(VALU_DEP_1)
	v_fma_f32 v11, -v7, v10, v9
	v_fmac_f32_e32 v10, v11, v8
	s_delay_alu instid0(VALU_DEP_1) | instskip(NEXT) | instid1(VALU_DEP_1)
	v_fma_f32 v7, -v7, v10, v9
	v_div_fmas_f32 v7, v7, v8, v10
	s_delay_alu instid0(VALU_DEP_1) | instskip(NEXT) | instid1(VALU_DEP_1)
	v_div_fixup_f32 v4, v7, s9, v4
	v_cvt_f16_f32_e32 v4, v4
.LBB21_9:
	s_or_b32 exec_lo, exec_lo, s3
	v_lshrrev_b32_e32 v6, 16, v6
	s_mov_b32 s3, exec_lo
	s_delay_alu instid0(VALU_DEP_1) | instskip(NEXT) | instid1(VALU_DEP_1)
	v_cvt_f32_f16_e32 v7, v6
	v_mul_f32_e32 v7, s9, v7
	s_delay_alu instid0(VALU_DEP_1)
	v_cmpx_nlt_f32_e32 s10, v7
	s_cbranch_execz .LBB21_11
; %bb.10:
	v_mul_f32_e32 v6, 0x3fb8aa3b, v7
	v_cmp_ngt_f32_e32 vcc_lo, 0xc2ce8ed0, v7
	s_mov_b32 s8, 0x3e9b6dac
	s_delay_alu instid0(VALU_DEP_2) | instskip(SKIP_1) | instid1(VALU_DEP_1)
	v_rndne_f32_e32 v8, v6
	v_fma_f32 v9, 0x3fb8aa3b, v7, -v6
	v_dual_sub_f32 v6, v6, v8 :: v_dual_fmamk_f32 v9, v7, 0x32a5705f, v9
	v_cvt_i32_f32_e32 v8, v8
	s_delay_alu instid0(VALU_DEP_2) | instskip(NEXT) | instid1(VALU_DEP_1)
	v_add_f32_e32 v6, v6, v9
	v_exp_f32_e32 v6, v6
	v_nop
	s_delay_alu instid0(TRANS32_DEP_1) | instskip(NEXT) | instid1(VALU_DEP_1)
	v_ldexp_f32 v6, v6, v8
	v_cndmask_b32_e32 v6, 0, v6, vcc_lo
	v_cmp_nlt_f32_e32 vcc_lo, 0x42b17218, v7
	s_delay_alu instid0(VALU_DEP_2) | instskip(NEXT) | instid1(VALU_DEP_1)
	v_cndmask_b32_e32 v22, 0x7f800000, v6, vcc_lo
	v_add_f32_e32 v8, 1.0, v22
	s_delay_alu instid0(VALU_DEP_1) | instskip(NEXT) | instid1(VALU_DEP_1)
	v_cvt_f64_f32_e32 v[6:7], v8
	v_frexp_exp_i32_f64_e32 v6, v[6:7]
	v_frexp_mant_f32_e32 v7, v8
	s_delay_alu instid0(VALU_DEP_1) | instskip(NEXT) | instid1(VALU_DEP_3)
	v_cmp_gt_f32_e32 vcc_lo, 0x3f2aaaab, v7
	v_subrev_co_ci_u32_e64 v12, null, 0, v6, vcc_lo
	v_add_f32_e32 v6, -1.0, v8
	s_delay_alu instid0(VALU_DEP_2) | instskip(NEXT) | instid1(VALU_DEP_2)
	v_sub_nc_u32_e32 v7, 0, v12
	v_sub_f32_e32 v9, v6, v8
	v_cmp_neq_f32_e32 vcc_lo, 0x7f800000, v22
	s_delay_alu instid0(VALU_DEP_3) | instskip(NEXT) | instid1(VALU_DEP_1)
	v_ldexp_f32 v8, v8, v7
	v_dual_add_f32 v9, 1.0, v9 :: v_dual_add_f32 v10, 1.0, v8
	v_dual_sub_f32 v6, v22, v6 :: v_dual_add_f32 v11, -1.0, v8
	s_delay_alu instid0(VALU_DEP_1) | instskip(NEXT) | instid1(VALU_DEP_1)
	v_dual_add_f32 v6, v6, v9 :: v_dual_add_f32 v9, -1.0, v10
	v_ldexp_f32 v6, v6, v7
	s_delay_alu instid0(VALU_DEP_2) | instskip(NEXT) | instid1(VALU_DEP_1)
	v_dual_sub_f32 v7, v8, v9 :: v_dual_add_f32 v9, 1.0, v11
	v_dual_add_f32 v13, v6, v7 :: v_dual_sub_f32 v7, v8, v9
	s_delay_alu instid0(VALU_DEP_1) | instskip(NEXT) | instid1(VALU_DEP_1)
	v_add_f32_e32 v15, v6, v7
	v_dual_add_f32 v14, v10, v13 :: v_dual_add_f32 v7, v11, v15
	s_delay_alu instid0(VALU_DEP_1) | instskip(NEXT) | instid1(VALU_DEP_1)
	v_rcp_f32_e32 v16, v14
	v_sub_f32_e32 v18, v11, v7
	s_delay_alu instid0(TRANS32_DEP_1) | instskip(NEXT) | instid1(VALU_DEP_1)
	v_mul_f32_e32 v17, v7, v16
	v_mul_f32_e32 v8, v14, v17
	s_delay_alu instid0(VALU_DEP_1) | instskip(NEXT) | instid1(VALU_DEP_1)
	v_dual_sub_f32 v6, v10, v14 :: v_dual_fma_f32 v10, v17, v14, -v8
	v_add_f32_e32 v13, v13, v6
	s_delay_alu instid0(VALU_DEP_1) | instskip(NEXT) | instid1(VALU_DEP_1)
	v_fmac_f32_e32 v10, v17, v13
	v_add_f32_e32 v6, v8, v10
	s_delay_alu instid0(VALU_DEP_1) | instskip(NEXT) | instid1(VALU_DEP_1)
	v_dual_sub_f32 v9, v7, v6 :: v_dual_mov_b32 v11, v6
	v_pk_add_f32 v[6:7], v[6:7], v[8:9] neg_lo:[0,1] neg_hi:[0,1]
	v_add_f32_e32 v8, v15, v18
	s_delay_alu instid0(VALU_DEP_2) | instskip(NEXT) | instid1(VALU_DEP_1)
	v_pk_add_f32 v[6:7], v[6:7], v[10:11] neg_lo:[0,1] neg_hi:[0,1]
	v_add_f32_e32 v7, v8, v7
	s_delay_alu instid0(VALU_DEP_1) | instskip(NEXT) | instid1(VALU_DEP_1)
	v_add_f32_e32 v15, v6, v7
	v_add_f32_e32 v7, v9, v15
	s_delay_alu instid0(VALU_DEP_1) | instskip(NEXT) | instid1(VALU_DEP_1)
	v_mul_f32_e32 v18, v16, v7
	v_mul_f32_e32 v10, v14, v18
	s_delay_alu instid0(VALU_DEP_1) | instskip(NEXT) | instid1(VALU_DEP_1)
	v_fma_f32 v8, v18, v14, -v10
	v_dual_fmac_f32 v8, v18, v13 :: v_dual_sub_f32 v13, v9, v7
	s_delay_alu instid0(VALU_DEP_1) | instskip(NEXT) | instid1(VALU_DEP_1)
	v_add_f32_e32 v6, v10, v8
	v_dual_sub_f32 v11, v7, v6 :: v_dual_mov_b32 v9, v6
	s_delay_alu instid0(VALU_DEP_1) | instskip(NEXT) | instid1(VALU_DEP_4)
	v_pk_add_f32 v[6:7], v[6:7], v[10:11] neg_lo:[0,1] neg_hi:[0,1]
	v_add_f32_e32 v10, v15, v13
	s_delay_alu instid0(VALU_DEP_2) | instskip(SKIP_1) | instid1(VALU_DEP_2)
	v_pk_add_f32 v[6:7], v[6:7], v[8:9] neg_lo:[0,1] neg_hi:[0,1]
	v_cvt_f32_i32_e32 v8, v12
	v_dual_add_f32 v7, v10, v7 :: v_dual_add_f32 v10, v17, v18
	s_delay_alu instid0(VALU_DEP_1) | instskip(NEXT) | instid1(VALU_DEP_1)
	v_add_f32_e32 v6, v6, v7
	v_dual_sub_f32 v7, v10, v17 :: v_dual_add_f32 v6, v11, v6
	s_delay_alu instid0(VALU_DEP_1) | instskip(NEXT) | instid1(VALU_DEP_1)
	v_dual_sub_f32 v7, v18, v7 :: v_dual_mul_f32 v6, v16, v6
	v_dual_add_f32 v13, v7, v6 :: v_dual_mov_b32 v6, 0x3f317218
	s_delay_alu instid0(VALU_DEP_1) | instskip(NEXT) | instid1(VALU_DEP_1)
	v_add_f32_e32 v11, v10, v13
	v_mul_f32_e32 v7, v11, v11
	s_delay_alu instid0(VALU_DEP_1) | instskip(NEXT) | instid1(VALU_DEP_1)
	v_dual_fmaak_f32 v14, s8, v7, 0x3ecc95a3 :: v_dual_mul_f32 v9, v11, v7
	v_fmaak_f32 v7, v7, v14, 0x3f2aaada
	s_delay_alu instid0(VALU_DEP_1) | instskip(SKIP_1) | instid1(VALU_DEP_2)
	v_pk_mul_f32 v[6:7], v[8:9], v[6:7]
	v_ldexp_f32 v9, v11, 1
	v_fma_f32 v12, 0x3f317218, v8, -v6
	s_delay_alu instid0(VALU_DEP_1) | instskip(SKIP_1) | instid1(VALU_DEP_2)
	v_fmamk_f32 v8, v8, 0xb102e308, v12
	v_sub_f32_e32 v12, v11, v10
	v_pk_add_f32 v[10:11], v[6:7], v[8:9]
	s_delay_alu instid0(VALU_DEP_1) | instskip(NEXT) | instid1(VALU_DEP_1)
	v_dual_sub_f32 v9, v11, v9 :: v_dual_sub_f32 v12, v13, v12
	v_sub_f32_e32 v9, v7, v9
	s_delay_alu instid0(VALU_DEP_2) | instskip(SKIP_2) | instid1(VALU_DEP_3)
	v_ldexp_f32 v13, v12, 1
	v_mov_b32_e32 v12, v6
	v_pk_add_f32 v[6:7], v[10:11], v[6:7] neg_lo:[0,1] neg_hi:[0,1]
	v_dual_add_f32 v13, v13, v9 :: v_dual_mov_b32 v9, v10
	s_delay_alu instid0(VALU_DEP_1) | instskip(NEXT) | instid1(VALU_DEP_1)
	v_pk_add_f32 v[14:15], v[10:11], v[12:13]
	v_dual_mov_b32 v20, v11 :: v_dual_mov_b32 v7, v15
	s_delay_alu instid0(VALU_DEP_1) | instskip(NEXT) | instid1(VALU_DEP_1)
	v_pk_add_f32 v[16:17], v[8:9], v[6:7]
	v_dual_mov_b32 v16, v15 :: v_dual_mov_b32 v12, v17
	v_pk_add_f32 v[6:7], v[8:9], v[6:7] neg_lo:[0,1] neg_hi:[0,1]
	v_mov_b32_e32 v7, v17
	s_delay_alu instid0(VALU_DEP_3) | instskip(SKIP_1) | instid1(VALU_DEP_2)
	v_pk_add_f32 v[18:19], v[12:13], v[10:11] neg_lo:[0,1] neg_hi:[0,1]
	v_dual_mov_b32 v11, v10 :: v_dual_mov_b32 v10, v13
	v_dual_mov_b32 v13, v18 :: v_dual_mov_b32 v21, v18
	s_delay_alu instid0(VALU_DEP_1) | instskip(NEXT) | instid1(VALU_DEP_2)
	v_pk_add_f32 v[14:15], v[14:15], v[12:13] neg_lo:[0,1] neg_hi:[0,1]
	v_pk_add_f32 v[8:9], v[16:17], v[20:21] neg_lo:[0,1] neg_hi:[0,1]
	v_mov_b32_e32 v14, v6
	s_delay_alu instid0(VALU_DEP_2) | instskip(NEXT) | instid1(VALU_DEP_1)
	v_pk_add_f32 v[8:9], v[10:11], v[8:9] neg_lo:[0,1] neg_hi:[0,1]
	v_pk_add_f32 v[10:11], v[14:15], v[8:9]
	s_delay_alu instid0(VALU_DEP_1) | instskip(NEXT) | instid1(VALU_DEP_1)
	v_mov_b32_e32 v14, v11
	v_pk_add_f32 v[14:15], v[10:11], v[14:15]
	s_delay_alu instid0(VALU_DEP_1) | instskip(NEXT) | instid1(VALU_DEP_1)
	v_pk_add_f32 v[12:13], v[12:13], v[14:15]
	v_mov_b32_e32 v11, v12
	s_delay_alu instid0(VALU_DEP_1) | instskip(NEXT) | instid1(VALU_DEP_1)
	v_pk_add_f32 v[16:17], v[10:11], v[6:7] neg_lo:[0,1] neg_hi:[0,1]
	v_sub_f32_e32 v7, v10, v16
	s_delay_alu instid0(VALU_DEP_1) | instskip(SKIP_1) | instid1(VALU_DEP_1)
	v_sub_f32_e32 v6, v6, v7
	v_mov_b32_e32 v9, v14
	v_pk_add_f32 v[8:9], v[8:9], v[16:17] neg_lo:[0,1] neg_hi:[0,1]
	s_delay_alu instid0(VALU_DEP_1) | instskip(NEXT) | instid1(VALU_DEP_1)
	v_add_f32_e32 v6, v8, v6
	v_add_f32_e32 v6, v6, v9
	s_delay_alu instid0(VALU_DEP_1) | instskip(NEXT) | instid1(VALU_DEP_1)
	v_add_f32_e32 v6, v12, v6
	v_cndmask_b32_e32 v6, 0x7f800000, v6, vcc_lo
	v_cmp_gt_f32_e64 vcc_lo, 0x33800000, |v22|
	s_delay_alu instid0(VALU_DEP_2) | instskip(NEXT) | instid1(VALU_DEP_1)
	v_cndmask_b32_e32 v6, v6, v22, vcc_lo
	v_div_scale_f32 v7, null, s9, s9, v6
	s_delay_alu instid0(VALU_DEP_1) | instskip(SKIP_1) | instid1(TRANS32_DEP_1)
	v_rcp_f32_e32 v8, v7
	v_nop
	v_fma_f32 v9, -v7, v8, 1.0
	s_delay_alu instid0(VALU_DEP_1) | instskip(SKIP_1) | instid1(VALU_DEP_1)
	v_fmac_f32_e32 v8, v9, v8
	v_div_scale_f32 v9, vcc_lo, v6, s9, v6
	v_mul_f32_e32 v10, v9, v8
	s_delay_alu instid0(VALU_DEP_1) | instskip(NEXT) | instid1(VALU_DEP_1)
	v_fma_f32 v11, -v7, v10, v9
	v_fmac_f32_e32 v10, v11, v8
	s_delay_alu instid0(VALU_DEP_1) | instskip(NEXT) | instid1(VALU_DEP_1)
	v_fma_f32 v7, -v7, v10, v9
	v_div_fmas_f32 v7, v7, v8, v10
	s_delay_alu instid0(VALU_DEP_1) | instskip(NEXT) | instid1(VALU_DEP_1)
	v_div_fixup_f32 v6, v7, s9, v6
	v_cvt_f16_f32_e32 v6, v6
.LBB21_11:
	s_or_b32 exec_lo, exec_lo, s3
	s_wait_loadcnt 0x1
	v_cvt_f32_f16_e32 v7, v5
	s_mov_b32 s3, exec_lo
	s_delay_alu instid0(VALU_DEP_1) | instskip(NEXT) | instid1(VALU_DEP_1)
	v_dual_mul_f32 v8, s9, v7 :: v_dual_mov_b32 v7, v5
	v_cmpx_nlt_f32_e32 s10, v8
	s_cbranch_execz .LBB21_13
; %bb.12:
	v_mul_f32_e32 v7, 0x3fb8aa3b, v8
	v_cmp_ngt_f32_e32 vcc_lo, 0xc2ce8ed0, v8
	s_mov_b32 s8, 0x3e9b6dac
	s_delay_alu instid0(VALU_DEP_2) | instskip(SKIP_1) | instid1(VALU_DEP_1)
	v_rndne_f32_e32 v9, v7
	v_fma_f32 v10, 0x3fb8aa3b, v8, -v7
	v_dual_sub_f32 v7, v7, v9 :: v_dual_fmamk_f32 v10, v8, 0x32a5705f, v10
	v_cvt_i32_f32_e32 v9, v9
	s_delay_alu instid0(VALU_DEP_2) | instskip(NEXT) | instid1(VALU_DEP_1)
	v_add_f32_e32 v7, v7, v10
	v_exp_f32_e32 v7, v7
	v_nop
	s_delay_alu instid0(TRANS32_DEP_1) | instskip(NEXT) | instid1(VALU_DEP_1)
	v_ldexp_f32 v7, v7, v9
	v_cndmask_b32_e32 v7, 0, v7, vcc_lo
	v_cmp_nlt_f32_e32 vcc_lo, 0x42b17218, v8
	s_delay_alu instid0(VALU_DEP_2) | instskip(NEXT) | instid1(VALU_DEP_1)
	v_cndmask_b32_e32 v24, 0x7f800000, v7, vcc_lo
	v_add_f32_e32 v7, 1.0, v24
	s_delay_alu instid0(VALU_DEP_1) | instskip(NEXT) | instid1(VALU_DEP_1)
	v_cvt_f64_f32_e32 v[8:9], v7
	v_frexp_exp_i32_f64_e32 v8, v[8:9]
	v_frexp_mant_f32_e32 v9, v7
	s_delay_alu instid0(VALU_DEP_1) | instskip(NEXT) | instid1(VALU_DEP_3)
	v_cmp_gt_f32_e32 vcc_lo, 0x3f2aaaab, v9
	v_subrev_co_ci_u32_e64 v14, null, 0, v8, vcc_lo
	s_delay_alu instid0(VALU_DEP_1) | instskip(NEXT) | instid1(VALU_DEP_1)
	v_dual_add_f32 v8, -1.0, v7 :: v_dual_sub_nc_u32 v9, 0, v14
	v_sub_f32_e32 v10, v8, v7
	s_delay_alu instid0(VALU_DEP_2) | instskip(NEXT) | instid1(VALU_DEP_1)
	v_ldexp_f32 v7, v7, v9
	v_dual_add_f32 v10, 1.0, v10 :: v_dual_add_f32 v11, 1.0, v7
	v_dual_add_f32 v13, -1.0, v7 :: v_dual_sub_f32 v8, v24, v8
	v_cmp_neq_f32_e32 vcc_lo, 0x7f800000, v24
	s_delay_alu instid0(VALU_DEP_2) | instskip(NEXT) | instid1(VALU_DEP_1)
	v_dual_add_f32 v8, v8, v10 :: v_dual_add_f32 v10, -1.0, v11
	v_ldexp_f32 v8, v8, v9
	s_delay_alu instid0(VALU_DEP_2) | instskip(NEXT) | instid1(VALU_DEP_1)
	v_dual_sub_f32 v9, v7, v10 :: v_dual_add_f32 v10, 1.0, v13
	v_add_f32_e32 v12, v8, v9
	s_delay_alu instid0(VALU_DEP_1) | instskip(NEXT) | instid1(VALU_DEP_1)
	v_add_f32_e32 v15, v11, v12
	v_rcp_f32_e32 v16, v15
	s_delay_alu instid0(VALU_DEP_3) | instskip(NEXT) | instid1(VALU_DEP_1)
	v_sub_f32_e32 v7, v7, v10
	v_add_f32_e32 v7, v8, v7
	v_sub_f32_e32 v8, v11, v15
	s_delay_alu instid0(VALU_DEP_1)
	v_dual_add_f32 v9, v13, v7 :: v_dual_add_f32 v18, v12, v8
	s_delay_alu instid0(TRANS32_DEP_1) | instid1(VALU_DEP_1)
	v_mul_f32_e32 v17, v9, v16
	v_sub_f32_e32 v19, v13, v9
	s_delay_alu instid0(VALU_DEP_2) | instskip(NEXT) | instid1(VALU_DEP_2)
	v_mul_f32_e32 v10, v15, v17
	v_add_f32_e32 v7, v7, v19
	s_delay_alu instid0(VALU_DEP_2) | instskip(NEXT) | instid1(VALU_DEP_1)
	v_fma_f32 v12, v17, v15, -v10
	v_fmac_f32_e32 v12, v17, v18
	s_delay_alu instid0(VALU_DEP_1) | instskip(NEXT) | instid1(VALU_DEP_1)
	v_add_f32_e32 v8, v10, v12
	v_dual_sub_f32 v11, v9, v8 :: v_dual_mov_b32 v13, v8
	s_delay_alu instid0(VALU_DEP_1) | instskip(NEXT) | instid1(VALU_DEP_1)
	v_pk_add_f32 v[8:9], v[8:9], v[10:11] neg_lo:[0,1] neg_hi:[0,1]
	v_pk_add_f32 v[8:9], v[8:9], v[12:13] neg_lo:[0,1] neg_hi:[0,1]
	s_delay_alu instid0(VALU_DEP_1) | instskip(NEXT) | instid1(VALU_DEP_1)
	v_add_f32_e32 v7, v7, v9
	v_add_f32_e32 v7, v8, v7
	s_delay_alu instid0(VALU_DEP_1) | instskip(NEXT) | instid1(VALU_DEP_1)
	v_add_f32_e32 v9, v11, v7
	v_mul_f32_e32 v19, v16, v9
	s_delay_alu instid0(VALU_DEP_1) | instskip(NEXT) | instid1(VALU_DEP_1)
	v_mul_f32_e32 v12, v15, v19
	v_fma_f32 v10, v19, v15, -v12
	s_delay_alu instid0(VALU_DEP_1) | instskip(NEXT) | instid1(VALU_DEP_1)
	v_fmac_f32_e32 v10, v19, v18
	v_dual_add_f32 v8, v12, v10 :: v_dual_sub_f32 v15, v11, v9
	s_delay_alu instid0(VALU_DEP_1) | instskip(NEXT) | instid1(VALU_DEP_1)
	v_dual_sub_f32 v13, v9, v8 :: v_dual_mov_b32 v11, v8
	v_pk_add_f32 v[8:9], v[8:9], v[12:13] neg_lo:[0,1] neg_hi:[0,1]
	v_add_f32_e32 v12, v17, v19
	s_delay_alu instid0(VALU_DEP_4) | instskip(NEXT) | instid1(VALU_DEP_3)
	v_add_f32_e32 v7, v7, v15
	v_pk_add_f32 v[8:9], v[8:9], v[10:11] neg_lo:[0,1] neg_hi:[0,1]
	v_cvt_f32_i32_e32 v10, v14
	s_delay_alu instid0(VALU_DEP_2) | instskip(NEXT) | instid1(VALU_DEP_1)
	v_add_f32_e32 v7, v7, v9
	v_add_f32_e32 v7, v8, v7
	v_sub_f32_e32 v8, v12, v17
	s_delay_alu instid0(VALU_DEP_1) | instskip(NEXT) | instid1(VALU_DEP_1)
	v_dual_sub_f32 v8, v19, v8 :: v_dual_add_f32 v7, v13, v7
	v_mul_f32_e32 v7, v16, v7
	s_delay_alu instid0(VALU_DEP_1) | instskip(NEXT) | instid1(VALU_DEP_1)
	v_dual_add_f32 v7, v8, v7 :: v_dual_mov_b32 v8, 0x3f317218
	v_add_f32_e32 v13, v12, v7
	s_delay_alu instid0(VALU_DEP_1) | instskip(NEXT) | instid1(VALU_DEP_1)
	v_mul_f32_e32 v9, v13, v13
	v_fmaak_f32 v15, s8, v9, 0x3ecc95a3
	v_mul_f32_e32 v11, v13, v9
	s_delay_alu instid0(VALU_DEP_2) | instskip(NEXT) | instid1(VALU_DEP_1)
	v_fmaak_f32 v9, v9, v15, 0x3f2aaada
	v_pk_mul_f32 v[8:9], v[10:11], v[8:9]
	s_delay_alu instid0(VALU_DEP_1) | instskip(NEXT) | instid1(VALU_DEP_1)
	v_fma_f32 v14, 0x3f317218, v10, -v8
	v_fmamk_f32 v10, v10, 0xb102e308, v14
	v_sub_f32_e32 v14, v13, v12
	s_delay_alu instid0(VALU_DEP_1) | instskip(SKIP_2) | instid1(VALU_DEP_3)
	v_sub_f32_e32 v7, v7, v14
	v_ldexp_f32 v11, v13, 1
	v_mov_b32_e32 v14, v8
	v_ldexp_f32 v7, v7, 1
	s_delay_alu instid0(VALU_DEP_3) | instskip(NEXT) | instid1(VALU_DEP_1)
	v_pk_add_f32 v[12:13], v[8:9], v[10:11]
	v_dual_sub_f32 v11, v13, v11 :: v_dual_mov_b32 v22, v13
	s_delay_alu instid0(VALU_DEP_1) | instskip(NEXT) | instid1(VALU_DEP_3)
	v_sub_f32_e32 v11, v9, v11
	v_pk_add_f32 v[8:9], v[12:13], v[8:9] neg_lo:[0,1] neg_hi:[0,1]
	s_delay_alu instid0(VALU_DEP_2) | instskip(NEXT) | instid1(VALU_DEP_1)
	v_dual_add_f32 v15, v7, v11 :: v_dual_mov_b32 v11, v12
	v_pk_add_f32 v[16:17], v[12:13], v[14:15]
	s_delay_alu instid0(VALU_DEP_1) | instskip(NEXT) | instid1(VALU_DEP_1)
	v_mov_b32_e32 v9, v17
	v_pk_add_f32 v[18:19], v[10:11], v[8:9]
	v_mov_b32_e32 v18, v17
	v_pk_add_f32 v[8:9], v[10:11], v[8:9] neg_lo:[0,1] neg_hi:[0,1]
	s_delay_alu instid0(VALU_DEP_3) | instskip(NEXT) | instid1(VALU_DEP_1)
	v_dual_mov_b32 v14, v19 :: v_dual_mov_b32 v9, v19
	v_pk_add_f32 v[20:21], v[14:15], v[12:13] neg_lo:[0,1] neg_hi:[0,1]
	v_dual_mov_b32 v13, v12 :: v_dual_mov_b32 v12, v15
	s_delay_alu instid0(VALU_DEP_2) | instskip(NEXT) | instid1(VALU_DEP_1)
	v_dual_mov_b32 v7, v20 :: v_dual_mov_b32 v23, v20
	v_pk_add_f32 v[16:17], v[16:17], v[6:7] neg_lo:[0,1] neg_hi:[0,1]
	s_delay_alu instid0(VALU_DEP_2) | instskip(SKIP_1) | instid1(VALU_DEP_2)
	v_pk_add_f32 v[10:11], v[18:19], v[22:23] neg_lo:[0,1] neg_hi:[0,1]
	v_mov_b32_e32 v16, v8
	v_pk_add_f32 v[10:11], v[12:13], v[10:11] neg_lo:[0,1] neg_hi:[0,1]
	s_delay_alu instid0(VALU_DEP_1) | instskip(NEXT) | instid1(VALU_DEP_1)
	v_pk_add_f32 v[12:13], v[16:17], v[10:11]
	v_mov_b32_e32 v16, v13
	s_delay_alu instid0(VALU_DEP_1) | instskip(NEXT) | instid1(VALU_DEP_1)
	v_pk_add_f32 v[16:17], v[12:13], v[16:17]
	v_pk_add_f32 v[14:15], v[14:15], v[16:17]
	s_delay_alu instid0(VALU_DEP_1) | instskip(NEXT) | instid1(VALU_DEP_1)
	v_mov_b32_e32 v13, v14
	v_pk_add_f32 v[18:19], v[12:13], v[8:9] neg_lo:[0,1] neg_hi:[0,1]
	s_delay_alu instid0(VALU_DEP_1) | instskip(NEXT) | instid1(VALU_DEP_1)
	v_sub_f32_e32 v7, v12, v18
	v_sub_f32_e32 v7, v8, v7
	v_mov_b32_e32 v11, v16
	s_delay_alu instid0(VALU_DEP_1) | instskip(NEXT) | instid1(VALU_DEP_1)
	v_pk_add_f32 v[10:11], v[10:11], v[18:19] neg_lo:[0,1] neg_hi:[0,1]
	v_add_f32_e32 v7, v10, v7
	s_delay_alu instid0(VALU_DEP_1) | instskip(NEXT) | instid1(VALU_DEP_1)
	v_add_f32_e32 v7, v7, v11
	v_add_f32_e32 v7, v14, v7
	s_delay_alu instid0(VALU_DEP_1) | instskip(SKIP_1) | instid1(VALU_DEP_2)
	v_cndmask_b32_e32 v7, 0x7f800000, v7, vcc_lo
	v_cmp_gt_f32_e64 vcc_lo, 0x33800000, |v24|
	v_cndmask_b32_e32 v7, v7, v24, vcc_lo
	s_delay_alu instid0(VALU_DEP_1) | instskip(NEXT) | instid1(VALU_DEP_1)
	v_div_scale_f32 v8, null, s9, s9, v7
	v_rcp_f32_e32 v9, v8
	v_nop
	s_delay_alu instid0(TRANS32_DEP_1) | instskip(NEXT) | instid1(VALU_DEP_1)
	v_fma_f32 v10, -v8, v9, 1.0
	v_fmac_f32_e32 v9, v10, v9
	v_div_scale_f32 v10, vcc_lo, v7, s9, v7
	s_delay_alu instid0(VALU_DEP_1) | instskip(NEXT) | instid1(VALU_DEP_1)
	v_mul_f32_e32 v11, v10, v9
	v_fma_f32 v12, -v8, v11, v10
	s_delay_alu instid0(VALU_DEP_1) | instskip(NEXT) | instid1(VALU_DEP_1)
	v_fmac_f32_e32 v11, v12, v9
	v_fma_f32 v8, -v8, v11, v10
	s_delay_alu instid0(VALU_DEP_1) | instskip(NEXT) | instid1(VALU_DEP_1)
	v_div_fmas_f32 v8, v8, v9, v11
	v_div_fixup_f32 v7, v8, s9, v7
	s_delay_alu instid0(VALU_DEP_1)
	v_cvt_f16_f32_e32 v7, v7
.LBB21_13:
	s_or_b32 exec_lo, exec_lo, s3
	v_lshrrev_b32_e32 v5, 16, v5
	s_mov_b32 s3, exec_lo
	s_delay_alu instid0(VALU_DEP_1) | instskip(NEXT) | instid1(VALU_DEP_1)
	v_cvt_f32_f16_e32 v8, v5
	v_mul_f32_e32 v8, s9, v8
	s_delay_alu instid0(VALU_DEP_1)
	v_cmpx_nlt_f32_e32 s10, v8
	s_cbranch_execz .LBB21_15
; %bb.14:
	v_mul_f32_e32 v5, 0x3fb8aa3b, v8
	v_cmp_ngt_f32_e32 vcc_lo, 0xc2ce8ed0, v8
	s_mov_b32 s8, 0x3e9b6dac
	s_delay_alu instid0(VALU_DEP_2) | instskip(SKIP_1) | instid1(VALU_DEP_1)
	v_rndne_f32_e32 v9, v5
	v_fma_f32 v10, 0x3fb8aa3b, v8, -v5
	v_dual_sub_f32 v5, v5, v9 :: v_dual_fmamk_f32 v10, v8, 0x32a5705f, v10
	v_cvt_i32_f32_e32 v9, v9
	s_delay_alu instid0(VALU_DEP_2) | instskip(NEXT) | instid1(VALU_DEP_1)
	v_add_f32_e32 v5, v5, v10
	v_exp_f32_e32 v5, v5
	v_nop
	s_delay_alu instid0(TRANS32_DEP_1) | instskip(NEXT) | instid1(VALU_DEP_1)
	v_ldexp_f32 v5, v5, v9
	v_cndmask_b32_e32 v5, 0, v5, vcc_lo
	v_cmp_nlt_f32_e32 vcc_lo, 0x42b17218, v8
	s_delay_alu instid0(VALU_DEP_2) | instskip(NEXT) | instid1(VALU_DEP_1)
	v_cndmask_b32_e32 v24, 0x7f800000, v5, vcc_lo
	v_add_f32_e32 v5, 1.0, v24
	s_delay_alu instid0(VALU_DEP_1) | instskip(NEXT) | instid1(VALU_DEP_1)
	v_cvt_f64_f32_e32 v[8:9], v5
	v_frexp_exp_i32_f64_e32 v8, v[8:9]
	v_frexp_mant_f32_e32 v9, v5
	s_delay_alu instid0(VALU_DEP_1) | instskip(NEXT) | instid1(VALU_DEP_3)
	v_cmp_gt_f32_e32 vcc_lo, 0x3f2aaaab, v9
	v_subrev_co_ci_u32_e64 v14, null, 0, v8, vcc_lo
	s_delay_alu instid0(VALU_DEP_1) | instskip(NEXT) | instid1(VALU_DEP_1)
	v_dual_add_f32 v8, -1.0, v5 :: v_dual_sub_nc_u32 v9, 0, v14
	v_sub_f32_e32 v10, v8, v5
	s_delay_alu instid0(VALU_DEP_2) | instskip(NEXT) | instid1(VALU_DEP_1)
	v_ldexp_f32 v5, v5, v9
	v_dual_add_f32 v11, 1.0, v5 :: v_dual_sub_f32 v8, v24, v8
	s_delay_alu instid0(VALU_DEP_3) | instskip(SKIP_1) | instid1(VALU_DEP_2)
	v_dual_add_f32 v13, -1.0, v5 :: v_dual_add_f32 v10, 1.0, v10
	v_cmp_neq_f32_e32 vcc_lo, 0x7f800000, v24
	v_dual_add_f32 v8, v8, v10 :: v_dual_add_f32 v10, -1.0, v11
	s_delay_alu instid0(VALU_DEP_1) | instskip(NEXT) | instid1(VALU_DEP_2)
	v_ldexp_f32 v8, v8, v9
	v_dual_sub_f32 v9, v5, v10 :: v_dual_add_f32 v10, 1.0, v13
	s_delay_alu instid0(VALU_DEP_1) | instskip(NEXT) | instid1(VALU_DEP_1)
	v_dual_add_f32 v12, v8, v9 :: v_dual_sub_f32 v5, v5, v10
	v_dual_add_f32 v15, v11, v12 :: v_dual_add_f32 v5, v8, v5
	s_delay_alu instid0(VALU_DEP_1) | instskip(NEXT) | instid1(VALU_DEP_1)
	v_rcp_f32_e32 v16, v15
	v_dual_add_f32 v9, v13, v5 :: v_dual_sub_f32 v8, v11, v15
	s_delay_alu instid0(VALU_DEP_1) | instskip(NEXT) | instid1(TRANS32_DEP_1)
	v_sub_f32_e32 v19, v13, v9
	v_mul_f32_e32 v17, v9, v16
	s_delay_alu instid0(VALU_DEP_2) | instskip(NEXT) | instid1(VALU_DEP_2)
	v_dual_add_f32 v18, v12, v8 :: v_dual_add_f32 v5, v5, v19
	v_mul_f32_e32 v10, v15, v17
	s_delay_alu instid0(VALU_DEP_1) | instskip(NEXT) | instid1(VALU_DEP_1)
	v_fma_f32 v12, v17, v15, -v10
	v_fmac_f32_e32 v12, v17, v18
	s_delay_alu instid0(VALU_DEP_1) | instskip(NEXT) | instid1(VALU_DEP_1)
	v_add_f32_e32 v8, v10, v12
	v_dual_sub_f32 v11, v9, v8 :: v_dual_mov_b32 v13, v8
	s_delay_alu instid0(VALU_DEP_1) | instskip(NEXT) | instid1(VALU_DEP_1)
	v_pk_add_f32 v[8:9], v[8:9], v[10:11] neg_lo:[0,1] neg_hi:[0,1]
	v_pk_add_f32 v[8:9], v[8:9], v[12:13] neg_lo:[0,1] neg_hi:[0,1]
	s_delay_alu instid0(VALU_DEP_1) | instskip(NEXT) | instid1(VALU_DEP_1)
	v_add_f32_e32 v5, v5, v9
	v_add_f32_e32 v5, v8, v5
	s_delay_alu instid0(VALU_DEP_1) | instskip(NEXT) | instid1(VALU_DEP_1)
	v_add_f32_e32 v9, v11, v5
	v_mul_f32_e32 v19, v16, v9
	s_delay_alu instid0(VALU_DEP_1) | instskip(NEXT) | instid1(VALU_DEP_1)
	v_mul_f32_e32 v12, v15, v19
	v_fma_f32 v10, v19, v15, -v12
	v_sub_f32_e32 v15, v11, v9
	s_delay_alu instid0(VALU_DEP_1) | instskip(NEXT) | instid1(VALU_DEP_1)
	v_dual_fmac_f32 v10, v19, v18 :: v_dual_add_f32 v5, v5, v15
	v_add_f32_e32 v8, v12, v10
	s_delay_alu instid0(VALU_DEP_1) | instskip(NEXT) | instid1(VALU_DEP_1)
	v_dual_sub_f32 v13, v9, v8 :: v_dual_mov_b32 v11, v8
	v_pk_add_f32 v[8:9], v[8:9], v[12:13] neg_lo:[0,1] neg_hi:[0,1]
	s_delay_alu instid0(VALU_DEP_1) | instskip(SKIP_1) | instid1(VALU_DEP_2)
	v_pk_add_f32 v[8:9], v[8:9], v[10:11] neg_lo:[0,1] neg_hi:[0,1]
	v_cvt_f32_i32_e32 v10, v14
	v_add_f32_e32 v5, v5, v9
	s_delay_alu instid0(VALU_DEP_1) | instskip(NEXT) | instid1(VALU_DEP_1)
	v_dual_add_f32 v12, v17, v19 :: v_dual_add_f32 v5, v8, v5
	v_sub_f32_e32 v8, v12, v17
	s_delay_alu instid0(VALU_DEP_1) | instskip(NEXT) | instid1(VALU_DEP_1)
	v_dual_add_f32 v5, v13, v5 :: v_dual_sub_f32 v8, v19, v8
	v_mul_f32_e32 v5, v16, v5
	s_delay_alu instid0(VALU_DEP_1) | instskip(NEXT) | instid1(VALU_DEP_1)
	v_dual_add_f32 v5, v8, v5 :: v_dual_mov_b32 v8, 0x3f317218
	v_add_f32_e32 v13, v12, v5
	s_delay_alu instid0(VALU_DEP_1) | instskip(NEXT) | instid1(VALU_DEP_1)
	v_mul_f32_e32 v9, v13, v13
	v_fmaak_f32 v15, s8, v9, 0x3ecc95a3
	v_mul_f32_e32 v11, v13, v9
	s_delay_alu instid0(VALU_DEP_2) | instskip(NEXT) | instid1(VALU_DEP_1)
	v_fmaak_f32 v9, v9, v15, 0x3f2aaada
	v_pk_mul_f32 v[8:9], v[10:11], v[8:9]
	s_delay_alu instid0(VALU_DEP_1) | instskip(NEXT) | instid1(VALU_DEP_1)
	v_fma_f32 v14, 0x3f317218, v10, -v8
	v_fmamk_f32 v10, v10, 0xb102e308, v14
	v_sub_f32_e32 v14, v13, v12
	s_delay_alu instid0(VALU_DEP_1) | instskip(SKIP_2) | instid1(VALU_DEP_3)
	v_sub_f32_e32 v5, v5, v14
	v_ldexp_f32 v11, v13, 1
	v_mov_b32_e32 v14, v8
	v_ldexp_f32 v5, v5, 1
	s_delay_alu instid0(VALU_DEP_3) | instskip(NEXT) | instid1(VALU_DEP_1)
	v_pk_add_f32 v[12:13], v[8:9], v[10:11]
	v_dual_sub_f32 v11, v13, v11 :: v_dual_mov_b32 v22, v13
	s_delay_alu instid0(VALU_DEP_1) | instskip(NEXT) | instid1(VALU_DEP_3)
	v_sub_f32_e32 v11, v9, v11
	v_pk_add_f32 v[8:9], v[12:13], v[8:9] neg_lo:[0,1] neg_hi:[0,1]
	s_delay_alu instid0(VALU_DEP_2) | instskip(NEXT) | instid1(VALU_DEP_1)
	v_dual_add_f32 v15, v5, v11 :: v_dual_mov_b32 v11, v12
	v_pk_add_f32 v[16:17], v[12:13], v[14:15]
	s_delay_alu instid0(VALU_DEP_1) | instskip(NEXT) | instid1(VALU_DEP_1)
	v_mov_b32_e32 v9, v17
	v_pk_add_f32 v[18:19], v[10:11], v[8:9]
	v_mov_b32_e32 v18, v17
	v_pk_add_f32 v[8:9], v[10:11], v[8:9] neg_lo:[0,1] neg_hi:[0,1]
	s_delay_alu instid0(VALU_DEP_3) | instskip(NEXT) | instid1(VALU_DEP_1)
	v_dual_mov_b32 v14, v19 :: v_dual_mov_b32 v9, v19
	v_pk_add_f32 v[20:21], v[14:15], v[12:13] neg_lo:[0,1] neg_hi:[0,1]
	v_dual_mov_b32 v13, v12 :: v_dual_mov_b32 v12, v15
	s_delay_alu instid0(VALU_DEP_2) | instskip(NEXT) | instid1(VALU_DEP_1)
	v_dual_mov_b32 v5, v20 :: v_dual_mov_b32 v23, v20
	v_pk_add_f32 v[16:17], v[16:17], v[4:5] neg_lo:[0,1] neg_hi:[0,1]
	s_delay_alu instid0(VALU_DEP_2) | instskip(SKIP_1) | instid1(VALU_DEP_2)
	v_pk_add_f32 v[10:11], v[18:19], v[22:23] neg_lo:[0,1] neg_hi:[0,1]
	v_mov_b32_e32 v16, v8
	v_pk_add_f32 v[10:11], v[12:13], v[10:11] neg_lo:[0,1] neg_hi:[0,1]
	s_delay_alu instid0(VALU_DEP_1) | instskip(NEXT) | instid1(VALU_DEP_1)
	v_pk_add_f32 v[12:13], v[16:17], v[10:11]
	v_mov_b32_e32 v16, v13
	s_delay_alu instid0(VALU_DEP_1) | instskip(NEXT) | instid1(VALU_DEP_1)
	v_pk_add_f32 v[16:17], v[12:13], v[16:17]
	v_pk_add_f32 v[14:15], v[14:15], v[16:17]
	s_delay_alu instid0(VALU_DEP_1) | instskip(NEXT) | instid1(VALU_DEP_1)
	v_mov_b32_e32 v13, v14
	v_pk_add_f32 v[18:19], v[12:13], v[8:9] neg_lo:[0,1] neg_hi:[0,1]
	s_delay_alu instid0(VALU_DEP_1) | instskip(NEXT) | instid1(VALU_DEP_1)
	v_sub_f32_e32 v5, v12, v18
	v_sub_f32_e32 v5, v8, v5
	v_mov_b32_e32 v11, v16
	s_delay_alu instid0(VALU_DEP_1) | instskip(NEXT) | instid1(VALU_DEP_1)
	v_pk_add_f32 v[10:11], v[10:11], v[18:19] neg_lo:[0,1] neg_hi:[0,1]
	v_add_f32_e32 v5, v10, v5
	s_delay_alu instid0(VALU_DEP_1) | instskip(NEXT) | instid1(VALU_DEP_1)
	v_add_f32_e32 v5, v5, v11
	v_add_f32_e32 v5, v14, v5
	s_delay_alu instid0(VALU_DEP_1) | instskip(SKIP_1) | instid1(VALU_DEP_2)
	v_cndmask_b32_e32 v5, 0x7f800000, v5, vcc_lo
	v_cmp_gt_f32_e64 vcc_lo, 0x33800000, |v24|
	v_cndmask_b32_e32 v5, v5, v24, vcc_lo
	s_delay_alu instid0(VALU_DEP_1) | instskip(NEXT) | instid1(VALU_DEP_1)
	v_div_scale_f32 v8, null, s9, s9, v5
	v_rcp_f32_e32 v9, v8
	v_nop
	s_delay_alu instid0(TRANS32_DEP_1) | instskip(NEXT) | instid1(VALU_DEP_1)
	v_fma_f32 v10, -v8, v9, 1.0
	v_fmac_f32_e32 v9, v10, v9
	v_div_scale_f32 v10, vcc_lo, v5, s9, v5
	s_delay_alu instid0(VALU_DEP_1) | instskip(NEXT) | instid1(VALU_DEP_1)
	v_mul_f32_e32 v11, v10, v9
	v_fma_f32 v12, -v8, v11, v10
	s_delay_alu instid0(VALU_DEP_1) | instskip(NEXT) | instid1(VALU_DEP_1)
	v_fmac_f32_e32 v11, v12, v9
	v_fma_f32 v8, -v8, v11, v10
	s_delay_alu instid0(VALU_DEP_1) | instskip(NEXT) | instid1(VALU_DEP_1)
	v_div_fmas_f32 v8, v8, v9, v11
	v_div_fixup_f32 v5, v8, s9, v5
	s_delay_alu instid0(VALU_DEP_1)
	v_cvt_f16_f32_e32 v5, v5
.LBB21_15:
	s_or_b32 exec_lo, exec_lo, s3
	s_wait_loadcnt 0x0
	v_cvt_f32_f16_e32 v8, v2
	s_mov_b32 s3, exec_lo
	s_delay_alu instid0(VALU_DEP_1) | instskip(NEXT) | instid1(VALU_DEP_1)
	v_dual_mul_f32 v9, s9, v8 :: v_dual_mov_b32 v8, v2
	v_cmpx_nlt_f32_e32 s10, v9
	s_cbranch_execz .LBB21_17
; %bb.16:
	v_mul_f32_e32 v8, 0x3fb8aa3b, v9
	v_cmp_ngt_f32_e32 vcc_lo, 0xc2ce8ed0, v9
	s_mov_b32 s8, 0x3e9b6dac
	s_delay_alu instid0(VALU_DEP_2) | instskip(SKIP_1) | instid1(VALU_DEP_1)
	v_rndne_f32_e32 v10, v8
	v_fma_f32 v11, 0x3fb8aa3b, v9, -v8
	v_dual_sub_f32 v8, v8, v10 :: v_dual_fmamk_f32 v11, v9, 0x32a5705f, v11
	v_cvt_i32_f32_e32 v10, v10
	s_delay_alu instid0(VALU_DEP_2) | instskip(NEXT) | instid1(VALU_DEP_1)
	v_add_f32_e32 v8, v8, v11
	v_exp_f32_e32 v8, v8
	v_nop
	s_delay_alu instid0(TRANS32_DEP_1) | instskip(NEXT) | instid1(VALU_DEP_1)
	v_ldexp_f32 v8, v8, v10
	v_cndmask_b32_e32 v8, 0, v8, vcc_lo
	v_cmp_nlt_f32_e32 vcc_lo, 0x42b17218, v9
	s_delay_alu instid0(VALU_DEP_2) | instskip(NEXT) | instid1(VALU_DEP_1)
	v_cndmask_b32_e32 v24, 0x7f800000, v8, vcc_lo
	v_add_f32_e32 v10, 1.0, v24
	s_delay_alu instid0(VALU_DEP_1) | instskip(NEXT) | instid1(VALU_DEP_1)
	v_cvt_f64_f32_e32 v[8:9], v10
	v_frexp_exp_i32_f64_e32 v8, v[8:9]
	v_frexp_mant_f32_e32 v9, v10
	s_delay_alu instid0(VALU_DEP_1) | instskip(NEXT) | instid1(VALU_DEP_3)
	v_cmp_gt_f32_e32 vcc_lo, 0x3f2aaaab, v9
	v_subrev_co_ci_u32_e64 v14, null, 0, v8, vcc_lo
	v_add_f32_e32 v8, -1.0, v10
	s_delay_alu instid0(VALU_DEP_2) | instskip(NEXT) | instid1(VALU_DEP_2)
	v_sub_nc_u32_e32 v9, 0, v14
	v_sub_f32_e32 v11, v8, v10
	v_cmp_neq_f32_e32 vcc_lo, 0x7f800000, v24
	s_delay_alu instid0(VALU_DEP_3) | instskip(NEXT) | instid1(VALU_DEP_1)
	v_ldexp_f32 v10, v10, v9
	v_dual_add_f32 v11, 1.0, v11 :: v_dual_add_f32 v12, 1.0, v10
	v_dual_sub_f32 v8, v24, v8 :: v_dual_add_f32 v13, -1.0, v10
	s_delay_alu instid0(VALU_DEP_1) | instskip(NEXT) | instid1(VALU_DEP_1)
	v_dual_add_f32 v8, v8, v11 :: v_dual_add_f32 v11, -1.0, v12
	v_ldexp_f32 v8, v8, v9
	s_delay_alu instid0(VALU_DEP_2) | instskip(NEXT) | instid1(VALU_DEP_1)
	v_dual_sub_f32 v9, v10, v11 :: v_dual_add_f32 v11, 1.0, v13
	v_dual_add_f32 v15, v8, v9 :: v_dual_sub_f32 v9, v10, v11
	s_delay_alu instid0(VALU_DEP_1) | instskip(NEXT) | instid1(VALU_DEP_1)
	v_add_f32_e32 v17, v8, v9
	v_dual_add_f32 v16, v12, v15 :: v_dual_add_f32 v9, v13, v17
	s_delay_alu instid0(VALU_DEP_1) | instskip(NEXT) | instid1(VALU_DEP_1)
	v_rcp_f32_e32 v18, v16
	v_sub_f32_e32 v20, v13, v9
	s_delay_alu instid0(TRANS32_DEP_1) | instskip(NEXT) | instid1(VALU_DEP_1)
	v_mul_f32_e32 v19, v9, v18
	v_mul_f32_e32 v10, v16, v19
	s_delay_alu instid0(VALU_DEP_1) | instskip(NEXT) | instid1(VALU_DEP_1)
	v_dual_sub_f32 v8, v12, v16 :: v_dual_fma_f32 v12, v19, v16, -v10
	v_add_f32_e32 v15, v15, v8
	s_delay_alu instid0(VALU_DEP_1) | instskip(NEXT) | instid1(VALU_DEP_1)
	v_fmac_f32_e32 v12, v19, v15
	v_add_f32_e32 v8, v10, v12
	s_delay_alu instid0(VALU_DEP_1) | instskip(NEXT) | instid1(VALU_DEP_1)
	v_dual_sub_f32 v11, v9, v8 :: v_dual_mov_b32 v13, v8
	v_pk_add_f32 v[8:9], v[8:9], v[10:11] neg_lo:[0,1] neg_hi:[0,1]
	v_add_f32_e32 v10, v17, v20
	s_delay_alu instid0(VALU_DEP_2) | instskip(NEXT) | instid1(VALU_DEP_1)
	v_pk_add_f32 v[8:9], v[8:9], v[12:13] neg_lo:[0,1] neg_hi:[0,1]
	v_add_f32_e32 v9, v10, v9
	s_delay_alu instid0(VALU_DEP_1) | instskip(NEXT) | instid1(VALU_DEP_1)
	v_add_f32_e32 v17, v8, v9
	v_add_f32_e32 v9, v11, v17
	s_delay_alu instid0(VALU_DEP_1) | instskip(NEXT) | instid1(VALU_DEP_1)
	v_mul_f32_e32 v20, v18, v9
	v_mul_f32_e32 v12, v16, v20
	s_delay_alu instid0(VALU_DEP_1) | instskip(NEXT) | instid1(VALU_DEP_1)
	v_fma_f32 v10, v20, v16, -v12
	v_dual_fmac_f32 v10, v20, v15 :: v_dual_sub_f32 v15, v11, v9
	s_delay_alu instid0(VALU_DEP_1) | instskip(NEXT) | instid1(VALU_DEP_1)
	v_add_f32_e32 v8, v12, v10
	v_dual_sub_f32 v13, v9, v8 :: v_dual_mov_b32 v11, v8
	s_delay_alu instid0(VALU_DEP_1) | instskip(NEXT) | instid1(VALU_DEP_4)
	v_pk_add_f32 v[8:9], v[8:9], v[12:13] neg_lo:[0,1] neg_hi:[0,1]
	v_add_f32_e32 v12, v17, v15
	s_delay_alu instid0(VALU_DEP_2) | instskip(SKIP_1) | instid1(VALU_DEP_2)
	v_pk_add_f32 v[8:9], v[8:9], v[10:11] neg_lo:[0,1] neg_hi:[0,1]
	v_cvt_f32_i32_e32 v10, v14
	v_dual_add_f32 v9, v12, v9 :: v_dual_add_f32 v12, v19, v20
	s_delay_alu instid0(VALU_DEP_1) | instskip(NEXT) | instid1(VALU_DEP_1)
	v_add_f32_e32 v8, v8, v9
	v_dual_sub_f32 v9, v12, v19 :: v_dual_add_f32 v8, v13, v8
	s_delay_alu instid0(VALU_DEP_1) | instskip(NEXT) | instid1(VALU_DEP_1)
	v_dual_sub_f32 v9, v20, v9 :: v_dual_mul_f32 v8, v18, v8
	v_dual_add_f32 v15, v9, v8 :: v_dual_mov_b32 v8, 0x3f317218
	s_delay_alu instid0(VALU_DEP_1) | instskip(NEXT) | instid1(VALU_DEP_1)
	v_add_f32_e32 v13, v12, v15
	v_mul_f32_e32 v9, v13, v13
	s_delay_alu instid0(VALU_DEP_1) | instskip(NEXT) | instid1(VALU_DEP_1)
	v_dual_fmaak_f32 v16, s8, v9, 0x3ecc95a3 :: v_dual_mul_f32 v11, v13, v9
	v_fmaak_f32 v9, v9, v16, 0x3f2aaada
	s_delay_alu instid0(VALU_DEP_1) | instskip(SKIP_1) | instid1(VALU_DEP_2)
	v_pk_mul_f32 v[8:9], v[10:11], v[8:9]
	v_ldexp_f32 v11, v13, 1
	v_fma_f32 v14, 0x3f317218, v10, -v8
	s_delay_alu instid0(VALU_DEP_1) | instskip(SKIP_1) | instid1(VALU_DEP_2)
	v_fmamk_f32 v10, v10, 0xb102e308, v14
	v_sub_f32_e32 v14, v13, v12
	v_pk_add_f32 v[12:13], v[8:9], v[10:11]
	s_delay_alu instid0(VALU_DEP_1) | instskip(NEXT) | instid1(VALU_DEP_1)
	v_dual_sub_f32 v11, v13, v11 :: v_dual_sub_f32 v14, v15, v14
	v_sub_f32_e32 v11, v9, v11
	s_delay_alu instid0(VALU_DEP_2) | instskip(SKIP_2) | instid1(VALU_DEP_3)
	v_ldexp_f32 v15, v14, 1
	v_mov_b32_e32 v14, v8
	v_pk_add_f32 v[8:9], v[12:13], v[8:9] neg_lo:[0,1] neg_hi:[0,1]
	v_dual_add_f32 v15, v15, v11 :: v_dual_mov_b32 v11, v12
	s_delay_alu instid0(VALU_DEP_1) | instskip(NEXT) | instid1(VALU_DEP_1)
	v_pk_add_f32 v[16:17], v[12:13], v[14:15]
	v_dual_mov_b32 v22, v13 :: v_dual_mov_b32 v9, v17
	s_delay_alu instid0(VALU_DEP_1) | instskip(NEXT) | instid1(VALU_DEP_1)
	v_pk_add_f32 v[18:19], v[10:11], v[8:9]
	v_dual_mov_b32 v18, v17 :: v_dual_mov_b32 v14, v19
	v_pk_add_f32 v[8:9], v[10:11], v[8:9] neg_lo:[0,1] neg_hi:[0,1]
	v_mov_b32_e32 v9, v19
	s_delay_alu instid0(VALU_DEP_3) | instskip(SKIP_1) | instid1(VALU_DEP_2)
	v_pk_add_f32 v[20:21], v[14:15], v[12:13] neg_lo:[0,1] neg_hi:[0,1]
	v_dual_mov_b32 v13, v12 :: v_dual_mov_b32 v12, v15
	v_dual_mov_b32 v15, v20 :: v_dual_mov_b32 v23, v20
	s_delay_alu instid0(VALU_DEP_1) | instskip(NEXT) | instid1(VALU_DEP_2)
	v_pk_add_f32 v[16:17], v[16:17], v[14:15] neg_lo:[0,1] neg_hi:[0,1]
	v_pk_add_f32 v[10:11], v[18:19], v[22:23] neg_lo:[0,1] neg_hi:[0,1]
	v_mov_b32_e32 v16, v8
	s_delay_alu instid0(VALU_DEP_2) | instskip(NEXT) | instid1(VALU_DEP_1)
	v_pk_add_f32 v[10:11], v[12:13], v[10:11] neg_lo:[0,1] neg_hi:[0,1]
	v_pk_add_f32 v[12:13], v[16:17], v[10:11]
	s_delay_alu instid0(VALU_DEP_1) | instskip(NEXT) | instid1(VALU_DEP_1)
	v_mov_b32_e32 v16, v13
	v_pk_add_f32 v[16:17], v[12:13], v[16:17]
	s_delay_alu instid0(VALU_DEP_1) | instskip(NEXT) | instid1(VALU_DEP_1)
	v_pk_add_f32 v[14:15], v[14:15], v[16:17]
	v_mov_b32_e32 v13, v14
	s_delay_alu instid0(VALU_DEP_1) | instskip(NEXT) | instid1(VALU_DEP_1)
	v_pk_add_f32 v[18:19], v[12:13], v[8:9] neg_lo:[0,1] neg_hi:[0,1]
	v_sub_f32_e32 v9, v12, v18
	s_delay_alu instid0(VALU_DEP_1) | instskip(SKIP_1) | instid1(VALU_DEP_1)
	v_sub_f32_e32 v8, v8, v9
	v_mov_b32_e32 v11, v16
	v_pk_add_f32 v[10:11], v[10:11], v[18:19] neg_lo:[0,1] neg_hi:[0,1]
	s_delay_alu instid0(VALU_DEP_1) | instskip(NEXT) | instid1(VALU_DEP_1)
	v_add_f32_e32 v8, v10, v8
	v_add_f32_e32 v8, v8, v11
	s_delay_alu instid0(VALU_DEP_1) | instskip(NEXT) | instid1(VALU_DEP_1)
	v_add_f32_e32 v8, v14, v8
	v_cndmask_b32_e32 v8, 0x7f800000, v8, vcc_lo
	v_cmp_gt_f32_e64 vcc_lo, 0x33800000, |v24|
	s_delay_alu instid0(VALU_DEP_2) | instskip(NEXT) | instid1(VALU_DEP_1)
	v_cndmask_b32_e32 v8, v8, v24, vcc_lo
	v_div_scale_f32 v9, null, s9, s9, v8
	s_delay_alu instid0(VALU_DEP_1) | instskip(SKIP_1) | instid1(TRANS32_DEP_1)
	v_rcp_f32_e32 v10, v9
	v_nop
	v_fma_f32 v11, -v9, v10, 1.0
	s_delay_alu instid0(VALU_DEP_1) | instskip(SKIP_1) | instid1(VALU_DEP_1)
	v_fmac_f32_e32 v10, v11, v10
	v_div_scale_f32 v11, vcc_lo, v8, s9, v8
	v_mul_f32_e32 v12, v11, v10
	s_delay_alu instid0(VALU_DEP_1) | instskip(NEXT) | instid1(VALU_DEP_1)
	v_fma_f32 v13, -v9, v12, v11
	v_fmac_f32_e32 v12, v13, v10
	s_delay_alu instid0(VALU_DEP_1) | instskip(NEXT) | instid1(VALU_DEP_1)
	v_fma_f32 v9, -v9, v12, v11
	v_div_fmas_f32 v9, v9, v10, v12
	s_delay_alu instid0(VALU_DEP_1) | instskip(NEXT) | instid1(VALU_DEP_1)
	v_div_fixup_f32 v8, v9, s9, v8
	v_cvt_f16_f32_e32 v8, v8
.LBB21_17:
	s_or_b32 exec_lo, exec_lo, s3
	v_lshrrev_b32_e32 v2, 16, v2
	s_mov_b32 s3, exec_lo
	s_delay_alu instid0(VALU_DEP_1) | instskip(NEXT) | instid1(VALU_DEP_1)
	v_cvt_f32_f16_e32 v9, v2
	v_mul_f32_e32 v9, s9, v9
	s_delay_alu instid0(VALU_DEP_1)
	v_cmpx_nlt_f32_e32 s10, v9
	s_cbranch_execz .LBB21_19
; %bb.18:
	v_mul_f32_e32 v2, 0x3fb8aa3b, v9
	v_cmp_ngt_f32_e32 vcc_lo, 0xc2ce8ed0, v9
	s_mov_b32 s8, 0x3e9b6dac
	s_delay_alu instid0(VALU_DEP_2) | instskip(SKIP_1) | instid1(VALU_DEP_1)
	v_rndne_f32_e32 v10, v2
	v_fma_f32 v11, 0x3fb8aa3b, v9, -v2
	v_dual_sub_f32 v2, v2, v10 :: v_dual_fmamk_f32 v11, v9, 0x32a5705f, v11
	v_cvt_i32_f32_e32 v10, v10
	s_delay_alu instid0(VALU_DEP_2) | instskip(NEXT) | instid1(VALU_DEP_1)
	v_add_f32_e32 v2, v2, v11
	v_exp_f32_e32 v2, v2
	v_nop
	s_delay_alu instid0(TRANS32_DEP_1) | instskip(NEXT) | instid1(VALU_DEP_1)
	v_ldexp_f32 v2, v2, v10
	v_cndmask_b32_e32 v2, 0, v2, vcc_lo
	v_cmp_nlt_f32_e32 vcc_lo, 0x42b17218, v9
	s_delay_alu instid0(VALU_DEP_2) | instskip(NEXT) | instid1(VALU_DEP_1)
	v_cndmask_b32_e32 v26, 0x7f800000, v2, vcc_lo
	v_add_f32_e32 v2, 1.0, v26
	s_delay_alu instid0(VALU_DEP_1) | instskip(NEXT) | instid1(VALU_DEP_1)
	v_cvt_f64_f32_e32 v[10:11], v2
	v_frexp_exp_i32_f64_e32 v9, v[10:11]
	v_frexp_mant_f32_e32 v10, v2
	s_delay_alu instid0(VALU_DEP_1) | instskip(SKIP_1) | instid1(VALU_DEP_1)
	v_cmp_gt_f32_e32 vcc_lo, 0x3f2aaaab, v10
	v_add_f32_e32 v10, -1.0, v2
	v_sub_f32_e32 v12, v10, v2
	s_delay_alu instid0(VALU_DEP_1) | instskip(SKIP_1) | instid1(VALU_DEP_1)
	v_add_f32_e32 v12, 1.0, v12
	v_subrev_co_ci_u32_e64 v9, null, 0, v9, vcc_lo
	v_sub_nc_u32_e32 v11, 0, v9
	s_delay_alu instid0(VALU_DEP_1) | instskip(NEXT) | instid1(VALU_DEP_1)
	v_ldexp_f32 v2, v2, v11
	v_dual_add_f32 v13, 1.0, v2 :: v_dual_add_f32 v15, -1.0, v2
	v_sub_f32_e32 v10, v26, v10
	v_cmp_neq_f32_e32 vcc_lo, 0x7f800000, v26
	s_delay_alu instid0(VALU_DEP_2) | instskip(NEXT) | instid1(VALU_DEP_1)
	v_dual_add_f32 v10, v10, v12 :: v_dual_add_f32 v12, -1.0, v13
	v_ldexp_f32 v10, v10, v11
	s_delay_alu instid0(VALU_DEP_2) | instskip(NEXT) | instid1(VALU_DEP_1)
	v_dual_sub_f32 v11, v2, v12 :: v_dual_add_f32 v12, 1.0, v15
	v_sub_f32_e32 v2, v2, v12
	s_delay_alu instid0(VALU_DEP_1) | instskip(NEXT) | instid1(VALU_DEP_1)
	v_dual_add_f32 v14, v10, v11 :: v_dual_add_f32 v2, v10, v2
	v_add_f32_e32 v11, v15, v2
	s_delay_alu instid0(VALU_DEP_2) | instskip(NEXT) | instid1(VALU_DEP_1)
	v_add_f32_e32 v16, v13, v14
	v_rcp_f32_e32 v17, v16
	v_nop
	s_delay_alu instid0(TRANS32_DEP_1) | instskip(NEXT) | instid1(VALU_DEP_1)
	v_dual_mul_f32 v18, v11, v17 :: v_dual_sub_f32 v10, v13, v16
	v_add_f32_e32 v19, v14, v10
	s_delay_alu instid0(VALU_DEP_2) | instskip(NEXT) | instid1(VALU_DEP_1)
	v_mul_f32_e32 v12, v16, v18
	v_dual_fma_f32 v14, v18, v16, -v12 :: v_dual_sub_f32 v20, v15, v11
	s_delay_alu instid0(VALU_DEP_1) | instskip(NEXT) | instid1(VALU_DEP_1)
	v_fmac_f32_e32 v14, v18, v19
	v_dual_add_f32 v2, v2, v20 :: v_dual_add_f32 v10, v12, v14
	s_delay_alu instid0(VALU_DEP_1) | instskip(NEXT) | instid1(VALU_DEP_1)
	v_dual_sub_f32 v13, v11, v10 :: v_dual_mov_b32 v15, v10
	v_pk_add_f32 v[10:11], v[10:11], v[12:13] neg_lo:[0,1] neg_hi:[0,1]
	s_delay_alu instid0(VALU_DEP_1) | instskip(NEXT) | instid1(VALU_DEP_1)
	v_pk_add_f32 v[10:11], v[10:11], v[14:15] neg_lo:[0,1] neg_hi:[0,1]
	v_add_f32_e32 v2, v2, v11
	s_delay_alu instid0(VALU_DEP_1) | instskip(NEXT) | instid1(VALU_DEP_1)
	v_add_f32_e32 v2, v10, v2
	v_add_f32_e32 v11, v13, v2
	s_delay_alu instid0(VALU_DEP_1) | instskip(NEXT) | instid1(VALU_DEP_1)
	v_mul_f32_e32 v20, v17, v11
	v_mul_f32_e32 v14, v16, v20
	s_delay_alu instid0(VALU_DEP_1) | instskip(NEXT) | instid1(VALU_DEP_1)
	v_dual_fma_f32 v12, v20, v16, -v14 :: v_dual_sub_f32 v16, v13, v11
	v_dual_fmac_f32 v12, v20, v19 :: v_dual_add_f32 v2, v2, v16
	s_delay_alu instid0(VALU_DEP_1) | instskip(NEXT) | instid1(VALU_DEP_1)
	v_add_f32_e32 v10, v14, v12
	v_dual_sub_f32 v15, v11, v10 :: v_dual_mov_b32 v13, v10
	s_delay_alu instid0(VALU_DEP_1) | instskip(NEXT) | instid1(VALU_DEP_1)
	v_pk_add_f32 v[10:11], v[10:11], v[14:15] neg_lo:[0,1] neg_hi:[0,1]
	v_pk_add_f32 v[10:11], v[10:11], v[12:13] neg_lo:[0,1] neg_hi:[0,1]
	v_cvt_f32_i32_e32 v12, v9
	s_delay_alu instid0(VALU_DEP_2) | instskip(NEXT) | instid1(VALU_DEP_1)
	v_add_f32_e32 v2, v2, v11
	v_add_f32_e32 v2, v10, v2
	s_delay_alu instid0(VALU_DEP_1) | instskip(NEXT) | instid1(VALU_DEP_1)
	v_dual_add_f32 v14, v18, v20 :: v_dual_add_f32 v2, v15, v2
	v_sub_f32_e32 v10, v14, v18
	s_delay_alu instid0(VALU_DEP_2) | instskip(NEXT) | instid1(VALU_DEP_2)
	v_mul_f32_e32 v2, v17, v2
	v_sub_f32_e32 v10, v20, v10
	s_delay_alu instid0(VALU_DEP_1) | instskip(NEXT) | instid1(VALU_DEP_1)
	v_add_f32_e32 v2, v10, v2
	v_add_f32_e32 v15, v14, v2
	s_delay_alu instid0(VALU_DEP_1) | instskip(NEXT) | instid1(VALU_DEP_1)
	v_mul_f32_e32 v11, v15, v15
	v_fmaak_f32 v16, s8, v11, 0x3ecc95a3
	v_dual_mov_b32 v10, 0x3f317218 :: v_dual_mul_f32 v13, v15, v11
	s_delay_alu instid0(VALU_DEP_2) | instskip(NEXT) | instid1(VALU_DEP_1)
	v_fmaak_f32 v11, v11, v16, 0x3f2aaada
	v_pk_mul_f32 v[10:11], v[12:13], v[10:11]
	v_ldexp_f32 v13, v15, 1
	s_delay_alu instid0(VALU_DEP_2) | instskip(NEXT) | instid1(VALU_DEP_1)
	v_fma_f32 v9, 0x3f317218, v12, -v10
	v_dual_fmamk_f32 v12, v12, 0xb102e308, v9 :: v_dual_sub_f32 v9, v15, v14
	s_delay_alu instid0(VALU_DEP_1) | instskip(NEXT) | instid1(VALU_DEP_2)
	v_pk_add_f32 v[14:15], v[10:11], v[12:13]
	v_sub_f32_e32 v2, v2, v9
	s_delay_alu instid0(VALU_DEP_2) | instskip(NEXT) | instid1(VALU_DEP_2)
	v_dual_mov_b32 v16, v10 :: v_dual_sub_f32 v9, v15, v13
	v_ldexp_f32 v2, v2, 1
	s_delay_alu instid0(VALU_DEP_2) | instskip(SKIP_1) | instid1(VALU_DEP_2)
	v_dual_mov_b32 v13, v14 :: v_dual_sub_f32 v9, v11, v9
	v_pk_add_f32 v[10:11], v[14:15], v[10:11] neg_lo:[0,1] neg_hi:[0,1]
	v_add_f32_e32 v17, v2, v9
	s_delay_alu instid0(VALU_DEP_1) | instskip(NEXT) | instid1(VALU_DEP_1)
	v_pk_add_f32 v[18:19], v[14:15], v[16:17]
	v_dual_mov_b32 v24, v15 :: v_dual_mov_b32 v11, v19
	s_delay_alu instid0(VALU_DEP_1) | instskip(SKIP_2) | instid1(VALU_DEP_3)
	v_pk_add_f32 v[20:21], v[12:13], v[10:11]
	v_mov_b32_e32 v20, v19
	v_pk_add_f32 v[10:11], v[12:13], v[10:11] neg_lo:[0,1] neg_hi:[0,1]
	v_dual_mov_b32 v2, v21 :: v_dual_mov_b32 v11, v21
	s_delay_alu instid0(VALU_DEP_1) | instskip(SKIP_1) | instid1(VALU_DEP_2)
	v_pk_add_f32 v[22:23], v[2:3], v[14:15] neg_lo:[0,1] neg_hi:[0,1]
	v_dual_mov_b32 v15, v14 :: v_dual_mov_b32 v14, v17
	v_dual_mov_b32 v9, v22 :: v_dual_mov_b32 v25, v22
	s_delay_alu instid0(VALU_DEP_1) | instskip(NEXT) | instid1(VALU_DEP_2)
	v_pk_add_f32 v[16:17], v[18:19], v[8:9] neg_lo:[0,1] neg_hi:[0,1]
	v_pk_add_f32 v[12:13], v[20:21], v[24:25] neg_lo:[0,1] neg_hi:[0,1]
	v_mov_b32_e32 v16, v10
	s_delay_alu instid0(VALU_DEP_2) | instskip(NEXT) | instid1(VALU_DEP_1)
	v_pk_add_f32 v[12:13], v[14:15], v[12:13] neg_lo:[0,1] neg_hi:[0,1]
	v_pk_add_f32 v[14:15], v[16:17], v[12:13]
	s_delay_alu instid0(VALU_DEP_1) | instskip(NEXT) | instid1(VALU_DEP_1)
	v_mov_b32_e32 v16, v15
	v_pk_add_f32 v[16:17], v[14:15], v[16:17]
	s_delay_alu instid0(VALU_DEP_1) | instskip(NEXT) | instid1(VALU_DEP_1)
	v_pk_add_f32 v[18:19], v[2:3], v[16:17]
	v_mov_b32_e32 v15, v18
	s_delay_alu instid0(VALU_DEP_1) | instskip(NEXT) | instid1(VALU_DEP_1)
	v_pk_add_f32 v[20:21], v[14:15], v[10:11] neg_lo:[0,1] neg_hi:[0,1]
	v_dual_mov_b32 v13, v16 :: v_dual_sub_f32 v2, v14, v20
	s_delay_alu instid0(VALU_DEP_1) | instskip(NEXT) | instid1(VALU_DEP_2)
	v_pk_add_f32 v[12:13], v[12:13], v[20:21] neg_lo:[0,1] neg_hi:[0,1]
	v_sub_f32_e32 v2, v10, v2
	s_delay_alu instid0(VALU_DEP_1) | instskip(NEXT) | instid1(VALU_DEP_1)
	v_add_f32_e32 v2, v12, v2
	v_add_f32_e32 v2, v2, v13
	s_delay_alu instid0(VALU_DEP_1) | instskip(NEXT) | instid1(VALU_DEP_1)
	v_add_f32_e32 v2, v18, v2
	v_cndmask_b32_e32 v2, 0x7f800000, v2, vcc_lo
	v_cmp_gt_f32_e64 vcc_lo, 0x33800000, |v26|
	s_delay_alu instid0(VALU_DEP_2) | instskip(NEXT) | instid1(VALU_DEP_1)
	v_cndmask_b32_e32 v2, v2, v26, vcc_lo
	v_div_scale_f32 v9, null, s9, s9, v2
	s_delay_alu instid0(VALU_DEP_1) | instskip(SKIP_1) | instid1(TRANS32_DEP_1)
	v_rcp_f32_e32 v10, v9
	v_nop
	v_fma_f32 v11, -v9, v10, 1.0
	s_delay_alu instid0(VALU_DEP_1) | instskip(SKIP_1) | instid1(VALU_DEP_1)
	v_fmac_f32_e32 v10, v11, v10
	v_div_scale_f32 v11, vcc_lo, v2, s9, v2
	v_mul_f32_e32 v12, v11, v10
	s_delay_alu instid0(VALU_DEP_1) | instskip(NEXT) | instid1(VALU_DEP_1)
	v_fma_f32 v13, -v9, v12, v11
	v_fmac_f32_e32 v12, v13, v10
	s_delay_alu instid0(VALU_DEP_1) | instskip(NEXT) | instid1(VALU_DEP_1)
	v_fma_f32 v9, -v9, v12, v11
	v_div_fmas_f32 v9, v9, v10, v12
	s_delay_alu instid0(VALU_DEP_1) | instskip(NEXT) | instid1(VALU_DEP_1)
	v_div_fixup_f32 v2, v9, s9, v2
	v_cvt_f16_f32_e32 v2, v2
.LBB21_19:
	s_or_b32 exec_lo, exec_lo, s3
	v_dual_lshlrev_b32 v5, 16, v5 :: v_dual_lshlrev_b32 v3, 16, v3
	v_and_b32_e32 v1, 0xffff, v1
	v_and_b32_e32 v7, 0xffff, v7
	;; [unrolled: 1-line block ×3, first 2 shown]
	v_lshlrev_b32_e32 v6, 16, v6
	v_and_b32_e32 v8, 0xffff, v8
	v_dual_lshlrev_b32 v2, 16, v2 :: v_dual_bitop2_b32 v1, v3, v1 bitop3:0x54
	v_or_b32_e32 v5, v5, v7
	s_delay_alu instid0(VALU_DEP_4) | instskip(SKIP_1) | instid1(VALU_DEP_3)
	v_or_b32_e32 v3, v6, v4
	s_add_nc_u64 s[12:13], s[4:5], s[0:1]
	v_or_b32_e32 v2, v2, v8
	s_clause 0x3
	global_store_b32 v0, v1, s[12:13] scale_offset
	global_store_b32 v0, v3, s[12:13] offset:1024 scale_offset
	global_store_b32 v0, v5, s[12:13] offset:2048 scale_offset
	;; [unrolled: 1-line block ×3, first 2 shown]
	s_branch .LBB21_2
.LBB21_20:
	s_wait_xcnt 0x0
	v_dual_mov_b32 v31, v0 :: v_dual_mov_b32 v0, s9
	v_dual_mov_b32 v1, s10 :: v_dual_mov_b32 v2, s4
	;; [unrolled: 1-line block ×4, first 2 shown]
	s_get_pc_i64 s[0:1]
	s_add_nc_u64 s[0:1], s[0:1], _ZN2at6native25elementwise_kernel_helperILb0EZZZNS0_12_GLOBAL__N_115softplus_kernelERNS_18TensorIteratorBaseERKN3c106ScalarES8_ENKUlvE_clEvENKUlvE1_clEvEUlNS5_4HalfEE_NS0_6memory8policies11unroll_baseILi256ESt5arrayIPcLm2EE23TrivialOffsetCalculatorILi1EjESK_NSD_15LoadWithoutCastENSD_16StoreWithoutCastELi8ELi1EEEEEvT0_T1_@rel64+4
	s_delay_alu instid0(SALU_CYCLE_1)
	s_swap_pc_i64 s[30:31], s[0:1]
	s_endpgm
	.section	.rodata,"a",@progbits
	.p2align	6, 0x0
	.amdhsa_kernel _ZN2at6native29vectorized_elementwise_kernelILi2EZZZNS0_12_GLOBAL__N_115softplus_kernelERNS_18TensorIteratorBaseERKN3c106ScalarES8_ENKUlvE_clEvENKUlvE1_clEvEUlNS5_4HalfEE_St5arrayIPcLm2EEEEviT0_T1_
		.amdhsa_group_segment_fixed_size 0
		.amdhsa_private_segment_fixed_size 0
		.amdhsa_kernarg_size 32
		.amdhsa_user_sgpr_count 2
		.amdhsa_user_sgpr_dispatch_ptr 0
		.amdhsa_user_sgpr_queue_ptr 0
		.amdhsa_user_sgpr_kernarg_segment_ptr 1
		.amdhsa_user_sgpr_dispatch_id 0
		.amdhsa_user_sgpr_kernarg_preload_length 0
		.amdhsa_user_sgpr_kernarg_preload_offset 0
		.amdhsa_user_sgpr_private_segment_size 0
		.amdhsa_wavefront_size32 1
		.amdhsa_uses_dynamic_stack 0
		.amdhsa_enable_private_segment 0
		.amdhsa_system_sgpr_workgroup_id_x 1
		.amdhsa_system_sgpr_workgroup_id_y 0
		.amdhsa_system_sgpr_workgroup_id_z 0
		.amdhsa_system_sgpr_workgroup_info 0
		.amdhsa_system_vgpr_workitem_id 0
		.amdhsa_next_free_vgpr 34
		.amdhsa_next_free_sgpr 33
		.amdhsa_named_barrier_count 0
		.amdhsa_reserve_vcc 1
		.amdhsa_float_round_mode_32 0
		.amdhsa_float_round_mode_16_64 0
		.amdhsa_float_denorm_mode_32 3
		.amdhsa_float_denorm_mode_16_64 3
		.amdhsa_fp16_overflow 0
		.amdhsa_memory_ordered 1
		.amdhsa_forward_progress 1
		.amdhsa_inst_pref_size 69
		.amdhsa_round_robin_scheduling 0
		.amdhsa_exception_fp_ieee_invalid_op 0
		.amdhsa_exception_fp_denorm_src 0
		.amdhsa_exception_fp_ieee_div_zero 0
		.amdhsa_exception_fp_ieee_overflow 0
		.amdhsa_exception_fp_ieee_underflow 0
		.amdhsa_exception_fp_ieee_inexact 0
		.amdhsa_exception_int_div_zero 0
	.end_amdhsa_kernel
	.section	.text._ZN2at6native29vectorized_elementwise_kernelILi2EZZZNS0_12_GLOBAL__N_115softplus_kernelERNS_18TensorIteratorBaseERKN3c106ScalarES8_ENKUlvE_clEvENKUlvE1_clEvEUlNS5_4HalfEE_St5arrayIPcLm2EEEEviT0_T1_,"axG",@progbits,_ZN2at6native29vectorized_elementwise_kernelILi2EZZZNS0_12_GLOBAL__N_115softplus_kernelERNS_18TensorIteratorBaseERKN3c106ScalarES8_ENKUlvE_clEvENKUlvE1_clEvEUlNS5_4HalfEE_St5arrayIPcLm2EEEEviT0_T1_,comdat
.Lfunc_end21:
	.size	_ZN2at6native29vectorized_elementwise_kernelILi2EZZZNS0_12_GLOBAL__N_115softplus_kernelERNS_18TensorIteratorBaseERKN3c106ScalarES8_ENKUlvE_clEvENKUlvE1_clEvEUlNS5_4HalfEE_St5arrayIPcLm2EEEEviT0_T1_, .Lfunc_end21-_ZN2at6native29vectorized_elementwise_kernelILi2EZZZNS0_12_GLOBAL__N_115softplus_kernelERNS_18TensorIteratorBaseERKN3c106ScalarES8_ENKUlvE_clEvENKUlvE1_clEvEUlNS5_4HalfEE_St5arrayIPcLm2EEEEviT0_T1_
                                        ; -- End function
	.set _ZN2at6native29vectorized_elementwise_kernelILi2EZZZNS0_12_GLOBAL__N_115softplus_kernelERNS_18TensorIteratorBaseERKN3c106ScalarES8_ENKUlvE_clEvENKUlvE1_clEvEUlNS5_4HalfEE_St5arrayIPcLm2EEEEviT0_T1_.num_vgpr, max(32, .L_ZN2at6native25elementwise_kernel_helperILb0EZZZNS0_12_GLOBAL__N_115softplus_kernelERNS_18TensorIteratorBaseERKN3c106ScalarES8_ENKUlvE_clEvENKUlvE1_clEvEUlNS5_4HalfEE_NS0_6memory8policies11unroll_baseILi256ESt5arrayIPcLm2EE23TrivialOffsetCalculatorILi1EjESK_NSD_15LoadWithoutCastENSD_16StoreWithoutCastELi8ELi1EEEEEvT0_T1_.num_vgpr)
	.set _ZN2at6native29vectorized_elementwise_kernelILi2EZZZNS0_12_GLOBAL__N_115softplus_kernelERNS_18TensorIteratorBaseERKN3c106ScalarES8_ENKUlvE_clEvENKUlvE1_clEvEUlNS5_4HalfEE_St5arrayIPcLm2EEEEviT0_T1_.num_agpr, max(0, .L_ZN2at6native25elementwise_kernel_helperILb0EZZZNS0_12_GLOBAL__N_115softplus_kernelERNS_18TensorIteratorBaseERKN3c106ScalarES8_ENKUlvE_clEvENKUlvE1_clEvEUlNS5_4HalfEE_NS0_6memory8policies11unroll_baseILi256ESt5arrayIPcLm2EE23TrivialOffsetCalculatorILi1EjESK_NSD_15LoadWithoutCastENSD_16StoreWithoutCastELi8ELi1EEEEEvT0_T1_.num_agpr)
	.set _ZN2at6native29vectorized_elementwise_kernelILi2EZZZNS0_12_GLOBAL__N_115softplus_kernelERNS_18TensorIteratorBaseERKN3c106ScalarES8_ENKUlvE_clEvENKUlvE1_clEvEUlNS5_4HalfEE_St5arrayIPcLm2EEEEviT0_T1_.numbered_sgpr, max(33, .L_ZN2at6native25elementwise_kernel_helperILb0EZZZNS0_12_GLOBAL__N_115softplus_kernelERNS_18TensorIteratorBaseERKN3c106ScalarES8_ENKUlvE_clEvENKUlvE1_clEvEUlNS5_4HalfEE_NS0_6memory8policies11unroll_baseILi256ESt5arrayIPcLm2EE23TrivialOffsetCalculatorILi1EjESK_NSD_15LoadWithoutCastENSD_16StoreWithoutCastELi8ELi1EEEEEvT0_T1_.numbered_sgpr)
	.set _ZN2at6native29vectorized_elementwise_kernelILi2EZZZNS0_12_GLOBAL__N_115softplus_kernelERNS_18TensorIteratorBaseERKN3c106ScalarES8_ENKUlvE_clEvENKUlvE1_clEvEUlNS5_4HalfEE_St5arrayIPcLm2EEEEviT0_T1_.num_named_barrier, max(0, .L_ZN2at6native25elementwise_kernel_helperILb0EZZZNS0_12_GLOBAL__N_115softplus_kernelERNS_18TensorIteratorBaseERKN3c106ScalarES8_ENKUlvE_clEvENKUlvE1_clEvEUlNS5_4HalfEE_NS0_6memory8policies11unroll_baseILi256ESt5arrayIPcLm2EE23TrivialOffsetCalculatorILi1EjESK_NSD_15LoadWithoutCastENSD_16StoreWithoutCastELi8ELi1EEEEEvT0_T1_.num_named_barrier)
	.set _ZN2at6native29vectorized_elementwise_kernelILi2EZZZNS0_12_GLOBAL__N_115softplus_kernelERNS_18TensorIteratorBaseERKN3c106ScalarES8_ENKUlvE_clEvENKUlvE1_clEvEUlNS5_4HalfEE_St5arrayIPcLm2EEEEviT0_T1_.private_seg_size, 0+max(.L_ZN2at6native25elementwise_kernel_helperILb0EZZZNS0_12_GLOBAL__N_115softplus_kernelERNS_18TensorIteratorBaseERKN3c106ScalarES8_ENKUlvE_clEvENKUlvE1_clEvEUlNS5_4HalfEE_NS0_6memory8policies11unroll_baseILi256ESt5arrayIPcLm2EE23TrivialOffsetCalculatorILi1EjESK_NSD_15LoadWithoutCastENSD_16StoreWithoutCastELi8ELi1EEEEEvT0_T1_.private_seg_size)
	.set _ZN2at6native29vectorized_elementwise_kernelILi2EZZZNS0_12_GLOBAL__N_115softplus_kernelERNS_18TensorIteratorBaseERKN3c106ScalarES8_ENKUlvE_clEvENKUlvE1_clEvEUlNS5_4HalfEE_St5arrayIPcLm2EEEEviT0_T1_.uses_vcc, or(1, .L_ZN2at6native25elementwise_kernel_helperILb0EZZZNS0_12_GLOBAL__N_115softplus_kernelERNS_18TensorIteratorBaseERKN3c106ScalarES8_ENKUlvE_clEvENKUlvE1_clEvEUlNS5_4HalfEE_NS0_6memory8policies11unroll_baseILi256ESt5arrayIPcLm2EE23TrivialOffsetCalculatorILi1EjESK_NSD_15LoadWithoutCastENSD_16StoreWithoutCastELi8ELi1EEEEEvT0_T1_.uses_vcc)
	.set _ZN2at6native29vectorized_elementwise_kernelILi2EZZZNS0_12_GLOBAL__N_115softplus_kernelERNS_18TensorIteratorBaseERKN3c106ScalarES8_ENKUlvE_clEvENKUlvE1_clEvEUlNS5_4HalfEE_St5arrayIPcLm2EEEEviT0_T1_.uses_flat_scratch, or(0, .L_ZN2at6native25elementwise_kernel_helperILb0EZZZNS0_12_GLOBAL__N_115softplus_kernelERNS_18TensorIteratorBaseERKN3c106ScalarES8_ENKUlvE_clEvENKUlvE1_clEvEUlNS5_4HalfEE_NS0_6memory8policies11unroll_baseILi256ESt5arrayIPcLm2EE23TrivialOffsetCalculatorILi1EjESK_NSD_15LoadWithoutCastENSD_16StoreWithoutCastELi8ELi1EEEEEvT0_T1_.uses_flat_scratch)
	.set _ZN2at6native29vectorized_elementwise_kernelILi2EZZZNS0_12_GLOBAL__N_115softplus_kernelERNS_18TensorIteratorBaseERKN3c106ScalarES8_ENKUlvE_clEvENKUlvE1_clEvEUlNS5_4HalfEE_St5arrayIPcLm2EEEEviT0_T1_.has_dyn_sized_stack, or(0, .L_ZN2at6native25elementwise_kernel_helperILb0EZZZNS0_12_GLOBAL__N_115softplus_kernelERNS_18TensorIteratorBaseERKN3c106ScalarES8_ENKUlvE_clEvENKUlvE1_clEvEUlNS5_4HalfEE_NS0_6memory8policies11unroll_baseILi256ESt5arrayIPcLm2EE23TrivialOffsetCalculatorILi1EjESK_NSD_15LoadWithoutCastENSD_16StoreWithoutCastELi8ELi1EEEEEvT0_T1_.has_dyn_sized_stack)
	.set _ZN2at6native29vectorized_elementwise_kernelILi2EZZZNS0_12_GLOBAL__N_115softplus_kernelERNS_18TensorIteratorBaseERKN3c106ScalarES8_ENKUlvE_clEvENKUlvE1_clEvEUlNS5_4HalfEE_St5arrayIPcLm2EEEEviT0_T1_.has_recursion, or(0, .L_ZN2at6native25elementwise_kernel_helperILb0EZZZNS0_12_GLOBAL__N_115softplus_kernelERNS_18TensorIteratorBaseERKN3c106ScalarES8_ENKUlvE_clEvENKUlvE1_clEvEUlNS5_4HalfEE_NS0_6memory8policies11unroll_baseILi256ESt5arrayIPcLm2EE23TrivialOffsetCalculatorILi1EjESK_NSD_15LoadWithoutCastENSD_16StoreWithoutCastELi8ELi1EEEEEvT0_T1_.has_recursion)
	.set _ZN2at6native29vectorized_elementwise_kernelILi2EZZZNS0_12_GLOBAL__N_115softplus_kernelERNS_18TensorIteratorBaseERKN3c106ScalarES8_ENKUlvE_clEvENKUlvE1_clEvEUlNS5_4HalfEE_St5arrayIPcLm2EEEEviT0_T1_.has_indirect_call, or(0, .L_ZN2at6native25elementwise_kernel_helperILb0EZZZNS0_12_GLOBAL__N_115softplus_kernelERNS_18TensorIteratorBaseERKN3c106ScalarES8_ENKUlvE_clEvENKUlvE1_clEvEUlNS5_4HalfEE_NS0_6memory8policies11unroll_baseILi256ESt5arrayIPcLm2EE23TrivialOffsetCalculatorILi1EjESK_NSD_15LoadWithoutCastENSD_16StoreWithoutCastELi8ELi1EEEEEvT0_T1_.has_indirect_call)
	.section	.AMDGPU.csdata,"",@progbits
; Kernel info:
; codeLenInByte = 8780
; TotalNumSgprs: 35
; NumVgprs: 34
; ScratchSize: 0
; MemoryBound: 0
; FloatMode: 240
; IeeeMode: 1
; LDSByteSize: 0 bytes/workgroup (compile time only)
; SGPRBlocks: 0
; VGPRBlocks: 2
; NumSGPRsForWavesPerEU: 35
; NumVGPRsForWavesPerEU: 34
; NamedBarCnt: 0
; Occupancy: 16
; WaveLimiterHint : 1
; COMPUTE_PGM_RSRC2:SCRATCH_EN: 0
; COMPUTE_PGM_RSRC2:USER_SGPR: 2
; COMPUTE_PGM_RSRC2:TRAP_HANDLER: 0
; COMPUTE_PGM_RSRC2:TGID_X_EN: 1
; COMPUTE_PGM_RSRC2:TGID_Y_EN: 0
; COMPUTE_PGM_RSRC2:TGID_Z_EN: 0
; COMPUTE_PGM_RSRC2:TIDIG_COMP_CNT: 0
	.section	.text._ZN2at6native27unrolled_elementwise_kernelIZZZNS0_12_GLOBAL__N_115softplus_kernelERNS_18TensorIteratorBaseERKN3c106ScalarES8_ENKUlvE_clEvENKUlvE1_clEvEUlNS5_4HalfEE_St5arrayIPcLm2EELi4E23TrivialOffsetCalculatorILi1EjESH_NS0_6memory15LoadWithoutCastENSI_16StoreWithoutCastEEEviT_T0_T2_T3_T4_T5_,"axG",@progbits,_ZN2at6native27unrolled_elementwise_kernelIZZZNS0_12_GLOBAL__N_115softplus_kernelERNS_18TensorIteratorBaseERKN3c106ScalarES8_ENKUlvE_clEvENKUlvE1_clEvEUlNS5_4HalfEE_St5arrayIPcLm2EELi4E23TrivialOffsetCalculatorILi1EjESH_NS0_6memory15LoadWithoutCastENSI_16StoreWithoutCastEEEviT_T0_T2_T3_T4_T5_,comdat
	.globl	_ZN2at6native27unrolled_elementwise_kernelIZZZNS0_12_GLOBAL__N_115softplus_kernelERNS_18TensorIteratorBaseERKN3c106ScalarES8_ENKUlvE_clEvENKUlvE1_clEvEUlNS5_4HalfEE_St5arrayIPcLm2EELi4E23TrivialOffsetCalculatorILi1EjESH_NS0_6memory15LoadWithoutCastENSI_16StoreWithoutCastEEEviT_T0_T2_T3_T4_T5_ ; -- Begin function _ZN2at6native27unrolled_elementwise_kernelIZZZNS0_12_GLOBAL__N_115softplus_kernelERNS_18TensorIteratorBaseERKN3c106ScalarES8_ENKUlvE_clEvENKUlvE1_clEvEUlNS5_4HalfEE_St5arrayIPcLm2EELi4E23TrivialOffsetCalculatorILi1EjESH_NS0_6memory15LoadWithoutCastENSI_16StoreWithoutCastEEEviT_T0_T2_T3_T4_T5_
	.p2align	8
	.type	_ZN2at6native27unrolled_elementwise_kernelIZZZNS0_12_GLOBAL__N_115softplus_kernelERNS_18TensorIteratorBaseERKN3c106ScalarES8_ENKUlvE_clEvENKUlvE1_clEvEUlNS5_4HalfEE_St5arrayIPcLm2EELi4E23TrivialOffsetCalculatorILi1EjESH_NS0_6memory15LoadWithoutCastENSI_16StoreWithoutCastEEEviT_T0_T2_T3_T4_T5_,@function
_ZN2at6native27unrolled_elementwise_kernelIZZZNS0_12_GLOBAL__N_115softplus_kernelERNS_18TensorIteratorBaseERKN3c106ScalarES8_ENKUlvE_clEvENKUlvE1_clEvEUlNS5_4HalfEE_St5arrayIPcLm2EELi4E23TrivialOffsetCalculatorILi1EjESH_NS0_6memory15LoadWithoutCastENSI_16StoreWithoutCastEEEviT_T0_T2_T3_T4_T5_: ; @_ZN2at6native27unrolled_elementwise_kernelIZZZNS0_12_GLOBAL__N_115softplus_kernelERNS_18TensorIteratorBaseERKN3c106ScalarES8_ENKUlvE_clEvENKUlvE1_clEvEUlNS5_4HalfEE_St5arrayIPcLm2EELi4E23TrivialOffsetCalculatorILi1EjESH_NS0_6memory15LoadWithoutCastENSI_16StoreWithoutCastEEEviT_T0_T2_T3_T4_T5_
; %bb.0:
	s_clause 0x1
	s_load_b96 s[8:10], s[0:1], 0x0
	s_load_b128 s[4:7], s[0:1], 0x10
	s_bfe_u32 s2, ttmp6, 0x4000c
	s_wait_xcnt 0x0
	s_and_b32 s0, ttmp6, 15
	s_add_co_i32 s2, s2, 1
	v_dual_mov_b32 v3, 0 :: v_dual_mov_b32 v5, 0
	s_mul_i32 s1, ttmp9, s2
	s_getreg_b32 s2, hwreg(HW_REG_IB_STS2, 6, 4)
	s_add_co_i32 s0, s0, s1
	s_cmp_eq_u32 s2, 0
	v_or_b32_e32 v1, 0x100, v0
	s_cselect_b32 s0, ttmp9, s0
	v_mov_b32_e32 v7, v0
	s_lshl_b32 s1, s0, 10
	s_delay_alu instid0(SALU_CYCLE_1) | instskip(SKIP_2) | instid1(SALU_CYCLE_1)
	v_or_b32_e32 v2, s1, v0
	s_wait_kmcnt 0x0
	s_sub_co_i32 s2, s8, s1
	v_cmp_gt_i32_e64 s0, s2, v0
	s_and_saveexec_b32 s3, s0
	s_cbranch_execz .LBB22_2
; %bb.1:
	global_load_u16 v5, v2, s[6:7] scale_offset
	v_or_b32_e32 v7, 0x100, v0
.LBB22_2:
	s_wait_xcnt 0x0
	s_or_b32 exec_lo, exec_lo, s3
	s_delay_alu instid0(SALU_CYCLE_1) | instskip(NEXT) | instid1(VALU_DEP_1)
	s_mov_b32 s3, exec_lo
	v_cmpx_gt_i32_e64 s2, v7
	s_cbranch_execz .LBB22_4
; %bb.3:
	v_add_nc_u32_e32 v3, s1, v7
	v_add_nc_u32_e32 v7, 0x100, v7
	global_load_u16 v3, v3, s[6:7] scale_offset
.LBB22_4:
	s_wait_xcnt 0x0
	s_or_b32 exec_lo, exec_lo, s3
	v_dual_mov_b32 v4, 0 :: v_dual_mov_b32 v6, 0
	s_mov_b32 s3, exec_lo
	v_cmpx_gt_i32_e64 s2, v7
	s_cbranch_execnz .LBB22_8
; %bb.5:
	s_or_b32 exec_lo, exec_lo, s3
	s_delay_alu instid0(SALU_CYCLE_1)
	s_mov_b32 s3, exec_lo
	v_cmpx_gt_i32_e64 s2, v7
	s_cbranch_execnz .LBB22_9
.LBB22_6:
	s_or_b32 exec_lo, exec_lo, s3
	s_and_saveexec_b32 s3, s0
	s_cbranch_execnz .LBB22_10
.LBB22_7:
	s_or_b32 exec_lo, exec_lo, s3
	s_delay_alu instid0(SALU_CYCLE_1)
	s_mov_b32 s3, exec_lo
	v_cmpx_gt_i32_e64 s2, v1
	s_cbranch_execnz .LBB22_13
	s_branch .LBB22_16
.LBB22_8:
	v_add_nc_u32_e32 v6, s1, v7
	v_add_nc_u32_e32 v7, 0x100, v7
	global_load_u16 v6, v6, s[6:7] scale_offset
	s_wait_xcnt 0x0
	s_or_b32 exec_lo, exec_lo, s3
	s_delay_alu instid0(SALU_CYCLE_1)
	s_mov_b32 s3, exec_lo
	v_cmpx_gt_i32_e64 s2, v7
	s_cbranch_execz .LBB22_6
.LBB22_9:
	v_add_nc_u32_e32 v4, s1, v7
	global_load_u16 v4, v4, s[6:7] scale_offset
	s_wait_xcnt 0x0
	s_or_b32 exec_lo, exec_lo, s3
	s_and_saveexec_b32 s3, s0
	s_cbranch_execz .LBB22_7
.LBB22_10:
	s_wait_loadcnt 0x0
	v_cvt_f32_f16_e32 v7, v5
	s_mov_b32 s6, exec_lo
	s_delay_alu instid0(VALU_DEP_1) | instskip(NEXT) | instid1(VALU_DEP_1)
	v_mul_f32_e32 v7, s9, v7
	v_cmpx_nlt_f32_e32 s10, v7
	s_cbranch_execz .LBB22_12
; %bb.11:
	v_mul_f32_e32 v5, 0x3fb8aa3b, v7
	v_cmp_ngt_f32_e32 vcc_lo, 0xc2ce8ed0, v7
	s_mov_b32 s7, 0x3e9b6dac
	s_delay_alu instid0(VALU_DEP_2) | instskip(SKIP_1) | instid1(VALU_DEP_2)
	v_rndne_f32_e32 v8, v5
	v_fma_f32 v9, 0x3fb8aa3b, v7, -v5
	v_sub_f32_e32 v5, v5, v8
	s_delay_alu instid0(VALU_DEP_2) | instskip(SKIP_1) | instid1(VALU_DEP_2)
	v_fmamk_f32 v9, v7, 0x32a5705f, v9
	v_cvt_i32_f32_e32 v8, v8
	v_add_f32_e32 v5, v5, v9
	s_delay_alu instid0(VALU_DEP_1) | instskip(SKIP_1) | instid1(TRANS32_DEP_1)
	v_exp_f32_e32 v5, v5
	v_nop
	v_ldexp_f32 v5, v5, v8
	s_delay_alu instid0(VALU_DEP_1) | instskip(SKIP_1) | instid1(VALU_DEP_2)
	v_cndmask_b32_e32 v5, 0, v5, vcc_lo
	v_cmp_nlt_f32_e32 vcc_lo, 0x42b17218, v7
	v_cndmask_b32_e32 v7, 0x7f800000, v5, vcc_lo
	s_delay_alu instid0(VALU_DEP_1) | instskip(NEXT) | instid1(VALU_DEP_1)
	v_add_f32_e32 v5, 1.0, v7
	v_cvt_f64_f32_e32 v[8:9], v5
	s_delay_alu instid0(VALU_DEP_1) | instskip(SKIP_1) | instid1(VALU_DEP_1)
	v_frexp_exp_i32_f64_e32 v8, v[8:9]
	v_frexp_mant_f32_e32 v9, v5
	v_cmp_gt_f32_e32 vcc_lo, 0x3f2aaaab, v9
	s_delay_alu instid0(VALU_DEP_3) | instskip(NEXT) | instid1(VALU_DEP_1)
	v_subrev_co_ci_u32_e64 v14, null, 0, v8, vcc_lo
	v_dual_add_f32 v8, -1.0, v5 :: v_dual_sub_nc_u32 v9, 0, v14
	s_delay_alu instid0(VALU_DEP_1) | instskip(SKIP_1) | instid1(VALU_DEP_3)
	v_dual_sub_f32 v10, v8, v5 :: v_dual_sub_f32 v8, v7, v8
	v_cmp_neq_f32_e32 vcc_lo, 0x7f800000, v7
	v_ldexp_f32 v5, v5, v9
	s_delay_alu instid0(VALU_DEP_1) | instskip(NEXT) | instid1(VALU_DEP_1)
	v_dual_add_f32 v10, 1.0, v10 :: v_dual_add_f32 v11, 1.0, v5
	v_dual_add_f32 v13, -1.0, v5 :: v_dual_add_f32 v8, v8, v10
	s_delay_alu instid0(VALU_DEP_1) | instskip(NEXT) | instid1(VALU_DEP_3)
	v_ldexp_f32 v8, v8, v9
	v_add_f32_e32 v10, -1.0, v11
	s_delay_alu instid0(VALU_DEP_1) | instskip(NEXT) | instid1(VALU_DEP_1)
	v_dual_sub_f32 v9, v5, v10 :: v_dual_add_f32 v10, 1.0, v13
	v_dual_sub_f32 v5, v5, v10 :: v_dual_add_f32 v12, v8, v9
	s_delay_alu instid0(VALU_DEP_1) | instskip(NEXT) | instid1(VALU_DEP_1)
	v_dual_add_f32 v5, v8, v5 :: v_dual_add_f32 v15, v11, v12
	v_dual_add_f32 v9, v13, v5 :: v_dual_sub_f32 v8, v11, v15
	v_rcp_f32_e32 v16, v15
	s_delay_alu instid0(VALU_DEP_1) | instskip(NEXT) | instid1(TRANS32_DEP_1)
	v_dual_sub_f32 v19, v13, v9 :: v_dual_add_f32 v18, v12, v8
	v_mul_f32_e32 v17, v9, v16
	s_delay_alu instid0(VALU_DEP_1) | instskip(NEXT) | instid1(VALU_DEP_1)
	v_dual_add_f32 v5, v5, v19 :: v_dual_mul_f32 v10, v15, v17
	v_fma_f32 v12, v17, v15, -v10
	s_delay_alu instid0(VALU_DEP_1) | instskip(NEXT) | instid1(VALU_DEP_1)
	v_fmac_f32_e32 v12, v17, v18
	v_add_f32_e32 v8, v10, v12
	s_delay_alu instid0(VALU_DEP_1) | instskip(NEXT) | instid1(VALU_DEP_1)
	v_dual_sub_f32 v11, v9, v8 :: v_dual_mov_b32 v13, v8
	v_pk_add_f32 v[8:9], v[8:9], v[10:11] neg_lo:[0,1] neg_hi:[0,1]
	s_delay_alu instid0(VALU_DEP_1) | instskip(NEXT) | instid1(VALU_DEP_1)
	v_pk_add_f32 v[8:9], v[8:9], v[12:13] neg_lo:[0,1] neg_hi:[0,1]
	v_add_f32_e32 v5, v5, v9
	s_delay_alu instid0(VALU_DEP_1) | instskip(NEXT) | instid1(VALU_DEP_1)
	v_add_f32_e32 v5, v8, v5
	v_add_f32_e32 v9, v11, v5
	s_delay_alu instid0(VALU_DEP_1) | instskip(NEXT) | instid1(VALU_DEP_1)
	v_mul_f32_e32 v19, v16, v9
	v_mul_f32_e32 v12, v15, v19
	s_delay_alu instid0(VALU_DEP_1) | instskip(SKIP_1) | instid1(VALU_DEP_1)
	v_fma_f32 v10, v19, v15, -v12
	v_sub_f32_e32 v15, v11, v9
	v_dual_fmac_f32 v10, v19, v18 :: v_dual_add_f32 v5, v5, v15
	s_delay_alu instid0(VALU_DEP_1) | instskip(NEXT) | instid1(VALU_DEP_1)
	v_add_f32_e32 v8, v12, v10
	v_dual_sub_f32 v13, v9, v8 :: v_dual_mov_b32 v11, v8
	s_delay_alu instid0(VALU_DEP_1) | instskip(NEXT) | instid1(VALU_DEP_1)
	v_pk_add_f32 v[8:9], v[8:9], v[12:13] neg_lo:[0,1] neg_hi:[0,1]
	v_pk_add_f32 v[8:9], v[8:9], v[10:11] neg_lo:[0,1] neg_hi:[0,1]
	v_cvt_f32_i32_e32 v10, v14
	s_delay_alu instid0(VALU_DEP_2) | instskip(NEXT) | instid1(VALU_DEP_1)
	v_add_f32_e32 v5, v5, v9
	v_dual_add_f32 v12, v17, v19 :: v_dual_add_f32 v5, v8, v5
	s_delay_alu instid0(VALU_DEP_1) | instskip(NEXT) | instid1(VALU_DEP_1)
	v_sub_f32_e32 v8, v12, v17
	v_dual_add_f32 v5, v13, v5 :: v_dual_sub_f32 v8, v19, v8
	s_delay_alu instid0(VALU_DEP_1) | instskip(NEXT) | instid1(VALU_DEP_1)
	v_mul_f32_e32 v5, v16, v5
	v_dual_add_f32 v5, v8, v5 :: v_dual_mov_b32 v8, 0x3f317218
	s_delay_alu instid0(VALU_DEP_1) | instskip(NEXT) | instid1(VALU_DEP_1)
	v_add_f32_e32 v13, v12, v5
	v_mul_f32_e32 v9, v13, v13
	s_delay_alu instid0(VALU_DEP_1) | instskip(SKIP_1) | instid1(VALU_DEP_2)
	v_fmaak_f32 v15, s7, v9, 0x3ecc95a3
	v_mul_f32_e32 v11, v13, v9
	v_fmaak_f32 v9, v9, v15, 0x3f2aaada
	s_delay_alu instid0(VALU_DEP_1) | instskip(NEXT) | instid1(VALU_DEP_1)
	v_pk_mul_f32 v[8:9], v[10:11], v[8:9]
	v_fma_f32 v14, 0x3f317218, v10, -v8
	s_delay_alu instid0(VALU_DEP_1) | instskip(SKIP_1) | instid1(VALU_DEP_1)
	v_fmamk_f32 v10, v10, 0xb102e308, v14
	v_sub_f32_e32 v14, v13, v12
	v_sub_f32_e32 v5, v5, v14
	v_ldexp_f32 v11, v13, 1
	v_mov_b32_e32 v14, v8
	s_delay_alu instid0(VALU_DEP_3) | instskip(NEXT) | instid1(VALU_DEP_3)
	v_ldexp_f32 v5, v5, 1
	v_pk_add_f32 v[12:13], v[8:9], v[10:11]
	s_delay_alu instid0(VALU_DEP_1) | instskip(NEXT) | instid1(VALU_DEP_1)
	v_dual_sub_f32 v11, v13, v11 :: v_dual_mov_b32 v22, v13
	v_sub_f32_e32 v11, v9, v11
	s_delay_alu instid0(VALU_DEP_3) | instskip(NEXT) | instid1(VALU_DEP_2)
	v_pk_add_f32 v[8:9], v[12:13], v[8:9] neg_lo:[0,1] neg_hi:[0,1]
	v_dual_add_f32 v15, v5, v11 :: v_dual_mov_b32 v11, v12
	s_delay_alu instid0(VALU_DEP_1) | instskip(NEXT) | instid1(VALU_DEP_1)
	v_pk_add_f32 v[16:17], v[12:13], v[14:15]
	v_mov_b32_e32 v9, v17
	s_delay_alu instid0(VALU_DEP_1) | instskip(SKIP_2) | instid1(VALU_DEP_3)
	v_pk_add_f32 v[18:19], v[10:11], v[8:9]
	v_mov_b32_e32 v18, v17
	v_pk_add_f32 v[8:9], v[10:11], v[8:9] neg_lo:[0,1] neg_hi:[0,1]
	v_dual_mov_b32 v14, v19 :: v_dual_mov_b32 v9, v19
	s_delay_alu instid0(VALU_DEP_1) | instskip(SKIP_1) | instid1(VALU_DEP_2)
	v_pk_add_f32 v[20:21], v[14:15], v[12:13] neg_lo:[0,1] neg_hi:[0,1]
	v_dual_mov_b32 v13, v12 :: v_dual_mov_b32 v12, v15
	v_dual_mov_b32 v5, v20 :: v_dual_mov_b32 v23, v20
	s_delay_alu instid0(VALU_DEP_1) | instskip(NEXT) | instid1(VALU_DEP_2)
	v_pk_add_f32 v[16:17], v[16:17], v[4:5] neg_lo:[0,1] neg_hi:[0,1]
	v_pk_add_f32 v[10:11], v[18:19], v[22:23] neg_lo:[0,1] neg_hi:[0,1]
	v_mov_b32_e32 v16, v8
	s_delay_alu instid0(VALU_DEP_2) | instskip(NEXT) | instid1(VALU_DEP_1)
	v_pk_add_f32 v[10:11], v[12:13], v[10:11] neg_lo:[0,1] neg_hi:[0,1]
	v_pk_add_f32 v[12:13], v[16:17], v[10:11]
	s_delay_alu instid0(VALU_DEP_1) | instskip(NEXT) | instid1(VALU_DEP_1)
	v_mov_b32_e32 v16, v13
	v_pk_add_f32 v[16:17], v[12:13], v[16:17]
	s_delay_alu instid0(VALU_DEP_1) | instskip(NEXT) | instid1(VALU_DEP_1)
	v_pk_add_f32 v[14:15], v[14:15], v[16:17]
	v_mov_b32_e32 v13, v14
	s_delay_alu instid0(VALU_DEP_1) | instskip(NEXT) | instid1(VALU_DEP_1)
	v_pk_add_f32 v[18:19], v[12:13], v[8:9] neg_lo:[0,1] neg_hi:[0,1]
	v_sub_f32_e32 v5, v12, v18
	s_delay_alu instid0(VALU_DEP_1) | instskip(SKIP_1) | instid1(VALU_DEP_1)
	v_sub_f32_e32 v5, v8, v5
	v_mov_b32_e32 v11, v16
	v_pk_add_f32 v[10:11], v[10:11], v[18:19] neg_lo:[0,1] neg_hi:[0,1]
	s_delay_alu instid0(VALU_DEP_1) | instskip(NEXT) | instid1(VALU_DEP_1)
	v_add_f32_e32 v5, v10, v5
	v_add_f32_e32 v5, v5, v11
	s_delay_alu instid0(VALU_DEP_1) | instskip(NEXT) | instid1(VALU_DEP_1)
	v_add_f32_e32 v5, v14, v5
	v_cndmask_b32_e32 v5, 0x7f800000, v5, vcc_lo
	v_cmp_gt_f32_e64 vcc_lo, 0x33800000, |v7|
	s_delay_alu instid0(VALU_DEP_2) | instskip(NEXT) | instid1(VALU_DEP_1)
	v_cndmask_b32_e32 v5, v5, v7, vcc_lo
	v_div_scale_f32 v7, null, s9, s9, v5
	s_delay_alu instid0(VALU_DEP_1) | instskip(SKIP_1) | instid1(TRANS32_DEP_1)
	v_rcp_f32_e32 v8, v7
	v_nop
	v_fma_f32 v9, -v7, v8, 1.0
	s_delay_alu instid0(VALU_DEP_1) | instskip(SKIP_1) | instid1(VALU_DEP_1)
	v_fmac_f32_e32 v8, v9, v8
	v_div_scale_f32 v9, vcc_lo, v5, s9, v5
	v_mul_f32_e32 v10, v9, v8
	s_delay_alu instid0(VALU_DEP_1) | instskip(NEXT) | instid1(VALU_DEP_1)
	v_fma_f32 v11, -v7, v10, v9
	v_fmac_f32_e32 v10, v11, v8
	s_delay_alu instid0(VALU_DEP_1) | instskip(NEXT) | instid1(VALU_DEP_1)
	v_fma_f32 v7, -v7, v10, v9
	v_div_fmas_f32 v7, v7, v8, v10
	s_delay_alu instid0(VALU_DEP_1) | instskip(NEXT) | instid1(VALU_DEP_1)
	v_div_fixup_f32 v5, v7, s9, v5
	v_cvt_f16_f32_e32 v5, v5
.LBB22_12:
	s_or_b32 exec_lo, exec_lo, s6
	s_delay_alu instid0(SALU_CYCLE_1) | instskip(NEXT) | instid1(SALU_CYCLE_1)
	s_or_b32 exec_lo, exec_lo, s3
	s_mov_b32 s3, exec_lo
	v_cmpx_gt_i32_e64 s2, v1
	s_cbranch_execz .LBB22_16
.LBB22_13:
	s_wait_loadcnt 0x0
	v_cvt_f32_f16_e32 v7, v3
	s_mov_b32 s6, exec_lo
	s_delay_alu instid0(VALU_DEP_1) | instskip(NEXT) | instid1(VALU_DEP_1)
	v_mul_f32_e32 v7, s9, v7
	v_cmpx_nlt_f32_e32 s10, v7
	s_cbranch_execz .LBB22_15
; %bb.14:
	v_mul_f32_e32 v3, 0x3fb8aa3b, v7
	v_cmp_ngt_f32_e32 vcc_lo, 0xc2ce8ed0, v7
	s_mov_b32 s7, 0x3e9b6dac
	s_delay_alu instid0(VALU_DEP_2) | instskip(SKIP_1) | instid1(VALU_DEP_2)
	v_rndne_f32_e32 v8, v3
	v_fma_f32 v9, 0x3fb8aa3b, v7, -v3
	v_sub_f32_e32 v3, v3, v8
	s_delay_alu instid0(VALU_DEP_2) | instskip(SKIP_1) | instid1(VALU_DEP_2)
	v_fmamk_f32 v9, v7, 0x32a5705f, v9
	v_cvt_i32_f32_e32 v8, v8
	v_add_f32_e32 v3, v3, v9
	s_delay_alu instid0(VALU_DEP_1) | instskip(SKIP_1) | instid1(TRANS32_DEP_1)
	v_exp_f32_e32 v3, v3
	v_nop
	v_ldexp_f32 v3, v3, v8
	s_delay_alu instid0(VALU_DEP_1) | instskip(SKIP_1) | instid1(VALU_DEP_2)
	v_cndmask_b32_e32 v3, 0, v3, vcc_lo
	v_cmp_nlt_f32_e32 vcc_lo, 0x42b17218, v7
	v_cndmask_b32_e32 v7, 0x7f800000, v3, vcc_lo
	s_delay_alu instid0(VALU_DEP_1) | instskip(NEXT) | instid1(VALU_DEP_1)
	v_add_f32_e32 v3, 1.0, v7
	v_cvt_f64_f32_e32 v[8:9], v3
	s_delay_alu instid0(VALU_DEP_1) | instskip(SKIP_1) | instid1(VALU_DEP_1)
	v_frexp_exp_i32_f64_e32 v8, v[8:9]
	v_frexp_mant_f32_e32 v9, v3
	v_cmp_gt_f32_e32 vcc_lo, 0x3f2aaaab, v9
	s_delay_alu instid0(VALU_DEP_3) | instskip(NEXT) | instid1(VALU_DEP_1)
	v_subrev_co_ci_u32_e64 v14, null, 0, v8, vcc_lo
	v_dual_add_f32 v8, -1.0, v3 :: v_dual_sub_nc_u32 v9, 0, v14
	s_delay_alu instid0(VALU_DEP_1) | instskip(SKIP_1) | instid1(VALU_DEP_3)
	v_dual_sub_f32 v10, v8, v3 :: v_dual_sub_f32 v8, v7, v8
	v_cmp_neq_f32_e32 vcc_lo, 0x7f800000, v7
	v_ldexp_f32 v3, v3, v9
	s_delay_alu instid0(VALU_DEP_1) | instskip(NEXT) | instid1(VALU_DEP_1)
	v_dual_add_f32 v10, 1.0, v10 :: v_dual_add_f32 v11, 1.0, v3
	v_dual_add_f32 v13, -1.0, v3 :: v_dual_add_f32 v8, v8, v10
	s_delay_alu instid0(VALU_DEP_1) | instskip(NEXT) | instid1(VALU_DEP_3)
	v_ldexp_f32 v8, v8, v9
	v_add_f32_e32 v10, -1.0, v11
	s_delay_alu instid0(VALU_DEP_1) | instskip(NEXT) | instid1(VALU_DEP_1)
	v_dual_sub_f32 v9, v3, v10 :: v_dual_add_f32 v10, 1.0, v13
	v_dual_sub_f32 v3, v3, v10 :: v_dual_add_f32 v12, v8, v9
	s_delay_alu instid0(VALU_DEP_1) | instskip(NEXT) | instid1(VALU_DEP_1)
	v_dual_add_f32 v3, v8, v3 :: v_dual_add_f32 v15, v11, v12
	v_add_f32_e32 v9, v13, v3
	s_delay_alu instid0(VALU_DEP_2) | instskip(SKIP_1) | instid1(TRANS32_DEP_1)
	v_rcp_f32_e32 v16, v15
	v_nop
	v_dual_sub_f32 v8, v11, v15 :: v_dual_mul_f32 v17, v9, v16
	s_delay_alu instid0(VALU_DEP_1) | instskip(SKIP_1) | instid1(VALU_DEP_2)
	v_dual_mul_f32 v10, v15, v17 :: v_dual_add_f32 v18, v12, v8
	v_sub_f32_e32 v19, v13, v9
	v_fma_f32 v12, v17, v15, -v10
	s_delay_alu instid0(VALU_DEP_1) | instskip(NEXT) | instid1(VALU_DEP_1)
	v_dual_add_f32 v3, v3, v19 :: v_dual_fmac_f32 v12, v17, v18
	v_add_f32_e32 v8, v10, v12
	s_delay_alu instid0(VALU_DEP_1) | instskip(NEXT) | instid1(VALU_DEP_1)
	v_dual_sub_f32 v11, v9, v8 :: v_dual_mov_b32 v13, v8
	v_pk_add_f32 v[8:9], v[8:9], v[10:11] neg_lo:[0,1] neg_hi:[0,1]
	s_delay_alu instid0(VALU_DEP_1) | instskip(NEXT) | instid1(VALU_DEP_1)
	v_pk_add_f32 v[8:9], v[8:9], v[12:13] neg_lo:[0,1] neg_hi:[0,1]
	v_add_f32_e32 v3, v3, v9
	s_delay_alu instid0(VALU_DEP_1) | instskip(NEXT) | instid1(VALU_DEP_1)
	v_add_f32_e32 v3, v8, v3
	v_add_f32_e32 v9, v11, v3
	s_delay_alu instid0(VALU_DEP_1) | instskip(NEXT) | instid1(VALU_DEP_1)
	v_mul_f32_e32 v19, v16, v9
	v_mul_f32_e32 v12, v15, v19
	s_delay_alu instid0(VALU_DEP_1) | instskip(NEXT) | instid1(VALU_DEP_1)
	v_fma_f32 v10, v19, v15, -v12
	v_fmac_f32_e32 v10, v19, v18
	s_delay_alu instid0(VALU_DEP_1) | instskip(NEXT) | instid1(VALU_DEP_1)
	v_dual_add_f32 v8, v12, v10 :: v_dual_sub_f32 v15, v11, v9
	v_dual_sub_f32 v13, v9, v8 :: v_dual_mov_b32 v11, v8
	s_delay_alu instid0(VALU_DEP_1) | instskip(SKIP_1) | instid1(VALU_DEP_4)
	v_pk_add_f32 v[8:9], v[8:9], v[12:13] neg_lo:[0,1] neg_hi:[0,1]
	v_add_f32_e32 v12, v17, v19
	v_add_f32_e32 v3, v3, v15
	s_delay_alu instid0(VALU_DEP_3) | instskip(SKIP_1) | instid1(VALU_DEP_2)
	v_pk_add_f32 v[8:9], v[8:9], v[10:11] neg_lo:[0,1] neg_hi:[0,1]
	v_cvt_f32_i32_e32 v10, v14
	v_add_f32_e32 v3, v3, v9
	s_delay_alu instid0(VALU_DEP_1) | instskip(SKIP_1) | instid1(VALU_DEP_1)
	v_add_f32_e32 v3, v8, v3
	v_sub_f32_e32 v8, v12, v17
	v_dual_sub_f32 v8, v19, v8 :: v_dual_add_f32 v3, v13, v3
	s_delay_alu instid0(VALU_DEP_1) | instskip(NEXT) | instid1(VALU_DEP_1)
	v_mul_f32_e32 v3, v16, v3
	v_dual_add_f32 v3, v8, v3 :: v_dual_mov_b32 v8, 0x3f317218
	s_delay_alu instid0(VALU_DEP_1) | instskip(NEXT) | instid1(VALU_DEP_1)
	v_add_f32_e32 v13, v12, v3
	v_mul_f32_e32 v9, v13, v13
	s_delay_alu instid0(VALU_DEP_1) | instskip(SKIP_1) | instid1(VALU_DEP_2)
	v_fmaak_f32 v15, s7, v9, 0x3ecc95a3
	v_mul_f32_e32 v11, v13, v9
	v_fmaak_f32 v9, v9, v15, 0x3f2aaada
	s_delay_alu instid0(VALU_DEP_1) | instskip(NEXT) | instid1(VALU_DEP_1)
	v_pk_mul_f32 v[8:9], v[10:11], v[8:9]
	v_fma_f32 v14, 0x3f317218, v10, -v8
	s_delay_alu instid0(VALU_DEP_1) | instskip(SKIP_1) | instid1(VALU_DEP_1)
	v_fmamk_f32 v10, v10, 0xb102e308, v14
	v_sub_f32_e32 v14, v13, v12
	v_sub_f32_e32 v3, v3, v14
	v_ldexp_f32 v11, v13, 1
	v_mov_b32_e32 v14, v8
	s_delay_alu instid0(VALU_DEP_3) | instskip(NEXT) | instid1(VALU_DEP_3)
	v_ldexp_f32 v3, v3, 1
	v_pk_add_f32 v[12:13], v[8:9], v[10:11]
	s_delay_alu instid0(VALU_DEP_1) | instskip(NEXT) | instid1(VALU_DEP_1)
	v_dual_sub_f32 v11, v13, v11 :: v_dual_mov_b32 v22, v13
	v_sub_f32_e32 v11, v9, v11
	s_delay_alu instid0(VALU_DEP_3) | instskip(NEXT) | instid1(VALU_DEP_2)
	v_pk_add_f32 v[8:9], v[12:13], v[8:9] neg_lo:[0,1] neg_hi:[0,1]
	v_dual_add_f32 v15, v3, v11 :: v_dual_mov_b32 v11, v12
	s_delay_alu instid0(VALU_DEP_1) | instskip(NEXT) | instid1(VALU_DEP_1)
	v_pk_add_f32 v[16:17], v[12:13], v[14:15]
	v_mov_b32_e32 v9, v17
	s_delay_alu instid0(VALU_DEP_1) | instskip(SKIP_2) | instid1(VALU_DEP_3)
	v_pk_add_f32 v[18:19], v[10:11], v[8:9]
	v_mov_b32_e32 v18, v17
	v_pk_add_f32 v[8:9], v[10:11], v[8:9] neg_lo:[0,1] neg_hi:[0,1]
	v_dual_mov_b32 v14, v19 :: v_dual_mov_b32 v9, v19
	s_delay_alu instid0(VALU_DEP_1) | instskip(SKIP_1) | instid1(VALU_DEP_2)
	v_pk_add_f32 v[20:21], v[14:15], v[12:13] neg_lo:[0,1] neg_hi:[0,1]
	v_dual_mov_b32 v13, v12 :: v_dual_mov_b32 v12, v15
	v_dual_mov_b32 v3, v20 :: v_dual_mov_b32 v23, v20
	s_delay_alu instid0(VALU_DEP_1) | instskip(NEXT) | instid1(VALU_DEP_2)
	v_pk_add_f32 v[16:17], v[16:17], v[2:3] neg_lo:[0,1] neg_hi:[0,1]
	v_pk_add_f32 v[10:11], v[18:19], v[22:23] neg_lo:[0,1] neg_hi:[0,1]
	v_mov_b32_e32 v16, v8
	s_delay_alu instid0(VALU_DEP_2) | instskip(NEXT) | instid1(VALU_DEP_1)
	v_pk_add_f32 v[10:11], v[12:13], v[10:11] neg_lo:[0,1] neg_hi:[0,1]
	v_pk_add_f32 v[12:13], v[16:17], v[10:11]
	s_delay_alu instid0(VALU_DEP_1) | instskip(NEXT) | instid1(VALU_DEP_1)
	v_mov_b32_e32 v16, v13
	v_pk_add_f32 v[16:17], v[12:13], v[16:17]
	s_delay_alu instid0(VALU_DEP_1) | instskip(NEXT) | instid1(VALU_DEP_1)
	v_pk_add_f32 v[14:15], v[14:15], v[16:17]
	v_mov_b32_e32 v13, v14
	s_delay_alu instid0(VALU_DEP_1) | instskip(NEXT) | instid1(VALU_DEP_1)
	v_pk_add_f32 v[18:19], v[12:13], v[8:9] neg_lo:[0,1] neg_hi:[0,1]
	v_sub_f32_e32 v3, v12, v18
	s_delay_alu instid0(VALU_DEP_1) | instskip(SKIP_1) | instid1(VALU_DEP_1)
	v_sub_f32_e32 v3, v8, v3
	v_mov_b32_e32 v11, v16
	v_pk_add_f32 v[10:11], v[10:11], v[18:19] neg_lo:[0,1] neg_hi:[0,1]
	s_delay_alu instid0(VALU_DEP_1) | instskip(NEXT) | instid1(VALU_DEP_1)
	v_add_f32_e32 v3, v10, v3
	v_add_f32_e32 v3, v3, v11
	s_delay_alu instid0(VALU_DEP_1) | instskip(NEXT) | instid1(VALU_DEP_1)
	v_add_f32_e32 v3, v14, v3
	v_cndmask_b32_e32 v3, 0x7f800000, v3, vcc_lo
	v_cmp_gt_f32_e64 vcc_lo, 0x33800000, |v7|
	s_delay_alu instid0(VALU_DEP_2) | instskip(NEXT) | instid1(VALU_DEP_1)
	v_cndmask_b32_e32 v3, v3, v7, vcc_lo
	v_div_scale_f32 v7, null, s9, s9, v3
	s_delay_alu instid0(VALU_DEP_1) | instskip(SKIP_1) | instid1(TRANS32_DEP_1)
	v_rcp_f32_e32 v8, v7
	v_nop
	v_fma_f32 v9, -v7, v8, 1.0
	s_delay_alu instid0(VALU_DEP_1) | instskip(SKIP_1) | instid1(VALU_DEP_1)
	v_fmac_f32_e32 v8, v9, v8
	v_div_scale_f32 v9, vcc_lo, v3, s9, v3
	v_mul_f32_e32 v10, v9, v8
	s_delay_alu instid0(VALU_DEP_1) | instskip(NEXT) | instid1(VALU_DEP_1)
	v_fma_f32 v11, -v7, v10, v9
	v_fmac_f32_e32 v10, v11, v8
	s_delay_alu instid0(VALU_DEP_1) | instskip(NEXT) | instid1(VALU_DEP_1)
	v_fma_f32 v7, -v7, v10, v9
	v_div_fmas_f32 v7, v7, v8, v10
	s_delay_alu instid0(VALU_DEP_1) | instskip(NEXT) | instid1(VALU_DEP_1)
	v_div_fixup_f32 v3, v7, s9, v3
	v_cvt_f16_f32_e32 v3, v3
.LBB22_15:
	s_or_b32 exec_lo, exec_lo, s6
.LBB22_16:
	s_delay_alu instid0(SALU_CYCLE_1) | instskip(SKIP_2) | instid1(VALU_DEP_1)
	s_or_b32 exec_lo, exec_lo, s3
	v_or_b32_e32 v7, 0x200, v0
	s_mov_b32 s3, exec_lo
	v_cmpx_gt_i32_e64 s2, v7
	s_cbranch_execz .LBB22_20
; %bb.17:
	s_wait_loadcnt 0x0
	v_cvt_f32_f16_e32 v7, v6
	s_mov_b32 s6, exec_lo
	s_delay_alu instid0(VALU_DEP_1) | instskip(NEXT) | instid1(VALU_DEP_1)
	v_mul_f32_e32 v7, s9, v7
	v_cmpx_nlt_f32_e32 s10, v7
	s_cbranch_execz .LBB22_19
; %bb.18:
	v_mul_f32_e32 v6, 0x3fb8aa3b, v7
	v_cmp_ngt_f32_e32 vcc_lo, 0xc2ce8ed0, v7
	s_mov_b32 s7, 0x3e9b6dac
	s_delay_alu instid0(VALU_DEP_2) | instskip(SKIP_1) | instid1(VALU_DEP_1)
	v_rndne_f32_e32 v8, v6
	v_fma_f32 v9, 0x3fb8aa3b, v7, -v6
	v_dual_sub_f32 v6, v6, v8 :: v_dual_fmamk_f32 v9, v7, 0x32a5705f, v9
	v_cvt_i32_f32_e32 v8, v8
	s_delay_alu instid0(VALU_DEP_2) | instskip(NEXT) | instid1(VALU_DEP_1)
	v_add_f32_e32 v6, v6, v9
	v_exp_f32_e32 v6, v6
	v_nop
	s_delay_alu instid0(TRANS32_DEP_1) | instskip(NEXT) | instid1(VALU_DEP_1)
	v_ldexp_f32 v6, v6, v8
	v_cndmask_b32_e32 v6, 0, v6, vcc_lo
	v_cmp_nlt_f32_e32 vcc_lo, 0x42b17218, v7
	s_delay_alu instid0(VALU_DEP_2) | instskip(NEXT) | instid1(VALU_DEP_1)
	v_cndmask_b32_e32 v22, 0x7f800000, v6, vcc_lo
	v_add_f32_e32 v8, 1.0, v22
	s_delay_alu instid0(VALU_DEP_1) | instskip(NEXT) | instid1(VALU_DEP_1)
	v_cvt_f64_f32_e32 v[6:7], v8
	v_frexp_exp_i32_f64_e32 v6, v[6:7]
	v_frexp_mant_f32_e32 v7, v8
	s_delay_alu instid0(VALU_DEP_1) | instskip(NEXT) | instid1(VALU_DEP_3)
	v_cmp_gt_f32_e32 vcc_lo, 0x3f2aaaab, v7
	v_subrev_co_ci_u32_e64 v12, null, 0, v6, vcc_lo
	v_add_f32_e32 v6, -1.0, v8
	s_delay_alu instid0(VALU_DEP_2) | instskip(NEXT) | instid1(VALU_DEP_2)
	v_sub_nc_u32_e32 v7, 0, v12
	v_sub_f32_e32 v9, v6, v8
	v_cmp_neq_f32_e32 vcc_lo, 0x7f800000, v22
	s_delay_alu instid0(VALU_DEP_3) | instskip(NEXT) | instid1(VALU_DEP_1)
	v_ldexp_f32 v8, v8, v7
	v_dual_add_f32 v9, 1.0, v9 :: v_dual_add_f32 v10, 1.0, v8
	v_dual_sub_f32 v6, v22, v6 :: v_dual_add_f32 v11, -1.0, v8
	s_delay_alu instid0(VALU_DEP_1) | instskip(NEXT) | instid1(VALU_DEP_1)
	v_dual_add_f32 v6, v6, v9 :: v_dual_add_f32 v9, -1.0, v10
	v_ldexp_f32 v6, v6, v7
	s_delay_alu instid0(VALU_DEP_2) | instskip(NEXT) | instid1(VALU_DEP_1)
	v_dual_sub_f32 v7, v8, v9 :: v_dual_add_f32 v9, 1.0, v11
	v_dual_add_f32 v13, v6, v7 :: v_dual_sub_f32 v7, v8, v9
	s_delay_alu instid0(VALU_DEP_1) | instskip(NEXT) | instid1(VALU_DEP_1)
	v_add_f32_e32 v15, v6, v7
	v_dual_add_f32 v14, v10, v13 :: v_dual_add_f32 v7, v11, v15
	s_delay_alu instid0(VALU_DEP_1) | instskip(NEXT) | instid1(VALU_DEP_1)
	v_rcp_f32_e32 v16, v14
	v_sub_f32_e32 v18, v11, v7
	s_delay_alu instid0(TRANS32_DEP_1) | instskip(NEXT) | instid1(VALU_DEP_1)
	v_mul_f32_e32 v17, v7, v16
	v_mul_f32_e32 v8, v14, v17
	s_delay_alu instid0(VALU_DEP_1) | instskip(NEXT) | instid1(VALU_DEP_1)
	v_dual_sub_f32 v6, v10, v14 :: v_dual_fma_f32 v10, v17, v14, -v8
	v_add_f32_e32 v13, v13, v6
	s_delay_alu instid0(VALU_DEP_1) | instskip(NEXT) | instid1(VALU_DEP_1)
	v_fmac_f32_e32 v10, v17, v13
	v_add_f32_e32 v6, v8, v10
	s_delay_alu instid0(VALU_DEP_1) | instskip(NEXT) | instid1(VALU_DEP_1)
	v_dual_sub_f32 v9, v7, v6 :: v_dual_mov_b32 v11, v6
	v_pk_add_f32 v[6:7], v[6:7], v[8:9] neg_lo:[0,1] neg_hi:[0,1]
	v_add_f32_e32 v8, v15, v18
	s_delay_alu instid0(VALU_DEP_2) | instskip(NEXT) | instid1(VALU_DEP_1)
	v_pk_add_f32 v[6:7], v[6:7], v[10:11] neg_lo:[0,1] neg_hi:[0,1]
	v_add_f32_e32 v7, v8, v7
	s_delay_alu instid0(VALU_DEP_1) | instskip(NEXT) | instid1(VALU_DEP_1)
	v_add_f32_e32 v15, v6, v7
	v_add_f32_e32 v7, v9, v15
	s_delay_alu instid0(VALU_DEP_1) | instskip(NEXT) | instid1(VALU_DEP_1)
	v_mul_f32_e32 v18, v16, v7
	v_mul_f32_e32 v10, v14, v18
	s_delay_alu instid0(VALU_DEP_1) | instskip(NEXT) | instid1(VALU_DEP_1)
	v_fma_f32 v8, v18, v14, -v10
	v_dual_fmac_f32 v8, v18, v13 :: v_dual_sub_f32 v13, v9, v7
	s_delay_alu instid0(VALU_DEP_1) | instskip(NEXT) | instid1(VALU_DEP_1)
	v_add_f32_e32 v6, v10, v8
	v_dual_sub_f32 v11, v7, v6 :: v_dual_mov_b32 v9, v6
	s_delay_alu instid0(VALU_DEP_1) | instskip(NEXT) | instid1(VALU_DEP_4)
	v_pk_add_f32 v[6:7], v[6:7], v[10:11] neg_lo:[0,1] neg_hi:[0,1]
	v_add_f32_e32 v10, v15, v13
	s_delay_alu instid0(VALU_DEP_2) | instskip(SKIP_1) | instid1(VALU_DEP_2)
	v_pk_add_f32 v[6:7], v[6:7], v[8:9] neg_lo:[0,1] neg_hi:[0,1]
	v_cvt_f32_i32_e32 v8, v12
	v_dual_add_f32 v7, v10, v7 :: v_dual_add_f32 v10, v17, v18
	s_delay_alu instid0(VALU_DEP_1) | instskip(NEXT) | instid1(VALU_DEP_1)
	v_add_f32_e32 v6, v6, v7
	v_dual_sub_f32 v7, v10, v17 :: v_dual_add_f32 v6, v11, v6
	s_delay_alu instid0(VALU_DEP_1) | instskip(NEXT) | instid1(VALU_DEP_1)
	v_dual_sub_f32 v7, v18, v7 :: v_dual_mul_f32 v6, v16, v6
	v_dual_add_f32 v13, v7, v6 :: v_dual_mov_b32 v6, 0x3f317218
	s_delay_alu instid0(VALU_DEP_1) | instskip(NEXT) | instid1(VALU_DEP_1)
	v_add_f32_e32 v11, v10, v13
	v_mul_f32_e32 v7, v11, v11
	s_delay_alu instid0(VALU_DEP_1) | instskip(NEXT) | instid1(VALU_DEP_1)
	v_dual_fmaak_f32 v14, s7, v7, 0x3ecc95a3 :: v_dual_mul_f32 v9, v11, v7
	v_fmaak_f32 v7, v7, v14, 0x3f2aaada
	s_delay_alu instid0(VALU_DEP_1) | instskip(SKIP_1) | instid1(VALU_DEP_2)
	v_pk_mul_f32 v[6:7], v[8:9], v[6:7]
	v_ldexp_f32 v9, v11, 1
	v_fma_f32 v12, 0x3f317218, v8, -v6
	s_delay_alu instid0(VALU_DEP_1) | instskip(SKIP_1) | instid1(VALU_DEP_2)
	v_fmamk_f32 v8, v8, 0xb102e308, v12
	v_sub_f32_e32 v12, v11, v10
	v_pk_add_f32 v[10:11], v[6:7], v[8:9]
	s_delay_alu instid0(VALU_DEP_1) | instskip(NEXT) | instid1(VALU_DEP_1)
	v_dual_sub_f32 v9, v11, v9 :: v_dual_sub_f32 v12, v13, v12
	v_sub_f32_e32 v9, v7, v9
	s_delay_alu instid0(VALU_DEP_2) | instskip(SKIP_2) | instid1(VALU_DEP_3)
	v_ldexp_f32 v13, v12, 1
	v_mov_b32_e32 v12, v6
	v_pk_add_f32 v[6:7], v[10:11], v[6:7] neg_lo:[0,1] neg_hi:[0,1]
	v_dual_add_f32 v13, v13, v9 :: v_dual_mov_b32 v9, v10
	s_delay_alu instid0(VALU_DEP_1) | instskip(NEXT) | instid1(VALU_DEP_1)
	v_pk_add_f32 v[14:15], v[10:11], v[12:13]
	v_dual_mov_b32 v20, v11 :: v_dual_mov_b32 v7, v15
	s_delay_alu instid0(VALU_DEP_1) | instskip(NEXT) | instid1(VALU_DEP_1)
	v_pk_add_f32 v[16:17], v[8:9], v[6:7]
	v_dual_mov_b32 v16, v15 :: v_dual_mov_b32 v12, v17
	v_pk_add_f32 v[6:7], v[8:9], v[6:7] neg_lo:[0,1] neg_hi:[0,1]
	v_mov_b32_e32 v7, v17
	s_delay_alu instid0(VALU_DEP_3) | instskip(SKIP_1) | instid1(VALU_DEP_2)
	v_pk_add_f32 v[18:19], v[12:13], v[10:11] neg_lo:[0,1] neg_hi:[0,1]
	v_dual_mov_b32 v11, v10 :: v_dual_mov_b32 v10, v13
	v_dual_mov_b32 v13, v18 :: v_dual_mov_b32 v21, v18
	s_delay_alu instid0(VALU_DEP_1) | instskip(NEXT) | instid1(VALU_DEP_2)
	v_pk_add_f32 v[14:15], v[14:15], v[12:13] neg_lo:[0,1] neg_hi:[0,1]
	v_pk_add_f32 v[8:9], v[16:17], v[20:21] neg_lo:[0,1] neg_hi:[0,1]
	v_mov_b32_e32 v14, v6
	s_delay_alu instid0(VALU_DEP_2) | instskip(NEXT) | instid1(VALU_DEP_1)
	v_pk_add_f32 v[8:9], v[10:11], v[8:9] neg_lo:[0,1] neg_hi:[0,1]
	v_pk_add_f32 v[10:11], v[14:15], v[8:9]
	s_delay_alu instid0(VALU_DEP_1) | instskip(NEXT) | instid1(VALU_DEP_1)
	v_mov_b32_e32 v14, v11
	v_pk_add_f32 v[14:15], v[10:11], v[14:15]
	s_delay_alu instid0(VALU_DEP_1) | instskip(NEXT) | instid1(VALU_DEP_1)
	v_pk_add_f32 v[12:13], v[12:13], v[14:15]
	v_mov_b32_e32 v11, v12
	s_delay_alu instid0(VALU_DEP_1) | instskip(NEXT) | instid1(VALU_DEP_1)
	v_pk_add_f32 v[16:17], v[10:11], v[6:7] neg_lo:[0,1] neg_hi:[0,1]
	v_sub_f32_e32 v7, v10, v16
	s_delay_alu instid0(VALU_DEP_1) | instskip(SKIP_1) | instid1(VALU_DEP_1)
	v_sub_f32_e32 v6, v6, v7
	v_mov_b32_e32 v9, v14
	v_pk_add_f32 v[8:9], v[8:9], v[16:17] neg_lo:[0,1] neg_hi:[0,1]
	s_delay_alu instid0(VALU_DEP_1) | instskip(NEXT) | instid1(VALU_DEP_1)
	v_add_f32_e32 v6, v8, v6
	v_add_f32_e32 v6, v6, v9
	s_delay_alu instid0(VALU_DEP_1) | instskip(NEXT) | instid1(VALU_DEP_1)
	v_add_f32_e32 v6, v12, v6
	v_cndmask_b32_e32 v6, 0x7f800000, v6, vcc_lo
	v_cmp_gt_f32_e64 vcc_lo, 0x33800000, |v22|
	s_delay_alu instid0(VALU_DEP_2) | instskip(NEXT) | instid1(VALU_DEP_1)
	v_cndmask_b32_e32 v6, v6, v22, vcc_lo
	v_div_scale_f32 v7, null, s9, s9, v6
	s_delay_alu instid0(VALU_DEP_1) | instskip(SKIP_1) | instid1(TRANS32_DEP_1)
	v_rcp_f32_e32 v8, v7
	v_nop
	v_fma_f32 v9, -v7, v8, 1.0
	s_delay_alu instid0(VALU_DEP_1) | instskip(SKIP_1) | instid1(VALU_DEP_1)
	v_fmac_f32_e32 v8, v9, v8
	v_div_scale_f32 v9, vcc_lo, v6, s9, v6
	v_mul_f32_e32 v10, v9, v8
	s_delay_alu instid0(VALU_DEP_1) | instskip(NEXT) | instid1(VALU_DEP_1)
	v_fma_f32 v11, -v7, v10, v9
	v_fmac_f32_e32 v10, v11, v8
	s_delay_alu instid0(VALU_DEP_1) | instskip(NEXT) | instid1(VALU_DEP_1)
	v_fma_f32 v7, -v7, v10, v9
	v_div_fmas_f32 v7, v7, v8, v10
	s_delay_alu instid0(VALU_DEP_1) | instskip(NEXT) | instid1(VALU_DEP_1)
	v_div_fixup_f32 v6, v7, s9, v6
	v_cvt_f16_f32_e32 v6, v6
.LBB22_19:
	s_or_b32 exec_lo, exec_lo, s6
.LBB22_20:
	s_delay_alu instid0(SALU_CYCLE_1) | instskip(SKIP_2) | instid1(VALU_DEP_1)
	s_or_b32 exec_lo, exec_lo, s3
	v_or_b32_e32 v7, 0x300, v0
	s_mov_b32 s3, exec_lo
	v_cmpx_gt_i32_e64 s2, v7
	s_cbranch_execnz .LBB22_26
; %bb.21:
	s_or_b32 exec_lo, exec_lo, s3
	s_and_saveexec_b32 s3, s0
	s_delay_alu instid0(SALU_CYCLE_1)
	s_xor_b32 s0, exec_lo, s3
	s_cbranch_execnz .LBB22_29
.LBB22_22:
	s_or_b32 exec_lo, exec_lo, s0
	s_delay_alu instid0(SALU_CYCLE_1)
	s_mov_b32 s0, exec_lo
	v_cmpx_gt_i32_e64 s2, v0
	s_cbranch_execnz .LBB22_30
.LBB22_23:
	s_or_b32 exec_lo, exec_lo, s0
	s_delay_alu instid0(SALU_CYCLE_1)
	s_mov_b32 s0, exec_lo
	v_cmpx_gt_i32_e64 s2, v0
	s_cbranch_execnz .LBB22_31
.LBB22_24:
	s_or_b32 exec_lo, exec_lo, s0
	s_delay_alu instid0(SALU_CYCLE_1)
	s_mov_b32 s0, exec_lo
	v_cmpx_gt_i32_e64 s2, v0
	s_cbranch_execnz .LBB22_32
.LBB22_25:
	s_endpgm
.LBB22_26:
	s_wait_loadcnt 0x0
	v_cvt_f32_f16_e32 v7, v4
	s_mov_b32 s6, exec_lo
	s_delay_alu instid0(VALU_DEP_1) | instskip(NEXT) | instid1(VALU_DEP_1)
	v_mul_f32_e32 v7, s9, v7
	v_cmpx_nlt_f32_e32 s10, v7
	s_cbranch_execz .LBB22_28
; %bb.27:
	v_mul_f32_e32 v4, 0x3fb8aa3b, v7
	v_cmp_ngt_f32_e32 vcc_lo, 0xc2ce8ed0, v7
	s_mov_b32 s7, 0x3e9b6dac
	s_delay_alu instid0(VALU_DEP_2) | instskip(SKIP_1) | instid1(VALU_DEP_1)
	v_rndne_f32_e32 v8, v4
	v_fma_f32 v9, 0x3fb8aa3b, v7, -v4
	v_dual_sub_f32 v4, v4, v8 :: v_dual_fmamk_f32 v9, v7, 0x32a5705f, v9
	v_cvt_i32_f32_e32 v8, v8
	s_delay_alu instid0(VALU_DEP_2) | instskip(NEXT) | instid1(VALU_DEP_1)
	v_add_f32_e32 v4, v4, v9
	v_exp_f32_e32 v4, v4
	v_nop
	s_delay_alu instid0(TRANS32_DEP_1) | instskip(NEXT) | instid1(VALU_DEP_1)
	v_ldexp_f32 v4, v4, v8
	v_cndmask_b32_e32 v4, 0, v4, vcc_lo
	v_cmp_nlt_f32_e32 vcc_lo, 0x42b17218, v7
	s_delay_alu instid0(VALU_DEP_2) | instskip(NEXT) | instid1(VALU_DEP_1)
	v_cndmask_b32_e32 v24, 0x7f800000, v4, vcc_lo
	v_add_f32_e32 v4, 1.0, v24
	s_delay_alu instid0(VALU_DEP_1) | instskip(NEXT) | instid1(VALU_DEP_1)
	v_cvt_f64_f32_e32 v[8:9], v4
	v_frexp_exp_i32_f64_e32 v7, v[8:9]
	v_frexp_mant_f32_e32 v8, v4
	s_delay_alu instid0(VALU_DEP_1) | instskip(SKIP_1) | instid1(VALU_DEP_1)
	v_cmp_gt_f32_e32 vcc_lo, 0x3f2aaaab, v8
	v_add_f32_e32 v8, -1.0, v4
	v_sub_f32_e32 v10, v8, v4
	s_delay_alu instid0(VALU_DEP_1) | instskip(SKIP_1) | instid1(VALU_DEP_1)
	v_add_f32_e32 v10, 1.0, v10
	v_subrev_co_ci_u32_e64 v7, null, 0, v7, vcc_lo
	v_sub_nc_u32_e32 v9, 0, v7
	s_delay_alu instid0(VALU_DEP_1) | instskip(NEXT) | instid1(VALU_DEP_1)
	v_ldexp_f32 v4, v4, v9
	v_dual_add_f32 v11, 1.0, v4 :: v_dual_add_f32 v13, -1.0, v4
	v_sub_f32_e32 v8, v24, v8
	v_cmp_neq_f32_e32 vcc_lo, 0x7f800000, v24
	s_delay_alu instid0(VALU_DEP_2) | instskip(NEXT) | instid1(VALU_DEP_1)
	v_dual_add_f32 v8, v8, v10 :: v_dual_add_f32 v10, -1.0, v11
	v_ldexp_f32 v8, v8, v9
	s_delay_alu instid0(VALU_DEP_2) | instskip(NEXT) | instid1(VALU_DEP_1)
	v_dual_sub_f32 v9, v4, v10 :: v_dual_add_f32 v10, 1.0, v13
	v_sub_f32_e32 v4, v4, v10
	s_delay_alu instid0(VALU_DEP_1) | instskip(NEXT) | instid1(VALU_DEP_1)
	v_dual_add_f32 v12, v8, v9 :: v_dual_add_f32 v4, v8, v4
	v_add_f32_e32 v9, v13, v4
	s_delay_alu instid0(VALU_DEP_2) | instskip(NEXT) | instid1(VALU_DEP_1)
	v_add_f32_e32 v14, v11, v12
	v_rcp_f32_e32 v15, v14
	v_nop
	s_delay_alu instid0(TRANS32_DEP_1) | instskip(NEXT) | instid1(VALU_DEP_1)
	v_dual_mul_f32 v16, v9, v15 :: v_dual_sub_f32 v8, v11, v14
	v_add_f32_e32 v17, v12, v8
	s_delay_alu instid0(VALU_DEP_2) | instskip(NEXT) | instid1(VALU_DEP_1)
	v_mul_f32_e32 v10, v14, v16
	v_dual_fma_f32 v12, v16, v14, -v10 :: v_dual_sub_f32 v18, v13, v9
	s_delay_alu instid0(VALU_DEP_1) | instskip(NEXT) | instid1(VALU_DEP_1)
	v_fmac_f32_e32 v12, v16, v17
	v_dual_add_f32 v4, v4, v18 :: v_dual_add_f32 v8, v10, v12
	s_delay_alu instid0(VALU_DEP_1) | instskip(NEXT) | instid1(VALU_DEP_1)
	v_dual_sub_f32 v11, v9, v8 :: v_dual_mov_b32 v13, v8
	v_pk_add_f32 v[8:9], v[8:9], v[10:11] neg_lo:[0,1] neg_hi:[0,1]
	s_delay_alu instid0(VALU_DEP_1) | instskip(NEXT) | instid1(VALU_DEP_1)
	v_pk_add_f32 v[8:9], v[8:9], v[12:13] neg_lo:[0,1] neg_hi:[0,1]
	v_add_f32_e32 v4, v4, v9
	s_delay_alu instid0(VALU_DEP_1) | instskip(NEXT) | instid1(VALU_DEP_1)
	v_add_f32_e32 v4, v8, v4
	v_add_f32_e32 v9, v11, v4
	s_delay_alu instid0(VALU_DEP_1) | instskip(NEXT) | instid1(VALU_DEP_1)
	v_mul_f32_e32 v18, v15, v9
	v_mul_f32_e32 v12, v14, v18
	s_delay_alu instid0(VALU_DEP_1) | instskip(NEXT) | instid1(VALU_DEP_1)
	v_dual_fma_f32 v10, v18, v14, -v12 :: v_dual_sub_f32 v14, v11, v9
	v_dual_fmac_f32 v10, v18, v17 :: v_dual_add_f32 v4, v4, v14
	s_delay_alu instid0(VALU_DEP_1) | instskip(NEXT) | instid1(VALU_DEP_1)
	v_add_f32_e32 v8, v12, v10
	v_dual_sub_f32 v13, v9, v8 :: v_dual_mov_b32 v11, v8
	s_delay_alu instid0(VALU_DEP_1) | instskip(NEXT) | instid1(VALU_DEP_1)
	v_pk_add_f32 v[8:9], v[8:9], v[12:13] neg_lo:[0,1] neg_hi:[0,1]
	v_pk_add_f32 v[8:9], v[8:9], v[10:11] neg_lo:[0,1] neg_hi:[0,1]
	v_cvt_f32_i32_e32 v10, v7
	s_delay_alu instid0(VALU_DEP_2) | instskip(NEXT) | instid1(VALU_DEP_1)
	v_add_f32_e32 v4, v4, v9
	v_add_f32_e32 v4, v8, v4
	s_delay_alu instid0(VALU_DEP_1) | instskip(NEXT) | instid1(VALU_DEP_1)
	v_dual_add_f32 v12, v16, v18 :: v_dual_add_f32 v4, v13, v4
	v_sub_f32_e32 v8, v12, v16
	s_delay_alu instid0(VALU_DEP_2) | instskip(NEXT) | instid1(VALU_DEP_2)
	v_mul_f32_e32 v4, v15, v4
	v_sub_f32_e32 v8, v18, v8
	s_delay_alu instid0(VALU_DEP_1) | instskip(NEXT) | instid1(VALU_DEP_1)
	v_add_f32_e32 v4, v8, v4
	v_add_f32_e32 v13, v12, v4
	s_delay_alu instid0(VALU_DEP_1) | instskip(NEXT) | instid1(VALU_DEP_1)
	v_mul_f32_e32 v9, v13, v13
	v_fmaak_f32 v14, s7, v9, 0x3ecc95a3
	v_dual_mov_b32 v8, 0x3f317218 :: v_dual_mul_f32 v11, v13, v9
	s_delay_alu instid0(VALU_DEP_2) | instskip(NEXT) | instid1(VALU_DEP_1)
	v_fmaak_f32 v9, v9, v14, 0x3f2aaada
	v_pk_mul_f32 v[8:9], v[10:11], v[8:9]
	v_ldexp_f32 v11, v13, 1
	s_delay_alu instid0(VALU_DEP_2) | instskip(NEXT) | instid1(VALU_DEP_1)
	v_fma_f32 v7, 0x3f317218, v10, -v8
	v_dual_fmamk_f32 v10, v10, 0xb102e308, v7 :: v_dual_sub_f32 v7, v13, v12
	s_delay_alu instid0(VALU_DEP_1) | instskip(NEXT) | instid1(VALU_DEP_2)
	v_pk_add_f32 v[12:13], v[8:9], v[10:11]
	v_sub_f32_e32 v4, v4, v7
	s_delay_alu instid0(VALU_DEP_2) | instskip(NEXT) | instid1(VALU_DEP_2)
	v_dual_mov_b32 v14, v8 :: v_dual_sub_f32 v7, v13, v11
	v_ldexp_f32 v4, v4, 1
	s_delay_alu instid0(VALU_DEP_2) | instskip(SKIP_1) | instid1(VALU_DEP_2)
	v_dual_mov_b32 v11, v12 :: v_dual_sub_f32 v7, v9, v7
	v_pk_add_f32 v[8:9], v[12:13], v[8:9] neg_lo:[0,1] neg_hi:[0,1]
	v_add_f32_e32 v15, v4, v7
	s_delay_alu instid0(VALU_DEP_1) | instskip(NEXT) | instid1(VALU_DEP_1)
	v_pk_add_f32 v[16:17], v[12:13], v[14:15]
	v_dual_mov_b32 v22, v13 :: v_dual_mov_b32 v9, v17
	s_delay_alu instid0(VALU_DEP_1) | instskip(SKIP_2) | instid1(VALU_DEP_3)
	v_pk_add_f32 v[18:19], v[10:11], v[8:9]
	v_mov_b32_e32 v18, v17
	v_pk_add_f32 v[8:9], v[10:11], v[8:9] neg_lo:[0,1] neg_hi:[0,1]
	v_dual_mov_b32 v4, v19 :: v_dual_mov_b32 v9, v19
	s_delay_alu instid0(VALU_DEP_1) | instskip(SKIP_1) | instid1(VALU_DEP_2)
	v_pk_add_f32 v[20:21], v[4:5], v[12:13] neg_lo:[0,1] neg_hi:[0,1]
	v_dual_mov_b32 v13, v12 :: v_dual_mov_b32 v12, v15
	v_dual_mov_b32 v7, v20 :: v_dual_mov_b32 v23, v20
	s_delay_alu instid0(VALU_DEP_1) | instskip(NEXT) | instid1(VALU_DEP_2)
	v_pk_add_f32 v[14:15], v[16:17], v[6:7] neg_lo:[0,1] neg_hi:[0,1]
	v_pk_add_f32 v[10:11], v[18:19], v[22:23] neg_lo:[0,1] neg_hi:[0,1]
	v_mov_b32_e32 v14, v8
	s_delay_alu instid0(VALU_DEP_2) | instskip(NEXT) | instid1(VALU_DEP_1)
	v_pk_add_f32 v[10:11], v[12:13], v[10:11] neg_lo:[0,1] neg_hi:[0,1]
	v_pk_add_f32 v[12:13], v[14:15], v[10:11]
	s_delay_alu instid0(VALU_DEP_1) | instskip(NEXT) | instid1(VALU_DEP_1)
	v_mov_b32_e32 v14, v13
	v_pk_add_f32 v[14:15], v[12:13], v[14:15]
	s_delay_alu instid0(VALU_DEP_1) | instskip(NEXT) | instid1(VALU_DEP_1)
	v_pk_add_f32 v[16:17], v[4:5], v[14:15]
	v_mov_b32_e32 v13, v16
	s_delay_alu instid0(VALU_DEP_1) | instskip(NEXT) | instid1(VALU_DEP_1)
	v_pk_add_f32 v[18:19], v[12:13], v[8:9] neg_lo:[0,1] neg_hi:[0,1]
	v_dual_mov_b32 v11, v14 :: v_dual_sub_f32 v4, v12, v18
	s_delay_alu instid0(VALU_DEP_1) | instskip(NEXT) | instid1(VALU_DEP_2)
	v_pk_add_f32 v[10:11], v[10:11], v[18:19] neg_lo:[0,1] neg_hi:[0,1]
	v_sub_f32_e32 v4, v8, v4
	s_delay_alu instid0(VALU_DEP_1) | instskip(NEXT) | instid1(VALU_DEP_1)
	v_add_f32_e32 v4, v10, v4
	v_add_f32_e32 v4, v4, v11
	s_delay_alu instid0(VALU_DEP_1) | instskip(NEXT) | instid1(VALU_DEP_1)
	v_add_f32_e32 v4, v16, v4
	v_cndmask_b32_e32 v4, 0x7f800000, v4, vcc_lo
	v_cmp_gt_f32_e64 vcc_lo, 0x33800000, |v24|
	s_delay_alu instid0(VALU_DEP_2) | instskip(NEXT) | instid1(VALU_DEP_1)
	v_cndmask_b32_e32 v4, v4, v24, vcc_lo
	v_div_scale_f32 v7, null, s9, s9, v4
	s_delay_alu instid0(VALU_DEP_1) | instskip(SKIP_1) | instid1(TRANS32_DEP_1)
	v_rcp_f32_e32 v8, v7
	v_nop
	v_fma_f32 v9, -v7, v8, 1.0
	s_delay_alu instid0(VALU_DEP_1) | instskip(SKIP_1) | instid1(VALU_DEP_1)
	v_fmac_f32_e32 v8, v9, v8
	v_div_scale_f32 v9, vcc_lo, v4, s9, v4
	v_mul_f32_e32 v10, v9, v8
	s_delay_alu instid0(VALU_DEP_1) | instskip(NEXT) | instid1(VALU_DEP_1)
	v_fma_f32 v11, -v7, v10, v9
	v_fmac_f32_e32 v10, v11, v8
	s_delay_alu instid0(VALU_DEP_1) | instskip(NEXT) | instid1(VALU_DEP_1)
	v_fma_f32 v7, -v7, v10, v9
	v_div_fmas_f32 v7, v7, v8, v10
	s_delay_alu instid0(VALU_DEP_1) | instskip(NEXT) | instid1(VALU_DEP_1)
	v_div_fixup_f32 v4, v7, s9, v4
	v_cvt_f16_f32_e32 v4, v4
.LBB22_28:
	s_or_b32 exec_lo, exec_lo, s6
	s_delay_alu instid0(SALU_CYCLE_1) | instskip(SKIP_1) | instid1(SALU_CYCLE_1)
	s_or_b32 exec_lo, exec_lo, s3
	s_and_saveexec_b32 s3, s0
	s_xor_b32 s0, exec_lo, s3
	s_cbranch_execz .LBB22_22
.LBB22_29:
	v_mov_b32_e32 v0, v1
	s_wait_loadcnt 0x0
	global_store_b16 v2, v5, s[4:5] scale_offset
	s_wait_xcnt 0x0
	s_or_b32 exec_lo, exec_lo, s0
	s_delay_alu instid0(SALU_CYCLE_1)
	s_mov_b32 s0, exec_lo
	v_cmpx_gt_i32_e64 s2, v0
	s_cbranch_execz .LBB22_23
.LBB22_30:
	v_add_nc_u32_e32 v1, 0x100, v0
	s_delay_alu instid0(VALU_DEP_1) | instskip(SKIP_4) | instid1(SALU_CYCLE_1)
	v_dual_add_nc_u32 v2, s1, v0 :: v_dual_mov_b32 v0, v1
	s_wait_loadcnt 0x0
	global_store_b16 v2, v3, s[4:5] scale_offset
	s_wait_xcnt 0x0
	s_or_b32 exec_lo, exec_lo, s0
	s_mov_b32 s0, exec_lo
	v_cmpx_gt_i32_e64 s2, v0
	s_cbranch_execz .LBB22_24
.LBB22_31:
	v_add_nc_u32_e32 v1, 0x100, v0
	s_delay_alu instid0(VALU_DEP_1) | instskip(SKIP_4) | instid1(SALU_CYCLE_1)
	v_dual_add_nc_u32 v2, s1, v0 :: v_dual_mov_b32 v0, v1
	s_wait_loadcnt 0x0
	global_store_b16 v2, v6, s[4:5] scale_offset
	s_wait_xcnt 0x0
	s_or_b32 exec_lo, exec_lo, s0
	s_mov_b32 s0, exec_lo
	v_cmpx_gt_i32_e64 s2, v0
	s_cbranch_execz .LBB22_25
.LBB22_32:
	v_add_nc_u32_e32 v0, s1, v0
	s_wait_loadcnt 0x0
	global_store_b16 v0, v4, s[4:5] scale_offset
	s_endpgm
	.section	.rodata,"a",@progbits
	.p2align	6, 0x0
	.amdhsa_kernel _ZN2at6native27unrolled_elementwise_kernelIZZZNS0_12_GLOBAL__N_115softplus_kernelERNS_18TensorIteratorBaseERKN3c106ScalarES8_ENKUlvE_clEvENKUlvE1_clEvEUlNS5_4HalfEE_St5arrayIPcLm2EELi4E23TrivialOffsetCalculatorILi1EjESH_NS0_6memory15LoadWithoutCastENSI_16StoreWithoutCastEEEviT_T0_T2_T3_T4_T5_
		.amdhsa_group_segment_fixed_size 0
		.amdhsa_private_segment_fixed_size 0
		.amdhsa_kernarg_size 36
		.amdhsa_user_sgpr_count 2
		.amdhsa_user_sgpr_dispatch_ptr 0
		.amdhsa_user_sgpr_queue_ptr 0
		.amdhsa_user_sgpr_kernarg_segment_ptr 1
		.amdhsa_user_sgpr_dispatch_id 0
		.amdhsa_user_sgpr_kernarg_preload_length 0
		.amdhsa_user_sgpr_kernarg_preload_offset 0
		.amdhsa_user_sgpr_private_segment_size 0
		.amdhsa_wavefront_size32 1
		.amdhsa_uses_dynamic_stack 0
		.amdhsa_enable_private_segment 0
		.amdhsa_system_sgpr_workgroup_id_x 1
		.amdhsa_system_sgpr_workgroup_id_y 0
		.amdhsa_system_sgpr_workgroup_id_z 0
		.amdhsa_system_sgpr_workgroup_info 0
		.amdhsa_system_vgpr_workitem_id 0
		.amdhsa_next_free_vgpr 25
		.amdhsa_next_free_sgpr 11
		.amdhsa_named_barrier_count 0
		.amdhsa_reserve_vcc 1
		.amdhsa_float_round_mode_32 0
		.amdhsa_float_round_mode_16_64 0
		.amdhsa_float_denorm_mode_32 3
		.amdhsa_float_denorm_mode_16_64 3
		.amdhsa_fp16_overflow 0
		.amdhsa_memory_ordered 1
		.amdhsa_forward_progress 1
		.amdhsa_inst_pref_size 39
		.amdhsa_round_robin_scheduling 0
		.amdhsa_exception_fp_ieee_invalid_op 0
		.amdhsa_exception_fp_denorm_src 0
		.amdhsa_exception_fp_ieee_div_zero 0
		.amdhsa_exception_fp_ieee_overflow 0
		.amdhsa_exception_fp_ieee_underflow 0
		.amdhsa_exception_fp_ieee_inexact 0
		.amdhsa_exception_int_div_zero 0
	.end_amdhsa_kernel
	.section	.text._ZN2at6native27unrolled_elementwise_kernelIZZZNS0_12_GLOBAL__N_115softplus_kernelERNS_18TensorIteratorBaseERKN3c106ScalarES8_ENKUlvE_clEvENKUlvE1_clEvEUlNS5_4HalfEE_St5arrayIPcLm2EELi4E23TrivialOffsetCalculatorILi1EjESH_NS0_6memory15LoadWithoutCastENSI_16StoreWithoutCastEEEviT_T0_T2_T3_T4_T5_,"axG",@progbits,_ZN2at6native27unrolled_elementwise_kernelIZZZNS0_12_GLOBAL__N_115softplus_kernelERNS_18TensorIteratorBaseERKN3c106ScalarES8_ENKUlvE_clEvENKUlvE1_clEvEUlNS5_4HalfEE_St5arrayIPcLm2EELi4E23TrivialOffsetCalculatorILi1EjESH_NS0_6memory15LoadWithoutCastENSI_16StoreWithoutCastEEEviT_T0_T2_T3_T4_T5_,comdat
.Lfunc_end22:
	.size	_ZN2at6native27unrolled_elementwise_kernelIZZZNS0_12_GLOBAL__N_115softplus_kernelERNS_18TensorIteratorBaseERKN3c106ScalarES8_ENKUlvE_clEvENKUlvE1_clEvEUlNS5_4HalfEE_St5arrayIPcLm2EELi4E23TrivialOffsetCalculatorILi1EjESH_NS0_6memory15LoadWithoutCastENSI_16StoreWithoutCastEEEviT_T0_T2_T3_T4_T5_, .Lfunc_end22-_ZN2at6native27unrolled_elementwise_kernelIZZZNS0_12_GLOBAL__N_115softplus_kernelERNS_18TensorIteratorBaseERKN3c106ScalarES8_ENKUlvE_clEvENKUlvE1_clEvEUlNS5_4HalfEE_St5arrayIPcLm2EELi4E23TrivialOffsetCalculatorILi1EjESH_NS0_6memory15LoadWithoutCastENSI_16StoreWithoutCastEEEviT_T0_T2_T3_T4_T5_
                                        ; -- End function
	.set _ZN2at6native27unrolled_elementwise_kernelIZZZNS0_12_GLOBAL__N_115softplus_kernelERNS_18TensorIteratorBaseERKN3c106ScalarES8_ENKUlvE_clEvENKUlvE1_clEvEUlNS5_4HalfEE_St5arrayIPcLm2EELi4E23TrivialOffsetCalculatorILi1EjESH_NS0_6memory15LoadWithoutCastENSI_16StoreWithoutCastEEEviT_T0_T2_T3_T4_T5_.num_vgpr, 25
	.set _ZN2at6native27unrolled_elementwise_kernelIZZZNS0_12_GLOBAL__N_115softplus_kernelERNS_18TensorIteratorBaseERKN3c106ScalarES8_ENKUlvE_clEvENKUlvE1_clEvEUlNS5_4HalfEE_St5arrayIPcLm2EELi4E23TrivialOffsetCalculatorILi1EjESH_NS0_6memory15LoadWithoutCastENSI_16StoreWithoutCastEEEviT_T0_T2_T3_T4_T5_.num_agpr, 0
	.set _ZN2at6native27unrolled_elementwise_kernelIZZZNS0_12_GLOBAL__N_115softplus_kernelERNS_18TensorIteratorBaseERKN3c106ScalarES8_ENKUlvE_clEvENKUlvE1_clEvEUlNS5_4HalfEE_St5arrayIPcLm2EELi4E23TrivialOffsetCalculatorILi1EjESH_NS0_6memory15LoadWithoutCastENSI_16StoreWithoutCastEEEviT_T0_T2_T3_T4_T5_.numbered_sgpr, 11
	.set _ZN2at6native27unrolled_elementwise_kernelIZZZNS0_12_GLOBAL__N_115softplus_kernelERNS_18TensorIteratorBaseERKN3c106ScalarES8_ENKUlvE_clEvENKUlvE1_clEvEUlNS5_4HalfEE_St5arrayIPcLm2EELi4E23TrivialOffsetCalculatorILi1EjESH_NS0_6memory15LoadWithoutCastENSI_16StoreWithoutCastEEEviT_T0_T2_T3_T4_T5_.num_named_barrier, 0
	.set _ZN2at6native27unrolled_elementwise_kernelIZZZNS0_12_GLOBAL__N_115softplus_kernelERNS_18TensorIteratorBaseERKN3c106ScalarES8_ENKUlvE_clEvENKUlvE1_clEvEUlNS5_4HalfEE_St5arrayIPcLm2EELi4E23TrivialOffsetCalculatorILi1EjESH_NS0_6memory15LoadWithoutCastENSI_16StoreWithoutCastEEEviT_T0_T2_T3_T4_T5_.private_seg_size, 0
	.set _ZN2at6native27unrolled_elementwise_kernelIZZZNS0_12_GLOBAL__N_115softplus_kernelERNS_18TensorIteratorBaseERKN3c106ScalarES8_ENKUlvE_clEvENKUlvE1_clEvEUlNS5_4HalfEE_St5arrayIPcLm2EELi4E23TrivialOffsetCalculatorILi1EjESH_NS0_6memory15LoadWithoutCastENSI_16StoreWithoutCastEEEviT_T0_T2_T3_T4_T5_.uses_vcc, 1
	.set _ZN2at6native27unrolled_elementwise_kernelIZZZNS0_12_GLOBAL__N_115softplus_kernelERNS_18TensorIteratorBaseERKN3c106ScalarES8_ENKUlvE_clEvENKUlvE1_clEvEUlNS5_4HalfEE_St5arrayIPcLm2EELi4E23TrivialOffsetCalculatorILi1EjESH_NS0_6memory15LoadWithoutCastENSI_16StoreWithoutCastEEEviT_T0_T2_T3_T4_T5_.uses_flat_scratch, 0
	.set _ZN2at6native27unrolled_elementwise_kernelIZZZNS0_12_GLOBAL__N_115softplus_kernelERNS_18TensorIteratorBaseERKN3c106ScalarES8_ENKUlvE_clEvENKUlvE1_clEvEUlNS5_4HalfEE_St5arrayIPcLm2EELi4E23TrivialOffsetCalculatorILi1EjESH_NS0_6memory15LoadWithoutCastENSI_16StoreWithoutCastEEEviT_T0_T2_T3_T4_T5_.has_dyn_sized_stack, 0
	.set _ZN2at6native27unrolled_elementwise_kernelIZZZNS0_12_GLOBAL__N_115softplus_kernelERNS_18TensorIteratorBaseERKN3c106ScalarES8_ENKUlvE_clEvENKUlvE1_clEvEUlNS5_4HalfEE_St5arrayIPcLm2EELi4E23TrivialOffsetCalculatorILi1EjESH_NS0_6memory15LoadWithoutCastENSI_16StoreWithoutCastEEEviT_T0_T2_T3_T4_T5_.has_recursion, 0
	.set _ZN2at6native27unrolled_elementwise_kernelIZZZNS0_12_GLOBAL__N_115softplus_kernelERNS_18TensorIteratorBaseERKN3c106ScalarES8_ENKUlvE_clEvENKUlvE1_clEvEUlNS5_4HalfEE_St5arrayIPcLm2EELi4E23TrivialOffsetCalculatorILi1EjESH_NS0_6memory15LoadWithoutCastENSI_16StoreWithoutCastEEEviT_T0_T2_T3_T4_T5_.has_indirect_call, 0
	.section	.AMDGPU.csdata,"",@progbits
; Kernel info:
; codeLenInByte = 4956
; TotalNumSgprs: 13
; NumVgprs: 25
; ScratchSize: 0
; MemoryBound: 0
; FloatMode: 240
; IeeeMode: 1
; LDSByteSize: 0 bytes/workgroup (compile time only)
; SGPRBlocks: 0
; VGPRBlocks: 1
; NumSGPRsForWavesPerEU: 13
; NumVGPRsForWavesPerEU: 25
; NamedBarCnt: 0
; Occupancy: 16
; WaveLimiterHint : 0
; COMPUTE_PGM_RSRC2:SCRATCH_EN: 0
; COMPUTE_PGM_RSRC2:USER_SGPR: 2
; COMPUTE_PGM_RSRC2:TRAP_HANDLER: 0
; COMPUTE_PGM_RSRC2:TGID_X_EN: 1
; COMPUTE_PGM_RSRC2:TGID_Y_EN: 0
; COMPUTE_PGM_RSRC2:TGID_Z_EN: 0
; COMPUTE_PGM_RSRC2:TIDIG_COMP_CNT: 0
	.section	.text._ZN2at6native32elementwise_kernel_manual_unrollILi128ELi8EZNS0_22gpu_kernel_impl_nocastIZZZNS0_12_GLOBAL__N_115softplus_kernelERNS_18TensorIteratorBaseERKN3c106ScalarES9_ENKUlvE_clEvENKUlvE1_clEvEUlNS6_4HalfEE_EEvS5_RKT_EUlibE_EEviT1_,"axG",@progbits,_ZN2at6native32elementwise_kernel_manual_unrollILi128ELi8EZNS0_22gpu_kernel_impl_nocastIZZZNS0_12_GLOBAL__N_115softplus_kernelERNS_18TensorIteratorBaseERKN3c106ScalarES9_ENKUlvE_clEvENKUlvE1_clEvEUlNS6_4HalfEE_EEvS5_RKT_EUlibE_EEviT1_,comdat
	.globl	_ZN2at6native32elementwise_kernel_manual_unrollILi128ELi8EZNS0_22gpu_kernel_impl_nocastIZZZNS0_12_GLOBAL__N_115softplus_kernelERNS_18TensorIteratorBaseERKN3c106ScalarES9_ENKUlvE_clEvENKUlvE1_clEvEUlNS6_4HalfEE_EEvS5_RKT_EUlibE_EEviT1_ ; -- Begin function _ZN2at6native32elementwise_kernel_manual_unrollILi128ELi8EZNS0_22gpu_kernel_impl_nocastIZZZNS0_12_GLOBAL__N_115softplus_kernelERNS_18TensorIteratorBaseERKN3c106ScalarES9_ENKUlvE_clEvENKUlvE1_clEvEUlNS6_4HalfEE_EEvS5_RKT_EUlibE_EEviT1_
	.p2align	8
	.type	_ZN2at6native32elementwise_kernel_manual_unrollILi128ELi8EZNS0_22gpu_kernel_impl_nocastIZZZNS0_12_GLOBAL__N_115softplus_kernelERNS_18TensorIteratorBaseERKN3c106ScalarES9_ENKUlvE_clEvENKUlvE1_clEvEUlNS6_4HalfEE_EEvS5_RKT_EUlibE_EEviT1_,@function
_ZN2at6native32elementwise_kernel_manual_unrollILi128ELi8EZNS0_22gpu_kernel_impl_nocastIZZZNS0_12_GLOBAL__N_115softplus_kernelERNS_18TensorIteratorBaseERKN3c106ScalarES9_ENKUlvE_clEvENKUlvE1_clEvEUlNS6_4HalfEE_EEvS5_RKT_EUlibE_EEviT1_: ; @_ZN2at6native32elementwise_kernel_manual_unrollILi128ELi8EZNS0_22gpu_kernel_impl_nocastIZZZNS0_12_GLOBAL__N_115softplus_kernelERNS_18TensorIteratorBaseERKN3c106ScalarES9_ENKUlvE_clEvENKUlvE1_clEvEUlNS6_4HalfEE_EEvS5_RKT_EUlibE_EEviT1_
; %bb.0:
	s_clause 0x1
	s_load_b32 s30, s[0:1], 0x8
	s_load_b32 s36, s[0:1], 0x0
	s_bfe_u32 s2, ttmp6, 0x4000c
	s_and_b32 s3, ttmp6, 15
	s_add_co_i32 s2, s2, 1
	s_getreg_b32 s4, hwreg(HW_REG_IB_STS2, 6, 4)
	s_mul_i32 s2, ttmp9, s2
	s_add_nc_u64 s[12:13], s[0:1], 8
	s_add_co_i32 s3, s3, s2
	s_cmp_eq_u32 s4, 0
	s_mov_b32 s19, 0
	s_cselect_b32 s2, ttmp9, s3
	s_wait_xcnt 0x0
	s_mov_b32 s0, exec_lo
	v_lshl_or_b32 v0, s2, 10, v0
	s_delay_alu instid0(VALU_DEP_1) | instskip(SKIP_2) | instid1(SALU_CYCLE_1)
	v_or_b32_e32 v16, 0x380, v0
	s_wait_kmcnt 0x0
	s_add_co_i32 s31, s30, -1
	s_cmp_gt_u32 s31, 1
	s_cselect_b32 s33, -1, 0
	v_cmpx_le_i32_e64 s36, v16
	s_xor_b32 s34, exec_lo, s0
	s_cbranch_execz .LBB23_7
; %bb.1:
	s_clause 0x4
	s_load_b128 s[4:7], s[12:13], 0x4
	s_load_b64 s[16:17], s[12:13], 0x14
	s_load_b128 s[8:11], s[12:13], 0xc4
	s_load_b128 s[0:3], s[12:13], 0x148
	s_load_b64 s[14:15], s[12:13], 0x158
	s_cmp_lg_u32 s30, 0
	s_add_nc_u64 s[22:23], s[12:13], 0xc4
	s_cselect_b32 s38, -1, 0
	s_min_u32 s37, s31, 15
	s_cmp_gt_u32 s30, 1
	s_mov_b32 s21, s19
	s_cselect_b32 s35, -1, 0
	s_wait_kmcnt 0x0
	s_mov_b32 s18, s5
	s_mov_b32 s20, s16
	s_mov_b32 s5, exec_lo
	v_cmpx_gt_i32_e64 s36, v0
	s_cbranch_execz .LBB23_14
; %bb.2:
	s_and_not1_b32 vcc_lo, exec_lo, s33
	s_cbranch_vccnz .LBB23_21
; %bb.3:
	s_and_not1_b32 vcc_lo, exec_lo, s38
	s_cbranch_vccnz .LBB23_145
; %bb.4:
	s_add_co_i32 s16, s37, 1
	s_cmp_eq_u32 s31, 2
	s_cbranch_scc1 .LBB23_147
; %bb.5:
	v_dual_mov_b32 v2, 0 :: v_dual_mov_b32 v3, 0
	v_mov_b32_e32 v1, v0
	s_and_b32 s24, s16, 28
	s_mov_b32 s25, 0
	s_mov_b64 s[26:27], s[12:13]
	s_mov_b64 s[28:29], s[22:23]
.LBB23_6:                               ; =>This Inner Loop Header: Depth=1
	s_clause 0x1
	s_load_b256 s[40:47], s[26:27], 0x4
	s_load_b128 s[56:59], s[26:27], 0x24
	s_load_b256 s[48:55], s[28:29], 0x0
	s_add_co_i32 s25, s25, 4
	s_wait_xcnt 0x0
	s_add_nc_u64 s[26:27], s[26:27], 48
	s_cmp_lg_u32 s24, s25
	s_add_nc_u64 s[28:29], s[28:29], 32
	s_wait_kmcnt 0x0
	v_mul_hi_u32 v4, s41, v1
	s_delay_alu instid0(VALU_DEP_1) | instskip(NEXT) | instid1(VALU_DEP_1)
	v_add_nc_u32_e32 v4, v1, v4
	v_lshrrev_b32_e32 v4, s42, v4
	s_delay_alu instid0(VALU_DEP_1) | instskip(NEXT) | instid1(VALU_DEP_1)
	v_mul_hi_u32 v5, s44, v4
	v_add_nc_u32_e32 v5, v4, v5
	s_delay_alu instid0(VALU_DEP_1) | instskip(NEXT) | instid1(VALU_DEP_1)
	v_lshrrev_b32_e32 v5, s45, v5
	v_mul_hi_u32 v6, s47, v5
	s_delay_alu instid0(VALU_DEP_1) | instskip(SKIP_1) | instid1(VALU_DEP_1)
	v_add_nc_u32_e32 v6, v5, v6
	v_mul_lo_u32 v7, v4, s40
	v_sub_nc_u32_e32 v1, v1, v7
	v_mul_lo_u32 v7, v5, s43
	s_delay_alu instid0(VALU_DEP_4) | instskip(NEXT) | instid1(VALU_DEP_3)
	v_lshrrev_b32_e32 v6, s56, v6
	v_mad_u32 v3, v1, s49, v3
	v_mad_u32 v1, v1, s48, v2
	s_delay_alu instid0(VALU_DEP_4) | instskip(NEXT) | instid1(VALU_DEP_4)
	v_sub_nc_u32_e32 v2, v4, v7
	v_mul_hi_u32 v8, s58, v6
	v_mul_lo_u32 v4, v6, s46
	s_delay_alu instid0(VALU_DEP_3) | instskip(SKIP_1) | instid1(VALU_DEP_4)
	v_mad_u32 v3, v2, s51, v3
	v_mad_u32 v2, v2, s50, v1
	v_add_nc_u32_e32 v7, v6, v8
	s_delay_alu instid0(VALU_DEP_1) | instskip(NEXT) | instid1(VALU_DEP_1)
	v_dual_sub_nc_u32 v4, v5, v4 :: v_dual_lshrrev_b32 v1, s59, v7
	v_mad_u32 v3, v4, s53, v3
	s_delay_alu instid0(VALU_DEP_4) | instskip(NEXT) | instid1(VALU_DEP_3)
	v_mad_u32 v2, v4, s52, v2
	v_mul_lo_u32 v5, v1, s57
	s_delay_alu instid0(VALU_DEP_1) | instskip(NEXT) | instid1(VALU_DEP_1)
	v_sub_nc_u32_e32 v4, v6, v5
	v_mad_u32 v3, v4, s55, v3
	s_delay_alu instid0(VALU_DEP_4)
	v_mad_u32 v2, v4, s54, v2
	s_cbranch_scc1 .LBB23_6
	s_branch .LBB23_148
.LBB23_7:
	s_and_not1_saveexec_b32 s0, s34
	s_cbranch_execz .LBB23_249
.LBB23_8:
	v_cndmask_b32_e64 v14, 0, 1, s33
	s_and_not1_b32 vcc_lo, exec_lo, s33
	s_cbranch_vccnz .LBB23_20
; %bb.9:
	s_cmp_lg_u32 s30, 0
	s_mov_b32 s6, 0
	s_cbranch_scc0 .LBB23_23
; %bb.10:
	s_min_u32 s1, s31, 15
	s_delay_alu instid0(SALU_CYCLE_1)
	s_add_co_i32 s1, s1, 1
	s_cmp_eq_u32 s31, 2
	s_cbranch_scc1 .LBB23_24
; %bb.11:
	v_dual_mov_b32 v2, 0 :: v_dual_mov_b32 v3, 0
	v_mov_b32_e32 v1, v0
	s_and_b32 s0, s1, 28
	s_add_nc_u64 s[2:3], s[12:13], 0xc4
	s_mov_b32 s7, 0
	s_mov_b64 s[4:5], s[12:13]
.LBB23_12:                              ; =>This Inner Loop Header: Depth=1
	s_clause 0x1
	s_load_b256 s[16:23], s[4:5], 0x4
	s_load_b128 s[8:11], s[4:5], 0x24
	s_load_b256 s[36:43], s[2:3], 0x0
	s_add_co_i32 s7, s7, 4
	s_wait_xcnt 0x0
	s_add_nc_u64 s[4:5], s[4:5], 48
	s_cmp_lg_u32 s0, s7
	s_add_nc_u64 s[2:3], s[2:3], 32
	s_wait_kmcnt 0x0
	v_mul_hi_u32 v4, s17, v1
	s_delay_alu instid0(VALU_DEP_1) | instskip(NEXT) | instid1(VALU_DEP_1)
	v_add_nc_u32_e32 v4, v1, v4
	v_lshrrev_b32_e32 v4, s18, v4
	s_delay_alu instid0(VALU_DEP_1) | instskip(NEXT) | instid1(VALU_DEP_1)
	v_mul_hi_u32 v5, s20, v4
	v_add_nc_u32_e32 v5, v4, v5
	s_delay_alu instid0(VALU_DEP_1) | instskip(NEXT) | instid1(VALU_DEP_1)
	v_lshrrev_b32_e32 v5, s21, v5
	v_mul_hi_u32 v6, s23, v5
	s_delay_alu instid0(VALU_DEP_1) | instskip(SKIP_1) | instid1(VALU_DEP_1)
	v_add_nc_u32_e32 v6, v5, v6
	v_mul_lo_u32 v7, v4, s16
	v_sub_nc_u32_e32 v1, v1, v7
	v_mul_lo_u32 v7, v5, s19
	s_delay_alu instid0(VALU_DEP_4) | instskip(NEXT) | instid1(VALU_DEP_3)
	v_lshrrev_b32_e32 v6, s8, v6
	v_mad_u32 v3, v1, s37, v3
	v_mad_u32 v1, v1, s36, v2
	s_delay_alu instid0(VALU_DEP_4) | instskip(NEXT) | instid1(VALU_DEP_4)
	v_sub_nc_u32_e32 v2, v4, v7
	v_mul_hi_u32 v8, s10, v6
	v_mul_lo_u32 v4, v6, s22
	s_delay_alu instid0(VALU_DEP_3) | instskip(SKIP_1) | instid1(VALU_DEP_4)
	v_mad_u32 v3, v2, s39, v3
	v_mad_u32 v2, v2, s38, v1
	v_add_nc_u32_e32 v7, v6, v8
	s_delay_alu instid0(VALU_DEP_1) | instskip(NEXT) | instid1(VALU_DEP_1)
	v_dual_sub_nc_u32 v4, v5, v4 :: v_dual_lshrrev_b32 v1, s11, v7
	v_mad_u32 v3, v4, s41, v3
	s_delay_alu instid0(VALU_DEP_4) | instskip(NEXT) | instid1(VALU_DEP_3)
	v_mad_u32 v2, v4, s40, v2
	v_mul_lo_u32 v5, v1, s9
	s_delay_alu instid0(VALU_DEP_1) | instskip(NEXT) | instid1(VALU_DEP_1)
	v_sub_nc_u32_e32 v4, v6, v5
	v_mad_u32 v3, v4, s43, v3
	s_delay_alu instid0(VALU_DEP_4)
	v_mad_u32 v2, v4, s42, v2
	s_cbranch_scc1 .LBB23_12
; %bb.13:
	s_and_b32 s4, s1, 3
	s_mov_b32 s1, 0
	s_cmp_eq_u32 s4, 0
	s_cbranch_scc0 .LBB23_25
	s_branch .LBB23_27
.LBB23_14:
	s_or_b32 exec_lo, exec_lo, s5
	s_delay_alu instid0(SALU_CYCLE_1)
	s_mov_b32 s5, exec_lo
	v_cmpx_gt_i32_e64 s36, v0
	s_cbranch_execz .LBB23_157
.LBB23_15:
	s_and_not1_b32 vcc_lo, exec_lo, s33
	s_cbranch_vccnz .LBB23_22
; %bb.16:
	s_and_not1_b32 vcc_lo, exec_lo, s38
	s_cbranch_vccnz .LBB23_146
; %bb.17:
	s_add_co_i32 s16, s37, 1
	s_cmp_eq_u32 s31, 2
	s_cbranch_scc1 .LBB23_165
; %bb.18:
	v_dual_mov_b32 v2, 0 :: v_dual_mov_b32 v3, 0
	v_mov_b32_e32 v1, v0
	s_and_b32 s24, s16, 28
	s_mov_b32 s25, 0
	s_mov_b64 s[26:27], s[12:13]
	s_mov_b64 s[28:29], s[22:23]
.LBB23_19:                              ; =>This Inner Loop Header: Depth=1
	s_clause 0x1
	s_load_b256 s[40:47], s[26:27], 0x4
	s_load_b128 s[56:59], s[26:27], 0x24
	s_load_b256 s[48:55], s[28:29], 0x0
	s_add_co_i32 s25, s25, 4
	s_wait_xcnt 0x0
	s_add_nc_u64 s[26:27], s[26:27], 48
	s_cmp_eq_u32 s24, s25
	s_add_nc_u64 s[28:29], s[28:29], 32
	s_wait_kmcnt 0x0
	v_mul_hi_u32 v4, s41, v1
	s_delay_alu instid0(VALU_DEP_1) | instskip(NEXT) | instid1(VALU_DEP_1)
	v_add_nc_u32_e32 v4, v1, v4
	v_lshrrev_b32_e32 v4, s42, v4
	s_delay_alu instid0(VALU_DEP_1) | instskip(NEXT) | instid1(VALU_DEP_1)
	v_mul_hi_u32 v5, s44, v4
	v_add_nc_u32_e32 v5, v4, v5
	s_delay_alu instid0(VALU_DEP_1) | instskip(NEXT) | instid1(VALU_DEP_1)
	v_lshrrev_b32_e32 v5, s45, v5
	v_mul_hi_u32 v6, s47, v5
	s_delay_alu instid0(VALU_DEP_1) | instskip(SKIP_1) | instid1(VALU_DEP_1)
	v_add_nc_u32_e32 v6, v5, v6
	v_mul_lo_u32 v7, v4, s40
	v_sub_nc_u32_e32 v1, v1, v7
	v_mul_lo_u32 v7, v5, s43
	s_delay_alu instid0(VALU_DEP_4) | instskip(NEXT) | instid1(VALU_DEP_3)
	v_lshrrev_b32_e32 v6, s56, v6
	v_mad_u32 v3, v1, s49, v3
	v_mad_u32 v1, v1, s48, v2
	s_delay_alu instid0(VALU_DEP_4) | instskip(NEXT) | instid1(VALU_DEP_4)
	v_sub_nc_u32_e32 v2, v4, v7
	v_mul_hi_u32 v8, s58, v6
	v_mul_lo_u32 v4, v6, s46
	s_delay_alu instid0(VALU_DEP_3) | instskip(SKIP_1) | instid1(VALU_DEP_4)
	v_mad_u32 v3, v2, s51, v3
	v_mad_u32 v2, v2, s50, v1
	v_add_nc_u32_e32 v7, v6, v8
	s_delay_alu instid0(VALU_DEP_1) | instskip(NEXT) | instid1(VALU_DEP_1)
	v_dual_sub_nc_u32 v4, v5, v4 :: v_dual_lshrrev_b32 v1, s59, v7
	v_mad_u32 v3, v4, s53, v3
	s_delay_alu instid0(VALU_DEP_4) | instskip(NEXT) | instid1(VALU_DEP_3)
	v_mad_u32 v2, v4, s52, v2
	v_mul_lo_u32 v5, v1, s57
	s_delay_alu instid0(VALU_DEP_1) | instskip(NEXT) | instid1(VALU_DEP_1)
	v_sub_nc_u32_e32 v4, v6, v5
	v_mad_u32 v3, v4, s55, v3
	s_delay_alu instid0(VALU_DEP_4)
	v_mad_u32 v2, v4, s54, v2
	s_cbranch_scc0 .LBB23_19
	s_branch .LBB23_166
.LBB23_20:
	s_mov_b32 s6, -1
                                        ; implicit-def: $vgpr3
	s_branch .LBB23_27
.LBB23_21:
                                        ; implicit-def: $vgpr3
	s_branch .LBB23_152
.LBB23_22:
                                        ; implicit-def: $vgpr3
	s_branch .LBB23_170
.LBB23_23:
	v_dual_mov_b32 v3, 0 :: v_dual_mov_b32 v2, 0
	s_branch .LBB23_27
.LBB23_24:
	v_mov_b64_e32 v[2:3], 0
	v_mov_b32_e32 v1, v0
	s_mov_b32 s0, 0
	s_and_b32 s4, s1, 3
	s_mov_b32 s1, 0
	s_cmp_eq_u32 s4, 0
	s_cbranch_scc1 .LBB23_27
.LBB23_25:
	s_lshl_b32 s2, s0, 3
	s_mov_b32 s3, s1
	s_mul_u64 s[8:9], s[0:1], 12
	s_add_nc_u64 s[2:3], s[12:13], s[2:3]
	s_delay_alu instid0(SALU_CYCLE_1)
	s_add_nc_u64 s[0:1], s[2:3], 0xc4
	s_add_nc_u64 s[2:3], s[12:13], s[8:9]
.LBB23_26:                              ; =>This Inner Loop Header: Depth=1
	s_load_b96 s[8:10], s[2:3], 0x4
	s_add_co_i32 s4, s4, -1
	s_wait_xcnt 0x0
	s_add_nc_u64 s[2:3], s[2:3], 12
	s_cmp_lg_u32 s4, 0
	s_wait_kmcnt 0x0
	v_mul_hi_u32 v4, s9, v1
	s_delay_alu instid0(VALU_DEP_1) | instskip(NEXT) | instid1(VALU_DEP_1)
	v_add_nc_u32_e32 v4, v1, v4
	v_lshrrev_b32_e32 v4, s10, v4
	s_load_b64 s[10:11], s[0:1], 0x0
	s_wait_xcnt 0x0
	s_add_nc_u64 s[0:1], s[0:1], 8
	s_delay_alu instid0(VALU_DEP_1) | instskip(NEXT) | instid1(VALU_DEP_1)
	v_mul_lo_u32 v5, v4, s8
	v_sub_nc_u32_e32 v1, v1, v5
	s_wait_kmcnt 0x0
	s_delay_alu instid0(VALU_DEP_1)
	v_mad_u32 v3, v1, s11, v3
	v_mad_u32 v2, v1, s10, v2
	v_mov_b32_e32 v1, v4
	s_cbranch_scc1 .LBB23_26
.LBB23_27:
	s_and_not1_b32 vcc_lo, exec_lo, s6
	s_cbranch_vccnz .LBB23_30
; %bb.28:
	s_clause 0x1
	s_load_b96 s[0:2], s[12:13], 0x4
	s_load_b64 s[4:5], s[12:13], 0xc4
	s_cmp_lt_u32 s30, 2
	s_wait_kmcnt 0x0
	v_mul_hi_u32 v1, s1, v0
	s_delay_alu instid0(VALU_DEP_1) | instskip(NEXT) | instid1(VALU_DEP_1)
	v_add_nc_u32_e32 v1, v0, v1
	v_lshrrev_b32_e32 v1, s2, v1
	s_delay_alu instid0(VALU_DEP_1) | instskip(NEXT) | instid1(VALU_DEP_1)
	v_mul_lo_u32 v2, v1, s0
	v_sub_nc_u32_e32 v2, v0, v2
	s_delay_alu instid0(VALU_DEP_1)
	v_mul_lo_u32 v3, v2, s5
	v_mul_lo_u32 v2, v2, s4
	s_cbranch_scc1 .LBB23_30
; %bb.29:
	s_clause 0x1
	s_load_b96 s[0:2], s[12:13], 0x10
	s_load_b64 s[4:5], s[12:13], 0xcc
	s_wait_kmcnt 0x0
	v_mul_hi_u32 v4, s1, v1
	s_delay_alu instid0(VALU_DEP_1) | instskip(NEXT) | instid1(VALU_DEP_1)
	v_add_nc_u32_e32 v4, v1, v4
	v_lshrrev_b32_e32 v4, s2, v4
	s_delay_alu instid0(VALU_DEP_1) | instskip(NEXT) | instid1(VALU_DEP_1)
	v_mul_lo_u32 v4, v4, s0
	v_sub_nc_u32_e32 v1, v1, v4
	s_delay_alu instid0(VALU_DEP_1)
	v_mad_u32 v2, v1, s4, v2
	v_mad_u32 v3, v1, s5, v3
.LBB23_30:
	v_cmp_ne_u32_e32 vcc_lo, 1, v14
	v_add_nc_u32_e32 v1, 0x80, v0
	s_cbranch_vccnz .LBB23_36
; %bb.31:
	s_cmp_lg_u32 s30, 0
	s_mov_b32 s6, 0
	s_cbranch_scc0 .LBB23_37
; %bb.32:
	s_min_u32 s1, s31, 15
	s_delay_alu instid0(SALU_CYCLE_1)
	s_add_co_i32 s1, s1, 1
	s_cmp_eq_u32 s31, 2
	s_cbranch_scc1 .LBB23_38
; %bb.33:
	v_dual_mov_b32 v4, 0 :: v_dual_mov_b32 v5, 0
	v_mov_b32_e32 v6, v1
	s_and_b32 s0, s1, 28
	s_add_nc_u64 s[2:3], s[12:13], 0xc4
	s_mov_b32 s7, 0
	s_mov_b64 s[4:5], s[12:13]
.LBB23_34:                              ; =>This Inner Loop Header: Depth=1
	s_clause 0x1
	s_load_b256 s[16:23], s[4:5], 0x4
	s_load_b128 s[8:11], s[4:5], 0x24
	s_load_b256 s[36:43], s[2:3], 0x0
	s_add_co_i32 s7, s7, 4
	s_wait_xcnt 0x0
	s_add_nc_u64 s[4:5], s[4:5], 48
	s_cmp_lg_u32 s0, s7
	s_add_nc_u64 s[2:3], s[2:3], 32
	s_wait_kmcnt 0x0
	v_mul_hi_u32 v7, s17, v6
	s_delay_alu instid0(VALU_DEP_1) | instskip(NEXT) | instid1(VALU_DEP_1)
	v_add_nc_u32_e32 v7, v6, v7
	v_lshrrev_b32_e32 v7, s18, v7
	s_delay_alu instid0(VALU_DEP_1) | instskip(NEXT) | instid1(VALU_DEP_1)
	v_mul_hi_u32 v8, s20, v7
	v_add_nc_u32_e32 v8, v7, v8
	s_delay_alu instid0(VALU_DEP_1) | instskip(NEXT) | instid1(VALU_DEP_1)
	v_lshrrev_b32_e32 v8, s21, v8
	v_mul_hi_u32 v9, s23, v8
	s_delay_alu instid0(VALU_DEP_1) | instskip(SKIP_1) | instid1(VALU_DEP_1)
	v_add_nc_u32_e32 v9, v8, v9
	v_mul_lo_u32 v10, v7, s16
	v_sub_nc_u32_e32 v6, v6, v10
	v_mul_lo_u32 v10, v8, s19
	s_delay_alu instid0(VALU_DEP_4) | instskip(NEXT) | instid1(VALU_DEP_3)
	v_lshrrev_b32_e32 v9, s8, v9
	v_mad_u32 v5, v6, s37, v5
	v_mad_u32 v4, v6, s36, v4
	s_delay_alu instid0(VALU_DEP_4) | instskip(NEXT) | instid1(VALU_DEP_4)
	v_sub_nc_u32_e32 v6, v7, v10
	v_mul_hi_u32 v11, s10, v9
	v_mul_lo_u32 v7, v9, s22
	s_delay_alu instid0(VALU_DEP_3) | instskip(SKIP_1) | instid1(VALU_DEP_4)
	v_mad_u32 v5, v6, s39, v5
	v_mad_u32 v4, v6, s38, v4
	v_add_nc_u32_e32 v10, v9, v11
	s_delay_alu instid0(VALU_DEP_1) | instskip(NEXT) | instid1(VALU_DEP_1)
	v_dual_sub_nc_u32 v7, v8, v7 :: v_dual_lshrrev_b32 v6, s11, v10
	v_mad_u32 v5, v7, s41, v5
	s_delay_alu instid0(VALU_DEP_4) | instskip(NEXT) | instid1(VALU_DEP_3)
	v_mad_u32 v4, v7, s40, v4
	v_mul_lo_u32 v8, v6, s9
	s_delay_alu instid0(VALU_DEP_1) | instskip(NEXT) | instid1(VALU_DEP_1)
	v_sub_nc_u32_e32 v7, v9, v8
	v_mad_u32 v5, v7, s43, v5
	s_delay_alu instid0(VALU_DEP_4)
	v_mad_u32 v4, v7, s42, v4
	s_cbranch_scc1 .LBB23_34
; %bb.35:
	s_and_b32 s4, s1, 3
	s_mov_b32 s1, 0
	s_cmp_eq_u32 s4, 0
	s_cbranch_scc0 .LBB23_39
	s_branch .LBB23_41
.LBB23_36:
	s_mov_b32 s6, -1
                                        ; implicit-def: $vgpr5
	s_branch .LBB23_41
.LBB23_37:
	v_dual_mov_b32 v5, 0 :: v_dual_mov_b32 v4, 0
	s_branch .LBB23_41
.LBB23_38:
	v_mov_b64_e32 v[4:5], 0
	v_mov_b32_e32 v6, v1
	s_mov_b32 s0, 0
	s_and_b32 s4, s1, 3
	s_mov_b32 s1, 0
	s_cmp_eq_u32 s4, 0
	s_cbranch_scc1 .LBB23_41
.LBB23_39:
	s_lshl_b32 s2, s0, 3
	s_mov_b32 s3, s1
	s_mul_u64 s[8:9], s[0:1], 12
	s_add_nc_u64 s[2:3], s[12:13], s[2:3]
	s_delay_alu instid0(SALU_CYCLE_1)
	s_add_nc_u64 s[0:1], s[2:3], 0xc4
	s_add_nc_u64 s[2:3], s[12:13], s[8:9]
.LBB23_40:                              ; =>This Inner Loop Header: Depth=1
	s_load_b96 s[8:10], s[2:3], 0x4
	s_add_co_i32 s4, s4, -1
	s_wait_xcnt 0x0
	s_add_nc_u64 s[2:3], s[2:3], 12
	s_cmp_lg_u32 s4, 0
	s_wait_kmcnt 0x0
	v_mul_hi_u32 v7, s9, v6
	s_delay_alu instid0(VALU_DEP_1) | instskip(NEXT) | instid1(VALU_DEP_1)
	v_add_nc_u32_e32 v7, v6, v7
	v_lshrrev_b32_e32 v7, s10, v7
	s_load_b64 s[10:11], s[0:1], 0x0
	s_wait_xcnt 0x0
	s_add_nc_u64 s[0:1], s[0:1], 8
	s_delay_alu instid0(VALU_DEP_1) | instskip(NEXT) | instid1(VALU_DEP_1)
	v_mul_lo_u32 v8, v7, s8
	v_sub_nc_u32_e32 v6, v6, v8
	s_wait_kmcnt 0x0
	s_delay_alu instid0(VALU_DEP_1)
	v_mad_u32 v5, v6, s11, v5
	v_mad_u32 v4, v6, s10, v4
	v_mov_b32_e32 v6, v7
	s_cbranch_scc1 .LBB23_40
.LBB23_41:
	s_and_not1_b32 vcc_lo, exec_lo, s6
	s_cbranch_vccnz .LBB23_44
; %bb.42:
	s_clause 0x1
	s_load_b96 s[0:2], s[12:13], 0x4
	s_load_b64 s[4:5], s[12:13], 0xc4
	s_cmp_lt_u32 s30, 2
	s_wait_kmcnt 0x0
	v_mul_hi_u32 v4, s1, v1
	s_delay_alu instid0(VALU_DEP_1) | instskip(NEXT) | instid1(VALU_DEP_1)
	v_add_nc_u32_e32 v4, v1, v4
	v_lshrrev_b32_e32 v6, s2, v4
	s_delay_alu instid0(VALU_DEP_1) | instskip(NEXT) | instid1(VALU_DEP_1)
	v_mul_lo_u32 v4, v6, s0
	v_sub_nc_u32_e32 v1, v1, v4
	s_delay_alu instid0(VALU_DEP_1)
	v_mul_lo_u32 v5, v1, s5
	v_mul_lo_u32 v4, v1, s4
	s_cbranch_scc1 .LBB23_44
; %bb.43:
	s_clause 0x1
	s_load_b96 s[0:2], s[12:13], 0x10
	s_load_b64 s[4:5], s[12:13], 0xcc
	s_wait_kmcnt 0x0
	v_mul_hi_u32 v1, s1, v6
	s_delay_alu instid0(VALU_DEP_1) | instskip(NEXT) | instid1(VALU_DEP_1)
	v_add_nc_u32_e32 v1, v6, v1
	v_lshrrev_b32_e32 v1, s2, v1
	s_delay_alu instid0(VALU_DEP_1) | instskip(NEXT) | instid1(VALU_DEP_1)
	v_mul_lo_u32 v1, v1, s0
	v_sub_nc_u32_e32 v1, v6, v1
	s_delay_alu instid0(VALU_DEP_1)
	v_mad_u32 v4, v1, s4, v4
	v_mad_u32 v5, v1, s5, v5
.LBB23_44:
	v_cmp_ne_u32_e32 vcc_lo, 1, v14
	v_add_nc_u32_e32 v1, 0x100, v0
	s_cbranch_vccnz .LBB23_50
; %bb.45:
	s_cmp_lg_u32 s30, 0
	s_mov_b32 s6, 0
	s_cbranch_scc0 .LBB23_51
; %bb.46:
	s_min_u32 s1, s31, 15
	s_delay_alu instid0(SALU_CYCLE_1)
	s_add_co_i32 s1, s1, 1
	s_cmp_eq_u32 s31, 2
	s_cbranch_scc1 .LBB23_52
; %bb.47:
	v_dual_mov_b32 v6, 0 :: v_dual_mov_b32 v7, 0
	v_mov_b32_e32 v8, v1
	s_and_b32 s0, s1, 28
	s_add_nc_u64 s[2:3], s[12:13], 0xc4
	s_mov_b32 s7, 0
	s_mov_b64 s[4:5], s[12:13]
.LBB23_48:                              ; =>This Inner Loop Header: Depth=1
	s_clause 0x1
	s_load_b256 s[16:23], s[4:5], 0x4
	s_load_b128 s[8:11], s[4:5], 0x24
	s_load_b256 s[36:43], s[2:3], 0x0
	s_add_co_i32 s7, s7, 4
	s_wait_xcnt 0x0
	s_add_nc_u64 s[4:5], s[4:5], 48
	s_cmp_lg_u32 s0, s7
	s_add_nc_u64 s[2:3], s[2:3], 32
	s_wait_kmcnt 0x0
	v_mul_hi_u32 v9, s17, v8
	s_delay_alu instid0(VALU_DEP_1) | instskip(NEXT) | instid1(VALU_DEP_1)
	v_add_nc_u32_e32 v9, v8, v9
	v_lshrrev_b32_e32 v9, s18, v9
	s_delay_alu instid0(VALU_DEP_1) | instskip(NEXT) | instid1(VALU_DEP_1)
	v_mul_hi_u32 v10, s20, v9
	v_add_nc_u32_e32 v10, v9, v10
	s_delay_alu instid0(VALU_DEP_1) | instskip(NEXT) | instid1(VALU_DEP_1)
	v_lshrrev_b32_e32 v10, s21, v10
	v_mul_hi_u32 v11, s23, v10
	s_delay_alu instid0(VALU_DEP_1) | instskip(SKIP_1) | instid1(VALU_DEP_1)
	v_add_nc_u32_e32 v11, v10, v11
	v_mul_lo_u32 v12, v9, s16
	v_sub_nc_u32_e32 v8, v8, v12
	v_mul_lo_u32 v12, v10, s19
	s_delay_alu instid0(VALU_DEP_4) | instskip(NEXT) | instid1(VALU_DEP_3)
	v_lshrrev_b32_e32 v11, s8, v11
	v_mad_u32 v7, v8, s37, v7
	v_mad_u32 v6, v8, s36, v6
	s_delay_alu instid0(VALU_DEP_4) | instskip(NEXT) | instid1(VALU_DEP_4)
	v_sub_nc_u32_e32 v8, v9, v12
	v_mul_hi_u32 v13, s10, v11
	v_mul_lo_u32 v9, v11, s22
	s_delay_alu instid0(VALU_DEP_3) | instskip(SKIP_1) | instid1(VALU_DEP_4)
	v_mad_u32 v7, v8, s39, v7
	v_mad_u32 v6, v8, s38, v6
	v_add_nc_u32_e32 v12, v11, v13
	s_delay_alu instid0(VALU_DEP_1) | instskip(NEXT) | instid1(VALU_DEP_1)
	v_dual_sub_nc_u32 v9, v10, v9 :: v_dual_lshrrev_b32 v8, s11, v12
	v_mad_u32 v7, v9, s41, v7
	s_delay_alu instid0(VALU_DEP_4) | instskip(NEXT) | instid1(VALU_DEP_3)
	v_mad_u32 v6, v9, s40, v6
	v_mul_lo_u32 v10, v8, s9
	s_delay_alu instid0(VALU_DEP_1) | instskip(NEXT) | instid1(VALU_DEP_1)
	v_sub_nc_u32_e32 v9, v11, v10
	v_mad_u32 v7, v9, s43, v7
	s_delay_alu instid0(VALU_DEP_4)
	v_mad_u32 v6, v9, s42, v6
	s_cbranch_scc1 .LBB23_48
; %bb.49:
	s_and_b32 s4, s1, 3
	s_mov_b32 s1, 0
	s_cmp_eq_u32 s4, 0
	s_cbranch_scc0 .LBB23_53
	s_branch .LBB23_55
.LBB23_50:
	s_mov_b32 s6, -1
                                        ; implicit-def: $vgpr7
	s_branch .LBB23_55
.LBB23_51:
	v_dual_mov_b32 v7, 0 :: v_dual_mov_b32 v6, 0
	s_branch .LBB23_55
.LBB23_52:
	v_mov_b64_e32 v[6:7], 0
	v_mov_b32_e32 v8, v1
	s_mov_b32 s0, 0
	s_and_b32 s4, s1, 3
	s_mov_b32 s1, 0
	s_cmp_eq_u32 s4, 0
	s_cbranch_scc1 .LBB23_55
.LBB23_53:
	s_lshl_b32 s2, s0, 3
	s_mov_b32 s3, s1
	s_mul_u64 s[8:9], s[0:1], 12
	s_add_nc_u64 s[2:3], s[12:13], s[2:3]
	s_delay_alu instid0(SALU_CYCLE_1)
	s_add_nc_u64 s[0:1], s[2:3], 0xc4
	s_add_nc_u64 s[2:3], s[12:13], s[8:9]
.LBB23_54:                              ; =>This Inner Loop Header: Depth=1
	s_load_b96 s[8:10], s[2:3], 0x4
	s_add_co_i32 s4, s4, -1
	s_wait_xcnt 0x0
	s_add_nc_u64 s[2:3], s[2:3], 12
	s_cmp_lg_u32 s4, 0
	s_wait_kmcnt 0x0
	v_mul_hi_u32 v9, s9, v8
	s_delay_alu instid0(VALU_DEP_1) | instskip(NEXT) | instid1(VALU_DEP_1)
	v_add_nc_u32_e32 v9, v8, v9
	v_lshrrev_b32_e32 v9, s10, v9
	s_load_b64 s[10:11], s[0:1], 0x0
	s_wait_xcnt 0x0
	s_add_nc_u64 s[0:1], s[0:1], 8
	s_delay_alu instid0(VALU_DEP_1) | instskip(NEXT) | instid1(VALU_DEP_1)
	v_mul_lo_u32 v10, v9, s8
	v_sub_nc_u32_e32 v8, v8, v10
	s_wait_kmcnt 0x0
	s_delay_alu instid0(VALU_DEP_1)
	v_mad_u32 v7, v8, s11, v7
	v_mad_u32 v6, v8, s10, v6
	v_mov_b32_e32 v8, v9
	s_cbranch_scc1 .LBB23_54
.LBB23_55:
	s_and_not1_b32 vcc_lo, exec_lo, s6
	s_cbranch_vccnz .LBB23_58
; %bb.56:
	s_clause 0x1
	s_load_b96 s[0:2], s[12:13], 0x4
	s_load_b64 s[4:5], s[12:13], 0xc4
	s_cmp_lt_u32 s30, 2
	s_wait_kmcnt 0x0
	v_mul_hi_u32 v6, s1, v1
	s_delay_alu instid0(VALU_DEP_1) | instskip(NEXT) | instid1(VALU_DEP_1)
	v_add_nc_u32_e32 v6, v1, v6
	v_lshrrev_b32_e32 v8, s2, v6
	s_delay_alu instid0(VALU_DEP_1) | instskip(NEXT) | instid1(VALU_DEP_1)
	v_mul_lo_u32 v6, v8, s0
	v_sub_nc_u32_e32 v1, v1, v6
	s_delay_alu instid0(VALU_DEP_1)
	v_mul_lo_u32 v7, v1, s5
	v_mul_lo_u32 v6, v1, s4
	s_cbranch_scc1 .LBB23_58
; %bb.57:
	s_clause 0x1
	s_load_b96 s[0:2], s[12:13], 0x10
	s_load_b64 s[4:5], s[12:13], 0xcc
	s_wait_kmcnt 0x0
	v_mul_hi_u32 v1, s1, v8
	s_delay_alu instid0(VALU_DEP_1) | instskip(NEXT) | instid1(VALU_DEP_1)
	v_add_nc_u32_e32 v1, v8, v1
	v_lshrrev_b32_e32 v1, s2, v1
	s_delay_alu instid0(VALU_DEP_1) | instskip(NEXT) | instid1(VALU_DEP_1)
	v_mul_lo_u32 v1, v1, s0
	v_sub_nc_u32_e32 v1, v8, v1
	s_delay_alu instid0(VALU_DEP_1)
	v_mad_u32 v6, v1, s4, v6
	v_mad_u32 v7, v1, s5, v7
.LBB23_58:
	v_cmp_ne_u32_e32 vcc_lo, 1, v14
	v_add_nc_u32_e32 v1, 0x180, v0
	s_cbranch_vccnz .LBB23_64
; %bb.59:
	s_cmp_lg_u32 s30, 0
	s_mov_b32 s6, 0
	s_cbranch_scc0 .LBB23_65
; %bb.60:
	s_min_u32 s1, s31, 15
	s_delay_alu instid0(SALU_CYCLE_1)
	s_add_co_i32 s1, s1, 1
	s_cmp_eq_u32 s31, 2
	s_cbranch_scc1 .LBB23_66
; %bb.61:
	v_dual_mov_b32 v8, 0 :: v_dual_mov_b32 v9, 0
	v_mov_b32_e32 v10, v1
	s_and_b32 s0, s1, 28
	s_add_nc_u64 s[2:3], s[12:13], 0xc4
	s_mov_b32 s7, 0
	s_mov_b64 s[4:5], s[12:13]
.LBB23_62:                              ; =>This Inner Loop Header: Depth=1
	s_clause 0x1
	s_load_b256 s[16:23], s[4:5], 0x4
	s_load_b128 s[8:11], s[4:5], 0x24
	s_load_b256 s[36:43], s[2:3], 0x0
	s_add_co_i32 s7, s7, 4
	s_wait_xcnt 0x0
	s_add_nc_u64 s[4:5], s[4:5], 48
	s_cmp_lg_u32 s0, s7
	s_add_nc_u64 s[2:3], s[2:3], 32
	s_wait_kmcnt 0x0
	v_mul_hi_u32 v11, s17, v10
	s_delay_alu instid0(VALU_DEP_1) | instskip(NEXT) | instid1(VALU_DEP_1)
	v_add_nc_u32_e32 v11, v10, v11
	v_lshrrev_b32_e32 v11, s18, v11
	s_delay_alu instid0(VALU_DEP_1) | instskip(NEXT) | instid1(VALU_DEP_1)
	v_mul_hi_u32 v12, s20, v11
	v_add_nc_u32_e32 v12, v11, v12
	s_delay_alu instid0(VALU_DEP_1) | instskip(NEXT) | instid1(VALU_DEP_1)
	v_lshrrev_b32_e32 v12, s21, v12
	v_mul_hi_u32 v13, s23, v12
	s_delay_alu instid0(VALU_DEP_1) | instskip(SKIP_1) | instid1(VALU_DEP_1)
	v_add_nc_u32_e32 v13, v12, v13
	v_mul_lo_u32 v15, v11, s16
	v_sub_nc_u32_e32 v10, v10, v15
	v_mul_lo_u32 v15, v12, s19
	s_delay_alu instid0(VALU_DEP_4) | instskip(NEXT) | instid1(VALU_DEP_3)
	v_lshrrev_b32_e32 v13, s8, v13
	v_mad_u32 v9, v10, s37, v9
	v_mad_u32 v8, v10, s36, v8
	s_delay_alu instid0(VALU_DEP_4) | instskip(NEXT) | instid1(VALU_DEP_4)
	v_sub_nc_u32_e32 v10, v11, v15
	v_mul_hi_u32 v17, s10, v13
	v_mul_lo_u32 v11, v13, s22
	s_delay_alu instid0(VALU_DEP_3) | instskip(SKIP_1) | instid1(VALU_DEP_3)
	v_mad_u32 v9, v10, s39, v9
	v_mad_u32 v8, v10, s38, v8
	v_dual_add_nc_u32 v15, v13, v17 :: v_dual_sub_nc_u32 v11, v12, v11
	s_delay_alu instid0(VALU_DEP_1) | instskip(NEXT) | instid1(VALU_DEP_2)
	v_lshrrev_b32_e32 v10, s11, v15
	v_mad_u32 v9, v11, s41, v9
	s_delay_alu instid0(VALU_DEP_4) | instskip(NEXT) | instid1(VALU_DEP_3)
	v_mad_u32 v8, v11, s40, v8
	v_mul_lo_u32 v12, v10, s9
	s_delay_alu instid0(VALU_DEP_1) | instskip(NEXT) | instid1(VALU_DEP_1)
	v_sub_nc_u32_e32 v11, v13, v12
	v_mad_u32 v9, v11, s43, v9
	s_delay_alu instid0(VALU_DEP_4)
	v_mad_u32 v8, v11, s42, v8
	s_cbranch_scc1 .LBB23_62
; %bb.63:
	s_and_b32 s4, s1, 3
	s_mov_b32 s1, 0
	s_cmp_eq_u32 s4, 0
	s_cbranch_scc0 .LBB23_67
	s_branch .LBB23_69
.LBB23_64:
	s_mov_b32 s6, -1
                                        ; implicit-def: $vgpr9
	s_branch .LBB23_69
.LBB23_65:
	v_dual_mov_b32 v9, 0 :: v_dual_mov_b32 v8, 0
	s_branch .LBB23_69
.LBB23_66:
	v_mov_b64_e32 v[8:9], 0
	v_mov_b32_e32 v10, v1
	s_mov_b32 s0, 0
	s_and_b32 s4, s1, 3
	s_mov_b32 s1, 0
	s_cmp_eq_u32 s4, 0
	s_cbranch_scc1 .LBB23_69
.LBB23_67:
	s_lshl_b32 s2, s0, 3
	s_mov_b32 s3, s1
	s_mul_u64 s[8:9], s[0:1], 12
	s_add_nc_u64 s[2:3], s[12:13], s[2:3]
	s_delay_alu instid0(SALU_CYCLE_1)
	s_add_nc_u64 s[0:1], s[2:3], 0xc4
	s_add_nc_u64 s[2:3], s[12:13], s[8:9]
.LBB23_68:                              ; =>This Inner Loop Header: Depth=1
	s_load_b96 s[8:10], s[2:3], 0x4
	s_add_co_i32 s4, s4, -1
	s_wait_xcnt 0x0
	s_add_nc_u64 s[2:3], s[2:3], 12
	s_cmp_lg_u32 s4, 0
	s_wait_kmcnt 0x0
	v_mul_hi_u32 v11, s9, v10
	s_delay_alu instid0(VALU_DEP_1) | instskip(NEXT) | instid1(VALU_DEP_1)
	v_add_nc_u32_e32 v11, v10, v11
	v_lshrrev_b32_e32 v11, s10, v11
	s_load_b64 s[10:11], s[0:1], 0x0
	s_wait_xcnt 0x0
	s_add_nc_u64 s[0:1], s[0:1], 8
	s_delay_alu instid0(VALU_DEP_1) | instskip(NEXT) | instid1(VALU_DEP_1)
	v_mul_lo_u32 v12, v11, s8
	v_sub_nc_u32_e32 v10, v10, v12
	s_wait_kmcnt 0x0
	s_delay_alu instid0(VALU_DEP_1)
	v_mad_u32 v9, v10, s11, v9
	v_mad_u32 v8, v10, s10, v8
	v_mov_b32_e32 v10, v11
	s_cbranch_scc1 .LBB23_68
.LBB23_69:
	s_and_not1_b32 vcc_lo, exec_lo, s6
	s_cbranch_vccnz .LBB23_72
; %bb.70:
	s_clause 0x1
	s_load_b96 s[0:2], s[12:13], 0x4
	s_load_b64 s[4:5], s[12:13], 0xc4
	s_cmp_lt_u32 s30, 2
	s_wait_kmcnt 0x0
	v_mul_hi_u32 v8, s1, v1
	s_delay_alu instid0(VALU_DEP_1) | instskip(NEXT) | instid1(VALU_DEP_1)
	v_add_nc_u32_e32 v8, v1, v8
	v_lshrrev_b32_e32 v10, s2, v8
	s_delay_alu instid0(VALU_DEP_1) | instskip(NEXT) | instid1(VALU_DEP_1)
	v_mul_lo_u32 v8, v10, s0
	v_sub_nc_u32_e32 v1, v1, v8
	s_delay_alu instid0(VALU_DEP_1)
	v_mul_lo_u32 v9, v1, s5
	v_mul_lo_u32 v8, v1, s4
	s_cbranch_scc1 .LBB23_72
; %bb.71:
	s_clause 0x1
	s_load_b96 s[0:2], s[12:13], 0x10
	s_load_b64 s[4:5], s[12:13], 0xcc
	s_wait_kmcnt 0x0
	v_mul_hi_u32 v1, s1, v10
	s_delay_alu instid0(VALU_DEP_1) | instskip(NEXT) | instid1(VALU_DEP_1)
	v_add_nc_u32_e32 v1, v10, v1
	v_lshrrev_b32_e32 v1, s2, v1
	s_delay_alu instid0(VALU_DEP_1) | instskip(NEXT) | instid1(VALU_DEP_1)
	v_mul_lo_u32 v1, v1, s0
	v_sub_nc_u32_e32 v1, v10, v1
	s_delay_alu instid0(VALU_DEP_1)
	v_mad_u32 v8, v1, s4, v8
	v_mad_u32 v9, v1, s5, v9
.LBB23_72:
	v_cmp_ne_u32_e32 vcc_lo, 1, v14
	v_add_nc_u32_e32 v1, 0x200, v0
	s_cbranch_vccnz .LBB23_78
; %bb.73:
	s_cmp_lg_u32 s30, 0
	s_mov_b32 s6, 0
	s_cbranch_scc0 .LBB23_79
; %bb.74:
	s_min_u32 s1, s31, 15
	s_delay_alu instid0(SALU_CYCLE_1)
	s_add_co_i32 s1, s1, 1
	s_cmp_eq_u32 s31, 2
	s_cbranch_scc1 .LBB23_80
; %bb.75:
	v_dual_mov_b32 v10, 0 :: v_dual_mov_b32 v11, 0
	v_mov_b32_e32 v12, v1
	s_and_b32 s0, s1, 28
	s_add_nc_u64 s[2:3], s[12:13], 0xc4
	s_mov_b32 s7, 0
	s_mov_b64 s[4:5], s[12:13]
.LBB23_76:                              ; =>This Inner Loop Header: Depth=1
	s_clause 0x1
	s_load_b256 s[16:23], s[4:5], 0x4
	s_load_b128 s[8:11], s[4:5], 0x24
	s_load_b256 s[36:43], s[2:3], 0x0
	s_add_co_i32 s7, s7, 4
	s_wait_xcnt 0x0
	s_add_nc_u64 s[4:5], s[4:5], 48
	s_cmp_lg_u32 s0, s7
	s_add_nc_u64 s[2:3], s[2:3], 32
	s_wait_kmcnt 0x0
	v_mul_hi_u32 v13, s17, v12
	s_delay_alu instid0(VALU_DEP_1) | instskip(NEXT) | instid1(VALU_DEP_1)
	v_add_nc_u32_e32 v13, v12, v13
	v_lshrrev_b32_e32 v13, s18, v13
	s_delay_alu instid0(VALU_DEP_1) | instskip(NEXT) | instid1(VALU_DEP_1)
	v_mul_lo_u32 v18, v13, s16
	v_sub_nc_u32_e32 v12, v12, v18
	v_mul_hi_u32 v15, s20, v13
	s_delay_alu instid0(VALU_DEP_2) | instskip(SKIP_1) | instid1(VALU_DEP_3)
	v_mad_u32 v11, v12, s37, v11
	v_mad_u32 v10, v12, s36, v10
	v_add_nc_u32_e32 v15, v13, v15
	s_delay_alu instid0(VALU_DEP_1) | instskip(NEXT) | instid1(VALU_DEP_1)
	v_lshrrev_b32_e32 v15, s21, v15
	v_mul_hi_u32 v17, s23, v15
	v_mul_lo_u32 v18, v15, s19
	s_delay_alu instid0(VALU_DEP_1) | instskip(NEXT) | instid1(VALU_DEP_1)
	v_dual_add_nc_u32 v17, v15, v17 :: v_dual_sub_nc_u32 v12, v13, v18
	v_lshrrev_b32_e32 v17, s8, v17
	s_delay_alu instid0(VALU_DEP_2) | instskip(SKIP_1) | instid1(VALU_DEP_3)
	v_mad_u32 v11, v12, s39, v11
	v_mad_u32 v10, v12, s38, v10
	v_mul_hi_u32 v19, s10, v17
	v_mul_lo_u32 v13, v17, s22
	s_delay_alu instid0(VALU_DEP_1) | instskip(NEXT) | instid1(VALU_DEP_1)
	v_dual_add_nc_u32 v18, v17, v19 :: v_dual_sub_nc_u32 v13, v15, v13
	v_lshrrev_b32_e32 v12, s11, v18
	s_delay_alu instid0(VALU_DEP_2) | instskip(SKIP_1) | instid1(VALU_DEP_3)
	v_mad_u32 v11, v13, s41, v11
	v_mad_u32 v10, v13, s40, v10
	v_mul_lo_u32 v15, v12, s9
	s_delay_alu instid0(VALU_DEP_1) | instskip(NEXT) | instid1(VALU_DEP_1)
	v_sub_nc_u32_e32 v13, v17, v15
	v_mad_u32 v11, v13, s43, v11
	s_delay_alu instid0(VALU_DEP_4)
	v_mad_u32 v10, v13, s42, v10
	s_cbranch_scc1 .LBB23_76
; %bb.77:
	s_and_b32 s4, s1, 3
	s_mov_b32 s1, 0
	s_cmp_eq_u32 s4, 0
	s_cbranch_scc0 .LBB23_81
	s_branch .LBB23_83
.LBB23_78:
	s_mov_b32 s6, -1
                                        ; implicit-def: $vgpr11
	s_branch .LBB23_83
.LBB23_79:
	v_dual_mov_b32 v11, 0 :: v_dual_mov_b32 v10, 0
	s_branch .LBB23_83
.LBB23_80:
	v_mov_b64_e32 v[10:11], 0
	v_mov_b32_e32 v12, v1
	s_mov_b32 s0, 0
	s_and_b32 s4, s1, 3
	s_mov_b32 s1, 0
	s_cmp_eq_u32 s4, 0
	s_cbranch_scc1 .LBB23_83
.LBB23_81:
	s_lshl_b32 s2, s0, 3
	s_mov_b32 s3, s1
	s_mul_u64 s[8:9], s[0:1], 12
	s_add_nc_u64 s[2:3], s[12:13], s[2:3]
	s_delay_alu instid0(SALU_CYCLE_1)
	s_add_nc_u64 s[0:1], s[2:3], 0xc4
	s_add_nc_u64 s[2:3], s[12:13], s[8:9]
.LBB23_82:                              ; =>This Inner Loop Header: Depth=1
	s_load_b96 s[8:10], s[2:3], 0x4
	s_add_co_i32 s4, s4, -1
	s_wait_xcnt 0x0
	s_add_nc_u64 s[2:3], s[2:3], 12
	s_cmp_lg_u32 s4, 0
	s_wait_kmcnt 0x0
	v_mul_hi_u32 v13, s9, v12
	s_delay_alu instid0(VALU_DEP_1) | instskip(NEXT) | instid1(VALU_DEP_1)
	v_add_nc_u32_e32 v13, v12, v13
	v_lshrrev_b32_e32 v13, s10, v13
	s_load_b64 s[10:11], s[0:1], 0x0
	s_wait_xcnt 0x0
	s_add_nc_u64 s[0:1], s[0:1], 8
	s_delay_alu instid0(VALU_DEP_1) | instskip(NEXT) | instid1(VALU_DEP_1)
	v_mul_lo_u32 v15, v13, s8
	v_sub_nc_u32_e32 v12, v12, v15
	s_wait_kmcnt 0x0
	s_delay_alu instid0(VALU_DEP_1)
	v_mad_u32 v11, v12, s11, v11
	v_mad_u32 v10, v12, s10, v10
	v_mov_b32_e32 v12, v13
	s_cbranch_scc1 .LBB23_82
.LBB23_83:
	s_and_not1_b32 vcc_lo, exec_lo, s6
	s_cbranch_vccnz .LBB23_86
; %bb.84:
	s_clause 0x1
	s_load_b96 s[0:2], s[12:13], 0x4
	s_load_b64 s[4:5], s[12:13], 0xc4
	s_cmp_lt_u32 s30, 2
	s_wait_kmcnt 0x0
	v_mul_hi_u32 v10, s1, v1
	s_delay_alu instid0(VALU_DEP_1) | instskip(NEXT) | instid1(VALU_DEP_1)
	v_add_nc_u32_e32 v10, v1, v10
	v_lshrrev_b32_e32 v12, s2, v10
	s_delay_alu instid0(VALU_DEP_1) | instskip(NEXT) | instid1(VALU_DEP_1)
	v_mul_lo_u32 v10, v12, s0
	v_sub_nc_u32_e32 v1, v1, v10
	s_delay_alu instid0(VALU_DEP_1)
	v_mul_lo_u32 v11, v1, s5
	v_mul_lo_u32 v10, v1, s4
	s_cbranch_scc1 .LBB23_86
; %bb.85:
	s_clause 0x1
	s_load_b96 s[0:2], s[12:13], 0x10
	s_load_b64 s[4:5], s[12:13], 0xcc
	s_wait_kmcnt 0x0
	v_mul_hi_u32 v1, s1, v12
	s_delay_alu instid0(VALU_DEP_1) | instskip(NEXT) | instid1(VALU_DEP_1)
	v_add_nc_u32_e32 v1, v12, v1
	v_lshrrev_b32_e32 v1, s2, v1
	s_delay_alu instid0(VALU_DEP_1) | instskip(NEXT) | instid1(VALU_DEP_1)
	v_mul_lo_u32 v1, v1, s0
	v_sub_nc_u32_e32 v1, v12, v1
	s_delay_alu instid0(VALU_DEP_1)
	v_mad_u32 v10, v1, s4, v10
	v_mad_u32 v11, v1, s5, v11
.LBB23_86:
	v_cmp_ne_u32_e32 vcc_lo, 1, v14
	v_add_nc_u32_e32 v1, 0x280, v0
	s_cbranch_vccnz .LBB23_92
; %bb.87:
	s_cmp_lg_u32 s30, 0
	s_mov_b32 s6, 0
	s_cbranch_scc0 .LBB23_93
; %bb.88:
	s_min_u32 s1, s31, 15
	s_delay_alu instid0(SALU_CYCLE_1)
	s_add_co_i32 s1, s1, 1
	s_cmp_eq_u32 s31, 2
	s_cbranch_scc1 .LBB23_94
; %bb.89:
	v_dual_mov_b32 v12, 0 :: v_dual_mov_b32 v13, 0
	v_mov_b32_e32 v15, v1
	s_and_b32 s0, s1, 28
	s_add_nc_u64 s[2:3], s[12:13], 0xc4
	s_mov_b32 s7, 0
	s_mov_b64 s[4:5], s[12:13]
.LBB23_90:                              ; =>This Inner Loop Header: Depth=1
	s_clause 0x1
	s_load_b256 s[16:23], s[4:5], 0x4
	s_load_b128 s[8:11], s[4:5], 0x24
	s_load_b256 s[36:43], s[2:3], 0x0
	s_add_co_i32 s7, s7, 4
	s_wait_xcnt 0x0
	s_add_nc_u64 s[4:5], s[4:5], 48
	s_cmp_lg_u32 s0, s7
	s_add_nc_u64 s[2:3], s[2:3], 32
	s_wait_kmcnt 0x0
	v_mul_hi_u32 v17, s17, v15
	s_delay_alu instid0(VALU_DEP_1) | instskip(NEXT) | instid1(VALU_DEP_1)
	v_add_nc_u32_e32 v17, v15, v17
	v_lshrrev_b32_e32 v17, s18, v17
	s_delay_alu instid0(VALU_DEP_1) | instskip(NEXT) | instid1(VALU_DEP_1)
	v_mul_hi_u32 v18, s20, v17
	v_add_nc_u32_e32 v18, v17, v18
	s_delay_alu instid0(VALU_DEP_1) | instskip(NEXT) | instid1(VALU_DEP_1)
	v_lshrrev_b32_e32 v18, s21, v18
	v_mul_hi_u32 v19, s23, v18
	s_delay_alu instid0(VALU_DEP_1) | instskip(SKIP_1) | instid1(VALU_DEP_1)
	v_add_nc_u32_e32 v19, v18, v19
	v_mul_lo_u32 v20, v17, s16
	v_sub_nc_u32_e32 v15, v15, v20
	v_mul_lo_u32 v20, v18, s19
	s_delay_alu instid0(VALU_DEP_4) | instskip(NEXT) | instid1(VALU_DEP_3)
	v_lshrrev_b32_e32 v19, s8, v19
	v_mad_u32 v13, v15, s37, v13
	v_mad_u32 v12, v15, s36, v12
	s_delay_alu instid0(VALU_DEP_4) | instskip(NEXT) | instid1(VALU_DEP_4)
	v_sub_nc_u32_e32 v15, v17, v20
	v_mul_hi_u32 v21, s10, v19
	v_mul_lo_u32 v17, v19, s22
	s_delay_alu instid0(VALU_DEP_3) | instskip(SKIP_1) | instid1(VALU_DEP_4)
	v_mad_u32 v13, v15, s39, v13
	v_mad_u32 v12, v15, s38, v12
	v_add_nc_u32_e32 v20, v19, v21
	s_delay_alu instid0(VALU_DEP_1) | instskip(NEXT) | instid1(VALU_DEP_1)
	v_dual_sub_nc_u32 v17, v18, v17 :: v_dual_lshrrev_b32 v15, s11, v20
	v_mad_u32 v13, v17, s41, v13
	s_delay_alu instid0(VALU_DEP_4) | instskip(NEXT) | instid1(VALU_DEP_3)
	v_mad_u32 v12, v17, s40, v12
	v_mul_lo_u32 v18, v15, s9
	s_delay_alu instid0(VALU_DEP_1) | instskip(NEXT) | instid1(VALU_DEP_1)
	v_sub_nc_u32_e32 v17, v19, v18
	v_mad_u32 v13, v17, s43, v13
	s_delay_alu instid0(VALU_DEP_4)
	v_mad_u32 v12, v17, s42, v12
	s_cbranch_scc1 .LBB23_90
; %bb.91:
	s_and_b32 s4, s1, 3
	s_mov_b32 s1, 0
	s_cmp_eq_u32 s4, 0
	s_cbranch_scc0 .LBB23_95
	s_branch .LBB23_97
.LBB23_92:
	s_mov_b32 s6, -1
                                        ; implicit-def: $vgpr13
	s_branch .LBB23_97
.LBB23_93:
	v_dual_mov_b32 v13, 0 :: v_dual_mov_b32 v12, 0
	s_branch .LBB23_97
.LBB23_94:
	v_mov_b64_e32 v[12:13], 0
	v_mov_b32_e32 v15, v1
	s_mov_b32 s0, 0
	s_and_b32 s4, s1, 3
	s_mov_b32 s1, 0
	s_cmp_eq_u32 s4, 0
	s_cbranch_scc1 .LBB23_97
.LBB23_95:
	s_lshl_b32 s2, s0, 3
	s_mov_b32 s3, s1
	s_mul_u64 s[8:9], s[0:1], 12
	s_add_nc_u64 s[2:3], s[12:13], s[2:3]
	s_delay_alu instid0(SALU_CYCLE_1)
	s_add_nc_u64 s[0:1], s[2:3], 0xc4
	s_add_nc_u64 s[2:3], s[12:13], s[8:9]
.LBB23_96:                              ; =>This Inner Loop Header: Depth=1
	s_load_b96 s[8:10], s[2:3], 0x4
	s_add_co_i32 s4, s4, -1
	s_wait_xcnt 0x0
	s_add_nc_u64 s[2:3], s[2:3], 12
	s_cmp_lg_u32 s4, 0
	s_wait_kmcnt 0x0
	v_mul_hi_u32 v17, s9, v15
	s_delay_alu instid0(VALU_DEP_1) | instskip(NEXT) | instid1(VALU_DEP_1)
	v_add_nc_u32_e32 v17, v15, v17
	v_lshrrev_b32_e32 v17, s10, v17
	s_load_b64 s[10:11], s[0:1], 0x0
	s_wait_xcnt 0x0
	s_add_nc_u64 s[0:1], s[0:1], 8
	s_delay_alu instid0(VALU_DEP_1) | instskip(NEXT) | instid1(VALU_DEP_1)
	v_mul_lo_u32 v18, v17, s8
	v_sub_nc_u32_e32 v15, v15, v18
	s_wait_kmcnt 0x0
	s_delay_alu instid0(VALU_DEP_1)
	v_mad_u32 v13, v15, s11, v13
	v_mad_u32 v12, v15, s10, v12
	v_mov_b32_e32 v15, v17
	s_cbranch_scc1 .LBB23_96
.LBB23_97:
	s_and_not1_b32 vcc_lo, exec_lo, s6
	s_cbranch_vccnz .LBB23_100
; %bb.98:
	s_clause 0x1
	s_load_b96 s[0:2], s[12:13], 0x4
	s_load_b64 s[4:5], s[12:13], 0xc4
	s_cmp_lt_u32 s30, 2
	s_wait_kmcnt 0x0
	v_mul_hi_u32 v12, s1, v1
	s_delay_alu instid0(VALU_DEP_1) | instskip(NEXT) | instid1(VALU_DEP_1)
	v_add_nc_u32_e32 v12, v1, v12
	v_lshrrev_b32_e32 v15, s2, v12
	s_delay_alu instid0(VALU_DEP_1) | instskip(NEXT) | instid1(VALU_DEP_1)
	v_mul_lo_u32 v12, v15, s0
	v_sub_nc_u32_e32 v1, v1, v12
	s_delay_alu instid0(VALU_DEP_1)
	v_mul_lo_u32 v13, v1, s5
	v_mul_lo_u32 v12, v1, s4
	s_cbranch_scc1 .LBB23_100
; %bb.99:
	s_clause 0x1
	s_load_b96 s[0:2], s[12:13], 0x10
	s_load_b64 s[4:5], s[12:13], 0xcc
	s_wait_kmcnt 0x0
	v_mul_hi_u32 v1, s1, v15
	s_delay_alu instid0(VALU_DEP_1) | instskip(NEXT) | instid1(VALU_DEP_1)
	v_add_nc_u32_e32 v1, v15, v1
	v_lshrrev_b32_e32 v1, s2, v1
	s_delay_alu instid0(VALU_DEP_1) | instskip(NEXT) | instid1(VALU_DEP_1)
	v_mul_lo_u32 v1, v1, s0
	v_sub_nc_u32_e32 v1, v15, v1
	s_delay_alu instid0(VALU_DEP_1)
	v_mad_u32 v12, v1, s4, v12
	v_mad_u32 v13, v1, s5, v13
.LBB23_100:
	v_cmp_ne_u32_e32 vcc_lo, 1, v14
	v_add_nc_u32_e32 v15, 0x300, v0
	s_cbranch_vccnz .LBB23_106
; %bb.101:
	s_cmp_lg_u32 s30, 0
	s_mov_b32 s6, 0
	s_cbranch_scc0 .LBB23_107
; %bb.102:
	s_min_u32 s1, s31, 15
	s_delay_alu instid0(SALU_CYCLE_1)
	s_add_co_i32 s1, s1, 1
	s_cmp_eq_u32 s31, 2
	s_cbranch_scc1 .LBB23_108
; %bb.103:
	v_dual_mov_b32 v0, 0 :: v_dual_mov_b32 v1, 0
	v_mov_b32_e32 v17, v15
	s_and_b32 s0, s1, 28
	s_add_nc_u64 s[2:3], s[12:13], 0xc4
	s_mov_b32 s7, 0
	s_mov_b64 s[4:5], s[12:13]
.LBB23_104:                             ; =>This Inner Loop Header: Depth=1
	s_clause 0x1
	s_load_b256 s[16:23], s[4:5], 0x4
	s_load_b128 s[8:11], s[4:5], 0x24
	s_load_b256 s[36:43], s[2:3], 0x0
	s_add_co_i32 s7, s7, 4
	s_wait_xcnt 0x0
	s_add_nc_u64 s[4:5], s[4:5], 48
	s_cmp_lg_u32 s0, s7
	s_add_nc_u64 s[2:3], s[2:3], 32
	s_wait_kmcnt 0x0
	v_mul_hi_u32 v18, s17, v17
	s_delay_alu instid0(VALU_DEP_1) | instskip(NEXT) | instid1(VALU_DEP_1)
	v_add_nc_u32_e32 v18, v17, v18
	v_lshrrev_b32_e32 v18, s18, v18
	s_delay_alu instid0(VALU_DEP_1) | instskip(NEXT) | instid1(VALU_DEP_1)
	v_mul_hi_u32 v19, s20, v18
	v_add_nc_u32_e32 v19, v18, v19
	s_delay_alu instid0(VALU_DEP_1) | instskip(NEXT) | instid1(VALU_DEP_1)
	v_lshrrev_b32_e32 v19, s21, v19
	v_mul_hi_u32 v20, s23, v19
	s_delay_alu instid0(VALU_DEP_1) | instskip(SKIP_1) | instid1(VALU_DEP_1)
	v_add_nc_u32_e32 v20, v19, v20
	v_mul_lo_u32 v21, v18, s16
	v_sub_nc_u32_e32 v17, v17, v21
	v_mul_lo_u32 v21, v19, s19
	s_delay_alu instid0(VALU_DEP_4) | instskip(NEXT) | instid1(VALU_DEP_3)
	v_lshrrev_b32_e32 v20, s8, v20
	v_mad_u32 v1, v17, s37, v1
	v_mad_u32 v0, v17, s36, v0
	s_delay_alu instid0(VALU_DEP_4) | instskip(NEXT) | instid1(VALU_DEP_4)
	v_sub_nc_u32_e32 v17, v18, v21
	v_mul_hi_u32 v22, s10, v20
	v_mul_lo_u32 v18, v20, s22
	s_delay_alu instid0(VALU_DEP_3) | instskip(SKIP_1) | instid1(VALU_DEP_4)
	v_mad_u32 v1, v17, s39, v1
	v_mad_u32 v0, v17, s38, v0
	v_add_nc_u32_e32 v21, v20, v22
	s_delay_alu instid0(VALU_DEP_1) | instskip(NEXT) | instid1(VALU_DEP_1)
	v_dual_sub_nc_u32 v18, v19, v18 :: v_dual_lshrrev_b32 v17, s11, v21
	v_mad_u32 v1, v18, s41, v1
	s_delay_alu instid0(VALU_DEP_4) | instskip(NEXT) | instid1(VALU_DEP_3)
	v_mad_u32 v0, v18, s40, v0
	v_mul_lo_u32 v19, v17, s9
	s_delay_alu instid0(VALU_DEP_1) | instskip(NEXT) | instid1(VALU_DEP_1)
	v_sub_nc_u32_e32 v18, v20, v19
	v_mad_u32 v1, v18, s43, v1
	s_delay_alu instid0(VALU_DEP_4)
	v_mad_u32 v0, v18, s42, v0
	s_cbranch_scc1 .LBB23_104
; %bb.105:
	s_and_b32 s4, s1, 3
	s_mov_b32 s1, 0
	s_cmp_eq_u32 s4, 0
	s_cbranch_scc0 .LBB23_109
	s_branch .LBB23_111
.LBB23_106:
	s_mov_b32 s6, -1
                                        ; implicit-def: $vgpr1
	s_branch .LBB23_111
.LBB23_107:
	v_dual_mov_b32 v1, 0 :: v_dual_mov_b32 v0, 0
	s_branch .LBB23_111
.LBB23_108:
	v_mov_b64_e32 v[0:1], 0
	v_mov_b32_e32 v17, v15
	s_mov_b32 s0, 0
	s_and_b32 s4, s1, 3
	s_mov_b32 s1, 0
	s_cmp_eq_u32 s4, 0
	s_cbranch_scc1 .LBB23_111
.LBB23_109:
	s_lshl_b32 s2, s0, 3
	s_mov_b32 s3, s1
	s_mul_u64 s[8:9], s[0:1], 12
	s_add_nc_u64 s[2:3], s[12:13], s[2:3]
	s_delay_alu instid0(SALU_CYCLE_1)
	s_add_nc_u64 s[0:1], s[2:3], 0xc4
	s_add_nc_u64 s[2:3], s[12:13], s[8:9]
.LBB23_110:                             ; =>This Inner Loop Header: Depth=1
	s_load_b96 s[8:10], s[2:3], 0x4
	s_add_co_i32 s4, s4, -1
	s_wait_xcnt 0x0
	s_add_nc_u64 s[2:3], s[2:3], 12
	s_cmp_lg_u32 s4, 0
	s_wait_kmcnt 0x0
	v_mul_hi_u32 v18, s9, v17
	s_delay_alu instid0(VALU_DEP_1) | instskip(NEXT) | instid1(VALU_DEP_1)
	v_add_nc_u32_e32 v18, v17, v18
	v_lshrrev_b32_e32 v18, s10, v18
	s_load_b64 s[10:11], s[0:1], 0x0
	s_wait_xcnt 0x0
	s_add_nc_u64 s[0:1], s[0:1], 8
	s_delay_alu instid0(VALU_DEP_1) | instskip(NEXT) | instid1(VALU_DEP_1)
	v_mul_lo_u32 v19, v18, s8
	v_sub_nc_u32_e32 v17, v17, v19
	s_wait_kmcnt 0x0
	s_delay_alu instid0(VALU_DEP_1)
	v_mad_u32 v1, v17, s11, v1
	v_mad_u32 v0, v17, s10, v0
	v_mov_b32_e32 v17, v18
	s_cbranch_scc1 .LBB23_110
.LBB23_111:
	s_and_not1_b32 vcc_lo, exec_lo, s6
	s_cbranch_vccnz .LBB23_114
; %bb.112:
	s_clause 0x1
	s_load_b96 s[0:2], s[12:13], 0x4
	s_load_b64 s[4:5], s[12:13], 0xc4
	s_cmp_lt_u32 s30, 2
	s_wait_kmcnt 0x0
	v_mul_hi_u32 v0, s1, v15
	s_delay_alu instid0(VALU_DEP_1) | instskip(NEXT) | instid1(VALU_DEP_1)
	v_add_nc_u32_e32 v0, v15, v0
	v_lshrrev_b32_e32 v17, s2, v0
	s_delay_alu instid0(VALU_DEP_1) | instskip(NEXT) | instid1(VALU_DEP_1)
	v_mul_lo_u32 v0, v17, s0
	v_sub_nc_u32_e32 v0, v15, v0
	s_delay_alu instid0(VALU_DEP_1)
	v_mul_lo_u32 v1, v0, s5
	v_mul_lo_u32 v0, v0, s4
	s_cbranch_scc1 .LBB23_114
; %bb.113:
	s_clause 0x1
	s_load_b96 s[0:2], s[12:13], 0x10
	s_load_b64 s[4:5], s[12:13], 0xcc
	s_wait_kmcnt 0x0
	v_mul_hi_u32 v15, s1, v17
	s_delay_alu instid0(VALU_DEP_1) | instskip(NEXT) | instid1(VALU_DEP_1)
	v_add_nc_u32_e32 v15, v17, v15
	v_lshrrev_b32_e32 v15, s2, v15
	s_delay_alu instid0(VALU_DEP_1) | instskip(NEXT) | instid1(VALU_DEP_1)
	v_mul_lo_u32 v15, v15, s0
	v_sub_nc_u32_e32 v15, v17, v15
	s_delay_alu instid0(VALU_DEP_1)
	v_mad_u32 v0, v15, s4, v0
	v_mad_u32 v1, v15, s5, v1
.LBB23_114:
	v_cmp_ne_u32_e32 vcc_lo, 1, v14
	s_cbranch_vccnz .LBB23_120
; %bb.115:
	s_cmp_lg_u32 s30, 0
	s_mov_b32 s6, 0
	s_cbranch_scc0 .LBB23_121
; %bb.116:
	s_min_u32 s1, s31, 15
	s_delay_alu instid0(SALU_CYCLE_1)
	s_add_co_i32 s1, s1, 1
	s_cmp_eq_u32 s31, 2
	s_cbranch_scc1 .LBB23_122
; %bb.117:
	v_dual_mov_b32 v14, 0 :: v_dual_mov_b32 v15, 0
	v_mov_b32_e32 v17, v16
	s_and_b32 s0, s1, 28
	s_add_nc_u64 s[2:3], s[12:13], 0xc4
	s_mov_b32 s7, 0
	s_mov_b64 s[4:5], s[12:13]
.LBB23_118:                             ; =>This Inner Loop Header: Depth=1
	s_clause 0x1
	s_load_b256 s[16:23], s[4:5], 0x4
	s_load_b128 s[8:11], s[4:5], 0x24
	s_load_b256 s[36:43], s[2:3], 0x0
	s_add_co_i32 s7, s7, 4
	s_wait_xcnt 0x0
	s_add_nc_u64 s[4:5], s[4:5], 48
	s_cmp_lg_u32 s0, s7
	s_add_nc_u64 s[2:3], s[2:3], 32
	s_wait_kmcnt 0x0
	v_mul_hi_u32 v18, s17, v17
	s_delay_alu instid0(VALU_DEP_1) | instskip(NEXT) | instid1(VALU_DEP_1)
	v_add_nc_u32_e32 v18, v17, v18
	v_lshrrev_b32_e32 v18, s18, v18
	s_delay_alu instid0(VALU_DEP_1) | instskip(NEXT) | instid1(VALU_DEP_1)
	v_mul_hi_u32 v19, s20, v18
	v_add_nc_u32_e32 v19, v18, v19
	s_delay_alu instid0(VALU_DEP_1) | instskip(NEXT) | instid1(VALU_DEP_1)
	v_lshrrev_b32_e32 v19, s21, v19
	v_mul_hi_u32 v20, s23, v19
	s_delay_alu instid0(VALU_DEP_1) | instskip(SKIP_1) | instid1(VALU_DEP_1)
	v_add_nc_u32_e32 v20, v19, v20
	v_mul_lo_u32 v21, v18, s16
	v_sub_nc_u32_e32 v17, v17, v21
	v_mul_lo_u32 v21, v19, s19
	s_delay_alu instid0(VALU_DEP_4) | instskip(NEXT) | instid1(VALU_DEP_3)
	v_lshrrev_b32_e32 v20, s8, v20
	v_mad_u32 v15, v17, s37, v15
	v_mad_u32 v14, v17, s36, v14
	s_delay_alu instid0(VALU_DEP_4) | instskip(NEXT) | instid1(VALU_DEP_4)
	v_sub_nc_u32_e32 v17, v18, v21
	v_mul_hi_u32 v22, s10, v20
	v_mul_lo_u32 v18, v20, s22
	s_delay_alu instid0(VALU_DEP_3) | instskip(SKIP_1) | instid1(VALU_DEP_4)
	v_mad_u32 v15, v17, s39, v15
	v_mad_u32 v14, v17, s38, v14
	v_add_nc_u32_e32 v21, v20, v22
	s_delay_alu instid0(VALU_DEP_1) | instskip(NEXT) | instid1(VALU_DEP_1)
	v_dual_sub_nc_u32 v18, v19, v18 :: v_dual_lshrrev_b32 v17, s11, v21
	v_mad_u32 v15, v18, s41, v15
	s_delay_alu instid0(VALU_DEP_4) | instskip(NEXT) | instid1(VALU_DEP_3)
	v_mad_u32 v14, v18, s40, v14
	v_mul_lo_u32 v19, v17, s9
	s_delay_alu instid0(VALU_DEP_1) | instskip(NEXT) | instid1(VALU_DEP_1)
	v_sub_nc_u32_e32 v18, v20, v19
	v_mad_u32 v15, v18, s43, v15
	s_delay_alu instid0(VALU_DEP_4)
	v_mad_u32 v14, v18, s42, v14
	s_cbranch_scc1 .LBB23_118
; %bb.119:
	s_and_b32 s4, s1, 3
	s_mov_b32 s1, 0
	s_cmp_eq_u32 s4, 0
	s_cbranch_scc0 .LBB23_123
	s_branch .LBB23_125
.LBB23_120:
	s_mov_b32 s6, -1
                                        ; implicit-def: $vgpr15
	s_branch .LBB23_125
.LBB23_121:
	v_dual_mov_b32 v15, 0 :: v_dual_mov_b32 v14, 0
	s_branch .LBB23_125
.LBB23_122:
	v_mov_b64_e32 v[14:15], 0
	v_mov_b32_e32 v17, v16
	s_mov_b32 s0, 0
	s_and_b32 s4, s1, 3
	s_mov_b32 s1, 0
	s_cmp_eq_u32 s4, 0
	s_cbranch_scc1 .LBB23_125
.LBB23_123:
	s_lshl_b32 s2, s0, 3
	s_mov_b32 s3, s1
	s_mul_u64 s[8:9], s[0:1], 12
	s_add_nc_u64 s[2:3], s[12:13], s[2:3]
	s_delay_alu instid0(SALU_CYCLE_1)
	s_add_nc_u64 s[0:1], s[2:3], 0xc4
	s_add_nc_u64 s[2:3], s[12:13], s[8:9]
.LBB23_124:                             ; =>This Inner Loop Header: Depth=1
	s_load_b96 s[8:10], s[2:3], 0x4
	s_add_co_i32 s4, s4, -1
	s_wait_xcnt 0x0
	s_add_nc_u64 s[2:3], s[2:3], 12
	s_cmp_lg_u32 s4, 0
	s_wait_kmcnt 0x0
	v_mul_hi_u32 v18, s9, v17
	s_delay_alu instid0(VALU_DEP_1) | instskip(NEXT) | instid1(VALU_DEP_1)
	v_add_nc_u32_e32 v18, v17, v18
	v_lshrrev_b32_e32 v18, s10, v18
	s_load_b64 s[10:11], s[0:1], 0x0
	s_wait_xcnt 0x0
	s_add_nc_u64 s[0:1], s[0:1], 8
	s_delay_alu instid0(VALU_DEP_1) | instskip(NEXT) | instid1(VALU_DEP_1)
	v_mul_lo_u32 v19, v18, s8
	v_sub_nc_u32_e32 v17, v17, v19
	s_wait_kmcnt 0x0
	s_delay_alu instid0(VALU_DEP_1)
	v_mad_u32 v15, v17, s11, v15
	v_mad_u32 v14, v17, s10, v14
	v_mov_b32_e32 v17, v18
	s_cbranch_scc1 .LBB23_124
.LBB23_125:
	s_and_not1_b32 vcc_lo, exec_lo, s6
	s_cbranch_vccnz .LBB23_128
; %bb.126:
	s_clause 0x1
	s_load_b96 s[0:2], s[12:13], 0x4
	s_load_b64 s[4:5], s[12:13], 0xc4
	s_cmp_lt_u32 s30, 2
	s_wait_kmcnt 0x0
	v_mul_hi_u32 v14, s1, v16
	s_delay_alu instid0(VALU_DEP_1) | instskip(NEXT) | instid1(VALU_DEP_1)
	v_add_nc_u32_e32 v14, v16, v14
	v_lshrrev_b32_e32 v17, s2, v14
	s_delay_alu instid0(VALU_DEP_1) | instskip(NEXT) | instid1(VALU_DEP_1)
	v_mul_lo_u32 v14, v17, s0
	v_sub_nc_u32_e32 v14, v16, v14
	s_delay_alu instid0(VALU_DEP_1)
	v_mul_lo_u32 v15, v14, s5
	v_mul_lo_u32 v14, v14, s4
	s_cbranch_scc1 .LBB23_128
; %bb.127:
	s_clause 0x1
	s_load_b96 s[0:2], s[12:13], 0x10
	s_load_b64 s[4:5], s[12:13], 0xcc
	s_wait_kmcnt 0x0
	v_mul_hi_u32 v16, s1, v17
	s_delay_alu instid0(VALU_DEP_1) | instskip(NEXT) | instid1(VALU_DEP_1)
	v_add_nc_u32_e32 v16, v17, v16
	v_lshrrev_b32_e32 v16, s2, v16
	s_delay_alu instid0(VALU_DEP_1) | instskip(NEXT) | instid1(VALU_DEP_1)
	v_mul_lo_u32 v16, v16, s0
	v_sub_nc_u32_e32 v16, v17, v16
	s_delay_alu instid0(VALU_DEP_1)
	v_mad_u32 v14, v16, s4, v14
	v_mad_u32 v15, v16, s5, v15
.LBB23_128:
	s_clause 0x1
	s_load_b128 s[0:3], s[12:13], 0x148
	s_load_b64 s[4:5], s[12:13], 0x158
	s_mov_b32 s6, exec_lo
	s_wait_kmcnt 0x0
	global_load_u16 v3, v3, s[2:3]
	s_wait_loadcnt 0x0
	v_cvt_f32_f16_e32 v16, v3
	s_delay_alu instid0(VALU_DEP_1) | instskip(SKIP_1) | instid1(VALU_DEP_1)
	v_mul_f32_e32 v16, s4, v16
	s_wait_xcnt 0x0
	v_cmpx_nlt_f32_e32 s5, v16
	s_cbranch_execz .LBB23_130
; %bb.129:
	v_mul_f32_e32 v3, 0x3fb8aa3b, v16
	v_cmp_ngt_f32_e32 vcc_lo, 0xc2ce8ed0, v16
	s_mov_b32 s7, 0x3e9b6dac
	s_delay_alu instid0(VALU_DEP_2) | instskip(SKIP_1) | instid1(VALU_DEP_1)
	v_rndne_f32_e32 v17, v3
	v_fma_f32 v18, 0x3fb8aa3b, v16, -v3
	v_dual_sub_f32 v3, v3, v17 :: v_dual_fmamk_f32 v18, v16, 0x32a5705f, v18
	v_cvt_i32_f32_e32 v17, v17
	s_delay_alu instid0(VALU_DEP_2) | instskip(NEXT) | instid1(VALU_DEP_1)
	v_add_f32_e32 v3, v3, v18
	v_exp_f32_e32 v3, v3
	v_nop
	s_delay_alu instid0(TRANS32_DEP_1) | instskip(NEXT) | instid1(VALU_DEP_1)
	v_ldexp_f32 v3, v3, v17
	v_cndmask_b32_e32 v3, 0, v3, vcc_lo
	v_cmp_nlt_f32_e32 vcc_lo, 0x42b17218, v16
	s_delay_alu instid0(VALU_DEP_2) | instskip(NEXT) | instid1(VALU_DEP_1)
	v_cndmask_b32_e32 v32, 0x7f800000, v3, vcc_lo
	v_add_f32_e32 v3, 1.0, v32
	s_delay_alu instid0(VALU_DEP_1) | instskip(NEXT) | instid1(VALU_DEP_1)
	v_cvt_f64_f32_e32 v[16:17], v3
	v_frexp_exp_i32_f64_e32 v16, v[16:17]
	v_frexp_mant_f32_e32 v17, v3
	s_delay_alu instid0(VALU_DEP_1) | instskip(NEXT) | instid1(VALU_DEP_3)
	v_cmp_gt_f32_e32 vcc_lo, 0x3f2aaaab, v17
	v_subrev_co_ci_u32_e64 v22, null, 0, v16, vcc_lo
	s_delay_alu instid0(VALU_DEP_1) | instskip(NEXT) | instid1(VALU_DEP_1)
	v_dual_add_f32 v16, -1.0, v3 :: v_dual_sub_nc_u32 v17, 0, v22
	v_sub_f32_e32 v18, v16, v3
	s_delay_alu instid0(VALU_DEP_2) | instskip(NEXT) | instid1(VALU_DEP_1)
	v_ldexp_f32 v3, v3, v17
	v_dual_add_f32 v18, 1.0, v18 :: v_dual_add_f32 v19, 1.0, v3
	v_dual_add_f32 v21, -1.0, v3 :: v_dual_sub_f32 v16, v32, v16
	v_cmp_neq_f32_e32 vcc_lo, 0x7f800000, v32
	s_delay_alu instid0(VALU_DEP_2) | instskip(NEXT) | instid1(VALU_DEP_1)
	v_dual_add_f32 v16, v16, v18 :: v_dual_add_f32 v18, -1.0, v19
	v_ldexp_f32 v16, v16, v17
	s_delay_alu instid0(VALU_DEP_2) | instskip(NEXT) | instid1(VALU_DEP_1)
	v_dual_sub_f32 v17, v3, v18 :: v_dual_add_f32 v18, 1.0, v21
	v_add_f32_e32 v20, v16, v17
	s_delay_alu instid0(VALU_DEP_1) | instskip(NEXT) | instid1(VALU_DEP_1)
	v_add_f32_e32 v23, v19, v20
	v_rcp_f32_e32 v24, v23
	s_delay_alu instid0(VALU_DEP_3) | instskip(NEXT) | instid1(VALU_DEP_1)
	v_sub_f32_e32 v3, v3, v18
	v_add_f32_e32 v3, v16, v3
	v_sub_f32_e32 v16, v19, v23
	s_delay_alu instid0(VALU_DEP_1)
	v_dual_add_f32 v17, v21, v3 :: v_dual_add_f32 v26, v20, v16
	s_delay_alu instid0(TRANS32_DEP_1) | instid1(VALU_DEP_1)
	v_mul_f32_e32 v25, v17, v24
	v_sub_f32_e32 v27, v21, v17
	s_delay_alu instid0(VALU_DEP_2) | instskip(NEXT) | instid1(VALU_DEP_2)
	v_mul_f32_e32 v18, v23, v25
	v_add_f32_e32 v3, v3, v27
	s_delay_alu instid0(VALU_DEP_2) | instskip(NEXT) | instid1(VALU_DEP_1)
	v_fma_f32 v20, v25, v23, -v18
	v_fmac_f32_e32 v20, v25, v26
	s_delay_alu instid0(VALU_DEP_1) | instskip(NEXT) | instid1(VALU_DEP_1)
	v_add_f32_e32 v16, v18, v20
	v_dual_sub_f32 v19, v17, v16 :: v_dual_mov_b32 v21, v16
	s_delay_alu instid0(VALU_DEP_1) | instskip(NEXT) | instid1(VALU_DEP_1)
	v_pk_add_f32 v[16:17], v[16:17], v[18:19] neg_lo:[0,1] neg_hi:[0,1]
	v_pk_add_f32 v[16:17], v[16:17], v[20:21] neg_lo:[0,1] neg_hi:[0,1]
	s_delay_alu instid0(VALU_DEP_1) | instskip(NEXT) | instid1(VALU_DEP_1)
	v_add_f32_e32 v3, v3, v17
	v_add_f32_e32 v3, v16, v3
	s_delay_alu instid0(VALU_DEP_1) | instskip(NEXT) | instid1(VALU_DEP_1)
	v_add_f32_e32 v17, v19, v3
	v_mul_f32_e32 v27, v24, v17
	s_delay_alu instid0(VALU_DEP_1) | instskip(NEXT) | instid1(VALU_DEP_1)
	v_mul_f32_e32 v20, v23, v27
	v_fma_f32 v18, v27, v23, -v20
	s_delay_alu instid0(VALU_DEP_1) | instskip(NEXT) | instid1(VALU_DEP_1)
	v_fmac_f32_e32 v18, v27, v26
	v_dual_add_f32 v16, v20, v18 :: v_dual_sub_f32 v23, v19, v17
	s_delay_alu instid0(VALU_DEP_1) | instskip(NEXT) | instid1(VALU_DEP_1)
	v_dual_sub_f32 v21, v17, v16 :: v_dual_mov_b32 v19, v16
	v_pk_add_f32 v[16:17], v[16:17], v[20:21] neg_lo:[0,1] neg_hi:[0,1]
	v_add_f32_e32 v20, v25, v27
	s_delay_alu instid0(VALU_DEP_4) | instskip(NEXT) | instid1(VALU_DEP_3)
	v_add_f32_e32 v3, v3, v23
	v_pk_add_f32 v[16:17], v[16:17], v[18:19] neg_lo:[0,1] neg_hi:[0,1]
	v_cvt_f32_i32_e32 v18, v22
	s_delay_alu instid0(VALU_DEP_2) | instskip(NEXT) | instid1(VALU_DEP_1)
	v_add_f32_e32 v3, v3, v17
	v_add_f32_e32 v3, v16, v3
	v_sub_f32_e32 v16, v20, v25
	s_delay_alu instid0(VALU_DEP_1) | instskip(NEXT) | instid1(VALU_DEP_1)
	v_dual_sub_f32 v16, v27, v16 :: v_dual_add_f32 v3, v21, v3
	v_mul_f32_e32 v3, v24, v3
	s_delay_alu instid0(VALU_DEP_1) | instskip(NEXT) | instid1(VALU_DEP_1)
	v_dual_add_f32 v3, v16, v3 :: v_dual_mov_b32 v16, 0x3f317218
	v_add_f32_e32 v21, v20, v3
	s_delay_alu instid0(VALU_DEP_1) | instskip(NEXT) | instid1(VALU_DEP_1)
	v_mul_f32_e32 v17, v21, v21
	v_fmaak_f32 v23, s7, v17, 0x3ecc95a3
	v_mul_f32_e32 v19, v21, v17
	s_delay_alu instid0(VALU_DEP_2) | instskip(NEXT) | instid1(VALU_DEP_1)
	v_fmaak_f32 v17, v17, v23, 0x3f2aaada
	v_pk_mul_f32 v[16:17], v[18:19], v[16:17]
	s_delay_alu instid0(VALU_DEP_1) | instskip(NEXT) | instid1(VALU_DEP_1)
	v_fma_f32 v22, 0x3f317218, v18, -v16
	v_fmamk_f32 v18, v18, 0xb102e308, v22
	v_sub_f32_e32 v22, v21, v20
	s_delay_alu instid0(VALU_DEP_1) | instskip(SKIP_2) | instid1(VALU_DEP_3)
	v_sub_f32_e32 v3, v3, v22
	v_ldexp_f32 v19, v21, 1
	v_mov_b32_e32 v22, v16
	v_ldexp_f32 v3, v3, 1
	s_delay_alu instid0(VALU_DEP_3) | instskip(NEXT) | instid1(VALU_DEP_1)
	v_pk_add_f32 v[20:21], v[16:17], v[18:19]
	v_dual_sub_f32 v19, v21, v19 :: v_dual_mov_b32 v30, v21
	s_delay_alu instid0(VALU_DEP_1) | instskip(NEXT) | instid1(VALU_DEP_3)
	v_sub_f32_e32 v19, v17, v19
	v_pk_add_f32 v[16:17], v[20:21], v[16:17] neg_lo:[0,1] neg_hi:[0,1]
	s_delay_alu instid0(VALU_DEP_2) | instskip(NEXT) | instid1(VALU_DEP_1)
	v_dual_add_f32 v23, v3, v19 :: v_dual_mov_b32 v19, v20
	v_pk_add_f32 v[24:25], v[20:21], v[22:23]
	s_delay_alu instid0(VALU_DEP_1) | instskip(NEXT) | instid1(VALU_DEP_1)
	v_mov_b32_e32 v17, v25
	v_pk_add_f32 v[26:27], v[18:19], v[16:17]
	v_mov_b32_e32 v26, v25
	v_pk_add_f32 v[16:17], v[18:19], v[16:17] neg_lo:[0,1] neg_hi:[0,1]
	s_delay_alu instid0(VALU_DEP_3) | instskip(NEXT) | instid1(VALU_DEP_1)
	v_dual_mov_b32 v22, v27 :: v_dual_mov_b32 v17, v27
	v_pk_add_f32 v[28:29], v[22:23], v[20:21] neg_lo:[0,1] neg_hi:[0,1]
	v_dual_mov_b32 v21, v20 :: v_dual_mov_b32 v20, v23
	s_delay_alu instid0(VALU_DEP_2) | instskip(NEXT) | instid1(VALU_DEP_1)
	v_dual_mov_b32 v3, v28 :: v_dual_mov_b32 v31, v28
	v_pk_add_f32 v[24:25], v[24:25], v[2:3] neg_lo:[0,1] neg_hi:[0,1]
	s_delay_alu instid0(VALU_DEP_2) | instskip(SKIP_1) | instid1(VALU_DEP_2)
	v_pk_add_f32 v[18:19], v[26:27], v[30:31] neg_lo:[0,1] neg_hi:[0,1]
	v_mov_b32_e32 v24, v16
	v_pk_add_f32 v[18:19], v[20:21], v[18:19] neg_lo:[0,1] neg_hi:[0,1]
	s_delay_alu instid0(VALU_DEP_1) | instskip(NEXT) | instid1(VALU_DEP_1)
	v_pk_add_f32 v[20:21], v[24:25], v[18:19]
	v_mov_b32_e32 v24, v21
	s_delay_alu instid0(VALU_DEP_1) | instskip(NEXT) | instid1(VALU_DEP_1)
	v_pk_add_f32 v[24:25], v[20:21], v[24:25]
	v_pk_add_f32 v[22:23], v[22:23], v[24:25]
	s_delay_alu instid0(VALU_DEP_1) | instskip(NEXT) | instid1(VALU_DEP_1)
	v_mov_b32_e32 v21, v22
	v_pk_add_f32 v[26:27], v[20:21], v[16:17] neg_lo:[0,1] neg_hi:[0,1]
	s_delay_alu instid0(VALU_DEP_1) | instskip(NEXT) | instid1(VALU_DEP_1)
	v_sub_f32_e32 v3, v20, v26
	v_sub_f32_e32 v3, v16, v3
	v_mov_b32_e32 v19, v24
	s_delay_alu instid0(VALU_DEP_1) | instskip(NEXT) | instid1(VALU_DEP_1)
	v_pk_add_f32 v[18:19], v[18:19], v[26:27] neg_lo:[0,1] neg_hi:[0,1]
	v_add_f32_e32 v3, v18, v3
	s_delay_alu instid0(VALU_DEP_1) | instskip(NEXT) | instid1(VALU_DEP_1)
	v_add_f32_e32 v3, v3, v19
	v_add_f32_e32 v3, v22, v3
	s_delay_alu instid0(VALU_DEP_1) | instskip(SKIP_1) | instid1(VALU_DEP_2)
	v_cndmask_b32_e32 v3, 0x7f800000, v3, vcc_lo
	v_cmp_gt_f32_e64 vcc_lo, 0x33800000, |v32|
	v_cndmask_b32_e32 v3, v3, v32, vcc_lo
	s_delay_alu instid0(VALU_DEP_1) | instskip(NEXT) | instid1(VALU_DEP_1)
	v_div_scale_f32 v16, null, s4, s4, v3
	v_rcp_f32_e32 v17, v16
	v_nop
	s_delay_alu instid0(TRANS32_DEP_1) | instskip(NEXT) | instid1(VALU_DEP_1)
	v_fma_f32 v18, -v16, v17, 1.0
	v_fmac_f32_e32 v17, v18, v17
	v_div_scale_f32 v18, vcc_lo, v3, s4, v3
	s_delay_alu instid0(VALU_DEP_1) | instskip(NEXT) | instid1(VALU_DEP_1)
	v_mul_f32_e32 v19, v18, v17
	v_fma_f32 v20, -v16, v19, v18
	s_delay_alu instid0(VALU_DEP_1) | instskip(NEXT) | instid1(VALU_DEP_1)
	v_fmac_f32_e32 v19, v20, v17
	v_fma_f32 v16, -v16, v19, v18
	s_delay_alu instid0(VALU_DEP_1) | instskip(NEXT) | instid1(VALU_DEP_1)
	v_div_fmas_f32 v16, v16, v17, v19
	v_div_fixup_f32 v3, v16, s4, v3
	s_delay_alu instid0(VALU_DEP_1)
	v_cvt_f16_f32_e32 v3, v3
.LBB23_130:
	s_or_b32 exec_lo, exec_lo, s6
	global_load_u16 v5, v5, s[2:3]
	s_mov_b32 s6, exec_lo
	s_wait_loadcnt 0x0
	v_cvt_f32_f16_e32 v16, v5
	s_delay_alu instid0(VALU_DEP_1) | instskip(SKIP_1) | instid1(VALU_DEP_1)
	v_mul_f32_e32 v16, s4, v16
	s_wait_xcnt 0x0
	v_cmpx_nlt_f32_e32 s5, v16
	s_cbranch_execz .LBB23_132
; %bb.131:
	v_mul_f32_e32 v5, 0x3fb8aa3b, v16
	v_cmp_ngt_f32_e32 vcc_lo, 0xc2ce8ed0, v16
	s_mov_b32 s7, 0x3e9b6dac
	s_delay_alu instid0(VALU_DEP_2) | instskip(SKIP_1) | instid1(VALU_DEP_1)
	v_rndne_f32_e32 v17, v5
	v_fma_f32 v18, 0x3fb8aa3b, v16, -v5
	v_dual_sub_f32 v5, v5, v17 :: v_dual_fmamk_f32 v18, v16, 0x32a5705f, v18
	v_cvt_i32_f32_e32 v17, v17
	s_delay_alu instid0(VALU_DEP_2) | instskip(NEXT) | instid1(VALU_DEP_1)
	v_add_f32_e32 v5, v5, v18
	v_exp_f32_e32 v5, v5
	v_nop
	s_delay_alu instid0(TRANS32_DEP_1) | instskip(NEXT) | instid1(VALU_DEP_1)
	v_ldexp_f32 v5, v5, v17
	v_cndmask_b32_e32 v5, 0, v5, vcc_lo
	v_cmp_nlt_f32_e32 vcc_lo, 0x42b17218, v16
	s_delay_alu instid0(VALU_DEP_2) | instskip(NEXT) | instid1(VALU_DEP_1)
	v_cndmask_b32_e32 v32, 0x7f800000, v5, vcc_lo
	v_add_f32_e32 v5, 1.0, v32
	s_delay_alu instid0(VALU_DEP_1) | instskip(NEXT) | instid1(VALU_DEP_1)
	v_cvt_f64_f32_e32 v[16:17], v5
	v_frexp_exp_i32_f64_e32 v16, v[16:17]
	v_frexp_mant_f32_e32 v17, v5
	s_delay_alu instid0(VALU_DEP_1) | instskip(NEXT) | instid1(VALU_DEP_3)
	v_cmp_gt_f32_e32 vcc_lo, 0x3f2aaaab, v17
	v_subrev_co_ci_u32_e64 v22, null, 0, v16, vcc_lo
	s_delay_alu instid0(VALU_DEP_1) | instskip(NEXT) | instid1(VALU_DEP_1)
	v_dual_add_f32 v16, -1.0, v5 :: v_dual_sub_nc_u32 v17, 0, v22
	v_sub_f32_e32 v18, v16, v5
	s_delay_alu instid0(VALU_DEP_2) | instskip(NEXT) | instid1(VALU_DEP_1)
	v_ldexp_f32 v5, v5, v17
	v_dual_add_f32 v19, 1.0, v5 :: v_dual_sub_f32 v16, v32, v16
	s_delay_alu instid0(VALU_DEP_3) | instskip(SKIP_1) | instid1(VALU_DEP_2)
	v_dual_add_f32 v21, -1.0, v5 :: v_dual_add_f32 v18, 1.0, v18
	v_cmp_neq_f32_e32 vcc_lo, 0x7f800000, v32
	v_dual_add_f32 v16, v16, v18 :: v_dual_add_f32 v18, -1.0, v19
	s_delay_alu instid0(VALU_DEP_1) | instskip(NEXT) | instid1(VALU_DEP_2)
	v_ldexp_f32 v16, v16, v17
	v_dual_sub_f32 v17, v5, v18 :: v_dual_add_f32 v18, 1.0, v21
	s_delay_alu instid0(VALU_DEP_1) | instskip(NEXT) | instid1(VALU_DEP_1)
	v_dual_add_f32 v20, v16, v17 :: v_dual_sub_f32 v5, v5, v18
	v_dual_add_f32 v23, v19, v20 :: v_dual_add_f32 v5, v16, v5
	s_delay_alu instid0(VALU_DEP_1) | instskip(NEXT) | instid1(VALU_DEP_1)
	v_rcp_f32_e32 v24, v23
	v_dual_add_f32 v17, v21, v5 :: v_dual_sub_f32 v16, v19, v23
	s_delay_alu instid0(VALU_DEP_1) | instskip(NEXT) | instid1(TRANS32_DEP_1)
	v_sub_f32_e32 v27, v21, v17
	v_mul_f32_e32 v25, v17, v24
	s_delay_alu instid0(VALU_DEP_2) | instskip(NEXT) | instid1(VALU_DEP_2)
	v_dual_add_f32 v26, v20, v16 :: v_dual_add_f32 v5, v5, v27
	v_mul_f32_e32 v18, v23, v25
	s_delay_alu instid0(VALU_DEP_1) | instskip(NEXT) | instid1(VALU_DEP_1)
	v_fma_f32 v20, v25, v23, -v18
	v_fmac_f32_e32 v20, v25, v26
	s_delay_alu instid0(VALU_DEP_1) | instskip(NEXT) | instid1(VALU_DEP_1)
	v_add_f32_e32 v16, v18, v20
	v_dual_sub_f32 v19, v17, v16 :: v_dual_mov_b32 v21, v16
	s_delay_alu instid0(VALU_DEP_1) | instskip(NEXT) | instid1(VALU_DEP_1)
	v_pk_add_f32 v[16:17], v[16:17], v[18:19] neg_lo:[0,1] neg_hi:[0,1]
	v_pk_add_f32 v[16:17], v[16:17], v[20:21] neg_lo:[0,1] neg_hi:[0,1]
	s_delay_alu instid0(VALU_DEP_1) | instskip(NEXT) | instid1(VALU_DEP_1)
	v_add_f32_e32 v5, v5, v17
	v_add_f32_e32 v5, v16, v5
	s_delay_alu instid0(VALU_DEP_1) | instskip(NEXT) | instid1(VALU_DEP_1)
	v_add_f32_e32 v17, v19, v5
	v_mul_f32_e32 v27, v24, v17
	s_delay_alu instid0(VALU_DEP_1) | instskip(NEXT) | instid1(VALU_DEP_1)
	v_mul_f32_e32 v20, v23, v27
	v_fma_f32 v18, v27, v23, -v20
	v_sub_f32_e32 v23, v19, v17
	s_delay_alu instid0(VALU_DEP_1) | instskip(NEXT) | instid1(VALU_DEP_1)
	v_dual_fmac_f32 v18, v27, v26 :: v_dual_add_f32 v5, v5, v23
	v_add_f32_e32 v16, v20, v18
	s_delay_alu instid0(VALU_DEP_1) | instskip(NEXT) | instid1(VALU_DEP_1)
	v_dual_sub_f32 v21, v17, v16 :: v_dual_mov_b32 v19, v16
	v_pk_add_f32 v[16:17], v[16:17], v[20:21] neg_lo:[0,1] neg_hi:[0,1]
	s_delay_alu instid0(VALU_DEP_1) | instskip(SKIP_1) | instid1(VALU_DEP_2)
	v_pk_add_f32 v[16:17], v[16:17], v[18:19] neg_lo:[0,1] neg_hi:[0,1]
	v_cvt_f32_i32_e32 v18, v22
	v_add_f32_e32 v5, v5, v17
	s_delay_alu instid0(VALU_DEP_1) | instskip(NEXT) | instid1(VALU_DEP_1)
	v_dual_add_f32 v20, v25, v27 :: v_dual_add_f32 v5, v16, v5
	v_sub_f32_e32 v16, v20, v25
	s_delay_alu instid0(VALU_DEP_1) | instskip(NEXT) | instid1(VALU_DEP_1)
	v_dual_add_f32 v5, v21, v5 :: v_dual_sub_f32 v16, v27, v16
	v_mul_f32_e32 v5, v24, v5
	s_delay_alu instid0(VALU_DEP_1) | instskip(NEXT) | instid1(VALU_DEP_1)
	v_dual_add_f32 v5, v16, v5 :: v_dual_mov_b32 v16, 0x3f317218
	v_add_f32_e32 v21, v20, v5
	s_delay_alu instid0(VALU_DEP_1) | instskip(NEXT) | instid1(VALU_DEP_1)
	v_mul_f32_e32 v17, v21, v21
	v_fmaak_f32 v23, s7, v17, 0x3ecc95a3
	v_mul_f32_e32 v19, v21, v17
	s_delay_alu instid0(VALU_DEP_2) | instskip(NEXT) | instid1(VALU_DEP_1)
	v_fmaak_f32 v17, v17, v23, 0x3f2aaada
	v_pk_mul_f32 v[16:17], v[18:19], v[16:17]
	s_delay_alu instid0(VALU_DEP_1) | instskip(NEXT) | instid1(VALU_DEP_1)
	v_fma_f32 v22, 0x3f317218, v18, -v16
	v_fmamk_f32 v18, v18, 0xb102e308, v22
	v_sub_f32_e32 v22, v21, v20
	s_delay_alu instid0(VALU_DEP_1) | instskip(SKIP_2) | instid1(VALU_DEP_3)
	v_sub_f32_e32 v5, v5, v22
	v_ldexp_f32 v19, v21, 1
	v_mov_b32_e32 v22, v16
	v_ldexp_f32 v5, v5, 1
	s_delay_alu instid0(VALU_DEP_3) | instskip(NEXT) | instid1(VALU_DEP_1)
	v_pk_add_f32 v[20:21], v[16:17], v[18:19]
	v_dual_sub_f32 v19, v21, v19 :: v_dual_mov_b32 v30, v21
	s_delay_alu instid0(VALU_DEP_1) | instskip(NEXT) | instid1(VALU_DEP_3)
	v_sub_f32_e32 v19, v17, v19
	v_pk_add_f32 v[16:17], v[20:21], v[16:17] neg_lo:[0,1] neg_hi:[0,1]
	s_delay_alu instid0(VALU_DEP_2) | instskip(NEXT) | instid1(VALU_DEP_1)
	v_dual_add_f32 v23, v5, v19 :: v_dual_mov_b32 v19, v20
	v_pk_add_f32 v[24:25], v[20:21], v[22:23]
	s_delay_alu instid0(VALU_DEP_1) | instskip(NEXT) | instid1(VALU_DEP_1)
	v_mov_b32_e32 v17, v25
	v_pk_add_f32 v[26:27], v[18:19], v[16:17]
	v_mov_b32_e32 v26, v25
	v_pk_add_f32 v[16:17], v[18:19], v[16:17] neg_lo:[0,1] neg_hi:[0,1]
	s_delay_alu instid0(VALU_DEP_3) | instskip(NEXT) | instid1(VALU_DEP_1)
	v_dual_mov_b32 v22, v27 :: v_dual_mov_b32 v17, v27
	v_pk_add_f32 v[28:29], v[22:23], v[20:21] neg_lo:[0,1] neg_hi:[0,1]
	v_dual_mov_b32 v21, v20 :: v_dual_mov_b32 v20, v23
	s_delay_alu instid0(VALU_DEP_2) | instskip(NEXT) | instid1(VALU_DEP_1)
	v_dual_mov_b32 v5, v28 :: v_dual_mov_b32 v31, v28
	v_pk_add_f32 v[24:25], v[24:25], v[4:5] neg_lo:[0,1] neg_hi:[0,1]
	s_delay_alu instid0(VALU_DEP_2) | instskip(SKIP_1) | instid1(VALU_DEP_2)
	v_pk_add_f32 v[18:19], v[26:27], v[30:31] neg_lo:[0,1] neg_hi:[0,1]
	v_mov_b32_e32 v24, v16
	v_pk_add_f32 v[18:19], v[20:21], v[18:19] neg_lo:[0,1] neg_hi:[0,1]
	s_delay_alu instid0(VALU_DEP_1) | instskip(NEXT) | instid1(VALU_DEP_1)
	v_pk_add_f32 v[20:21], v[24:25], v[18:19]
	v_mov_b32_e32 v24, v21
	s_delay_alu instid0(VALU_DEP_1) | instskip(NEXT) | instid1(VALU_DEP_1)
	v_pk_add_f32 v[24:25], v[20:21], v[24:25]
	v_pk_add_f32 v[22:23], v[22:23], v[24:25]
	s_delay_alu instid0(VALU_DEP_1) | instskip(NEXT) | instid1(VALU_DEP_1)
	v_mov_b32_e32 v21, v22
	v_pk_add_f32 v[26:27], v[20:21], v[16:17] neg_lo:[0,1] neg_hi:[0,1]
	s_delay_alu instid0(VALU_DEP_1) | instskip(NEXT) | instid1(VALU_DEP_1)
	v_sub_f32_e32 v5, v20, v26
	v_sub_f32_e32 v5, v16, v5
	v_mov_b32_e32 v19, v24
	s_delay_alu instid0(VALU_DEP_1) | instskip(NEXT) | instid1(VALU_DEP_1)
	v_pk_add_f32 v[18:19], v[18:19], v[26:27] neg_lo:[0,1] neg_hi:[0,1]
	v_add_f32_e32 v5, v18, v5
	s_delay_alu instid0(VALU_DEP_1) | instskip(NEXT) | instid1(VALU_DEP_1)
	v_add_f32_e32 v5, v5, v19
	v_add_f32_e32 v5, v22, v5
	s_delay_alu instid0(VALU_DEP_1) | instskip(SKIP_1) | instid1(VALU_DEP_2)
	v_cndmask_b32_e32 v5, 0x7f800000, v5, vcc_lo
	v_cmp_gt_f32_e64 vcc_lo, 0x33800000, |v32|
	v_cndmask_b32_e32 v5, v5, v32, vcc_lo
	s_delay_alu instid0(VALU_DEP_1) | instskip(NEXT) | instid1(VALU_DEP_1)
	v_div_scale_f32 v16, null, s4, s4, v5
	v_rcp_f32_e32 v17, v16
	v_nop
	s_delay_alu instid0(TRANS32_DEP_1) | instskip(NEXT) | instid1(VALU_DEP_1)
	v_fma_f32 v18, -v16, v17, 1.0
	v_fmac_f32_e32 v17, v18, v17
	v_div_scale_f32 v18, vcc_lo, v5, s4, v5
	s_delay_alu instid0(VALU_DEP_1) | instskip(NEXT) | instid1(VALU_DEP_1)
	v_mul_f32_e32 v19, v18, v17
	v_fma_f32 v20, -v16, v19, v18
	s_delay_alu instid0(VALU_DEP_1) | instskip(NEXT) | instid1(VALU_DEP_1)
	v_fmac_f32_e32 v19, v20, v17
	v_fma_f32 v16, -v16, v19, v18
	s_delay_alu instid0(VALU_DEP_1) | instskip(NEXT) | instid1(VALU_DEP_1)
	v_div_fmas_f32 v16, v16, v17, v19
	v_div_fixup_f32 v5, v16, s4, v5
	s_delay_alu instid0(VALU_DEP_1)
	v_cvt_f16_f32_e32 v5, v5
.LBB23_132:
	s_or_b32 exec_lo, exec_lo, s6
	global_load_u16 v7, v7, s[2:3]
	s_mov_b32 s6, exec_lo
	s_wait_loadcnt 0x0
	v_cvt_f32_f16_e32 v16, v7
	s_delay_alu instid0(VALU_DEP_1) | instskip(SKIP_1) | instid1(VALU_DEP_1)
	v_mul_f32_e32 v16, s4, v16
	s_wait_xcnt 0x0
	v_cmpx_nlt_f32_e32 s5, v16
	s_cbranch_execz .LBB23_134
; %bb.133:
	v_mul_f32_e32 v7, 0x3fb8aa3b, v16
	v_cmp_ngt_f32_e32 vcc_lo, 0xc2ce8ed0, v16
	s_mov_b32 s7, 0x3e9b6dac
	s_delay_alu instid0(VALU_DEP_2) | instskip(SKIP_1) | instid1(VALU_DEP_1)
	v_rndne_f32_e32 v17, v7
	v_fma_f32 v18, 0x3fb8aa3b, v16, -v7
	v_dual_sub_f32 v7, v7, v17 :: v_dual_fmamk_f32 v18, v16, 0x32a5705f, v18
	v_cvt_i32_f32_e32 v17, v17
	s_delay_alu instid0(VALU_DEP_2) | instskip(NEXT) | instid1(VALU_DEP_1)
	v_add_f32_e32 v7, v7, v18
	v_exp_f32_e32 v7, v7
	v_nop
	s_delay_alu instid0(TRANS32_DEP_1) | instskip(NEXT) | instid1(VALU_DEP_1)
	v_ldexp_f32 v7, v7, v17
	v_cndmask_b32_e32 v7, 0, v7, vcc_lo
	v_cmp_nlt_f32_e32 vcc_lo, 0x42b17218, v16
	s_delay_alu instid0(VALU_DEP_2) | instskip(NEXT) | instid1(VALU_DEP_1)
	v_cndmask_b32_e32 v32, 0x7f800000, v7, vcc_lo
	v_add_f32_e32 v7, 1.0, v32
	s_delay_alu instid0(VALU_DEP_1) | instskip(NEXT) | instid1(VALU_DEP_1)
	v_cvt_f64_f32_e32 v[16:17], v7
	v_frexp_exp_i32_f64_e32 v16, v[16:17]
	v_frexp_mant_f32_e32 v17, v7
	s_delay_alu instid0(VALU_DEP_1) | instskip(NEXT) | instid1(VALU_DEP_3)
	v_cmp_gt_f32_e32 vcc_lo, 0x3f2aaaab, v17
	v_subrev_co_ci_u32_e64 v22, null, 0, v16, vcc_lo
	s_delay_alu instid0(VALU_DEP_1) | instskip(NEXT) | instid1(VALU_DEP_1)
	v_dual_add_f32 v16, -1.0, v7 :: v_dual_sub_nc_u32 v17, 0, v22
	v_sub_f32_e32 v18, v16, v7
	s_delay_alu instid0(VALU_DEP_2) | instskip(NEXT) | instid1(VALU_DEP_1)
	v_ldexp_f32 v7, v7, v17
	v_dual_add_f32 v18, 1.0, v18 :: v_dual_add_f32 v19, 1.0, v7
	v_dual_add_f32 v21, -1.0, v7 :: v_dual_sub_f32 v16, v32, v16
	v_cmp_neq_f32_e32 vcc_lo, 0x7f800000, v32
	s_delay_alu instid0(VALU_DEP_2) | instskip(NEXT) | instid1(VALU_DEP_1)
	v_dual_add_f32 v16, v16, v18 :: v_dual_add_f32 v18, -1.0, v19
	v_ldexp_f32 v16, v16, v17
	s_delay_alu instid0(VALU_DEP_2) | instskip(NEXT) | instid1(VALU_DEP_1)
	v_dual_sub_f32 v17, v7, v18 :: v_dual_add_f32 v18, 1.0, v21
	v_add_f32_e32 v20, v16, v17
	s_delay_alu instid0(VALU_DEP_1) | instskip(NEXT) | instid1(VALU_DEP_1)
	v_add_f32_e32 v23, v19, v20
	v_rcp_f32_e32 v24, v23
	s_delay_alu instid0(VALU_DEP_3) | instskip(NEXT) | instid1(VALU_DEP_1)
	v_sub_f32_e32 v7, v7, v18
	v_add_f32_e32 v7, v16, v7
	v_sub_f32_e32 v16, v19, v23
	s_delay_alu instid0(VALU_DEP_1)
	v_dual_add_f32 v17, v21, v7 :: v_dual_add_f32 v26, v20, v16
	s_delay_alu instid0(TRANS32_DEP_1) | instid1(VALU_DEP_1)
	v_mul_f32_e32 v25, v17, v24
	v_sub_f32_e32 v27, v21, v17
	s_delay_alu instid0(VALU_DEP_2) | instskip(NEXT) | instid1(VALU_DEP_2)
	v_mul_f32_e32 v18, v23, v25
	v_add_f32_e32 v7, v7, v27
	s_delay_alu instid0(VALU_DEP_2) | instskip(NEXT) | instid1(VALU_DEP_1)
	v_fma_f32 v20, v25, v23, -v18
	v_fmac_f32_e32 v20, v25, v26
	s_delay_alu instid0(VALU_DEP_1) | instskip(NEXT) | instid1(VALU_DEP_1)
	v_add_f32_e32 v16, v18, v20
	v_dual_sub_f32 v19, v17, v16 :: v_dual_mov_b32 v21, v16
	s_delay_alu instid0(VALU_DEP_1) | instskip(NEXT) | instid1(VALU_DEP_1)
	v_pk_add_f32 v[16:17], v[16:17], v[18:19] neg_lo:[0,1] neg_hi:[0,1]
	v_pk_add_f32 v[16:17], v[16:17], v[20:21] neg_lo:[0,1] neg_hi:[0,1]
	s_delay_alu instid0(VALU_DEP_1) | instskip(NEXT) | instid1(VALU_DEP_1)
	v_add_f32_e32 v7, v7, v17
	v_add_f32_e32 v7, v16, v7
	s_delay_alu instid0(VALU_DEP_1) | instskip(NEXT) | instid1(VALU_DEP_1)
	v_add_f32_e32 v17, v19, v7
	v_mul_f32_e32 v27, v24, v17
	s_delay_alu instid0(VALU_DEP_1) | instskip(NEXT) | instid1(VALU_DEP_1)
	v_mul_f32_e32 v20, v23, v27
	v_fma_f32 v18, v27, v23, -v20
	s_delay_alu instid0(VALU_DEP_1) | instskip(NEXT) | instid1(VALU_DEP_1)
	v_fmac_f32_e32 v18, v27, v26
	v_dual_add_f32 v16, v20, v18 :: v_dual_sub_f32 v23, v19, v17
	s_delay_alu instid0(VALU_DEP_1) | instskip(NEXT) | instid1(VALU_DEP_1)
	v_dual_sub_f32 v21, v17, v16 :: v_dual_mov_b32 v19, v16
	v_pk_add_f32 v[16:17], v[16:17], v[20:21] neg_lo:[0,1] neg_hi:[0,1]
	v_add_f32_e32 v20, v25, v27
	s_delay_alu instid0(VALU_DEP_4) | instskip(NEXT) | instid1(VALU_DEP_3)
	v_add_f32_e32 v7, v7, v23
	v_pk_add_f32 v[16:17], v[16:17], v[18:19] neg_lo:[0,1] neg_hi:[0,1]
	v_cvt_f32_i32_e32 v18, v22
	s_delay_alu instid0(VALU_DEP_2) | instskip(NEXT) | instid1(VALU_DEP_1)
	v_add_f32_e32 v7, v7, v17
	v_add_f32_e32 v7, v16, v7
	v_sub_f32_e32 v16, v20, v25
	s_delay_alu instid0(VALU_DEP_1) | instskip(NEXT) | instid1(VALU_DEP_1)
	v_dual_sub_f32 v16, v27, v16 :: v_dual_add_f32 v7, v21, v7
	v_mul_f32_e32 v7, v24, v7
	s_delay_alu instid0(VALU_DEP_1) | instskip(NEXT) | instid1(VALU_DEP_1)
	v_dual_add_f32 v7, v16, v7 :: v_dual_mov_b32 v16, 0x3f317218
	v_add_f32_e32 v21, v20, v7
	s_delay_alu instid0(VALU_DEP_1) | instskip(NEXT) | instid1(VALU_DEP_1)
	v_mul_f32_e32 v17, v21, v21
	v_fmaak_f32 v23, s7, v17, 0x3ecc95a3
	v_mul_f32_e32 v19, v21, v17
	s_delay_alu instid0(VALU_DEP_2) | instskip(NEXT) | instid1(VALU_DEP_1)
	v_fmaak_f32 v17, v17, v23, 0x3f2aaada
	v_pk_mul_f32 v[16:17], v[18:19], v[16:17]
	s_delay_alu instid0(VALU_DEP_1) | instskip(NEXT) | instid1(VALU_DEP_1)
	v_fma_f32 v22, 0x3f317218, v18, -v16
	v_fmamk_f32 v18, v18, 0xb102e308, v22
	v_sub_f32_e32 v22, v21, v20
	s_delay_alu instid0(VALU_DEP_1) | instskip(SKIP_2) | instid1(VALU_DEP_3)
	v_sub_f32_e32 v7, v7, v22
	v_ldexp_f32 v19, v21, 1
	v_mov_b32_e32 v22, v16
	v_ldexp_f32 v7, v7, 1
	s_delay_alu instid0(VALU_DEP_3) | instskip(NEXT) | instid1(VALU_DEP_1)
	v_pk_add_f32 v[20:21], v[16:17], v[18:19]
	v_dual_sub_f32 v19, v21, v19 :: v_dual_mov_b32 v30, v21
	s_delay_alu instid0(VALU_DEP_1) | instskip(NEXT) | instid1(VALU_DEP_3)
	v_sub_f32_e32 v19, v17, v19
	v_pk_add_f32 v[16:17], v[20:21], v[16:17] neg_lo:[0,1] neg_hi:[0,1]
	s_delay_alu instid0(VALU_DEP_2) | instskip(NEXT) | instid1(VALU_DEP_1)
	v_dual_add_f32 v23, v7, v19 :: v_dual_mov_b32 v19, v20
	v_pk_add_f32 v[24:25], v[20:21], v[22:23]
	s_delay_alu instid0(VALU_DEP_1) | instskip(NEXT) | instid1(VALU_DEP_1)
	v_mov_b32_e32 v17, v25
	v_pk_add_f32 v[26:27], v[18:19], v[16:17]
	v_mov_b32_e32 v26, v25
	v_pk_add_f32 v[16:17], v[18:19], v[16:17] neg_lo:[0,1] neg_hi:[0,1]
	s_delay_alu instid0(VALU_DEP_3) | instskip(NEXT) | instid1(VALU_DEP_1)
	v_dual_mov_b32 v22, v27 :: v_dual_mov_b32 v17, v27
	v_pk_add_f32 v[28:29], v[22:23], v[20:21] neg_lo:[0,1] neg_hi:[0,1]
	v_dual_mov_b32 v21, v20 :: v_dual_mov_b32 v20, v23
	s_delay_alu instid0(VALU_DEP_2) | instskip(NEXT) | instid1(VALU_DEP_1)
	v_dual_mov_b32 v7, v28 :: v_dual_mov_b32 v31, v28
	v_pk_add_f32 v[24:25], v[24:25], v[6:7] neg_lo:[0,1] neg_hi:[0,1]
	s_delay_alu instid0(VALU_DEP_2) | instskip(SKIP_1) | instid1(VALU_DEP_2)
	v_pk_add_f32 v[18:19], v[26:27], v[30:31] neg_lo:[0,1] neg_hi:[0,1]
	v_mov_b32_e32 v24, v16
	v_pk_add_f32 v[18:19], v[20:21], v[18:19] neg_lo:[0,1] neg_hi:[0,1]
	s_delay_alu instid0(VALU_DEP_1) | instskip(NEXT) | instid1(VALU_DEP_1)
	v_pk_add_f32 v[20:21], v[24:25], v[18:19]
	v_mov_b32_e32 v24, v21
	s_delay_alu instid0(VALU_DEP_1) | instskip(NEXT) | instid1(VALU_DEP_1)
	v_pk_add_f32 v[24:25], v[20:21], v[24:25]
	v_pk_add_f32 v[22:23], v[22:23], v[24:25]
	s_delay_alu instid0(VALU_DEP_1) | instskip(NEXT) | instid1(VALU_DEP_1)
	v_mov_b32_e32 v21, v22
	v_pk_add_f32 v[26:27], v[20:21], v[16:17] neg_lo:[0,1] neg_hi:[0,1]
	s_delay_alu instid0(VALU_DEP_1) | instskip(NEXT) | instid1(VALU_DEP_1)
	v_sub_f32_e32 v7, v20, v26
	v_sub_f32_e32 v7, v16, v7
	v_mov_b32_e32 v19, v24
	s_delay_alu instid0(VALU_DEP_1) | instskip(NEXT) | instid1(VALU_DEP_1)
	v_pk_add_f32 v[18:19], v[18:19], v[26:27] neg_lo:[0,1] neg_hi:[0,1]
	v_add_f32_e32 v7, v18, v7
	s_delay_alu instid0(VALU_DEP_1) | instskip(NEXT) | instid1(VALU_DEP_1)
	v_add_f32_e32 v7, v7, v19
	v_add_f32_e32 v7, v22, v7
	s_delay_alu instid0(VALU_DEP_1) | instskip(SKIP_1) | instid1(VALU_DEP_2)
	v_cndmask_b32_e32 v7, 0x7f800000, v7, vcc_lo
	v_cmp_gt_f32_e64 vcc_lo, 0x33800000, |v32|
	v_cndmask_b32_e32 v7, v7, v32, vcc_lo
	s_delay_alu instid0(VALU_DEP_1) | instskip(NEXT) | instid1(VALU_DEP_1)
	v_div_scale_f32 v16, null, s4, s4, v7
	v_rcp_f32_e32 v17, v16
	v_nop
	s_delay_alu instid0(TRANS32_DEP_1) | instskip(NEXT) | instid1(VALU_DEP_1)
	v_fma_f32 v18, -v16, v17, 1.0
	v_fmac_f32_e32 v17, v18, v17
	v_div_scale_f32 v18, vcc_lo, v7, s4, v7
	s_delay_alu instid0(VALU_DEP_1) | instskip(NEXT) | instid1(VALU_DEP_1)
	v_mul_f32_e32 v19, v18, v17
	v_fma_f32 v20, -v16, v19, v18
	s_delay_alu instid0(VALU_DEP_1) | instskip(NEXT) | instid1(VALU_DEP_1)
	v_fmac_f32_e32 v19, v20, v17
	v_fma_f32 v16, -v16, v19, v18
	s_delay_alu instid0(VALU_DEP_1) | instskip(NEXT) | instid1(VALU_DEP_1)
	v_div_fmas_f32 v16, v16, v17, v19
	v_div_fixup_f32 v7, v16, s4, v7
	s_delay_alu instid0(VALU_DEP_1)
	v_cvt_f16_f32_e32 v7, v7
.LBB23_134:
	s_or_b32 exec_lo, exec_lo, s6
	global_load_u16 v9, v9, s[2:3]
	s_mov_b32 s6, exec_lo
	s_wait_loadcnt 0x0
	v_cvt_f32_f16_e32 v16, v9
	s_delay_alu instid0(VALU_DEP_1) | instskip(SKIP_1) | instid1(VALU_DEP_1)
	v_mul_f32_e32 v16, s4, v16
	s_wait_xcnt 0x0
	v_cmpx_nlt_f32_e32 s5, v16
	s_cbranch_execz .LBB23_136
; %bb.135:
	v_mul_f32_e32 v9, 0x3fb8aa3b, v16
	v_cmp_ngt_f32_e32 vcc_lo, 0xc2ce8ed0, v16
	s_mov_b32 s7, 0x3e9b6dac
	s_delay_alu instid0(VALU_DEP_2) | instskip(SKIP_1) | instid1(VALU_DEP_1)
	v_rndne_f32_e32 v17, v9
	v_fma_f32 v18, 0x3fb8aa3b, v16, -v9
	v_dual_sub_f32 v9, v9, v17 :: v_dual_fmamk_f32 v18, v16, 0x32a5705f, v18
	v_cvt_i32_f32_e32 v17, v17
	s_delay_alu instid0(VALU_DEP_2) | instskip(NEXT) | instid1(VALU_DEP_1)
	v_add_f32_e32 v9, v9, v18
	v_exp_f32_e32 v9, v9
	v_nop
	s_delay_alu instid0(TRANS32_DEP_1) | instskip(NEXT) | instid1(VALU_DEP_1)
	v_ldexp_f32 v9, v9, v17
	v_cndmask_b32_e32 v9, 0, v9, vcc_lo
	v_cmp_nlt_f32_e32 vcc_lo, 0x42b17218, v16
	s_delay_alu instid0(VALU_DEP_2) | instskip(NEXT) | instid1(VALU_DEP_1)
	v_cndmask_b32_e32 v32, 0x7f800000, v9, vcc_lo
	v_add_f32_e32 v9, 1.0, v32
	s_delay_alu instid0(VALU_DEP_1) | instskip(NEXT) | instid1(VALU_DEP_1)
	v_cvt_f64_f32_e32 v[16:17], v9
	v_frexp_exp_i32_f64_e32 v16, v[16:17]
	v_frexp_mant_f32_e32 v17, v9
	s_delay_alu instid0(VALU_DEP_1) | instskip(NEXT) | instid1(VALU_DEP_3)
	v_cmp_gt_f32_e32 vcc_lo, 0x3f2aaaab, v17
	v_subrev_co_ci_u32_e64 v22, null, 0, v16, vcc_lo
	s_delay_alu instid0(VALU_DEP_1) | instskip(NEXT) | instid1(VALU_DEP_1)
	v_dual_add_f32 v16, -1.0, v9 :: v_dual_sub_nc_u32 v17, 0, v22
	v_sub_f32_e32 v18, v16, v9
	s_delay_alu instid0(VALU_DEP_2) | instskip(NEXT) | instid1(VALU_DEP_1)
	v_ldexp_f32 v9, v9, v17
	v_dual_add_f32 v19, 1.0, v9 :: v_dual_sub_f32 v16, v32, v16
	s_delay_alu instid0(VALU_DEP_3) | instskip(SKIP_1) | instid1(VALU_DEP_2)
	v_dual_add_f32 v21, -1.0, v9 :: v_dual_add_f32 v18, 1.0, v18
	v_cmp_neq_f32_e32 vcc_lo, 0x7f800000, v32
	v_dual_add_f32 v16, v16, v18 :: v_dual_add_f32 v18, -1.0, v19
	s_delay_alu instid0(VALU_DEP_1) | instskip(NEXT) | instid1(VALU_DEP_2)
	v_ldexp_f32 v16, v16, v17
	v_dual_sub_f32 v17, v9, v18 :: v_dual_add_f32 v18, 1.0, v21
	s_delay_alu instid0(VALU_DEP_1) | instskip(NEXT) | instid1(VALU_DEP_1)
	v_dual_add_f32 v20, v16, v17 :: v_dual_sub_f32 v9, v9, v18
	v_dual_add_f32 v23, v19, v20 :: v_dual_add_f32 v9, v16, v9
	s_delay_alu instid0(VALU_DEP_1) | instskip(NEXT) | instid1(VALU_DEP_1)
	v_rcp_f32_e32 v24, v23
	v_dual_add_f32 v17, v21, v9 :: v_dual_sub_f32 v16, v19, v23
	s_delay_alu instid0(VALU_DEP_1) | instskip(NEXT) | instid1(TRANS32_DEP_1)
	v_sub_f32_e32 v27, v21, v17
	v_mul_f32_e32 v25, v17, v24
	s_delay_alu instid0(VALU_DEP_2) | instskip(NEXT) | instid1(VALU_DEP_2)
	v_dual_add_f32 v26, v20, v16 :: v_dual_add_f32 v9, v9, v27
	v_mul_f32_e32 v18, v23, v25
	s_delay_alu instid0(VALU_DEP_1) | instskip(NEXT) | instid1(VALU_DEP_1)
	v_fma_f32 v20, v25, v23, -v18
	v_fmac_f32_e32 v20, v25, v26
	s_delay_alu instid0(VALU_DEP_1) | instskip(NEXT) | instid1(VALU_DEP_1)
	v_add_f32_e32 v16, v18, v20
	v_dual_sub_f32 v19, v17, v16 :: v_dual_mov_b32 v21, v16
	s_delay_alu instid0(VALU_DEP_1) | instskip(NEXT) | instid1(VALU_DEP_1)
	v_pk_add_f32 v[16:17], v[16:17], v[18:19] neg_lo:[0,1] neg_hi:[0,1]
	v_pk_add_f32 v[16:17], v[16:17], v[20:21] neg_lo:[0,1] neg_hi:[0,1]
	s_delay_alu instid0(VALU_DEP_1) | instskip(NEXT) | instid1(VALU_DEP_1)
	v_add_f32_e32 v9, v9, v17
	v_add_f32_e32 v9, v16, v9
	s_delay_alu instid0(VALU_DEP_1) | instskip(NEXT) | instid1(VALU_DEP_1)
	v_add_f32_e32 v17, v19, v9
	v_mul_f32_e32 v27, v24, v17
	s_delay_alu instid0(VALU_DEP_1) | instskip(NEXT) | instid1(VALU_DEP_1)
	v_mul_f32_e32 v20, v23, v27
	v_fma_f32 v18, v27, v23, -v20
	v_sub_f32_e32 v23, v19, v17
	s_delay_alu instid0(VALU_DEP_1) | instskip(NEXT) | instid1(VALU_DEP_1)
	v_dual_fmac_f32 v18, v27, v26 :: v_dual_add_f32 v9, v9, v23
	v_add_f32_e32 v16, v20, v18
	s_delay_alu instid0(VALU_DEP_1) | instskip(NEXT) | instid1(VALU_DEP_1)
	v_dual_sub_f32 v21, v17, v16 :: v_dual_mov_b32 v19, v16
	v_pk_add_f32 v[16:17], v[16:17], v[20:21] neg_lo:[0,1] neg_hi:[0,1]
	s_delay_alu instid0(VALU_DEP_1) | instskip(SKIP_1) | instid1(VALU_DEP_2)
	v_pk_add_f32 v[16:17], v[16:17], v[18:19] neg_lo:[0,1] neg_hi:[0,1]
	v_cvt_f32_i32_e32 v18, v22
	v_add_f32_e32 v9, v9, v17
	s_delay_alu instid0(VALU_DEP_1) | instskip(NEXT) | instid1(VALU_DEP_1)
	v_dual_add_f32 v20, v25, v27 :: v_dual_add_f32 v9, v16, v9
	v_sub_f32_e32 v16, v20, v25
	s_delay_alu instid0(VALU_DEP_1) | instskip(NEXT) | instid1(VALU_DEP_1)
	v_dual_add_f32 v9, v21, v9 :: v_dual_sub_f32 v16, v27, v16
	v_mul_f32_e32 v9, v24, v9
	s_delay_alu instid0(VALU_DEP_1) | instskip(NEXT) | instid1(VALU_DEP_1)
	v_dual_add_f32 v9, v16, v9 :: v_dual_mov_b32 v16, 0x3f317218
	v_add_f32_e32 v21, v20, v9
	s_delay_alu instid0(VALU_DEP_1) | instskip(NEXT) | instid1(VALU_DEP_1)
	v_mul_f32_e32 v17, v21, v21
	v_fmaak_f32 v23, s7, v17, 0x3ecc95a3
	v_mul_f32_e32 v19, v21, v17
	s_delay_alu instid0(VALU_DEP_2) | instskip(NEXT) | instid1(VALU_DEP_1)
	v_fmaak_f32 v17, v17, v23, 0x3f2aaada
	v_pk_mul_f32 v[16:17], v[18:19], v[16:17]
	s_delay_alu instid0(VALU_DEP_1) | instskip(NEXT) | instid1(VALU_DEP_1)
	v_fma_f32 v22, 0x3f317218, v18, -v16
	v_fmamk_f32 v18, v18, 0xb102e308, v22
	v_sub_f32_e32 v22, v21, v20
	s_delay_alu instid0(VALU_DEP_1) | instskip(SKIP_2) | instid1(VALU_DEP_3)
	v_sub_f32_e32 v9, v9, v22
	v_ldexp_f32 v19, v21, 1
	v_mov_b32_e32 v22, v16
	v_ldexp_f32 v9, v9, 1
	s_delay_alu instid0(VALU_DEP_3) | instskip(NEXT) | instid1(VALU_DEP_1)
	v_pk_add_f32 v[20:21], v[16:17], v[18:19]
	v_dual_sub_f32 v19, v21, v19 :: v_dual_mov_b32 v30, v21
	s_delay_alu instid0(VALU_DEP_1) | instskip(NEXT) | instid1(VALU_DEP_3)
	v_sub_f32_e32 v19, v17, v19
	v_pk_add_f32 v[16:17], v[20:21], v[16:17] neg_lo:[0,1] neg_hi:[0,1]
	s_delay_alu instid0(VALU_DEP_2) | instskip(NEXT) | instid1(VALU_DEP_1)
	v_dual_add_f32 v23, v9, v19 :: v_dual_mov_b32 v19, v20
	v_pk_add_f32 v[24:25], v[20:21], v[22:23]
	s_delay_alu instid0(VALU_DEP_1) | instskip(NEXT) | instid1(VALU_DEP_1)
	v_mov_b32_e32 v17, v25
	v_pk_add_f32 v[26:27], v[18:19], v[16:17]
	v_mov_b32_e32 v26, v25
	v_pk_add_f32 v[16:17], v[18:19], v[16:17] neg_lo:[0,1] neg_hi:[0,1]
	s_delay_alu instid0(VALU_DEP_3) | instskip(NEXT) | instid1(VALU_DEP_1)
	v_dual_mov_b32 v22, v27 :: v_dual_mov_b32 v17, v27
	v_pk_add_f32 v[28:29], v[22:23], v[20:21] neg_lo:[0,1] neg_hi:[0,1]
	v_dual_mov_b32 v21, v20 :: v_dual_mov_b32 v20, v23
	s_delay_alu instid0(VALU_DEP_2) | instskip(NEXT) | instid1(VALU_DEP_1)
	v_dual_mov_b32 v9, v28 :: v_dual_mov_b32 v31, v28
	v_pk_add_f32 v[24:25], v[24:25], v[8:9] neg_lo:[0,1] neg_hi:[0,1]
	s_delay_alu instid0(VALU_DEP_2) | instskip(SKIP_1) | instid1(VALU_DEP_2)
	v_pk_add_f32 v[18:19], v[26:27], v[30:31] neg_lo:[0,1] neg_hi:[0,1]
	v_mov_b32_e32 v24, v16
	v_pk_add_f32 v[18:19], v[20:21], v[18:19] neg_lo:[0,1] neg_hi:[0,1]
	s_delay_alu instid0(VALU_DEP_1) | instskip(NEXT) | instid1(VALU_DEP_1)
	v_pk_add_f32 v[20:21], v[24:25], v[18:19]
	v_mov_b32_e32 v24, v21
	s_delay_alu instid0(VALU_DEP_1) | instskip(NEXT) | instid1(VALU_DEP_1)
	v_pk_add_f32 v[24:25], v[20:21], v[24:25]
	v_pk_add_f32 v[22:23], v[22:23], v[24:25]
	s_delay_alu instid0(VALU_DEP_1) | instskip(NEXT) | instid1(VALU_DEP_1)
	v_mov_b32_e32 v21, v22
	v_pk_add_f32 v[26:27], v[20:21], v[16:17] neg_lo:[0,1] neg_hi:[0,1]
	s_delay_alu instid0(VALU_DEP_1) | instskip(NEXT) | instid1(VALU_DEP_1)
	v_sub_f32_e32 v9, v20, v26
	v_sub_f32_e32 v9, v16, v9
	v_mov_b32_e32 v19, v24
	s_delay_alu instid0(VALU_DEP_1) | instskip(NEXT) | instid1(VALU_DEP_1)
	v_pk_add_f32 v[18:19], v[18:19], v[26:27] neg_lo:[0,1] neg_hi:[0,1]
	v_add_f32_e32 v9, v18, v9
	s_delay_alu instid0(VALU_DEP_1) | instskip(NEXT) | instid1(VALU_DEP_1)
	v_add_f32_e32 v9, v9, v19
	v_add_f32_e32 v9, v22, v9
	s_delay_alu instid0(VALU_DEP_1) | instskip(SKIP_1) | instid1(VALU_DEP_2)
	v_cndmask_b32_e32 v9, 0x7f800000, v9, vcc_lo
	v_cmp_gt_f32_e64 vcc_lo, 0x33800000, |v32|
	v_cndmask_b32_e32 v9, v9, v32, vcc_lo
	s_delay_alu instid0(VALU_DEP_1) | instskip(NEXT) | instid1(VALU_DEP_1)
	v_div_scale_f32 v16, null, s4, s4, v9
	v_rcp_f32_e32 v17, v16
	v_nop
	s_delay_alu instid0(TRANS32_DEP_1) | instskip(NEXT) | instid1(VALU_DEP_1)
	v_fma_f32 v18, -v16, v17, 1.0
	v_fmac_f32_e32 v17, v18, v17
	v_div_scale_f32 v18, vcc_lo, v9, s4, v9
	s_delay_alu instid0(VALU_DEP_1) | instskip(NEXT) | instid1(VALU_DEP_1)
	v_mul_f32_e32 v19, v18, v17
	v_fma_f32 v20, -v16, v19, v18
	s_delay_alu instid0(VALU_DEP_1) | instskip(NEXT) | instid1(VALU_DEP_1)
	v_fmac_f32_e32 v19, v20, v17
	v_fma_f32 v16, -v16, v19, v18
	s_delay_alu instid0(VALU_DEP_1) | instskip(NEXT) | instid1(VALU_DEP_1)
	v_div_fmas_f32 v16, v16, v17, v19
	v_div_fixup_f32 v9, v16, s4, v9
	s_delay_alu instid0(VALU_DEP_1)
	v_cvt_f16_f32_e32 v9, v9
.LBB23_136:
	s_or_b32 exec_lo, exec_lo, s6
	global_load_u16 v11, v11, s[2:3]
	s_mov_b32 s6, exec_lo
	s_wait_loadcnt 0x0
	v_cvt_f32_f16_e32 v16, v11
	s_delay_alu instid0(VALU_DEP_1) | instskip(SKIP_1) | instid1(VALU_DEP_1)
	v_mul_f32_e32 v16, s4, v16
	s_wait_xcnt 0x0
	v_cmpx_nlt_f32_e32 s5, v16
	s_cbranch_execz .LBB23_138
; %bb.137:
	v_mul_f32_e32 v11, 0x3fb8aa3b, v16
	v_cmp_ngt_f32_e32 vcc_lo, 0xc2ce8ed0, v16
	s_mov_b32 s7, 0x3e9b6dac
	s_delay_alu instid0(VALU_DEP_2) | instskip(SKIP_1) | instid1(VALU_DEP_1)
	v_rndne_f32_e32 v17, v11
	v_fma_f32 v18, 0x3fb8aa3b, v16, -v11
	v_dual_sub_f32 v11, v11, v17 :: v_dual_fmamk_f32 v18, v16, 0x32a5705f, v18
	v_cvt_i32_f32_e32 v17, v17
	s_delay_alu instid0(VALU_DEP_2) | instskip(NEXT) | instid1(VALU_DEP_1)
	v_add_f32_e32 v11, v11, v18
	v_exp_f32_e32 v11, v11
	v_nop
	s_delay_alu instid0(TRANS32_DEP_1) | instskip(NEXT) | instid1(VALU_DEP_1)
	v_ldexp_f32 v11, v11, v17
	v_cndmask_b32_e32 v11, 0, v11, vcc_lo
	v_cmp_nlt_f32_e32 vcc_lo, 0x42b17218, v16
	s_delay_alu instid0(VALU_DEP_2) | instskip(NEXT) | instid1(VALU_DEP_1)
	v_cndmask_b32_e32 v32, 0x7f800000, v11, vcc_lo
	v_add_f32_e32 v11, 1.0, v32
	s_delay_alu instid0(VALU_DEP_1) | instskip(NEXT) | instid1(VALU_DEP_1)
	v_cvt_f64_f32_e32 v[16:17], v11
	v_frexp_exp_i32_f64_e32 v16, v[16:17]
	v_frexp_mant_f32_e32 v17, v11
	s_delay_alu instid0(VALU_DEP_1) | instskip(NEXT) | instid1(VALU_DEP_3)
	v_cmp_gt_f32_e32 vcc_lo, 0x3f2aaaab, v17
	v_subrev_co_ci_u32_e64 v22, null, 0, v16, vcc_lo
	s_delay_alu instid0(VALU_DEP_1) | instskip(NEXT) | instid1(VALU_DEP_1)
	v_dual_add_f32 v16, -1.0, v11 :: v_dual_sub_nc_u32 v17, 0, v22
	v_sub_f32_e32 v18, v16, v11
	s_delay_alu instid0(VALU_DEP_2) | instskip(NEXT) | instid1(VALU_DEP_1)
	v_ldexp_f32 v11, v11, v17
	v_dual_add_f32 v18, 1.0, v18 :: v_dual_add_f32 v19, 1.0, v11
	v_dual_add_f32 v21, -1.0, v11 :: v_dual_sub_f32 v16, v32, v16
	v_cmp_neq_f32_e32 vcc_lo, 0x7f800000, v32
	s_delay_alu instid0(VALU_DEP_2) | instskip(NEXT) | instid1(VALU_DEP_1)
	v_dual_add_f32 v16, v16, v18 :: v_dual_add_f32 v18, -1.0, v19
	v_ldexp_f32 v16, v16, v17
	s_delay_alu instid0(VALU_DEP_2) | instskip(NEXT) | instid1(VALU_DEP_1)
	v_dual_sub_f32 v17, v11, v18 :: v_dual_add_f32 v18, 1.0, v21
	v_add_f32_e32 v20, v16, v17
	s_delay_alu instid0(VALU_DEP_1) | instskip(NEXT) | instid1(VALU_DEP_1)
	v_add_f32_e32 v23, v19, v20
	v_rcp_f32_e32 v24, v23
	s_delay_alu instid0(VALU_DEP_3) | instskip(NEXT) | instid1(VALU_DEP_1)
	v_sub_f32_e32 v11, v11, v18
	v_add_f32_e32 v11, v16, v11
	v_sub_f32_e32 v16, v19, v23
	s_delay_alu instid0(VALU_DEP_1)
	v_dual_add_f32 v17, v21, v11 :: v_dual_add_f32 v26, v20, v16
	s_delay_alu instid0(TRANS32_DEP_1) | instid1(VALU_DEP_1)
	v_mul_f32_e32 v25, v17, v24
	v_sub_f32_e32 v27, v21, v17
	s_delay_alu instid0(VALU_DEP_2) | instskip(NEXT) | instid1(VALU_DEP_2)
	v_mul_f32_e32 v18, v23, v25
	v_add_f32_e32 v11, v11, v27
	s_delay_alu instid0(VALU_DEP_2) | instskip(NEXT) | instid1(VALU_DEP_1)
	v_fma_f32 v20, v25, v23, -v18
	v_fmac_f32_e32 v20, v25, v26
	s_delay_alu instid0(VALU_DEP_1) | instskip(NEXT) | instid1(VALU_DEP_1)
	v_add_f32_e32 v16, v18, v20
	v_dual_sub_f32 v19, v17, v16 :: v_dual_mov_b32 v21, v16
	s_delay_alu instid0(VALU_DEP_1) | instskip(NEXT) | instid1(VALU_DEP_1)
	v_pk_add_f32 v[16:17], v[16:17], v[18:19] neg_lo:[0,1] neg_hi:[0,1]
	v_pk_add_f32 v[16:17], v[16:17], v[20:21] neg_lo:[0,1] neg_hi:[0,1]
	s_delay_alu instid0(VALU_DEP_1) | instskip(NEXT) | instid1(VALU_DEP_1)
	v_add_f32_e32 v11, v11, v17
	v_add_f32_e32 v11, v16, v11
	s_delay_alu instid0(VALU_DEP_1) | instskip(NEXT) | instid1(VALU_DEP_1)
	v_add_f32_e32 v17, v19, v11
	v_mul_f32_e32 v27, v24, v17
	s_delay_alu instid0(VALU_DEP_1) | instskip(NEXT) | instid1(VALU_DEP_1)
	v_mul_f32_e32 v20, v23, v27
	v_fma_f32 v18, v27, v23, -v20
	s_delay_alu instid0(VALU_DEP_1) | instskip(NEXT) | instid1(VALU_DEP_1)
	v_fmac_f32_e32 v18, v27, v26
	v_dual_add_f32 v16, v20, v18 :: v_dual_sub_f32 v23, v19, v17
	s_delay_alu instid0(VALU_DEP_1) | instskip(NEXT) | instid1(VALU_DEP_1)
	v_dual_sub_f32 v21, v17, v16 :: v_dual_mov_b32 v19, v16
	v_pk_add_f32 v[16:17], v[16:17], v[20:21] neg_lo:[0,1] neg_hi:[0,1]
	v_add_f32_e32 v20, v25, v27
	s_delay_alu instid0(VALU_DEP_4) | instskip(NEXT) | instid1(VALU_DEP_3)
	v_add_f32_e32 v11, v11, v23
	v_pk_add_f32 v[16:17], v[16:17], v[18:19] neg_lo:[0,1] neg_hi:[0,1]
	v_cvt_f32_i32_e32 v18, v22
	s_delay_alu instid0(VALU_DEP_2) | instskip(NEXT) | instid1(VALU_DEP_1)
	v_add_f32_e32 v11, v11, v17
	v_add_f32_e32 v11, v16, v11
	v_sub_f32_e32 v16, v20, v25
	s_delay_alu instid0(VALU_DEP_1) | instskip(NEXT) | instid1(VALU_DEP_1)
	v_dual_sub_f32 v16, v27, v16 :: v_dual_add_f32 v11, v21, v11
	v_mul_f32_e32 v11, v24, v11
	s_delay_alu instid0(VALU_DEP_1) | instskip(NEXT) | instid1(VALU_DEP_1)
	v_dual_add_f32 v11, v16, v11 :: v_dual_mov_b32 v16, 0x3f317218
	v_add_f32_e32 v21, v20, v11
	s_delay_alu instid0(VALU_DEP_1) | instskip(NEXT) | instid1(VALU_DEP_1)
	v_mul_f32_e32 v17, v21, v21
	v_fmaak_f32 v23, s7, v17, 0x3ecc95a3
	v_mul_f32_e32 v19, v21, v17
	s_delay_alu instid0(VALU_DEP_2) | instskip(NEXT) | instid1(VALU_DEP_1)
	v_fmaak_f32 v17, v17, v23, 0x3f2aaada
	v_pk_mul_f32 v[16:17], v[18:19], v[16:17]
	s_delay_alu instid0(VALU_DEP_1) | instskip(NEXT) | instid1(VALU_DEP_1)
	v_fma_f32 v22, 0x3f317218, v18, -v16
	v_fmamk_f32 v18, v18, 0xb102e308, v22
	v_sub_f32_e32 v22, v21, v20
	s_delay_alu instid0(VALU_DEP_1) | instskip(SKIP_2) | instid1(VALU_DEP_3)
	v_sub_f32_e32 v11, v11, v22
	v_ldexp_f32 v19, v21, 1
	v_mov_b32_e32 v22, v16
	v_ldexp_f32 v11, v11, 1
	s_delay_alu instid0(VALU_DEP_3) | instskip(NEXT) | instid1(VALU_DEP_1)
	v_pk_add_f32 v[20:21], v[16:17], v[18:19]
	v_dual_sub_f32 v19, v21, v19 :: v_dual_mov_b32 v30, v21
	s_delay_alu instid0(VALU_DEP_1) | instskip(NEXT) | instid1(VALU_DEP_3)
	v_sub_f32_e32 v19, v17, v19
	v_pk_add_f32 v[16:17], v[20:21], v[16:17] neg_lo:[0,1] neg_hi:[0,1]
	s_delay_alu instid0(VALU_DEP_2) | instskip(NEXT) | instid1(VALU_DEP_1)
	v_dual_add_f32 v23, v11, v19 :: v_dual_mov_b32 v19, v20
	v_pk_add_f32 v[24:25], v[20:21], v[22:23]
	s_delay_alu instid0(VALU_DEP_1) | instskip(NEXT) | instid1(VALU_DEP_1)
	v_mov_b32_e32 v17, v25
	v_pk_add_f32 v[26:27], v[18:19], v[16:17]
	v_mov_b32_e32 v26, v25
	v_pk_add_f32 v[16:17], v[18:19], v[16:17] neg_lo:[0,1] neg_hi:[0,1]
	s_delay_alu instid0(VALU_DEP_3) | instskip(NEXT) | instid1(VALU_DEP_1)
	v_dual_mov_b32 v22, v27 :: v_dual_mov_b32 v17, v27
	v_pk_add_f32 v[28:29], v[22:23], v[20:21] neg_lo:[0,1] neg_hi:[0,1]
	v_dual_mov_b32 v21, v20 :: v_dual_mov_b32 v20, v23
	s_delay_alu instid0(VALU_DEP_2) | instskip(NEXT) | instid1(VALU_DEP_1)
	v_dual_mov_b32 v11, v28 :: v_dual_mov_b32 v31, v28
	v_pk_add_f32 v[24:25], v[24:25], v[10:11] neg_lo:[0,1] neg_hi:[0,1]
	s_delay_alu instid0(VALU_DEP_2) | instskip(SKIP_1) | instid1(VALU_DEP_2)
	v_pk_add_f32 v[18:19], v[26:27], v[30:31] neg_lo:[0,1] neg_hi:[0,1]
	v_mov_b32_e32 v24, v16
	v_pk_add_f32 v[18:19], v[20:21], v[18:19] neg_lo:[0,1] neg_hi:[0,1]
	s_delay_alu instid0(VALU_DEP_1) | instskip(NEXT) | instid1(VALU_DEP_1)
	v_pk_add_f32 v[20:21], v[24:25], v[18:19]
	v_mov_b32_e32 v24, v21
	s_delay_alu instid0(VALU_DEP_1) | instskip(NEXT) | instid1(VALU_DEP_1)
	v_pk_add_f32 v[24:25], v[20:21], v[24:25]
	v_pk_add_f32 v[22:23], v[22:23], v[24:25]
	s_delay_alu instid0(VALU_DEP_1) | instskip(NEXT) | instid1(VALU_DEP_1)
	v_mov_b32_e32 v21, v22
	v_pk_add_f32 v[26:27], v[20:21], v[16:17] neg_lo:[0,1] neg_hi:[0,1]
	s_delay_alu instid0(VALU_DEP_1) | instskip(NEXT) | instid1(VALU_DEP_1)
	v_sub_f32_e32 v11, v20, v26
	v_sub_f32_e32 v11, v16, v11
	v_mov_b32_e32 v19, v24
	s_delay_alu instid0(VALU_DEP_1) | instskip(NEXT) | instid1(VALU_DEP_1)
	v_pk_add_f32 v[18:19], v[18:19], v[26:27] neg_lo:[0,1] neg_hi:[0,1]
	v_add_f32_e32 v11, v18, v11
	s_delay_alu instid0(VALU_DEP_1) | instskip(NEXT) | instid1(VALU_DEP_1)
	v_add_f32_e32 v11, v11, v19
	v_add_f32_e32 v11, v22, v11
	s_delay_alu instid0(VALU_DEP_1) | instskip(SKIP_1) | instid1(VALU_DEP_2)
	v_cndmask_b32_e32 v11, 0x7f800000, v11, vcc_lo
	v_cmp_gt_f32_e64 vcc_lo, 0x33800000, |v32|
	v_cndmask_b32_e32 v11, v11, v32, vcc_lo
	s_delay_alu instid0(VALU_DEP_1) | instskip(NEXT) | instid1(VALU_DEP_1)
	v_div_scale_f32 v16, null, s4, s4, v11
	v_rcp_f32_e32 v17, v16
	v_nop
	s_delay_alu instid0(TRANS32_DEP_1) | instskip(NEXT) | instid1(VALU_DEP_1)
	v_fma_f32 v18, -v16, v17, 1.0
	v_fmac_f32_e32 v17, v18, v17
	v_div_scale_f32 v18, vcc_lo, v11, s4, v11
	s_delay_alu instid0(VALU_DEP_1) | instskip(NEXT) | instid1(VALU_DEP_1)
	v_mul_f32_e32 v19, v18, v17
	v_fma_f32 v20, -v16, v19, v18
	s_delay_alu instid0(VALU_DEP_1) | instskip(NEXT) | instid1(VALU_DEP_1)
	v_fmac_f32_e32 v19, v20, v17
	v_fma_f32 v16, -v16, v19, v18
	s_delay_alu instid0(VALU_DEP_1) | instskip(NEXT) | instid1(VALU_DEP_1)
	v_div_fmas_f32 v16, v16, v17, v19
	v_div_fixup_f32 v11, v16, s4, v11
	s_delay_alu instid0(VALU_DEP_1)
	v_cvt_f16_f32_e32 v11, v11
.LBB23_138:
	s_or_b32 exec_lo, exec_lo, s6
	global_load_u16 v13, v13, s[2:3]
	s_mov_b32 s6, exec_lo
	s_wait_loadcnt 0x0
	v_cvt_f32_f16_e32 v16, v13
	s_delay_alu instid0(VALU_DEP_1) | instskip(SKIP_1) | instid1(VALU_DEP_1)
	v_mul_f32_e32 v16, s4, v16
	s_wait_xcnt 0x0
	v_cmpx_nlt_f32_e32 s5, v16
	s_cbranch_execz .LBB23_140
; %bb.139:
	v_mul_f32_e32 v13, 0x3fb8aa3b, v16
	v_cmp_ngt_f32_e32 vcc_lo, 0xc2ce8ed0, v16
	s_mov_b32 s7, 0x3e9b6dac
	s_delay_alu instid0(VALU_DEP_2) | instskip(SKIP_1) | instid1(VALU_DEP_1)
	v_rndne_f32_e32 v17, v13
	v_fma_f32 v18, 0x3fb8aa3b, v16, -v13
	v_dual_sub_f32 v13, v13, v17 :: v_dual_fmamk_f32 v18, v16, 0x32a5705f, v18
	v_cvt_i32_f32_e32 v17, v17
	s_delay_alu instid0(VALU_DEP_2) | instskip(NEXT) | instid1(VALU_DEP_1)
	v_add_f32_e32 v13, v13, v18
	v_exp_f32_e32 v13, v13
	v_nop
	s_delay_alu instid0(TRANS32_DEP_1) | instskip(NEXT) | instid1(VALU_DEP_1)
	v_ldexp_f32 v13, v13, v17
	v_cndmask_b32_e32 v13, 0, v13, vcc_lo
	v_cmp_nlt_f32_e32 vcc_lo, 0x42b17218, v16
	s_delay_alu instid0(VALU_DEP_2) | instskip(NEXT) | instid1(VALU_DEP_1)
	v_cndmask_b32_e32 v32, 0x7f800000, v13, vcc_lo
	v_add_f32_e32 v13, 1.0, v32
	s_delay_alu instid0(VALU_DEP_1) | instskip(NEXT) | instid1(VALU_DEP_1)
	v_cvt_f64_f32_e32 v[16:17], v13
	v_frexp_exp_i32_f64_e32 v16, v[16:17]
	v_frexp_mant_f32_e32 v17, v13
	s_delay_alu instid0(VALU_DEP_1) | instskip(NEXT) | instid1(VALU_DEP_3)
	v_cmp_gt_f32_e32 vcc_lo, 0x3f2aaaab, v17
	v_subrev_co_ci_u32_e64 v22, null, 0, v16, vcc_lo
	s_delay_alu instid0(VALU_DEP_1) | instskip(NEXT) | instid1(VALU_DEP_1)
	v_dual_add_f32 v16, -1.0, v13 :: v_dual_sub_nc_u32 v17, 0, v22
	v_sub_f32_e32 v18, v16, v13
	s_delay_alu instid0(VALU_DEP_2) | instskip(NEXT) | instid1(VALU_DEP_1)
	v_ldexp_f32 v13, v13, v17
	v_dual_add_f32 v19, 1.0, v13 :: v_dual_sub_f32 v16, v32, v16
	s_delay_alu instid0(VALU_DEP_3) | instskip(SKIP_1) | instid1(VALU_DEP_2)
	v_dual_add_f32 v21, -1.0, v13 :: v_dual_add_f32 v18, 1.0, v18
	v_cmp_neq_f32_e32 vcc_lo, 0x7f800000, v32
	v_dual_add_f32 v16, v16, v18 :: v_dual_add_f32 v18, -1.0, v19
	s_delay_alu instid0(VALU_DEP_1) | instskip(NEXT) | instid1(VALU_DEP_2)
	v_ldexp_f32 v16, v16, v17
	v_dual_sub_f32 v17, v13, v18 :: v_dual_add_f32 v18, 1.0, v21
	s_delay_alu instid0(VALU_DEP_1) | instskip(NEXT) | instid1(VALU_DEP_1)
	v_dual_add_f32 v20, v16, v17 :: v_dual_sub_f32 v13, v13, v18
	v_dual_add_f32 v23, v19, v20 :: v_dual_add_f32 v13, v16, v13
	s_delay_alu instid0(VALU_DEP_1) | instskip(NEXT) | instid1(VALU_DEP_1)
	v_rcp_f32_e32 v24, v23
	v_dual_add_f32 v17, v21, v13 :: v_dual_sub_f32 v16, v19, v23
	s_delay_alu instid0(VALU_DEP_1) | instskip(NEXT) | instid1(TRANS32_DEP_1)
	v_sub_f32_e32 v27, v21, v17
	v_mul_f32_e32 v25, v17, v24
	s_delay_alu instid0(VALU_DEP_2) | instskip(NEXT) | instid1(VALU_DEP_2)
	v_dual_add_f32 v26, v20, v16 :: v_dual_add_f32 v13, v13, v27
	v_mul_f32_e32 v18, v23, v25
	s_delay_alu instid0(VALU_DEP_1) | instskip(NEXT) | instid1(VALU_DEP_1)
	v_fma_f32 v20, v25, v23, -v18
	v_fmac_f32_e32 v20, v25, v26
	s_delay_alu instid0(VALU_DEP_1) | instskip(NEXT) | instid1(VALU_DEP_1)
	v_add_f32_e32 v16, v18, v20
	v_dual_sub_f32 v19, v17, v16 :: v_dual_mov_b32 v21, v16
	s_delay_alu instid0(VALU_DEP_1) | instskip(NEXT) | instid1(VALU_DEP_1)
	v_pk_add_f32 v[16:17], v[16:17], v[18:19] neg_lo:[0,1] neg_hi:[0,1]
	v_pk_add_f32 v[16:17], v[16:17], v[20:21] neg_lo:[0,1] neg_hi:[0,1]
	s_delay_alu instid0(VALU_DEP_1) | instskip(NEXT) | instid1(VALU_DEP_1)
	v_add_f32_e32 v13, v13, v17
	v_add_f32_e32 v13, v16, v13
	s_delay_alu instid0(VALU_DEP_1) | instskip(NEXT) | instid1(VALU_DEP_1)
	v_add_f32_e32 v17, v19, v13
	v_mul_f32_e32 v27, v24, v17
	s_delay_alu instid0(VALU_DEP_1) | instskip(NEXT) | instid1(VALU_DEP_1)
	v_mul_f32_e32 v20, v23, v27
	v_fma_f32 v18, v27, v23, -v20
	v_sub_f32_e32 v23, v19, v17
	s_delay_alu instid0(VALU_DEP_1) | instskip(NEXT) | instid1(VALU_DEP_1)
	v_dual_fmac_f32 v18, v27, v26 :: v_dual_add_f32 v13, v13, v23
	v_add_f32_e32 v16, v20, v18
	s_delay_alu instid0(VALU_DEP_1) | instskip(NEXT) | instid1(VALU_DEP_1)
	v_dual_sub_f32 v21, v17, v16 :: v_dual_mov_b32 v19, v16
	v_pk_add_f32 v[16:17], v[16:17], v[20:21] neg_lo:[0,1] neg_hi:[0,1]
	s_delay_alu instid0(VALU_DEP_1) | instskip(SKIP_1) | instid1(VALU_DEP_2)
	v_pk_add_f32 v[16:17], v[16:17], v[18:19] neg_lo:[0,1] neg_hi:[0,1]
	v_cvt_f32_i32_e32 v18, v22
	v_add_f32_e32 v13, v13, v17
	s_delay_alu instid0(VALU_DEP_1) | instskip(NEXT) | instid1(VALU_DEP_1)
	v_dual_add_f32 v20, v25, v27 :: v_dual_add_f32 v13, v16, v13
	v_sub_f32_e32 v16, v20, v25
	s_delay_alu instid0(VALU_DEP_1) | instskip(NEXT) | instid1(VALU_DEP_1)
	v_dual_add_f32 v13, v21, v13 :: v_dual_sub_f32 v16, v27, v16
	v_mul_f32_e32 v13, v24, v13
	s_delay_alu instid0(VALU_DEP_1) | instskip(NEXT) | instid1(VALU_DEP_1)
	v_dual_add_f32 v13, v16, v13 :: v_dual_mov_b32 v16, 0x3f317218
	v_add_f32_e32 v21, v20, v13
	s_delay_alu instid0(VALU_DEP_1) | instskip(NEXT) | instid1(VALU_DEP_1)
	v_mul_f32_e32 v17, v21, v21
	v_fmaak_f32 v23, s7, v17, 0x3ecc95a3
	v_mul_f32_e32 v19, v21, v17
	s_delay_alu instid0(VALU_DEP_2) | instskip(NEXT) | instid1(VALU_DEP_1)
	v_fmaak_f32 v17, v17, v23, 0x3f2aaada
	v_pk_mul_f32 v[16:17], v[18:19], v[16:17]
	s_delay_alu instid0(VALU_DEP_1) | instskip(NEXT) | instid1(VALU_DEP_1)
	v_fma_f32 v22, 0x3f317218, v18, -v16
	v_fmamk_f32 v18, v18, 0xb102e308, v22
	v_sub_f32_e32 v22, v21, v20
	s_delay_alu instid0(VALU_DEP_1) | instskip(SKIP_2) | instid1(VALU_DEP_3)
	v_sub_f32_e32 v13, v13, v22
	v_ldexp_f32 v19, v21, 1
	v_mov_b32_e32 v22, v16
	v_ldexp_f32 v13, v13, 1
	s_delay_alu instid0(VALU_DEP_3) | instskip(NEXT) | instid1(VALU_DEP_1)
	v_pk_add_f32 v[20:21], v[16:17], v[18:19]
	v_dual_sub_f32 v19, v21, v19 :: v_dual_mov_b32 v30, v21
	s_delay_alu instid0(VALU_DEP_1) | instskip(NEXT) | instid1(VALU_DEP_3)
	v_sub_f32_e32 v19, v17, v19
	v_pk_add_f32 v[16:17], v[20:21], v[16:17] neg_lo:[0,1] neg_hi:[0,1]
	s_delay_alu instid0(VALU_DEP_2) | instskip(NEXT) | instid1(VALU_DEP_1)
	v_dual_add_f32 v23, v13, v19 :: v_dual_mov_b32 v19, v20
	v_pk_add_f32 v[24:25], v[20:21], v[22:23]
	s_delay_alu instid0(VALU_DEP_1) | instskip(NEXT) | instid1(VALU_DEP_1)
	v_mov_b32_e32 v17, v25
	v_pk_add_f32 v[26:27], v[18:19], v[16:17]
	v_mov_b32_e32 v26, v25
	v_pk_add_f32 v[16:17], v[18:19], v[16:17] neg_lo:[0,1] neg_hi:[0,1]
	s_delay_alu instid0(VALU_DEP_3) | instskip(NEXT) | instid1(VALU_DEP_1)
	v_dual_mov_b32 v22, v27 :: v_dual_mov_b32 v17, v27
	v_pk_add_f32 v[28:29], v[22:23], v[20:21] neg_lo:[0,1] neg_hi:[0,1]
	v_dual_mov_b32 v21, v20 :: v_dual_mov_b32 v20, v23
	s_delay_alu instid0(VALU_DEP_2) | instskip(NEXT) | instid1(VALU_DEP_1)
	v_dual_mov_b32 v13, v28 :: v_dual_mov_b32 v31, v28
	v_pk_add_f32 v[24:25], v[24:25], v[12:13] neg_lo:[0,1] neg_hi:[0,1]
	s_delay_alu instid0(VALU_DEP_2) | instskip(SKIP_1) | instid1(VALU_DEP_2)
	v_pk_add_f32 v[18:19], v[26:27], v[30:31] neg_lo:[0,1] neg_hi:[0,1]
	v_mov_b32_e32 v24, v16
	v_pk_add_f32 v[18:19], v[20:21], v[18:19] neg_lo:[0,1] neg_hi:[0,1]
	s_delay_alu instid0(VALU_DEP_1) | instskip(NEXT) | instid1(VALU_DEP_1)
	v_pk_add_f32 v[20:21], v[24:25], v[18:19]
	v_mov_b32_e32 v24, v21
	s_delay_alu instid0(VALU_DEP_1) | instskip(NEXT) | instid1(VALU_DEP_1)
	v_pk_add_f32 v[24:25], v[20:21], v[24:25]
	v_pk_add_f32 v[22:23], v[22:23], v[24:25]
	s_delay_alu instid0(VALU_DEP_1) | instskip(NEXT) | instid1(VALU_DEP_1)
	v_mov_b32_e32 v21, v22
	v_pk_add_f32 v[26:27], v[20:21], v[16:17] neg_lo:[0,1] neg_hi:[0,1]
	s_delay_alu instid0(VALU_DEP_1) | instskip(NEXT) | instid1(VALU_DEP_1)
	v_sub_f32_e32 v13, v20, v26
	v_sub_f32_e32 v13, v16, v13
	v_mov_b32_e32 v19, v24
	s_delay_alu instid0(VALU_DEP_1) | instskip(NEXT) | instid1(VALU_DEP_1)
	v_pk_add_f32 v[18:19], v[18:19], v[26:27] neg_lo:[0,1] neg_hi:[0,1]
	v_add_f32_e32 v13, v18, v13
	s_delay_alu instid0(VALU_DEP_1) | instskip(NEXT) | instid1(VALU_DEP_1)
	v_add_f32_e32 v13, v13, v19
	v_add_f32_e32 v13, v22, v13
	s_delay_alu instid0(VALU_DEP_1) | instskip(SKIP_1) | instid1(VALU_DEP_2)
	v_cndmask_b32_e32 v13, 0x7f800000, v13, vcc_lo
	v_cmp_gt_f32_e64 vcc_lo, 0x33800000, |v32|
	v_cndmask_b32_e32 v13, v13, v32, vcc_lo
	s_delay_alu instid0(VALU_DEP_1) | instskip(NEXT) | instid1(VALU_DEP_1)
	v_div_scale_f32 v16, null, s4, s4, v13
	v_rcp_f32_e32 v17, v16
	v_nop
	s_delay_alu instid0(TRANS32_DEP_1) | instskip(NEXT) | instid1(VALU_DEP_1)
	v_fma_f32 v18, -v16, v17, 1.0
	v_fmac_f32_e32 v17, v18, v17
	v_div_scale_f32 v18, vcc_lo, v13, s4, v13
	s_delay_alu instid0(VALU_DEP_1) | instskip(NEXT) | instid1(VALU_DEP_1)
	v_mul_f32_e32 v19, v18, v17
	v_fma_f32 v20, -v16, v19, v18
	s_delay_alu instid0(VALU_DEP_1) | instskip(NEXT) | instid1(VALU_DEP_1)
	v_fmac_f32_e32 v19, v20, v17
	v_fma_f32 v16, -v16, v19, v18
	s_delay_alu instid0(VALU_DEP_1) | instskip(NEXT) | instid1(VALU_DEP_1)
	v_div_fmas_f32 v16, v16, v17, v19
	v_div_fixup_f32 v13, v16, s4, v13
	s_delay_alu instid0(VALU_DEP_1)
	v_cvt_f16_f32_e32 v13, v13
.LBB23_140:
	s_or_b32 exec_lo, exec_lo, s6
	global_load_u16 v1, v1, s[2:3]
	s_mov_b32 s6, exec_lo
	s_wait_loadcnt 0x0
	v_cvt_f32_f16_e32 v16, v1
	s_delay_alu instid0(VALU_DEP_1) | instskip(SKIP_1) | instid1(VALU_DEP_1)
	v_mul_f32_e32 v16, s4, v16
	s_wait_xcnt 0x0
	v_cmpx_nlt_f32_e32 s5, v16
	s_cbranch_execz .LBB23_142
; %bb.141:
	v_mul_f32_e32 v1, 0x3fb8aa3b, v16
	v_cmp_ngt_f32_e32 vcc_lo, 0xc2ce8ed0, v16
	s_mov_b32 s7, 0x3e9b6dac
	s_delay_alu instid0(VALU_DEP_2) | instskip(SKIP_1) | instid1(VALU_DEP_1)
	v_rndne_f32_e32 v17, v1
	v_fma_f32 v18, 0x3fb8aa3b, v16, -v1
	v_dual_sub_f32 v1, v1, v17 :: v_dual_fmamk_f32 v18, v16, 0x32a5705f, v18
	v_cvt_i32_f32_e32 v17, v17
	s_delay_alu instid0(VALU_DEP_2) | instskip(NEXT) | instid1(VALU_DEP_1)
	v_add_f32_e32 v1, v1, v18
	v_exp_f32_e32 v1, v1
	v_nop
	s_delay_alu instid0(TRANS32_DEP_1) | instskip(NEXT) | instid1(VALU_DEP_1)
	v_ldexp_f32 v1, v1, v17
	v_cndmask_b32_e32 v1, 0, v1, vcc_lo
	v_cmp_nlt_f32_e32 vcc_lo, 0x42b17218, v16
	s_delay_alu instid0(VALU_DEP_2) | instskip(NEXT) | instid1(VALU_DEP_1)
	v_cndmask_b32_e32 v32, 0x7f800000, v1, vcc_lo
	v_add_f32_e32 v1, 1.0, v32
	s_delay_alu instid0(VALU_DEP_1) | instskip(NEXT) | instid1(VALU_DEP_1)
	v_cvt_f64_f32_e32 v[16:17], v1
	v_frexp_exp_i32_f64_e32 v16, v[16:17]
	v_frexp_mant_f32_e32 v17, v1
	s_delay_alu instid0(VALU_DEP_1) | instskip(NEXT) | instid1(VALU_DEP_3)
	v_cmp_gt_f32_e32 vcc_lo, 0x3f2aaaab, v17
	v_subrev_co_ci_u32_e64 v22, null, 0, v16, vcc_lo
	s_delay_alu instid0(VALU_DEP_1) | instskip(NEXT) | instid1(VALU_DEP_1)
	v_dual_add_f32 v16, -1.0, v1 :: v_dual_sub_nc_u32 v17, 0, v22
	v_sub_f32_e32 v18, v16, v1
	s_delay_alu instid0(VALU_DEP_2) | instskip(NEXT) | instid1(VALU_DEP_1)
	v_ldexp_f32 v1, v1, v17
	v_dual_add_f32 v19, 1.0, v1 :: v_dual_sub_f32 v16, v32, v16
	s_delay_alu instid0(VALU_DEP_3) | instskip(SKIP_1) | instid1(VALU_DEP_2)
	v_dual_add_f32 v21, -1.0, v1 :: v_dual_add_f32 v18, 1.0, v18
	v_cmp_neq_f32_e32 vcc_lo, 0x7f800000, v32
	v_dual_add_f32 v16, v16, v18 :: v_dual_add_f32 v18, -1.0, v19
	s_delay_alu instid0(VALU_DEP_1) | instskip(NEXT) | instid1(VALU_DEP_2)
	v_ldexp_f32 v16, v16, v17
	v_dual_sub_f32 v17, v1, v18 :: v_dual_add_f32 v18, 1.0, v21
	s_delay_alu instid0(VALU_DEP_1) | instskip(NEXT) | instid1(VALU_DEP_1)
	v_dual_add_f32 v20, v16, v17 :: v_dual_sub_f32 v1, v1, v18
	v_dual_add_f32 v23, v19, v20 :: v_dual_add_f32 v1, v16, v1
	s_delay_alu instid0(VALU_DEP_1) | instskip(NEXT) | instid1(VALU_DEP_1)
	v_rcp_f32_e32 v24, v23
	v_dual_add_f32 v17, v21, v1 :: v_dual_sub_f32 v16, v19, v23
	s_delay_alu instid0(VALU_DEP_1) | instskip(NEXT) | instid1(TRANS32_DEP_1)
	v_sub_f32_e32 v27, v21, v17
	v_mul_f32_e32 v25, v17, v24
	s_delay_alu instid0(VALU_DEP_2) | instskip(NEXT) | instid1(VALU_DEP_2)
	v_dual_add_f32 v26, v20, v16 :: v_dual_add_f32 v1, v1, v27
	v_mul_f32_e32 v18, v23, v25
	s_delay_alu instid0(VALU_DEP_1) | instskip(NEXT) | instid1(VALU_DEP_1)
	v_fma_f32 v20, v25, v23, -v18
	v_fmac_f32_e32 v20, v25, v26
	s_delay_alu instid0(VALU_DEP_1) | instskip(NEXT) | instid1(VALU_DEP_1)
	v_add_f32_e32 v16, v18, v20
	v_dual_sub_f32 v19, v17, v16 :: v_dual_mov_b32 v21, v16
	s_delay_alu instid0(VALU_DEP_1) | instskip(NEXT) | instid1(VALU_DEP_1)
	v_pk_add_f32 v[16:17], v[16:17], v[18:19] neg_lo:[0,1] neg_hi:[0,1]
	v_pk_add_f32 v[16:17], v[16:17], v[20:21] neg_lo:[0,1] neg_hi:[0,1]
	s_delay_alu instid0(VALU_DEP_1) | instskip(NEXT) | instid1(VALU_DEP_1)
	v_add_f32_e32 v1, v1, v17
	v_add_f32_e32 v1, v16, v1
	s_delay_alu instid0(VALU_DEP_1) | instskip(NEXT) | instid1(VALU_DEP_1)
	v_add_f32_e32 v17, v19, v1
	v_mul_f32_e32 v27, v24, v17
	s_delay_alu instid0(VALU_DEP_1) | instskip(NEXT) | instid1(VALU_DEP_1)
	v_mul_f32_e32 v20, v23, v27
	v_fma_f32 v18, v27, v23, -v20
	v_sub_f32_e32 v23, v19, v17
	s_delay_alu instid0(VALU_DEP_1) | instskip(NEXT) | instid1(VALU_DEP_1)
	v_dual_fmac_f32 v18, v27, v26 :: v_dual_add_f32 v1, v1, v23
	v_add_f32_e32 v16, v20, v18
	s_delay_alu instid0(VALU_DEP_1) | instskip(NEXT) | instid1(VALU_DEP_1)
	v_dual_sub_f32 v21, v17, v16 :: v_dual_mov_b32 v19, v16
	v_pk_add_f32 v[16:17], v[16:17], v[20:21] neg_lo:[0,1] neg_hi:[0,1]
	s_delay_alu instid0(VALU_DEP_1) | instskip(SKIP_1) | instid1(VALU_DEP_2)
	v_pk_add_f32 v[16:17], v[16:17], v[18:19] neg_lo:[0,1] neg_hi:[0,1]
	v_cvt_f32_i32_e32 v18, v22
	v_add_f32_e32 v1, v1, v17
	s_delay_alu instid0(VALU_DEP_1) | instskip(NEXT) | instid1(VALU_DEP_1)
	v_dual_add_f32 v20, v25, v27 :: v_dual_add_f32 v1, v16, v1
	v_sub_f32_e32 v16, v20, v25
	s_delay_alu instid0(VALU_DEP_1) | instskip(NEXT) | instid1(VALU_DEP_1)
	v_dual_add_f32 v1, v21, v1 :: v_dual_sub_f32 v16, v27, v16
	v_mul_f32_e32 v1, v24, v1
	s_delay_alu instid0(VALU_DEP_1) | instskip(NEXT) | instid1(VALU_DEP_1)
	v_dual_add_f32 v1, v16, v1 :: v_dual_mov_b32 v16, 0x3f317218
	v_add_f32_e32 v21, v20, v1
	s_delay_alu instid0(VALU_DEP_1) | instskip(NEXT) | instid1(VALU_DEP_1)
	v_mul_f32_e32 v17, v21, v21
	v_fmaak_f32 v23, s7, v17, 0x3ecc95a3
	v_mul_f32_e32 v19, v21, v17
	s_delay_alu instid0(VALU_DEP_2) | instskip(NEXT) | instid1(VALU_DEP_1)
	v_fmaak_f32 v17, v17, v23, 0x3f2aaada
	v_pk_mul_f32 v[16:17], v[18:19], v[16:17]
	s_delay_alu instid0(VALU_DEP_1) | instskip(NEXT) | instid1(VALU_DEP_1)
	v_fma_f32 v22, 0x3f317218, v18, -v16
	v_fmamk_f32 v18, v18, 0xb102e308, v22
	v_sub_f32_e32 v22, v21, v20
	s_delay_alu instid0(VALU_DEP_1) | instskip(SKIP_2) | instid1(VALU_DEP_3)
	v_sub_f32_e32 v1, v1, v22
	v_ldexp_f32 v19, v21, 1
	v_mov_b32_e32 v22, v16
	v_ldexp_f32 v1, v1, 1
	s_delay_alu instid0(VALU_DEP_3) | instskip(NEXT) | instid1(VALU_DEP_1)
	v_pk_add_f32 v[20:21], v[16:17], v[18:19]
	v_dual_sub_f32 v19, v21, v19 :: v_dual_mov_b32 v30, v21
	s_delay_alu instid0(VALU_DEP_1) | instskip(NEXT) | instid1(VALU_DEP_3)
	v_sub_f32_e32 v19, v17, v19
	v_pk_add_f32 v[16:17], v[20:21], v[16:17] neg_lo:[0,1] neg_hi:[0,1]
	s_delay_alu instid0(VALU_DEP_2) | instskip(NEXT) | instid1(VALU_DEP_1)
	v_dual_add_f32 v23, v1, v19 :: v_dual_mov_b32 v19, v20
	v_pk_add_f32 v[24:25], v[20:21], v[22:23]
	s_delay_alu instid0(VALU_DEP_1) | instskip(NEXT) | instid1(VALU_DEP_1)
	v_mov_b32_e32 v17, v25
	v_pk_add_f32 v[26:27], v[18:19], v[16:17]
	v_mov_b32_e32 v26, v25
	v_pk_add_f32 v[16:17], v[18:19], v[16:17] neg_lo:[0,1] neg_hi:[0,1]
	s_delay_alu instid0(VALU_DEP_3) | instskip(NEXT) | instid1(VALU_DEP_1)
	v_dual_mov_b32 v22, v27 :: v_dual_mov_b32 v17, v27
	v_pk_add_f32 v[28:29], v[22:23], v[20:21] neg_lo:[0,1] neg_hi:[0,1]
	v_dual_mov_b32 v21, v20 :: v_dual_mov_b32 v20, v23
	s_delay_alu instid0(VALU_DEP_2) | instskip(NEXT) | instid1(VALU_DEP_1)
	v_dual_mov_b32 v1, v28 :: v_dual_mov_b32 v31, v28
	v_pk_add_f32 v[24:25], v[24:25], v[0:1] neg_lo:[0,1] neg_hi:[0,1]
	s_delay_alu instid0(VALU_DEP_2) | instskip(SKIP_1) | instid1(VALU_DEP_2)
	v_pk_add_f32 v[18:19], v[26:27], v[30:31] neg_lo:[0,1] neg_hi:[0,1]
	v_mov_b32_e32 v24, v16
	v_pk_add_f32 v[18:19], v[20:21], v[18:19] neg_lo:[0,1] neg_hi:[0,1]
	s_delay_alu instid0(VALU_DEP_1) | instskip(NEXT) | instid1(VALU_DEP_1)
	v_pk_add_f32 v[20:21], v[24:25], v[18:19]
	v_mov_b32_e32 v24, v21
	s_delay_alu instid0(VALU_DEP_1) | instskip(NEXT) | instid1(VALU_DEP_1)
	v_pk_add_f32 v[24:25], v[20:21], v[24:25]
	v_pk_add_f32 v[22:23], v[22:23], v[24:25]
	s_delay_alu instid0(VALU_DEP_1) | instskip(NEXT) | instid1(VALU_DEP_1)
	v_mov_b32_e32 v21, v22
	v_pk_add_f32 v[26:27], v[20:21], v[16:17] neg_lo:[0,1] neg_hi:[0,1]
	s_delay_alu instid0(VALU_DEP_1) | instskip(NEXT) | instid1(VALU_DEP_1)
	v_sub_f32_e32 v1, v20, v26
	v_sub_f32_e32 v1, v16, v1
	v_mov_b32_e32 v19, v24
	s_delay_alu instid0(VALU_DEP_1) | instskip(NEXT) | instid1(VALU_DEP_1)
	v_pk_add_f32 v[18:19], v[18:19], v[26:27] neg_lo:[0,1] neg_hi:[0,1]
	v_add_f32_e32 v1, v18, v1
	s_delay_alu instid0(VALU_DEP_1) | instskip(NEXT) | instid1(VALU_DEP_1)
	v_add_f32_e32 v1, v1, v19
	v_add_f32_e32 v1, v22, v1
	s_delay_alu instid0(VALU_DEP_1) | instskip(SKIP_1) | instid1(VALU_DEP_2)
	v_cndmask_b32_e32 v1, 0x7f800000, v1, vcc_lo
	v_cmp_gt_f32_e64 vcc_lo, 0x33800000, |v32|
	v_cndmask_b32_e32 v1, v1, v32, vcc_lo
	s_delay_alu instid0(VALU_DEP_1) | instskip(NEXT) | instid1(VALU_DEP_1)
	v_div_scale_f32 v16, null, s4, s4, v1
	v_rcp_f32_e32 v17, v16
	v_nop
	s_delay_alu instid0(TRANS32_DEP_1) | instskip(NEXT) | instid1(VALU_DEP_1)
	v_fma_f32 v18, -v16, v17, 1.0
	v_fmac_f32_e32 v17, v18, v17
	v_div_scale_f32 v18, vcc_lo, v1, s4, v1
	s_delay_alu instid0(VALU_DEP_1) | instskip(NEXT) | instid1(VALU_DEP_1)
	v_mul_f32_e32 v19, v18, v17
	v_fma_f32 v20, -v16, v19, v18
	s_delay_alu instid0(VALU_DEP_1) | instskip(NEXT) | instid1(VALU_DEP_1)
	v_fmac_f32_e32 v19, v20, v17
	v_fma_f32 v16, -v16, v19, v18
	s_delay_alu instid0(VALU_DEP_1) | instskip(NEXT) | instid1(VALU_DEP_1)
	v_div_fmas_f32 v16, v16, v17, v19
	v_div_fixup_f32 v1, v16, s4, v1
	s_delay_alu instid0(VALU_DEP_1)
	v_cvt_f16_f32_e32 v1, v1
.LBB23_142:
	s_or_b32 exec_lo, exec_lo, s6
	global_load_u16 v15, v15, s[2:3]
	s_wait_xcnt 0x0
	s_mov_b32 s2, exec_lo
	s_wait_loadcnt 0x0
	v_cvt_f32_f16_e32 v16, v15
	s_delay_alu instid0(VALU_DEP_1) | instskip(NEXT) | instid1(VALU_DEP_1)
	v_mul_f32_e32 v16, s4, v16
	v_cmpx_nlt_f32_e32 s5, v16
	s_cbranch_execz .LBB23_144
; %bb.143:
	v_mul_f32_e32 v15, 0x3fb8aa3b, v16
	v_cmp_ngt_f32_e32 vcc_lo, 0xc2ce8ed0, v16
	s_mov_b32 s3, 0x3e9b6dac
	s_delay_alu instid0(VALU_DEP_2) | instskip(SKIP_1) | instid1(VALU_DEP_1)
	v_rndne_f32_e32 v17, v15
	v_fma_f32 v18, 0x3fb8aa3b, v16, -v15
	v_dual_sub_f32 v15, v15, v17 :: v_dual_fmamk_f32 v18, v16, 0x32a5705f, v18
	v_cvt_i32_f32_e32 v17, v17
	s_delay_alu instid0(VALU_DEP_2) | instskip(NEXT) | instid1(VALU_DEP_1)
	v_add_f32_e32 v15, v15, v18
	v_exp_f32_e32 v15, v15
	v_nop
	s_delay_alu instid0(TRANS32_DEP_1) | instskip(NEXT) | instid1(VALU_DEP_1)
	v_ldexp_f32 v15, v15, v17
	v_cndmask_b32_e32 v15, 0, v15, vcc_lo
	v_cmp_nlt_f32_e32 vcc_lo, 0x42b17218, v16
	s_delay_alu instid0(VALU_DEP_2) | instskip(NEXT) | instid1(VALU_DEP_1)
	v_cndmask_b32_e32 v32, 0x7f800000, v15, vcc_lo
	v_add_f32_e32 v15, 1.0, v32
	s_delay_alu instid0(VALU_DEP_1) | instskip(NEXT) | instid1(VALU_DEP_1)
	v_cvt_f64_f32_e32 v[16:17], v15
	v_frexp_exp_i32_f64_e32 v16, v[16:17]
	v_frexp_mant_f32_e32 v17, v15
	s_delay_alu instid0(VALU_DEP_1) | instskip(NEXT) | instid1(VALU_DEP_3)
	v_cmp_gt_f32_e32 vcc_lo, 0x3f2aaaab, v17
	v_subrev_co_ci_u32_e64 v22, null, 0, v16, vcc_lo
	s_delay_alu instid0(VALU_DEP_1) | instskip(NEXT) | instid1(VALU_DEP_1)
	v_dual_add_f32 v16, -1.0, v15 :: v_dual_sub_nc_u32 v17, 0, v22
	v_sub_f32_e32 v18, v16, v15
	s_delay_alu instid0(VALU_DEP_2) | instskip(NEXT) | instid1(VALU_DEP_1)
	v_ldexp_f32 v15, v15, v17
	v_dual_add_f32 v18, 1.0, v18 :: v_dual_add_f32 v19, 1.0, v15
	v_dual_add_f32 v21, -1.0, v15 :: v_dual_sub_f32 v16, v32, v16
	v_cmp_neq_f32_e32 vcc_lo, 0x7f800000, v32
	s_delay_alu instid0(VALU_DEP_2) | instskip(NEXT) | instid1(VALU_DEP_1)
	v_dual_add_f32 v16, v16, v18 :: v_dual_add_f32 v18, -1.0, v19
	v_ldexp_f32 v16, v16, v17
	s_delay_alu instid0(VALU_DEP_2) | instskip(NEXT) | instid1(VALU_DEP_1)
	v_dual_sub_f32 v17, v15, v18 :: v_dual_add_f32 v18, 1.0, v21
	v_add_f32_e32 v20, v16, v17
	s_delay_alu instid0(VALU_DEP_1) | instskip(NEXT) | instid1(VALU_DEP_1)
	v_add_f32_e32 v23, v19, v20
	v_rcp_f32_e32 v24, v23
	s_delay_alu instid0(VALU_DEP_3) | instskip(NEXT) | instid1(VALU_DEP_1)
	v_sub_f32_e32 v15, v15, v18
	v_add_f32_e32 v15, v16, v15
	v_sub_f32_e32 v16, v19, v23
	s_delay_alu instid0(VALU_DEP_1)
	v_dual_add_f32 v17, v21, v15 :: v_dual_add_f32 v26, v20, v16
	s_delay_alu instid0(TRANS32_DEP_1) | instid1(VALU_DEP_1)
	v_mul_f32_e32 v25, v17, v24
	v_sub_f32_e32 v27, v21, v17
	s_delay_alu instid0(VALU_DEP_2) | instskip(NEXT) | instid1(VALU_DEP_2)
	v_mul_f32_e32 v18, v23, v25
	v_add_f32_e32 v15, v15, v27
	s_delay_alu instid0(VALU_DEP_2) | instskip(NEXT) | instid1(VALU_DEP_1)
	v_fma_f32 v20, v25, v23, -v18
	v_fmac_f32_e32 v20, v25, v26
	s_delay_alu instid0(VALU_DEP_1) | instskip(NEXT) | instid1(VALU_DEP_1)
	v_add_f32_e32 v16, v18, v20
	v_dual_sub_f32 v19, v17, v16 :: v_dual_mov_b32 v21, v16
	s_delay_alu instid0(VALU_DEP_1) | instskip(NEXT) | instid1(VALU_DEP_1)
	v_pk_add_f32 v[16:17], v[16:17], v[18:19] neg_lo:[0,1] neg_hi:[0,1]
	v_pk_add_f32 v[16:17], v[16:17], v[20:21] neg_lo:[0,1] neg_hi:[0,1]
	s_delay_alu instid0(VALU_DEP_1) | instskip(NEXT) | instid1(VALU_DEP_1)
	v_add_f32_e32 v15, v15, v17
	v_add_f32_e32 v15, v16, v15
	s_delay_alu instid0(VALU_DEP_1) | instskip(NEXT) | instid1(VALU_DEP_1)
	v_add_f32_e32 v17, v19, v15
	v_mul_f32_e32 v27, v24, v17
	s_delay_alu instid0(VALU_DEP_1) | instskip(NEXT) | instid1(VALU_DEP_1)
	v_mul_f32_e32 v20, v23, v27
	v_fma_f32 v18, v27, v23, -v20
	s_delay_alu instid0(VALU_DEP_1) | instskip(NEXT) | instid1(VALU_DEP_1)
	v_fmac_f32_e32 v18, v27, v26
	v_dual_add_f32 v16, v20, v18 :: v_dual_sub_f32 v23, v19, v17
	s_delay_alu instid0(VALU_DEP_1) | instskip(NEXT) | instid1(VALU_DEP_1)
	v_dual_sub_f32 v21, v17, v16 :: v_dual_mov_b32 v19, v16
	v_pk_add_f32 v[16:17], v[16:17], v[20:21] neg_lo:[0,1] neg_hi:[0,1]
	v_add_f32_e32 v20, v25, v27
	s_delay_alu instid0(VALU_DEP_4) | instskip(NEXT) | instid1(VALU_DEP_3)
	v_add_f32_e32 v15, v15, v23
	v_pk_add_f32 v[16:17], v[16:17], v[18:19] neg_lo:[0,1] neg_hi:[0,1]
	v_cvt_f32_i32_e32 v18, v22
	s_delay_alu instid0(VALU_DEP_2) | instskip(NEXT) | instid1(VALU_DEP_1)
	v_add_f32_e32 v15, v15, v17
	v_add_f32_e32 v15, v16, v15
	v_sub_f32_e32 v16, v20, v25
	s_delay_alu instid0(VALU_DEP_1) | instskip(NEXT) | instid1(VALU_DEP_1)
	v_dual_sub_f32 v16, v27, v16 :: v_dual_add_f32 v15, v21, v15
	v_mul_f32_e32 v15, v24, v15
	s_delay_alu instid0(VALU_DEP_1) | instskip(NEXT) | instid1(VALU_DEP_1)
	v_dual_add_f32 v15, v16, v15 :: v_dual_mov_b32 v16, 0x3f317218
	v_add_f32_e32 v21, v20, v15
	s_delay_alu instid0(VALU_DEP_1) | instskip(NEXT) | instid1(VALU_DEP_1)
	v_mul_f32_e32 v17, v21, v21
	v_fmaak_f32 v23, s3, v17, 0x3ecc95a3
	v_mul_f32_e32 v19, v21, v17
	s_delay_alu instid0(VALU_DEP_2) | instskip(NEXT) | instid1(VALU_DEP_1)
	v_fmaak_f32 v17, v17, v23, 0x3f2aaada
	v_pk_mul_f32 v[16:17], v[18:19], v[16:17]
	s_delay_alu instid0(VALU_DEP_1) | instskip(NEXT) | instid1(VALU_DEP_1)
	v_fma_f32 v22, 0x3f317218, v18, -v16
	v_fmamk_f32 v18, v18, 0xb102e308, v22
	v_sub_f32_e32 v22, v21, v20
	s_delay_alu instid0(VALU_DEP_1) | instskip(SKIP_2) | instid1(VALU_DEP_3)
	v_sub_f32_e32 v15, v15, v22
	v_ldexp_f32 v19, v21, 1
	v_mov_b32_e32 v22, v16
	v_ldexp_f32 v15, v15, 1
	s_delay_alu instid0(VALU_DEP_3) | instskip(NEXT) | instid1(VALU_DEP_1)
	v_pk_add_f32 v[20:21], v[16:17], v[18:19]
	v_dual_sub_f32 v19, v21, v19 :: v_dual_mov_b32 v30, v21
	s_delay_alu instid0(VALU_DEP_1) | instskip(NEXT) | instid1(VALU_DEP_3)
	v_sub_f32_e32 v19, v17, v19
	v_pk_add_f32 v[16:17], v[20:21], v[16:17] neg_lo:[0,1] neg_hi:[0,1]
	s_delay_alu instid0(VALU_DEP_2) | instskip(NEXT) | instid1(VALU_DEP_1)
	v_dual_add_f32 v23, v15, v19 :: v_dual_mov_b32 v19, v20
	v_pk_add_f32 v[24:25], v[20:21], v[22:23]
	s_delay_alu instid0(VALU_DEP_1) | instskip(NEXT) | instid1(VALU_DEP_1)
	v_mov_b32_e32 v17, v25
	v_pk_add_f32 v[26:27], v[18:19], v[16:17]
	v_mov_b32_e32 v26, v25
	v_pk_add_f32 v[16:17], v[18:19], v[16:17] neg_lo:[0,1] neg_hi:[0,1]
	s_delay_alu instid0(VALU_DEP_3) | instskip(NEXT) | instid1(VALU_DEP_1)
	v_dual_mov_b32 v22, v27 :: v_dual_mov_b32 v17, v27
	v_pk_add_f32 v[28:29], v[22:23], v[20:21] neg_lo:[0,1] neg_hi:[0,1]
	v_dual_mov_b32 v21, v20 :: v_dual_mov_b32 v20, v23
	s_delay_alu instid0(VALU_DEP_2) | instskip(NEXT) | instid1(VALU_DEP_1)
	v_dual_mov_b32 v15, v28 :: v_dual_mov_b32 v31, v28
	v_pk_add_f32 v[24:25], v[24:25], v[14:15] neg_lo:[0,1] neg_hi:[0,1]
	s_delay_alu instid0(VALU_DEP_2) | instskip(SKIP_1) | instid1(VALU_DEP_2)
	v_pk_add_f32 v[18:19], v[26:27], v[30:31] neg_lo:[0,1] neg_hi:[0,1]
	v_mov_b32_e32 v24, v16
	v_pk_add_f32 v[18:19], v[20:21], v[18:19] neg_lo:[0,1] neg_hi:[0,1]
	s_delay_alu instid0(VALU_DEP_1) | instskip(NEXT) | instid1(VALU_DEP_1)
	v_pk_add_f32 v[20:21], v[24:25], v[18:19]
	v_mov_b32_e32 v24, v21
	s_delay_alu instid0(VALU_DEP_1) | instskip(NEXT) | instid1(VALU_DEP_1)
	v_pk_add_f32 v[24:25], v[20:21], v[24:25]
	v_pk_add_f32 v[22:23], v[22:23], v[24:25]
	s_delay_alu instid0(VALU_DEP_1) | instskip(NEXT) | instid1(VALU_DEP_1)
	v_mov_b32_e32 v21, v22
	v_pk_add_f32 v[26:27], v[20:21], v[16:17] neg_lo:[0,1] neg_hi:[0,1]
	s_delay_alu instid0(VALU_DEP_1) | instskip(NEXT) | instid1(VALU_DEP_1)
	v_sub_f32_e32 v15, v20, v26
	v_sub_f32_e32 v15, v16, v15
	v_mov_b32_e32 v19, v24
	s_delay_alu instid0(VALU_DEP_1) | instskip(NEXT) | instid1(VALU_DEP_1)
	v_pk_add_f32 v[18:19], v[18:19], v[26:27] neg_lo:[0,1] neg_hi:[0,1]
	v_add_f32_e32 v15, v18, v15
	s_delay_alu instid0(VALU_DEP_1) | instskip(NEXT) | instid1(VALU_DEP_1)
	v_add_f32_e32 v15, v15, v19
	v_add_f32_e32 v15, v22, v15
	s_delay_alu instid0(VALU_DEP_1) | instskip(SKIP_1) | instid1(VALU_DEP_2)
	v_cndmask_b32_e32 v15, 0x7f800000, v15, vcc_lo
	v_cmp_gt_f32_e64 vcc_lo, 0x33800000, |v32|
	v_cndmask_b32_e32 v15, v15, v32, vcc_lo
	s_delay_alu instid0(VALU_DEP_1) | instskip(NEXT) | instid1(VALU_DEP_1)
	v_div_scale_f32 v16, null, s4, s4, v15
	v_rcp_f32_e32 v17, v16
	v_nop
	s_delay_alu instid0(TRANS32_DEP_1) | instskip(NEXT) | instid1(VALU_DEP_1)
	v_fma_f32 v18, -v16, v17, 1.0
	v_fmac_f32_e32 v17, v18, v17
	v_div_scale_f32 v18, vcc_lo, v15, s4, v15
	s_delay_alu instid0(VALU_DEP_1) | instskip(NEXT) | instid1(VALU_DEP_1)
	v_mul_f32_e32 v19, v18, v17
	v_fma_f32 v20, -v16, v19, v18
	s_delay_alu instid0(VALU_DEP_1) | instskip(NEXT) | instid1(VALU_DEP_1)
	v_fmac_f32_e32 v19, v20, v17
	v_fma_f32 v16, -v16, v19, v18
	s_delay_alu instid0(VALU_DEP_1) | instskip(NEXT) | instid1(VALU_DEP_1)
	v_div_fmas_f32 v16, v16, v17, v19
	v_div_fixup_f32 v15, v16, s4, v15
	s_delay_alu instid0(VALU_DEP_1)
	v_cvt_f16_f32_e32 v15, v15
.LBB23_144:
	s_or_b32 exec_lo, exec_lo, s2
	s_clause 0x7
	global_store_b16 v2, v3, s[0:1]
	global_store_b16 v4, v5, s[0:1]
	;; [unrolled: 1-line block ×8, first 2 shown]
	s_endpgm
.LBB23_145:
	v_dual_mov_b32 v3, 0 :: v_dual_mov_b32 v2, 0
	s_branch .LBB23_151
.LBB23_146:
	v_dual_mov_b32 v3, 0 :: v_dual_mov_b32 v2, 0
	s_branch .LBB23_169
.LBB23_147:
	v_mov_b64_e32 v[2:3], 0
	v_mov_b32_e32 v1, v0
	s_mov_b32 s24, 0
.LBB23_148:
	s_and_b32 s16, s16, 3
	s_mov_b32 s25, 0
	s_cmp_eq_u32 s16, 0
	s_cbranch_scc1 .LBB23_151
; %bb.149:
	s_lshl_b32 s26, s24, 3
	s_mov_b32 s27, s25
	s_mul_u64 s[28:29], s[24:25], 12
	s_add_nc_u64 s[26:27], s[12:13], s[26:27]
	s_delay_alu instid0(SALU_CYCLE_1)
	s_add_nc_u64 s[24:25], s[26:27], 0xc4
	s_add_nc_u64 s[26:27], s[12:13], s[28:29]
.LBB23_150:                             ; =>This Inner Loop Header: Depth=1
	s_load_b96 s[40:42], s[26:27], 0x4
	s_load_b64 s[28:29], s[24:25], 0x0
	s_add_co_i32 s16, s16, -1
	s_wait_xcnt 0x0
	s_add_nc_u64 s[26:27], s[26:27], 12
	s_cmp_lg_u32 s16, 0
	s_add_nc_u64 s[24:25], s[24:25], 8
	s_wait_kmcnt 0x0
	v_mul_hi_u32 v4, s41, v1
	s_delay_alu instid0(VALU_DEP_1) | instskip(NEXT) | instid1(VALU_DEP_1)
	v_add_nc_u32_e32 v4, v1, v4
	v_lshrrev_b32_e32 v4, s42, v4
	s_delay_alu instid0(VALU_DEP_1) | instskip(NEXT) | instid1(VALU_DEP_1)
	v_mul_lo_u32 v5, v4, s40
	v_sub_nc_u32_e32 v1, v1, v5
	s_delay_alu instid0(VALU_DEP_1)
	v_mad_u32 v3, v1, s29, v3
	v_mad_u32 v2, v1, s28, v2
	v_mov_b32_e32 v1, v4
	s_cbranch_scc1 .LBB23_150
.LBB23_151:
	s_cbranch_execnz .LBB23_154
.LBB23_152:
	v_mov_b32_e32 v1, 0
	s_and_not1_b32 vcc_lo, exec_lo, s35
	s_delay_alu instid0(VALU_DEP_1) | instskip(NEXT) | instid1(VALU_DEP_1)
	v_mul_u64_e32 v[2:3], s[18:19], v[0:1]
	v_add_nc_u32_e32 v2, v0, v3
	s_delay_alu instid0(VALU_DEP_1) | instskip(NEXT) | instid1(VALU_DEP_1)
	v_lshrrev_b32_e32 v4, s6, v2
	v_mul_lo_u32 v2, v4, s4
	s_delay_alu instid0(VALU_DEP_1) | instskip(NEXT) | instid1(VALU_DEP_1)
	v_sub_nc_u32_e32 v2, v0, v2
	v_mul_lo_u32 v3, v2, s9
	v_mul_lo_u32 v2, v2, s8
	s_cbranch_vccnz .LBB23_154
; %bb.153:
	v_mov_b32_e32 v5, v1
	s_delay_alu instid0(VALU_DEP_1) | instskip(NEXT) | instid1(VALU_DEP_1)
	v_mul_u64_e32 v[6:7], s[20:21], v[4:5]
	v_add_nc_u32_e32 v1, v4, v7
	s_delay_alu instid0(VALU_DEP_1) | instskip(NEXT) | instid1(VALU_DEP_1)
	v_lshrrev_b32_e32 v1, s17, v1
	v_mul_lo_u32 v1, v1, s7
	s_delay_alu instid0(VALU_DEP_1) | instskip(NEXT) | instid1(VALU_DEP_1)
	v_sub_nc_u32_e32 v1, v4, v1
	v_mad_u32 v2, v1, s10, v2
	v_mad_u32 v3, v1, s11, v3
.LBB23_154:
	global_load_u16 v3, v3, s[2:3]
	s_mov_b32 s16, exec_lo
	s_wait_loadcnt 0x0
	v_cvt_f32_f16_e32 v1, v3
	s_delay_alu instid0(VALU_DEP_1) | instskip(NEXT) | instid1(VALU_DEP_1)
	v_mul_f32_e32 v1, s14, v1
	v_cmpx_nlt_f32_e32 s15, v1
	s_cbranch_execz .LBB23_156
; %bb.155:
	v_mul_f32_e32 v3, 0x3fb8aa3b, v1
	v_cmp_ngt_f32_e32 vcc_lo, 0xc2ce8ed0, v1
	s_mov_b32 s24, 0x3e9b6dac
	s_delay_alu instid0(VALU_DEP_2) | instskip(SKIP_1) | instid1(VALU_DEP_2)
	v_rndne_f32_e32 v4, v3
	v_fma_f32 v5, 0x3fb8aa3b, v1, -v3
	v_sub_f32_e32 v3, v3, v4
	s_delay_alu instid0(VALU_DEP_2) | instskip(SKIP_1) | instid1(VALU_DEP_2)
	v_fmamk_f32 v5, v1, 0x32a5705f, v5
	v_cvt_i32_f32_e32 v4, v4
	v_add_f32_e32 v3, v3, v5
	s_delay_alu instid0(VALU_DEP_1) | instskip(SKIP_1) | instid1(TRANS32_DEP_1)
	v_exp_f32_e32 v3, v3
	v_nop
	v_ldexp_f32 v3, v3, v4
	s_delay_alu instid0(VALU_DEP_1) | instskip(SKIP_1) | instid1(VALU_DEP_2)
	v_cndmask_b32_e32 v3, 0, v3, vcc_lo
	v_cmp_nlt_f32_e32 vcc_lo, 0x42b17218, v1
	v_cndmask_b32_e32 v3, 0x7f800000, v3, vcc_lo
	s_delay_alu instid0(VALU_DEP_1) | instskip(NEXT) | instid1(VALU_DEP_1)
	v_add_f32_e32 v1, 1.0, v3
	v_cvt_f64_f32_e32 v[4:5], v1
	s_delay_alu instid0(VALU_DEP_1) | instskip(SKIP_1) | instid1(VALU_DEP_1)
	v_frexp_exp_i32_f64_e32 v4, v[4:5]
	v_frexp_mant_f32_e32 v5, v1
	v_cmp_gt_f32_e32 vcc_lo, 0x3f2aaaab, v5
	s_delay_alu instid0(VALU_DEP_3) | instskip(NEXT) | instid1(VALU_DEP_1)
	v_subrev_co_ci_u32_e64 v10, null, 0, v4, vcc_lo
	v_dual_add_f32 v4, -1.0, v1 :: v_dual_sub_nc_u32 v5, 0, v10
	s_delay_alu instid0(VALU_DEP_1) | instskip(NEXT) | instid1(VALU_DEP_2)
	v_dual_sub_f32 v6, v4, v1 :: v_dual_sub_f32 v4, v3, v4
	v_ldexp_f32 v1, v1, v5
	s_delay_alu instid0(VALU_DEP_1) | instskip(NEXT) | instid1(VALU_DEP_1)
	v_dual_add_f32 v6, 1.0, v6 :: v_dual_add_f32 v7, 1.0, v1
	v_dual_add_f32 v9, -1.0, v1 :: v_dual_add_f32 v4, v4, v6
	v_cmp_neq_f32_e32 vcc_lo, 0x7f800000, v3
	s_delay_alu instid0(VALU_DEP_3) | instskip(NEXT) | instid1(VALU_DEP_3)
	v_add_f32_e32 v6, -1.0, v7
	v_ldexp_f32 v4, v4, v5
	s_delay_alu instid0(VALU_DEP_2) | instskip(NEXT) | instid1(VALU_DEP_1)
	v_dual_sub_f32 v5, v1, v6 :: v_dual_add_f32 v6, 1.0, v9
	v_dual_add_f32 v8, v4, v5 :: v_dual_sub_f32 v1, v1, v6
	s_delay_alu instid0(VALU_DEP_1) | instskip(NEXT) | instid1(VALU_DEP_1)
	v_dual_add_f32 v11, v7, v8 :: v_dual_add_f32 v1, v4, v1
	v_rcp_f32_e32 v12, v11
	s_delay_alu instid0(VALU_DEP_1) | instskip(NEXT) | instid1(VALU_DEP_1)
	v_dual_add_f32 v5, v9, v1 :: v_dual_sub_f32 v4, v7, v11
	v_sub_f32_e32 v15, v9, v5
	s_delay_alu instid0(TRANS32_DEP_1) | instskip(NEXT) | instid1(VALU_DEP_2)
	v_mul_f32_e32 v13, v5, v12
	v_dual_add_f32 v14, v8, v4 :: v_dual_add_f32 v1, v1, v15
	s_delay_alu instid0(VALU_DEP_2) | instskip(NEXT) | instid1(VALU_DEP_1)
	v_mul_f32_e32 v6, v11, v13
	v_fma_f32 v8, v13, v11, -v6
	s_delay_alu instid0(VALU_DEP_1) | instskip(NEXT) | instid1(VALU_DEP_1)
	v_fmac_f32_e32 v8, v13, v14
	v_add_f32_e32 v4, v6, v8
	s_delay_alu instid0(VALU_DEP_1) | instskip(NEXT) | instid1(VALU_DEP_1)
	v_dual_sub_f32 v7, v5, v4 :: v_dual_mov_b32 v9, v4
	v_pk_add_f32 v[4:5], v[4:5], v[6:7] neg_lo:[0,1] neg_hi:[0,1]
	s_delay_alu instid0(VALU_DEP_1) | instskip(NEXT) | instid1(VALU_DEP_1)
	v_pk_add_f32 v[4:5], v[4:5], v[8:9] neg_lo:[0,1] neg_hi:[0,1]
	v_add_f32_e32 v1, v1, v5
	s_delay_alu instid0(VALU_DEP_1) | instskip(NEXT) | instid1(VALU_DEP_1)
	v_add_f32_e32 v1, v4, v1
	v_add_f32_e32 v5, v7, v1
	s_delay_alu instid0(VALU_DEP_1) | instskip(NEXT) | instid1(VALU_DEP_1)
	v_mul_f32_e32 v15, v12, v5
	v_mul_f32_e32 v8, v11, v15
	s_delay_alu instid0(VALU_DEP_1) | instskip(SKIP_1) | instid1(VALU_DEP_1)
	v_fma_f32 v6, v15, v11, -v8
	v_sub_f32_e32 v11, v7, v5
	v_dual_fmac_f32 v6, v15, v14 :: v_dual_add_f32 v1, v1, v11
	s_delay_alu instid0(VALU_DEP_1) | instskip(NEXT) | instid1(VALU_DEP_1)
	v_add_f32_e32 v4, v8, v6
	v_dual_sub_f32 v9, v5, v4 :: v_dual_mov_b32 v7, v4
	s_delay_alu instid0(VALU_DEP_1) | instskip(NEXT) | instid1(VALU_DEP_1)
	v_pk_add_f32 v[4:5], v[4:5], v[8:9] neg_lo:[0,1] neg_hi:[0,1]
	v_pk_add_f32 v[4:5], v[4:5], v[6:7] neg_lo:[0,1] neg_hi:[0,1]
	v_cvt_f32_i32_e32 v6, v10
	s_delay_alu instid0(VALU_DEP_2) | instskip(NEXT) | instid1(VALU_DEP_1)
	v_add_f32_e32 v1, v1, v5
	v_dual_add_f32 v8, v13, v15 :: v_dual_add_f32 v1, v4, v1
	s_delay_alu instid0(VALU_DEP_1) | instskip(NEXT) | instid1(VALU_DEP_1)
	v_sub_f32_e32 v4, v8, v13
	v_dual_add_f32 v1, v9, v1 :: v_dual_sub_f32 v4, v15, v4
	s_delay_alu instid0(VALU_DEP_1) | instskip(NEXT) | instid1(VALU_DEP_1)
	v_mul_f32_e32 v1, v12, v1
	v_dual_add_f32 v1, v4, v1 :: v_dual_mov_b32 v4, 0x3f317218
	s_delay_alu instid0(VALU_DEP_1) | instskip(NEXT) | instid1(VALU_DEP_1)
	v_add_f32_e32 v9, v8, v1
	v_mul_f32_e32 v5, v9, v9
	s_delay_alu instid0(VALU_DEP_1) | instskip(SKIP_1) | instid1(VALU_DEP_2)
	v_fmaak_f32 v11, s24, v5, 0x3ecc95a3
	v_mul_f32_e32 v7, v9, v5
	v_fmaak_f32 v5, v5, v11, 0x3f2aaada
	s_delay_alu instid0(VALU_DEP_1) | instskip(NEXT) | instid1(VALU_DEP_1)
	v_pk_mul_f32 v[4:5], v[6:7], v[4:5]
	v_fma_f32 v10, 0x3f317218, v6, -v4
	s_delay_alu instid0(VALU_DEP_1) | instskip(SKIP_1) | instid1(VALU_DEP_1)
	v_fmamk_f32 v6, v6, 0xb102e308, v10
	v_sub_f32_e32 v10, v9, v8
	v_sub_f32_e32 v1, v1, v10
	v_ldexp_f32 v7, v9, 1
	v_mov_b32_e32 v10, v4
	s_delay_alu instid0(VALU_DEP_3) | instskip(NEXT) | instid1(VALU_DEP_3)
	v_ldexp_f32 v1, v1, 1
	v_pk_add_f32 v[8:9], v[4:5], v[6:7]
	s_delay_alu instid0(VALU_DEP_1) | instskip(NEXT) | instid1(VALU_DEP_1)
	v_dual_sub_f32 v7, v9, v7 :: v_dual_mov_b32 v18, v9
	v_sub_f32_e32 v7, v5, v7
	s_delay_alu instid0(VALU_DEP_3) | instskip(NEXT) | instid1(VALU_DEP_2)
	v_pk_add_f32 v[4:5], v[8:9], v[4:5] neg_lo:[0,1] neg_hi:[0,1]
	v_dual_add_f32 v11, v1, v7 :: v_dual_mov_b32 v7, v8
	s_delay_alu instid0(VALU_DEP_1) | instskip(NEXT) | instid1(VALU_DEP_1)
	v_pk_add_f32 v[12:13], v[8:9], v[10:11]
	v_mov_b32_e32 v5, v13
	s_delay_alu instid0(VALU_DEP_1) | instskip(SKIP_2) | instid1(VALU_DEP_3)
	v_pk_add_f32 v[14:15], v[6:7], v[4:5]
	v_mov_b32_e32 v14, v13
	v_pk_add_f32 v[4:5], v[6:7], v[4:5] neg_lo:[0,1] neg_hi:[0,1]
	v_dual_mov_b32 v10, v15 :: v_dual_mov_b32 v5, v15
	s_delay_alu instid0(VALU_DEP_1) | instskip(SKIP_1) | instid1(VALU_DEP_2)
	v_pk_add_f32 v[16:17], v[10:11], v[8:9] neg_lo:[0,1] neg_hi:[0,1]
	v_dual_mov_b32 v9, v8 :: v_dual_mov_b32 v8, v11
	v_dual_mov_b32 v1, v16 :: v_dual_mov_b32 v19, v16
	s_delay_alu instid0(VALU_DEP_1) | instskip(NEXT) | instid1(VALU_DEP_2)
	v_pk_add_f32 v[12:13], v[12:13], v[0:1] neg_lo:[0,1] neg_hi:[0,1]
	v_pk_add_f32 v[6:7], v[14:15], v[18:19] neg_lo:[0,1] neg_hi:[0,1]
	v_mov_b32_e32 v12, v4
	s_delay_alu instid0(VALU_DEP_2) | instskip(NEXT) | instid1(VALU_DEP_1)
	v_pk_add_f32 v[6:7], v[8:9], v[6:7] neg_lo:[0,1] neg_hi:[0,1]
	v_pk_add_f32 v[8:9], v[12:13], v[6:7]
	s_delay_alu instid0(VALU_DEP_1) | instskip(NEXT) | instid1(VALU_DEP_1)
	v_mov_b32_e32 v12, v9
	v_pk_add_f32 v[12:13], v[8:9], v[12:13]
	s_delay_alu instid0(VALU_DEP_1) | instskip(NEXT) | instid1(VALU_DEP_1)
	v_pk_add_f32 v[10:11], v[10:11], v[12:13]
	v_mov_b32_e32 v9, v10
	s_delay_alu instid0(VALU_DEP_1) | instskip(NEXT) | instid1(VALU_DEP_1)
	v_pk_add_f32 v[14:15], v[8:9], v[4:5] neg_lo:[0,1] neg_hi:[0,1]
	v_sub_f32_e32 v1, v8, v14
	s_delay_alu instid0(VALU_DEP_1) | instskip(SKIP_1) | instid1(VALU_DEP_1)
	v_sub_f32_e32 v1, v4, v1
	v_mov_b32_e32 v7, v12
	v_pk_add_f32 v[6:7], v[6:7], v[14:15] neg_lo:[0,1] neg_hi:[0,1]
	s_delay_alu instid0(VALU_DEP_1) | instskip(NEXT) | instid1(VALU_DEP_1)
	v_add_f32_e32 v1, v6, v1
	v_add_f32_e32 v1, v1, v7
	s_delay_alu instid0(VALU_DEP_1) | instskip(NEXT) | instid1(VALU_DEP_1)
	v_add_f32_e32 v1, v10, v1
	v_cndmask_b32_e32 v1, 0x7f800000, v1, vcc_lo
	v_cmp_gt_f32_e64 vcc_lo, 0x33800000, |v3|
	s_delay_alu instid0(VALU_DEP_2) | instskip(NEXT) | instid1(VALU_DEP_1)
	v_cndmask_b32_e32 v1, v1, v3, vcc_lo
	v_div_scale_f32 v3, null, s14, s14, v1
	s_delay_alu instid0(VALU_DEP_1) | instskip(SKIP_1) | instid1(TRANS32_DEP_1)
	v_rcp_f32_e32 v4, v3
	v_nop
	v_fma_f32 v5, -v3, v4, 1.0
	s_delay_alu instid0(VALU_DEP_1) | instskip(SKIP_1) | instid1(VALU_DEP_1)
	v_fmac_f32_e32 v4, v5, v4
	v_div_scale_f32 v5, vcc_lo, v1, s14, v1
	v_mul_f32_e32 v6, v5, v4
	s_delay_alu instid0(VALU_DEP_1) | instskip(NEXT) | instid1(VALU_DEP_1)
	v_fma_f32 v7, -v3, v6, v5
	v_fmac_f32_e32 v6, v7, v4
	s_delay_alu instid0(VALU_DEP_1) | instskip(NEXT) | instid1(VALU_DEP_1)
	v_fma_f32 v3, -v3, v6, v5
	v_div_fmas_f32 v3, v3, v4, v6
	s_delay_alu instid0(VALU_DEP_1) | instskip(NEXT) | instid1(VALU_DEP_1)
	v_div_fixup_f32 v1, v3, s14, v1
	v_cvt_f16_f32_e32 v3, v1
.LBB23_156:
	s_or_b32 exec_lo, exec_lo, s16
	v_add_nc_u32_e32 v0, 0x80, v0
	global_store_b16 v2, v3, s[0:1]
	s_wait_xcnt 0x0
	s_or_b32 exec_lo, exec_lo, s5
	s_delay_alu instid0(SALU_CYCLE_1)
	s_mov_b32 s5, exec_lo
	v_cmpx_gt_i32_e64 s36, v0
	s_cbranch_execnz .LBB23_15
.LBB23_157:
	s_or_b32 exec_lo, exec_lo, s5
	s_delay_alu instid0(SALU_CYCLE_1)
	s_mov_b32 s5, exec_lo
	v_cmpx_gt_i32_e64 s36, v0
	s_cbranch_execz .LBB23_175
.LBB23_158:
	s_and_not1_b32 vcc_lo, exec_lo, s33
	s_cbranch_vccnz .LBB23_163
; %bb.159:
	s_and_not1_b32 vcc_lo, exec_lo, s38
	s_cbranch_vccnz .LBB23_164
; %bb.160:
	s_add_co_i32 s16, s37, 1
	s_cmp_eq_u32 s31, 2
	s_cbranch_scc1 .LBB23_183
; %bb.161:
	v_dual_mov_b32 v2, 0 :: v_dual_mov_b32 v3, 0
	v_mov_b32_e32 v1, v0
	s_and_b32 s24, s16, 28
	s_mov_b32 s25, 0
	s_mov_b64 s[26:27], s[12:13]
	s_mov_b64 s[28:29], s[22:23]
.LBB23_162:                             ; =>This Inner Loop Header: Depth=1
	s_clause 0x1
	s_load_b256 s[40:47], s[26:27], 0x4
	s_load_b128 s[56:59], s[26:27], 0x24
	s_load_b256 s[48:55], s[28:29], 0x0
	s_add_co_i32 s25, s25, 4
	s_wait_xcnt 0x0
	s_add_nc_u64 s[26:27], s[26:27], 48
	s_cmp_eq_u32 s24, s25
	s_add_nc_u64 s[28:29], s[28:29], 32
	s_wait_kmcnt 0x0
	v_mul_hi_u32 v4, s41, v1
	s_delay_alu instid0(VALU_DEP_1) | instskip(NEXT) | instid1(VALU_DEP_1)
	v_add_nc_u32_e32 v4, v1, v4
	v_lshrrev_b32_e32 v4, s42, v4
	s_delay_alu instid0(VALU_DEP_1) | instskip(NEXT) | instid1(VALU_DEP_1)
	v_mul_hi_u32 v5, s44, v4
	v_add_nc_u32_e32 v5, v4, v5
	s_delay_alu instid0(VALU_DEP_1) | instskip(NEXT) | instid1(VALU_DEP_1)
	v_lshrrev_b32_e32 v5, s45, v5
	v_mul_hi_u32 v6, s47, v5
	s_delay_alu instid0(VALU_DEP_1) | instskip(SKIP_1) | instid1(VALU_DEP_1)
	v_add_nc_u32_e32 v6, v5, v6
	v_mul_lo_u32 v7, v4, s40
	v_sub_nc_u32_e32 v1, v1, v7
	v_mul_lo_u32 v7, v5, s43
	s_delay_alu instid0(VALU_DEP_4) | instskip(NEXT) | instid1(VALU_DEP_3)
	v_lshrrev_b32_e32 v6, s56, v6
	v_mad_u32 v3, v1, s49, v3
	v_mad_u32 v1, v1, s48, v2
	s_delay_alu instid0(VALU_DEP_4) | instskip(NEXT) | instid1(VALU_DEP_4)
	v_sub_nc_u32_e32 v2, v4, v7
	v_mul_hi_u32 v8, s58, v6
	v_mul_lo_u32 v4, v6, s46
	s_delay_alu instid0(VALU_DEP_3) | instskip(SKIP_1) | instid1(VALU_DEP_4)
	v_mad_u32 v3, v2, s51, v3
	v_mad_u32 v2, v2, s50, v1
	v_add_nc_u32_e32 v7, v6, v8
	s_delay_alu instid0(VALU_DEP_1) | instskip(NEXT) | instid1(VALU_DEP_1)
	v_dual_sub_nc_u32 v4, v5, v4 :: v_dual_lshrrev_b32 v1, s59, v7
	v_mad_u32 v3, v4, s53, v3
	s_delay_alu instid0(VALU_DEP_4) | instskip(NEXT) | instid1(VALU_DEP_3)
	v_mad_u32 v2, v4, s52, v2
	v_mul_lo_u32 v5, v1, s57
	s_delay_alu instid0(VALU_DEP_1) | instskip(NEXT) | instid1(VALU_DEP_1)
	v_sub_nc_u32_e32 v4, v6, v5
	v_mad_u32 v3, v4, s55, v3
	s_delay_alu instid0(VALU_DEP_4)
	v_mad_u32 v2, v4, s54, v2
	s_cbranch_scc0 .LBB23_162
	s_branch .LBB23_184
.LBB23_163:
                                        ; implicit-def: $vgpr3
	s_branch .LBB23_188
.LBB23_164:
	v_dual_mov_b32 v3, 0 :: v_dual_mov_b32 v2, 0
	s_branch .LBB23_187
.LBB23_165:
	v_mov_b64_e32 v[2:3], 0
	v_mov_b32_e32 v1, v0
	s_mov_b32 s24, 0
.LBB23_166:
	s_and_b32 s16, s16, 3
	s_mov_b32 s25, 0
	s_cmp_eq_u32 s16, 0
	s_cbranch_scc1 .LBB23_169
; %bb.167:
	s_lshl_b32 s26, s24, 3
	s_mov_b32 s27, s25
	s_mul_u64 s[28:29], s[24:25], 12
	s_add_nc_u64 s[26:27], s[12:13], s[26:27]
	s_delay_alu instid0(SALU_CYCLE_1)
	s_add_nc_u64 s[24:25], s[26:27], 0xc4
	s_add_nc_u64 s[26:27], s[12:13], s[28:29]
.LBB23_168:                             ; =>This Inner Loop Header: Depth=1
	s_load_b96 s[40:42], s[26:27], 0x4
	s_load_b64 s[28:29], s[24:25], 0x0
	s_add_co_i32 s16, s16, -1
	s_wait_xcnt 0x0
	s_add_nc_u64 s[26:27], s[26:27], 12
	s_cmp_lg_u32 s16, 0
	s_add_nc_u64 s[24:25], s[24:25], 8
	s_wait_kmcnt 0x0
	v_mul_hi_u32 v4, s41, v1
	s_delay_alu instid0(VALU_DEP_1) | instskip(NEXT) | instid1(VALU_DEP_1)
	v_add_nc_u32_e32 v4, v1, v4
	v_lshrrev_b32_e32 v4, s42, v4
	s_delay_alu instid0(VALU_DEP_1) | instskip(NEXT) | instid1(VALU_DEP_1)
	v_mul_lo_u32 v5, v4, s40
	v_sub_nc_u32_e32 v1, v1, v5
	s_delay_alu instid0(VALU_DEP_1)
	v_mad_u32 v3, v1, s29, v3
	v_mad_u32 v2, v1, s28, v2
	v_mov_b32_e32 v1, v4
	s_cbranch_scc1 .LBB23_168
.LBB23_169:
	s_cbranch_execnz .LBB23_172
.LBB23_170:
	v_mov_b32_e32 v1, 0
	s_and_not1_b32 vcc_lo, exec_lo, s35
	s_delay_alu instid0(VALU_DEP_1) | instskip(NEXT) | instid1(VALU_DEP_1)
	v_mul_u64_e32 v[2:3], s[18:19], v[0:1]
	v_add_nc_u32_e32 v2, v0, v3
	s_delay_alu instid0(VALU_DEP_1) | instskip(NEXT) | instid1(VALU_DEP_1)
	v_lshrrev_b32_e32 v4, s6, v2
	v_mul_lo_u32 v2, v4, s4
	s_delay_alu instid0(VALU_DEP_1) | instskip(NEXT) | instid1(VALU_DEP_1)
	v_sub_nc_u32_e32 v2, v0, v2
	v_mul_lo_u32 v3, v2, s9
	v_mul_lo_u32 v2, v2, s8
	s_cbranch_vccnz .LBB23_172
; %bb.171:
	v_mov_b32_e32 v5, v1
	s_delay_alu instid0(VALU_DEP_1) | instskip(NEXT) | instid1(VALU_DEP_1)
	v_mul_u64_e32 v[6:7], s[20:21], v[4:5]
	v_add_nc_u32_e32 v1, v4, v7
	s_delay_alu instid0(VALU_DEP_1) | instskip(NEXT) | instid1(VALU_DEP_1)
	v_lshrrev_b32_e32 v1, s17, v1
	v_mul_lo_u32 v1, v1, s7
	s_delay_alu instid0(VALU_DEP_1) | instskip(NEXT) | instid1(VALU_DEP_1)
	v_sub_nc_u32_e32 v1, v4, v1
	v_mad_u32 v2, v1, s10, v2
	v_mad_u32 v3, v1, s11, v3
.LBB23_172:
	global_load_u16 v3, v3, s[2:3]
	s_mov_b32 s16, exec_lo
	s_wait_loadcnt 0x0
	v_cvt_f32_f16_e32 v1, v3
	s_delay_alu instid0(VALU_DEP_1) | instskip(SKIP_1) | instid1(VALU_DEP_1)
	v_mul_f32_e32 v1, s14, v1
	s_wait_xcnt 0x0
	v_cmpx_nlt_f32_e32 s15, v1
	s_cbranch_execz .LBB23_174
; %bb.173:
	v_mul_f32_e32 v3, 0x3fb8aa3b, v1
	v_cmp_ngt_f32_e32 vcc_lo, 0xc2ce8ed0, v1
	s_mov_b32 s24, 0x3e9b6dac
	s_delay_alu instid0(VALU_DEP_2) | instskip(SKIP_1) | instid1(VALU_DEP_2)
	v_rndne_f32_e32 v4, v3
	v_fma_f32 v5, 0x3fb8aa3b, v1, -v3
	v_sub_f32_e32 v3, v3, v4
	s_delay_alu instid0(VALU_DEP_2) | instskip(SKIP_1) | instid1(VALU_DEP_2)
	v_fmamk_f32 v5, v1, 0x32a5705f, v5
	v_cvt_i32_f32_e32 v4, v4
	v_add_f32_e32 v3, v3, v5
	s_delay_alu instid0(VALU_DEP_1) | instskip(SKIP_1) | instid1(TRANS32_DEP_1)
	v_exp_f32_e32 v3, v3
	v_nop
	v_ldexp_f32 v3, v3, v4
	s_delay_alu instid0(VALU_DEP_1) | instskip(SKIP_1) | instid1(VALU_DEP_2)
	v_cndmask_b32_e32 v3, 0, v3, vcc_lo
	v_cmp_nlt_f32_e32 vcc_lo, 0x42b17218, v1
	v_cndmask_b32_e32 v3, 0x7f800000, v3, vcc_lo
	s_delay_alu instid0(VALU_DEP_1) | instskip(NEXT) | instid1(VALU_DEP_1)
	v_add_f32_e32 v1, 1.0, v3
	v_cvt_f64_f32_e32 v[4:5], v1
	s_delay_alu instid0(VALU_DEP_1) | instskip(SKIP_1) | instid1(VALU_DEP_1)
	v_frexp_exp_i32_f64_e32 v4, v[4:5]
	v_frexp_mant_f32_e32 v5, v1
	v_cmp_gt_f32_e32 vcc_lo, 0x3f2aaaab, v5
	s_delay_alu instid0(VALU_DEP_3) | instskip(NEXT) | instid1(VALU_DEP_1)
	v_subrev_co_ci_u32_e64 v10, null, 0, v4, vcc_lo
	v_dual_add_f32 v4, -1.0, v1 :: v_dual_sub_nc_u32 v5, 0, v10
	s_delay_alu instid0(VALU_DEP_1) | instskip(NEXT) | instid1(VALU_DEP_2)
	v_dual_sub_f32 v6, v4, v1 :: v_dual_sub_f32 v4, v3, v4
	v_ldexp_f32 v1, v1, v5
	s_delay_alu instid0(VALU_DEP_1) | instskip(NEXT) | instid1(VALU_DEP_1)
	v_dual_add_f32 v6, 1.0, v6 :: v_dual_add_f32 v7, 1.0, v1
	v_dual_add_f32 v9, -1.0, v1 :: v_dual_add_f32 v4, v4, v6
	v_cmp_neq_f32_e32 vcc_lo, 0x7f800000, v3
	s_delay_alu instid0(VALU_DEP_3) | instskip(NEXT) | instid1(VALU_DEP_3)
	v_add_f32_e32 v6, -1.0, v7
	v_ldexp_f32 v4, v4, v5
	s_delay_alu instid0(VALU_DEP_2) | instskip(NEXT) | instid1(VALU_DEP_1)
	v_dual_sub_f32 v5, v1, v6 :: v_dual_add_f32 v6, 1.0, v9
	v_dual_add_f32 v8, v4, v5 :: v_dual_sub_f32 v1, v1, v6
	s_delay_alu instid0(VALU_DEP_1) | instskip(NEXT) | instid1(VALU_DEP_1)
	v_dual_add_f32 v11, v7, v8 :: v_dual_add_f32 v1, v4, v1
	v_rcp_f32_e32 v12, v11
	s_delay_alu instid0(VALU_DEP_1) | instskip(NEXT) | instid1(VALU_DEP_1)
	v_dual_add_f32 v5, v9, v1 :: v_dual_sub_f32 v4, v7, v11
	v_sub_f32_e32 v15, v9, v5
	s_delay_alu instid0(TRANS32_DEP_1) | instskip(NEXT) | instid1(VALU_DEP_2)
	v_mul_f32_e32 v13, v5, v12
	v_dual_add_f32 v14, v8, v4 :: v_dual_add_f32 v1, v1, v15
	s_delay_alu instid0(VALU_DEP_2) | instskip(NEXT) | instid1(VALU_DEP_1)
	v_mul_f32_e32 v6, v11, v13
	v_fma_f32 v8, v13, v11, -v6
	s_delay_alu instid0(VALU_DEP_1) | instskip(NEXT) | instid1(VALU_DEP_1)
	v_fmac_f32_e32 v8, v13, v14
	v_add_f32_e32 v4, v6, v8
	s_delay_alu instid0(VALU_DEP_1) | instskip(NEXT) | instid1(VALU_DEP_1)
	v_dual_sub_f32 v7, v5, v4 :: v_dual_mov_b32 v9, v4
	v_pk_add_f32 v[4:5], v[4:5], v[6:7] neg_lo:[0,1] neg_hi:[0,1]
	s_delay_alu instid0(VALU_DEP_1) | instskip(NEXT) | instid1(VALU_DEP_1)
	v_pk_add_f32 v[4:5], v[4:5], v[8:9] neg_lo:[0,1] neg_hi:[0,1]
	v_add_f32_e32 v1, v1, v5
	s_delay_alu instid0(VALU_DEP_1) | instskip(NEXT) | instid1(VALU_DEP_1)
	v_add_f32_e32 v1, v4, v1
	v_add_f32_e32 v5, v7, v1
	s_delay_alu instid0(VALU_DEP_1) | instskip(NEXT) | instid1(VALU_DEP_1)
	v_mul_f32_e32 v15, v12, v5
	v_mul_f32_e32 v8, v11, v15
	s_delay_alu instid0(VALU_DEP_1) | instskip(SKIP_1) | instid1(VALU_DEP_1)
	v_fma_f32 v6, v15, v11, -v8
	v_sub_f32_e32 v11, v7, v5
	v_dual_fmac_f32 v6, v15, v14 :: v_dual_add_f32 v1, v1, v11
	s_delay_alu instid0(VALU_DEP_1) | instskip(NEXT) | instid1(VALU_DEP_1)
	v_add_f32_e32 v4, v8, v6
	v_dual_sub_f32 v9, v5, v4 :: v_dual_mov_b32 v7, v4
	s_delay_alu instid0(VALU_DEP_1) | instskip(NEXT) | instid1(VALU_DEP_1)
	v_pk_add_f32 v[4:5], v[4:5], v[8:9] neg_lo:[0,1] neg_hi:[0,1]
	v_pk_add_f32 v[4:5], v[4:5], v[6:7] neg_lo:[0,1] neg_hi:[0,1]
	v_cvt_f32_i32_e32 v6, v10
	s_delay_alu instid0(VALU_DEP_2) | instskip(NEXT) | instid1(VALU_DEP_1)
	v_add_f32_e32 v1, v1, v5
	v_dual_add_f32 v8, v13, v15 :: v_dual_add_f32 v1, v4, v1
	s_delay_alu instid0(VALU_DEP_1) | instskip(NEXT) | instid1(VALU_DEP_1)
	v_sub_f32_e32 v4, v8, v13
	v_dual_add_f32 v1, v9, v1 :: v_dual_sub_f32 v4, v15, v4
	s_delay_alu instid0(VALU_DEP_1) | instskip(NEXT) | instid1(VALU_DEP_1)
	v_mul_f32_e32 v1, v12, v1
	v_dual_add_f32 v1, v4, v1 :: v_dual_mov_b32 v4, 0x3f317218
	s_delay_alu instid0(VALU_DEP_1) | instskip(NEXT) | instid1(VALU_DEP_1)
	v_add_f32_e32 v9, v8, v1
	v_mul_f32_e32 v5, v9, v9
	s_delay_alu instid0(VALU_DEP_1) | instskip(SKIP_1) | instid1(VALU_DEP_2)
	v_fmaak_f32 v11, s24, v5, 0x3ecc95a3
	v_mul_f32_e32 v7, v9, v5
	v_fmaak_f32 v5, v5, v11, 0x3f2aaada
	s_delay_alu instid0(VALU_DEP_1) | instskip(NEXT) | instid1(VALU_DEP_1)
	v_pk_mul_f32 v[4:5], v[6:7], v[4:5]
	v_fma_f32 v10, 0x3f317218, v6, -v4
	s_delay_alu instid0(VALU_DEP_1) | instskip(SKIP_1) | instid1(VALU_DEP_1)
	v_fmamk_f32 v6, v6, 0xb102e308, v10
	v_sub_f32_e32 v10, v9, v8
	v_sub_f32_e32 v1, v1, v10
	v_ldexp_f32 v7, v9, 1
	v_mov_b32_e32 v10, v4
	s_delay_alu instid0(VALU_DEP_3) | instskip(NEXT) | instid1(VALU_DEP_3)
	v_ldexp_f32 v1, v1, 1
	v_pk_add_f32 v[8:9], v[4:5], v[6:7]
	s_delay_alu instid0(VALU_DEP_1) | instskip(NEXT) | instid1(VALU_DEP_1)
	v_dual_sub_f32 v7, v9, v7 :: v_dual_mov_b32 v18, v9
	v_sub_f32_e32 v7, v5, v7
	s_delay_alu instid0(VALU_DEP_3) | instskip(NEXT) | instid1(VALU_DEP_2)
	v_pk_add_f32 v[4:5], v[8:9], v[4:5] neg_lo:[0,1] neg_hi:[0,1]
	v_dual_add_f32 v11, v1, v7 :: v_dual_mov_b32 v7, v8
	s_delay_alu instid0(VALU_DEP_1) | instskip(NEXT) | instid1(VALU_DEP_1)
	v_pk_add_f32 v[12:13], v[8:9], v[10:11]
	v_mov_b32_e32 v5, v13
	s_delay_alu instid0(VALU_DEP_1) | instskip(SKIP_2) | instid1(VALU_DEP_3)
	v_pk_add_f32 v[14:15], v[6:7], v[4:5]
	v_mov_b32_e32 v14, v13
	v_pk_add_f32 v[4:5], v[6:7], v[4:5] neg_lo:[0,1] neg_hi:[0,1]
	v_dual_mov_b32 v10, v15 :: v_dual_mov_b32 v5, v15
	s_delay_alu instid0(VALU_DEP_1) | instskip(SKIP_1) | instid1(VALU_DEP_2)
	v_pk_add_f32 v[16:17], v[10:11], v[8:9] neg_lo:[0,1] neg_hi:[0,1]
	v_dual_mov_b32 v9, v8 :: v_dual_mov_b32 v8, v11
	v_dual_mov_b32 v1, v16 :: v_dual_mov_b32 v19, v16
	s_delay_alu instid0(VALU_DEP_1) | instskip(NEXT) | instid1(VALU_DEP_2)
	v_pk_add_f32 v[12:13], v[12:13], v[0:1] neg_lo:[0,1] neg_hi:[0,1]
	v_pk_add_f32 v[6:7], v[14:15], v[18:19] neg_lo:[0,1] neg_hi:[0,1]
	v_mov_b32_e32 v12, v4
	s_delay_alu instid0(VALU_DEP_2) | instskip(NEXT) | instid1(VALU_DEP_1)
	v_pk_add_f32 v[6:7], v[8:9], v[6:7] neg_lo:[0,1] neg_hi:[0,1]
	v_pk_add_f32 v[8:9], v[12:13], v[6:7]
	s_delay_alu instid0(VALU_DEP_1) | instskip(NEXT) | instid1(VALU_DEP_1)
	v_mov_b32_e32 v12, v9
	v_pk_add_f32 v[12:13], v[8:9], v[12:13]
	s_delay_alu instid0(VALU_DEP_1) | instskip(NEXT) | instid1(VALU_DEP_1)
	v_pk_add_f32 v[10:11], v[10:11], v[12:13]
	v_mov_b32_e32 v9, v10
	s_delay_alu instid0(VALU_DEP_1) | instskip(NEXT) | instid1(VALU_DEP_1)
	v_pk_add_f32 v[14:15], v[8:9], v[4:5] neg_lo:[0,1] neg_hi:[0,1]
	v_sub_f32_e32 v1, v8, v14
	s_delay_alu instid0(VALU_DEP_1) | instskip(SKIP_1) | instid1(VALU_DEP_1)
	v_sub_f32_e32 v1, v4, v1
	v_mov_b32_e32 v7, v12
	v_pk_add_f32 v[6:7], v[6:7], v[14:15] neg_lo:[0,1] neg_hi:[0,1]
	s_delay_alu instid0(VALU_DEP_1) | instskip(NEXT) | instid1(VALU_DEP_1)
	v_add_f32_e32 v1, v6, v1
	v_add_f32_e32 v1, v1, v7
	s_delay_alu instid0(VALU_DEP_1) | instskip(NEXT) | instid1(VALU_DEP_1)
	v_add_f32_e32 v1, v10, v1
	v_cndmask_b32_e32 v1, 0x7f800000, v1, vcc_lo
	v_cmp_gt_f32_e64 vcc_lo, 0x33800000, |v3|
	s_delay_alu instid0(VALU_DEP_2) | instskip(NEXT) | instid1(VALU_DEP_1)
	v_cndmask_b32_e32 v1, v1, v3, vcc_lo
	v_div_scale_f32 v3, null, s14, s14, v1
	s_delay_alu instid0(VALU_DEP_1) | instskip(SKIP_1) | instid1(TRANS32_DEP_1)
	v_rcp_f32_e32 v4, v3
	v_nop
	v_fma_f32 v5, -v3, v4, 1.0
	s_delay_alu instid0(VALU_DEP_1) | instskip(SKIP_1) | instid1(VALU_DEP_1)
	v_fmac_f32_e32 v4, v5, v4
	v_div_scale_f32 v5, vcc_lo, v1, s14, v1
	v_mul_f32_e32 v6, v5, v4
	s_delay_alu instid0(VALU_DEP_1) | instskip(NEXT) | instid1(VALU_DEP_1)
	v_fma_f32 v7, -v3, v6, v5
	v_fmac_f32_e32 v6, v7, v4
	s_delay_alu instid0(VALU_DEP_1) | instskip(NEXT) | instid1(VALU_DEP_1)
	v_fma_f32 v3, -v3, v6, v5
	v_div_fmas_f32 v3, v3, v4, v6
	s_delay_alu instid0(VALU_DEP_1) | instskip(NEXT) | instid1(VALU_DEP_1)
	v_div_fixup_f32 v1, v3, s14, v1
	v_cvt_f16_f32_e32 v3, v1
.LBB23_174:
	s_or_b32 exec_lo, exec_lo, s16
	v_add_nc_u32_e32 v0, 0x80, v0
	global_store_b16 v2, v3, s[0:1]
	s_wait_xcnt 0x0
	s_or_b32 exec_lo, exec_lo, s5
	s_delay_alu instid0(SALU_CYCLE_1)
	s_mov_b32 s5, exec_lo
	v_cmpx_gt_i32_e64 s36, v0
	s_cbranch_execnz .LBB23_158
.LBB23_175:
	s_or_b32 exec_lo, exec_lo, s5
	s_delay_alu instid0(SALU_CYCLE_1)
	s_mov_b32 s5, exec_lo
	v_cmpx_gt_i32_e64 s36, v0
	s_cbranch_execz .LBB23_193
.LBB23_176:
	s_and_not1_b32 vcc_lo, exec_lo, s33
	s_cbranch_vccnz .LBB23_181
; %bb.177:
	s_and_not1_b32 vcc_lo, exec_lo, s38
	s_cbranch_vccnz .LBB23_182
; %bb.178:
	s_add_co_i32 s16, s37, 1
	s_cmp_eq_u32 s31, 2
	s_cbranch_scc1 .LBB23_201
; %bb.179:
	v_dual_mov_b32 v2, 0 :: v_dual_mov_b32 v3, 0
	v_mov_b32_e32 v1, v0
	s_and_b32 s24, s16, 28
	s_mov_b32 s25, 0
	s_mov_b64 s[26:27], s[12:13]
	s_mov_b64 s[28:29], s[22:23]
.LBB23_180:                             ; =>This Inner Loop Header: Depth=1
	s_clause 0x1
	s_load_b256 s[40:47], s[26:27], 0x4
	s_load_b128 s[56:59], s[26:27], 0x24
	s_load_b256 s[48:55], s[28:29], 0x0
	s_add_co_i32 s25, s25, 4
	s_wait_xcnt 0x0
	s_add_nc_u64 s[26:27], s[26:27], 48
	s_cmp_eq_u32 s24, s25
	s_add_nc_u64 s[28:29], s[28:29], 32
	s_wait_kmcnt 0x0
	v_mul_hi_u32 v4, s41, v1
	s_delay_alu instid0(VALU_DEP_1) | instskip(NEXT) | instid1(VALU_DEP_1)
	v_add_nc_u32_e32 v4, v1, v4
	v_lshrrev_b32_e32 v4, s42, v4
	s_delay_alu instid0(VALU_DEP_1) | instskip(NEXT) | instid1(VALU_DEP_1)
	v_mul_hi_u32 v5, s44, v4
	v_add_nc_u32_e32 v5, v4, v5
	s_delay_alu instid0(VALU_DEP_1) | instskip(NEXT) | instid1(VALU_DEP_1)
	v_lshrrev_b32_e32 v5, s45, v5
	v_mul_hi_u32 v6, s47, v5
	s_delay_alu instid0(VALU_DEP_1) | instskip(SKIP_1) | instid1(VALU_DEP_1)
	v_add_nc_u32_e32 v6, v5, v6
	v_mul_lo_u32 v7, v4, s40
	v_sub_nc_u32_e32 v1, v1, v7
	v_mul_lo_u32 v7, v5, s43
	s_delay_alu instid0(VALU_DEP_4) | instskip(NEXT) | instid1(VALU_DEP_3)
	v_lshrrev_b32_e32 v6, s56, v6
	v_mad_u32 v3, v1, s49, v3
	v_mad_u32 v1, v1, s48, v2
	s_delay_alu instid0(VALU_DEP_4) | instskip(NEXT) | instid1(VALU_DEP_4)
	v_sub_nc_u32_e32 v2, v4, v7
	v_mul_hi_u32 v8, s58, v6
	v_mul_lo_u32 v4, v6, s46
	s_delay_alu instid0(VALU_DEP_3) | instskip(SKIP_1) | instid1(VALU_DEP_4)
	v_mad_u32 v3, v2, s51, v3
	v_mad_u32 v2, v2, s50, v1
	v_add_nc_u32_e32 v7, v6, v8
	s_delay_alu instid0(VALU_DEP_1) | instskip(NEXT) | instid1(VALU_DEP_1)
	v_dual_sub_nc_u32 v4, v5, v4 :: v_dual_lshrrev_b32 v1, s59, v7
	v_mad_u32 v3, v4, s53, v3
	s_delay_alu instid0(VALU_DEP_4) | instskip(NEXT) | instid1(VALU_DEP_3)
	v_mad_u32 v2, v4, s52, v2
	v_mul_lo_u32 v5, v1, s57
	s_delay_alu instid0(VALU_DEP_1) | instskip(NEXT) | instid1(VALU_DEP_1)
	v_sub_nc_u32_e32 v4, v6, v5
	v_mad_u32 v3, v4, s55, v3
	s_delay_alu instid0(VALU_DEP_4)
	v_mad_u32 v2, v4, s54, v2
	s_cbranch_scc0 .LBB23_180
	s_branch .LBB23_202
.LBB23_181:
                                        ; implicit-def: $vgpr3
	s_branch .LBB23_206
.LBB23_182:
	v_dual_mov_b32 v3, 0 :: v_dual_mov_b32 v2, 0
	s_branch .LBB23_205
.LBB23_183:
	v_mov_b64_e32 v[2:3], 0
	v_mov_b32_e32 v1, v0
	s_mov_b32 s24, 0
.LBB23_184:
	s_and_b32 s16, s16, 3
	s_mov_b32 s25, 0
	s_cmp_eq_u32 s16, 0
	s_cbranch_scc1 .LBB23_187
; %bb.185:
	s_lshl_b32 s26, s24, 3
	s_mov_b32 s27, s25
	s_mul_u64 s[28:29], s[24:25], 12
	s_add_nc_u64 s[26:27], s[12:13], s[26:27]
	s_delay_alu instid0(SALU_CYCLE_1)
	s_add_nc_u64 s[24:25], s[26:27], 0xc4
	s_add_nc_u64 s[26:27], s[12:13], s[28:29]
.LBB23_186:                             ; =>This Inner Loop Header: Depth=1
	s_load_b96 s[40:42], s[26:27], 0x4
	s_load_b64 s[28:29], s[24:25], 0x0
	s_add_co_i32 s16, s16, -1
	s_wait_xcnt 0x0
	s_add_nc_u64 s[26:27], s[26:27], 12
	s_cmp_lg_u32 s16, 0
	s_add_nc_u64 s[24:25], s[24:25], 8
	s_wait_kmcnt 0x0
	v_mul_hi_u32 v4, s41, v1
	s_delay_alu instid0(VALU_DEP_1) | instskip(NEXT) | instid1(VALU_DEP_1)
	v_add_nc_u32_e32 v4, v1, v4
	v_lshrrev_b32_e32 v4, s42, v4
	s_delay_alu instid0(VALU_DEP_1) | instskip(NEXT) | instid1(VALU_DEP_1)
	v_mul_lo_u32 v5, v4, s40
	v_sub_nc_u32_e32 v1, v1, v5
	s_delay_alu instid0(VALU_DEP_1)
	v_mad_u32 v3, v1, s29, v3
	v_mad_u32 v2, v1, s28, v2
	v_mov_b32_e32 v1, v4
	s_cbranch_scc1 .LBB23_186
.LBB23_187:
	s_cbranch_execnz .LBB23_190
.LBB23_188:
	v_mov_b32_e32 v1, 0
	s_and_not1_b32 vcc_lo, exec_lo, s35
	s_delay_alu instid0(VALU_DEP_1) | instskip(NEXT) | instid1(VALU_DEP_1)
	v_mul_u64_e32 v[2:3], s[18:19], v[0:1]
	v_add_nc_u32_e32 v2, v0, v3
	s_delay_alu instid0(VALU_DEP_1) | instskip(NEXT) | instid1(VALU_DEP_1)
	v_lshrrev_b32_e32 v4, s6, v2
	v_mul_lo_u32 v2, v4, s4
	s_delay_alu instid0(VALU_DEP_1) | instskip(NEXT) | instid1(VALU_DEP_1)
	v_sub_nc_u32_e32 v2, v0, v2
	v_mul_lo_u32 v3, v2, s9
	v_mul_lo_u32 v2, v2, s8
	s_cbranch_vccnz .LBB23_190
; %bb.189:
	v_mov_b32_e32 v5, v1
	s_delay_alu instid0(VALU_DEP_1) | instskip(NEXT) | instid1(VALU_DEP_1)
	v_mul_u64_e32 v[6:7], s[20:21], v[4:5]
	v_add_nc_u32_e32 v1, v4, v7
	s_delay_alu instid0(VALU_DEP_1) | instskip(NEXT) | instid1(VALU_DEP_1)
	v_lshrrev_b32_e32 v1, s17, v1
	v_mul_lo_u32 v1, v1, s7
	s_delay_alu instid0(VALU_DEP_1) | instskip(NEXT) | instid1(VALU_DEP_1)
	v_sub_nc_u32_e32 v1, v4, v1
	v_mad_u32 v2, v1, s10, v2
	v_mad_u32 v3, v1, s11, v3
.LBB23_190:
	global_load_u16 v3, v3, s[2:3]
	s_mov_b32 s16, exec_lo
	s_wait_loadcnt 0x0
	v_cvt_f32_f16_e32 v1, v3
	s_delay_alu instid0(VALU_DEP_1) | instskip(SKIP_1) | instid1(VALU_DEP_1)
	v_mul_f32_e32 v1, s14, v1
	s_wait_xcnt 0x0
	v_cmpx_nlt_f32_e32 s15, v1
	s_cbranch_execz .LBB23_192
; %bb.191:
	v_mul_f32_e32 v3, 0x3fb8aa3b, v1
	v_cmp_ngt_f32_e32 vcc_lo, 0xc2ce8ed0, v1
	s_mov_b32 s24, 0x3e9b6dac
	s_delay_alu instid0(VALU_DEP_2) | instskip(SKIP_1) | instid1(VALU_DEP_2)
	v_rndne_f32_e32 v4, v3
	v_fma_f32 v5, 0x3fb8aa3b, v1, -v3
	v_sub_f32_e32 v3, v3, v4
	s_delay_alu instid0(VALU_DEP_2) | instskip(SKIP_1) | instid1(VALU_DEP_2)
	v_fmamk_f32 v5, v1, 0x32a5705f, v5
	v_cvt_i32_f32_e32 v4, v4
	v_add_f32_e32 v3, v3, v5
	s_delay_alu instid0(VALU_DEP_1) | instskip(SKIP_1) | instid1(TRANS32_DEP_1)
	v_exp_f32_e32 v3, v3
	v_nop
	v_ldexp_f32 v3, v3, v4
	s_delay_alu instid0(VALU_DEP_1) | instskip(SKIP_1) | instid1(VALU_DEP_2)
	v_cndmask_b32_e32 v3, 0, v3, vcc_lo
	v_cmp_nlt_f32_e32 vcc_lo, 0x42b17218, v1
	v_cndmask_b32_e32 v3, 0x7f800000, v3, vcc_lo
	s_delay_alu instid0(VALU_DEP_1) | instskip(NEXT) | instid1(VALU_DEP_1)
	v_add_f32_e32 v1, 1.0, v3
	v_cvt_f64_f32_e32 v[4:5], v1
	s_delay_alu instid0(VALU_DEP_1) | instskip(SKIP_1) | instid1(VALU_DEP_1)
	v_frexp_exp_i32_f64_e32 v4, v[4:5]
	v_frexp_mant_f32_e32 v5, v1
	v_cmp_gt_f32_e32 vcc_lo, 0x3f2aaaab, v5
	s_delay_alu instid0(VALU_DEP_3) | instskip(NEXT) | instid1(VALU_DEP_1)
	v_subrev_co_ci_u32_e64 v10, null, 0, v4, vcc_lo
	v_dual_add_f32 v4, -1.0, v1 :: v_dual_sub_nc_u32 v5, 0, v10
	s_delay_alu instid0(VALU_DEP_1) | instskip(NEXT) | instid1(VALU_DEP_2)
	v_dual_sub_f32 v6, v4, v1 :: v_dual_sub_f32 v4, v3, v4
	v_ldexp_f32 v1, v1, v5
	s_delay_alu instid0(VALU_DEP_1) | instskip(NEXT) | instid1(VALU_DEP_1)
	v_dual_add_f32 v6, 1.0, v6 :: v_dual_add_f32 v7, 1.0, v1
	v_dual_add_f32 v9, -1.0, v1 :: v_dual_add_f32 v4, v4, v6
	v_cmp_neq_f32_e32 vcc_lo, 0x7f800000, v3
	s_delay_alu instid0(VALU_DEP_3) | instskip(NEXT) | instid1(VALU_DEP_3)
	v_add_f32_e32 v6, -1.0, v7
	v_ldexp_f32 v4, v4, v5
	s_delay_alu instid0(VALU_DEP_2) | instskip(NEXT) | instid1(VALU_DEP_1)
	v_dual_sub_f32 v5, v1, v6 :: v_dual_add_f32 v6, 1.0, v9
	v_dual_add_f32 v8, v4, v5 :: v_dual_sub_f32 v1, v1, v6
	s_delay_alu instid0(VALU_DEP_1) | instskip(NEXT) | instid1(VALU_DEP_1)
	v_dual_add_f32 v11, v7, v8 :: v_dual_add_f32 v1, v4, v1
	v_rcp_f32_e32 v12, v11
	s_delay_alu instid0(VALU_DEP_1) | instskip(NEXT) | instid1(VALU_DEP_1)
	v_dual_add_f32 v5, v9, v1 :: v_dual_sub_f32 v4, v7, v11
	v_sub_f32_e32 v15, v9, v5
	s_delay_alu instid0(TRANS32_DEP_1) | instskip(NEXT) | instid1(VALU_DEP_2)
	v_mul_f32_e32 v13, v5, v12
	v_dual_add_f32 v14, v8, v4 :: v_dual_add_f32 v1, v1, v15
	s_delay_alu instid0(VALU_DEP_2) | instskip(NEXT) | instid1(VALU_DEP_1)
	v_mul_f32_e32 v6, v11, v13
	v_fma_f32 v8, v13, v11, -v6
	s_delay_alu instid0(VALU_DEP_1) | instskip(NEXT) | instid1(VALU_DEP_1)
	v_fmac_f32_e32 v8, v13, v14
	v_add_f32_e32 v4, v6, v8
	s_delay_alu instid0(VALU_DEP_1) | instskip(NEXT) | instid1(VALU_DEP_1)
	v_dual_sub_f32 v7, v5, v4 :: v_dual_mov_b32 v9, v4
	v_pk_add_f32 v[4:5], v[4:5], v[6:7] neg_lo:[0,1] neg_hi:[0,1]
	s_delay_alu instid0(VALU_DEP_1) | instskip(NEXT) | instid1(VALU_DEP_1)
	v_pk_add_f32 v[4:5], v[4:5], v[8:9] neg_lo:[0,1] neg_hi:[0,1]
	v_add_f32_e32 v1, v1, v5
	s_delay_alu instid0(VALU_DEP_1) | instskip(NEXT) | instid1(VALU_DEP_1)
	v_add_f32_e32 v1, v4, v1
	v_add_f32_e32 v5, v7, v1
	s_delay_alu instid0(VALU_DEP_1) | instskip(NEXT) | instid1(VALU_DEP_1)
	v_mul_f32_e32 v15, v12, v5
	v_mul_f32_e32 v8, v11, v15
	s_delay_alu instid0(VALU_DEP_1) | instskip(SKIP_1) | instid1(VALU_DEP_1)
	v_fma_f32 v6, v15, v11, -v8
	v_sub_f32_e32 v11, v7, v5
	v_dual_fmac_f32 v6, v15, v14 :: v_dual_add_f32 v1, v1, v11
	s_delay_alu instid0(VALU_DEP_1) | instskip(NEXT) | instid1(VALU_DEP_1)
	v_add_f32_e32 v4, v8, v6
	v_dual_sub_f32 v9, v5, v4 :: v_dual_mov_b32 v7, v4
	s_delay_alu instid0(VALU_DEP_1) | instskip(NEXT) | instid1(VALU_DEP_1)
	v_pk_add_f32 v[4:5], v[4:5], v[8:9] neg_lo:[0,1] neg_hi:[0,1]
	v_pk_add_f32 v[4:5], v[4:5], v[6:7] neg_lo:[0,1] neg_hi:[0,1]
	v_cvt_f32_i32_e32 v6, v10
	s_delay_alu instid0(VALU_DEP_2) | instskip(NEXT) | instid1(VALU_DEP_1)
	v_add_f32_e32 v1, v1, v5
	v_dual_add_f32 v8, v13, v15 :: v_dual_add_f32 v1, v4, v1
	s_delay_alu instid0(VALU_DEP_1) | instskip(NEXT) | instid1(VALU_DEP_1)
	v_sub_f32_e32 v4, v8, v13
	v_dual_add_f32 v1, v9, v1 :: v_dual_sub_f32 v4, v15, v4
	s_delay_alu instid0(VALU_DEP_1) | instskip(NEXT) | instid1(VALU_DEP_1)
	v_mul_f32_e32 v1, v12, v1
	v_dual_add_f32 v1, v4, v1 :: v_dual_mov_b32 v4, 0x3f317218
	s_delay_alu instid0(VALU_DEP_1) | instskip(NEXT) | instid1(VALU_DEP_1)
	v_add_f32_e32 v9, v8, v1
	v_mul_f32_e32 v5, v9, v9
	s_delay_alu instid0(VALU_DEP_1) | instskip(SKIP_1) | instid1(VALU_DEP_2)
	v_fmaak_f32 v11, s24, v5, 0x3ecc95a3
	v_mul_f32_e32 v7, v9, v5
	v_fmaak_f32 v5, v5, v11, 0x3f2aaada
	s_delay_alu instid0(VALU_DEP_1) | instskip(NEXT) | instid1(VALU_DEP_1)
	v_pk_mul_f32 v[4:5], v[6:7], v[4:5]
	v_fma_f32 v10, 0x3f317218, v6, -v4
	s_delay_alu instid0(VALU_DEP_1) | instskip(SKIP_1) | instid1(VALU_DEP_1)
	v_fmamk_f32 v6, v6, 0xb102e308, v10
	v_sub_f32_e32 v10, v9, v8
	v_sub_f32_e32 v1, v1, v10
	v_ldexp_f32 v7, v9, 1
	v_mov_b32_e32 v10, v4
	s_delay_alu instid0(VALU_DEP_3) | instskip(NEXT) | instid1(VALU_DEP_3)
	v_ldexp_f32 v1, v1, 1
	v_pk_add_f32 v[8:9], v[4:5], v[6:7]
	s_delay_alu instid0(VALU_DEP_1) | instskip(NEXT) | instid1(VALU_DEP_1)
	v_dual_sub_f32 v7, v9, v7 :: v_dual_mov_b32 v18, v9
	v_sub_f32_e32 v7, v5, v7
	s_delay_alu instid0(VALU_DEP_3) | instskip(NEXT) | instid1(VALU_DEP_2)
	v_pk_add_f32 v[4:5], v[8:9], v[4:5] neg_lo:[0,1] neg_hi:[0,1]
	v_dual_add_f32 v11, v1, v7 :: v_dual_mov_b32 v7, v8
	s_delay_alu instid0(VALU_DEP_1) | instskip(NEXT) | instid1(VALU_DEP_1)
	v_pk_add_f32 v[12:13], v[8:9], v[10:11]
	v_mov_b32_e32 v5, v13
	s_delay_alu instid0(VALU_DEP_1) | instskip(SKIP_2) | instid1(VALU_DEP_3)
	v_pk_add_f32 v[14:15], v[6:7], v[4:5]
	v_mov_b32_e32 v14, v13
	v_pk_add_f32 v[4:5], v[6:7], v[4:5] neg_lo:[0,1] neg_hi:[0,1]
	v_dual_mov_b32 v10, v15 :: v_dual_mov_b32 v5, v15
	s_delay_alu instid0(VALU_DEP_1) | instskip(SKIP_1) | instid1(VALU_DEP_2)
	v_pk_add_f32 v[16:17], v[10:11], v[8:9] neg_lo:[0,1] neg_hi:[0,1]
	v_dual_mov_b32 v9, v8 :: v_dual_mov_b32 v8, v11
	v_dual_mov_b32 v1, v16 :: v_dual_mov_b32 v19, v16
	s_delay_alu instid0(VALU_DEP_1) | instskip(NEXT) | instid1(VALU_DEP_2)
	v_pk_add_f32 v[12:13], v[12:13], v[0:1] neg_lo:[0,1] neg_hi:[0,1]
	v_pk_add_f32 v[6:7], v[14:15], v[18:19] neg_lo:[0,1] neg_hi:[0,1]
	v_mov_b32_e32 v12, v4
	s_delay_alu instid0(VALU_DEP_2) | instskip(NEXT) | instid1(VALU_DEP_1)
	v_pk_add_f32 v[6:7], v[8:9], v[6:7] neg_lo:[0,1] neg_hi:[0,1]
	v_pk_add_f32 v[8:9], v[12:13], v[6:7]
	s_delay_alu instid0(VALU_DEP_1) | instskip(NEXT) | instid1(VALU_DEP_1)
	v_mov_b32_e32 v12, v9
	v_pk_add_f32 v[12:13], v[8:9], v[12:13]
	s_delay_alu instid0(VALU_DEP_1) | instskip(NEXT) | instid1(VALU_DEP_1)
	v_pk_add_f32 v[10:11], v[10:11], v[12:13]
	v_mov_b32_e32 v9, v10
	s_delay_alu instid0(VALU_DEP_1) | instskip(NEXT) | instid1(VALU_DEP_1)
	v_pk_add_f32 v[14:15], v[8:9], v[4:5] neg_lo:[0,1] neg_hi:[0,1]
	v_sub_f32_e32 v1, v8, v14
	s_delay_alu instid0(VALU_DEP_1) | instskip(SKIP_1) | instid1(VALU_DEP_1)
	v_sub_f32_e32 v1, v4, v1
	v_mov_b32_e32 v7, v12
	v_pk_add_f32 v[6:7], v[6:7], v[14:15] neg_lo:[0,1] neg_hi:[0,1]
	s_delay_alu instid0(VALU_DEP_1) | instskip(NEXT) | instid1(VALU_DEP_1)
	v_add_f32_e32 v1, v6, v1
	v_add_f32_e32 v1, v1, v7
	s_delay_alu instid0(VALU_DEP_1) | instskip(NEXT) | instid1(VALU_DEP_1)
	v_add_f32_e32 v1, v10, v1
	v_cndmask_b32_e32 v1, 0x7f800000, v1, vcc_lo
	v_cmp_gt_f32_e64 vcc_lo, 0x33800000, |v3|
	s_delay_alu instid0(VALU_DEP_2) | instskip(NEXT) | instid1(VALU_DEP_1)
	v_cndmask_b32_e32 v1, v1, v3, vcc_lo
	v_div_scale_f32 v3, null, s14, s14, v1
	s_delay_alu instid0(VALU_DEP_1) | instskip(SKIP_1) | instid1(TRANS32_DEP_1)
	v_rcp_f32_e32 v4, v3
	v_nop
	v_fma_f32 v5, -v3, v4, 1.0
	s_delay_alu instid0(VALU_DEP_1) | instskip(SKIP_1) | instid1(VALU_DEP_1)
	v_fmac_f32_e32 v4, v5, v4
	v_div_scale_f32 v5, vcc_lo, v1, s14, v1
	v_mul_f32_e32 v6, v5, v4
	s_delay_alu instid0(VALU_DEP_1) | instskip(NEXT) | instid1(VALU_DEP_1)
	v_fma_f32 v7, -v3, v6, v5
	v_fmac_f32_e32 v6, v7, v4
	s_delay_alu instid0(VALU_DEP_1) | instskip(NEXT) | instid1(VALU_DEP_1)
	v_fma_f32 v3, -v3, v6, v5
	v_div_fmas_f32 v3, v3, v4, v6
	s_delay_alu instid0(VALU_DEP_1) | instskip(NEXT) | instid1(VALU_DEP_1)
	v_div_fixup_f32 v1, v3, s14, v1
	v_cvt_f16_f32_e32 v3, v1
.LBB23_192:
	s_or_b32 exec_lo, exec_lo, s16
	v_add_nc_u32_e32 v0, 0x80, v0
	global_store_b16 v2, v3, s[0:1]
	s_wait_xcnt 0x0
	s_or_b32 exec_lo, exec_lo, s5
	s_delay_alu instid0(SALU_CYCLE_1)
	s_mov_b32 s5, exec_lo
	v_cmpx_gt_i32_e64 s36, v0
	s_cbranch_execnz .LBB23_176
.LBB23_193:
	s_or_b32 exec_lo, exec_lo, s5
	s_delay_alu instid0(SALU_CYCLE_1)
	s_mov_b32 s5, exec_lo
	v_cmpx_gt_i32_e64 s36, v0
	s_cbranch_execz .LBB23_211
.LBB23_194:
	s_and_not1_b32 vcc_lo, exec_lo, s33
	s_cbranch_vccnz .LBB23_199
; %bb.195:
	s_and_not1_b32 vcc_lo, exec_lo, s38
	s_cbranch_vccnz .LBB23_200
; %bb.196:
	s_add_co_i32 s16, s37, 1
	s_cmp_eq_u32 s31, 2
	s_cbranch_scc1 .LBB23_219
; %bb.197:
	v_dual_mov_b32 v2, 0 :: v_dual_mov_b32 v3, 0
	v_mov_b32_e32 v1, v0
	s_and_b32 s24, s16, 28
	s_mov_b32 s25, 0
	s_mov_b64 s[26:27], s[12:13]
	s_mov_b64 s[28:29], s[22:23]
.LBB23_198:                             ; =>This Inner Loop Header: Depth=1
	s_clause 0x1
	s_load_b256 s[40:47], s[26:27], 0x4
	s_load_b128 s[56:59], s[26:27], 0x24
	s_load_b256 s[48:55], s[28:29], 0x0
	s_add_co_i32 s25, s25, 4
	s_wait_xcnt 0x0
	s_add_nc_u64 s[26:27], s[26:27], 48
	s_cmp_eq_u32 s24, s25
	s_add_nc_u64 s[28:29], s[28:29], 32
	s_wait_kmcnt 0x0
	v_mul_hi_u32 v4, s41, v1
	s_delay_alu instid0(VALU_DEP_1) | instskip(NEXT) | instid1(VALU_DEP_1)
	v_add_nc_u32_e32 v4, v1, v4
	v_lshrrev_b32_e32 v4, s42, v4
	s_delay_alu instid0(VALU_DEP_1) | instskip(NEXT) | instid1(VALU_DEP_1)
	v_mul_hi_u32 v5, s44, v4
	v_add_nc_u32_e32 v5, v4, v5
	s_delay_alu instid0(VALU_DEP_1) | instskip(NEXT) | instid1(VALU_DEP_1)
	v_lshrrev_b32_e32 v5, s45, v5
	v_mul_hi_u32 v6, s47, v5
	s_delay_alu instid0(VALU_DEP_1) | instskip(SKIP_1) | instid1(VALU_DEP_1)
	v_add_nc_u32_e32 v6, v5, v6
	v_mul_lo_u32 v7, v4, s40
	v_sub_nc_u32_e32 v1, v1, v7
	v_mul_lo_u32 v7, v5, s43
	s_delay_alu instid0(VALU_DEP_4) | instskip(NEXT) | instid1(VALU_DEP_3)
	v_lshrrev_b32_e32 v6, s56, v6
	v_mad_u32 v3, v1, s49, v3
	v_mad_u32 v1, v1, s48, v2
	s_delay_alu instid0(VALU_DEP_4) | instskip(NEXT) | instid1(VALU_DEP_4)
	v_sub_nc_u32_e32 v2, v4, v7
	v_mul_hi_u32 v8, s58, v6
	v_mul_lo_u32 v4, v6, s46
	s_delay_alu instid0(VALU_DEP_3) | instskip(SKIP_1) | instid1(VALU_DEP_4)
	v_mad_u32 v3, v2, s51, v3
	v_mad_u32 v2, v2, s50, v1
	v_add_nc_u32_e32 v7, v6, v8
	s_delay_alu instid0(VALU_DEP_1) | instskip(NEXT) | instid1(VALU_DEP_1)
	v_dual_sub_nc_u32 v4, v5, v4 :: v_dual_lshrrev_b32 v1, s59, v7
	v_mad_u32 v3, v4, s53, v3
	s_delay_alu instid0(VALU_DEP_4) | instskip(NEXT) | instid1(VALU_DEP_3)
	v_mad_u32 v2, v4, s52, v2
	v_mul_lo_u32 v5, v1, s57
	s_delay_alu instid0(VALU_DEP_1) | instskip(NEXT) | instid1(VALU_DEP_1)
	v_sub_nc_u32_e32 v4, v6, v5
	v_mad_u32 v3, v4, s55, v3
	s_delay_alu instid0(VALU_DEP_4)
	v_mad_u32 v2, v4, s54, v2
	s_cbranch_scc0 .LBB23_198
	s_branch .LBB23_220
.LBB23_199:
                                        ; implicit-def: $vgpr3
	s_branch .LBB23_224
.LBB23_200:
	v_dual_mov_b32 v3, 0 :: v_dual_mov_b32 v2, 0
	s_branch .LBB23_223
.LBB23_201:
	v_mov_b64_e32 v[2:3], 0
	v_mov_b32_e32 v1, v0
	s_mov_b32 s24, 0
.LBB23_202:
	s_and_b32 s16, s16, 3
	s_mov_b32 s25, 0
	s_cmp_eq_u32 s16, 0
	s_cbranch_scc1 .LBB23_205
; %bb.203:
	s_lshl_b32 s26, s24, 3
	s_mov_b32 s27, s25
	s_mul_u64 s[28:29], s[24:25], 12
	s_add_nc_u64 s[26:27], s[12:13], s[26:27]
	s_delay_alu instid0(SALU_CYCLE_1)
	s_add_nc_u64 s[24:25], s[26:27], 0xc4
	s_add_nc_u64 s[26:27], s[12:13], s[28:29]
.LBB23_204:                             ; =>This Inner Loop Header: Depth=1
	s_load_b96 s[40:42], s[26:27], 0x4
	s_load_b64 s[28:29], s[24:25], 0x0
	s_add_co_i32 s16, s16, -1
	s_wait_xcnt 0x0
	s_add_nc_u64 s[26:27], s[26:27], 12
	s_cmp_lg_u32 s16, 0
	s_add_nc_u64 s[24:25], s[24:25], 8
	s_wait_kmcnt 0x0
	v_mul_hi_u32 v4, s41, v1
	s_delay_alu instid0(VALU_DEP_1) | instskip(NEXT) | instid1(VALU_DEP_1)
	v_add_nc_u32_e32 v4, v1, v4
	v_lshrrev_b32_e32 v4, s42, v4
	s_delay_alu instid0(VALU_DEP_1) | instskip(NEXT) | instid1(VALU_DEP_1)
	v_mul_lo_u32 v5, v4, s40
	v_sub_nc_u32_e32 v1, v1, v5
	s_delay_alu instid0(VALU_DEP_1)
	v_mad_u32 v3, v1, s29, v3
	v_mad_u32 v2, v1, s28, v2
	v_mov_b32_e32 v1, v4
	s_cbranch_scc1 .LBB23_204
.LBB23_205:
	s_cbranch_execnz .LBB23_208
.LBB23_206:
	v_mov_b32_e32 v1, 0
	s_and_not1_b32 vcc_lo, exec_lo, s35
	s_delay_alu instid0(VALU_DEP_1) | instskip(NEXT) | instid1(VALU_DEP_1)
	v_mul_u64_e32 v[2:3], s[18:19], v[0:1]
	v_add_nc_u32_e32 v2, v0, v3
	s_delay_alu instid0(VALU_DEP_1) | instskip(NEXT) | instid1(VALU_DEP_1)
	v_lshrrev_b32_e32 v4, s6, v2
	v_mul_lo_u32 v2, v4, s4
	s_delay_alu instid0(VALU_DEP_1) | instskip(NEXT) | instid1(VALU_DEP_1)
	v_sub_nc_u32_e32 v2, v0, v2
	v_mul_lo_u32 v3, v2, s9
	v_mul_lo_u32 v2, v2, s8
	s_cbranch_vccnz .LBB23_208
; %bb.207:
	v_mov_b32_e32 v5, v1
	s_delay_alu instid0(VALU_DEP_1) | instskip(NEXT) | instid1(VALU_DEP_1)
	v_mul_u64_e32 v[6:7], s[20:21], v[4:5]
	v_add_nc_u32_e32 v1, v4, v7
	s_delay_alu instid0(VALU_DEP_1) | instskip(NEXT) | instid1(VALU_DEP_1)
	v_lshrrev_b32_e32 v1, s17, v1
	v_mul_lo_u32 v1, v1, s7
	s_delay_alu instid0(VALU_DEP_1) | instskip(NEXT) | instid1(VALU_DEP_1)
	v_sub_nc_u32_e32 v1, v4, v1
	v_mad_u32 v2, v1, s10, v2
	v_mad_u32 v3, v1, s11, v3
.LBB23_208:
	global_load_u16 v3, v3, s[2:3]
	s_mov_b32 s16, exec_lo
	s_wait_loadcnt 0x0
	v_cvt_f32_f16_e32 v1, v3
	s_delay_alu instid0(VALU_DEP_1) | instskip(SKIP_1) | instid1(VALU_DEP_1)
	v_mul_f32_e32 v1, s14, v1
	s_wait_xcnt 0x0
	v_cmpx_nlt_f32_e32 s15, v1
	s_cbranch_execz .LBB23_210
; %bb.209:
	v_mul_f32_e32 v3, 0x3fb8aa3b, v1
	v_cmp_ngt_f32_e32 vcc_lo, 0xc2ce8ed0, v1
	s_mov_b32 s24, 0x3e9b6dac
	s_delay_alu instid0(VALU_DEP_2) | instskip(SKIP_1) | instid1(VALU_DEP_2)
	v_rndne_f32_e32 v4, v3
	v_fma_f32 v5, 0x3fb8aa3b, v1, -v3
	v_sub_f32_e32 v3, v3, v4
	s_delay_alu instid0(VALU_DEP_2) | instskip(SKIP_1) | instid1(VALU_DEP_2)
	v_fmamk_f32 v5, v1, 0x32a5705f, v5
	v_cvt_i32_f32_e32 v4, v4
	v_add_f32_e32 v3, v3, v5
	s_delay_alu instid0(VALU_DEP_1) | instskip(SKIP_1) | instid1(TRANS32_DEP_1)
	v_exp_f32_e32 v3, v3
	v_nop
	v_ldexp_f32 v3, v3, v4
	s_delay_alu instid0(VALU_DEP_1) | instskip(SKIP_1) | instid1(VALU_DEP_2)
	v_cndmask_b32_e32 v3, 0, v3, vcc_lo
	v_cmp_nlt_f32_e32 vcc_lo, 0x42b17218, v1
	v_cndmask_b32_e32 v3, 0x7f800000, v3, vcc_lo
	s_delay_alu instid0(VALU_DEP_1) | instskip(NEXT) | instid1(VALU_DEP_1)
	v_add_f32_e32 v1, 1.0, v3
	v_cvt_f64_f32_e32 v[4:5], v1
	s_delay_alu instid0(VALU_DEP_1) | instskip(SKIP_1) | instid1(VALU_DEP_1)
	v_frexp_exp_i32_f64_e32 v4, v[4:5]
	v_frexp_mant_f32_e32 v5, v1
	v_cmp_gt_f32_e32 vcc_lo, 0x3f2aaaab, v5
	s_delay_alu instid0(VALU_DEP_3) | instskip(NEXT) | instid1(VALU_DEP_1)
	v_subrev_co_ci_u32_e64 v10, null, 0, v4, vcc_lo
	v_dual_add_f32 v4, -1.0, v1 :: v_dual_sub_nc_u32 v5, 0, v10
	s_delay_alu instid0(VALU_DEP_1) | instskip(NEXT) | instid1(VALU_DEP_2)
	v_dual_sub_f32 v6, v4, v1 :: v_dual_sub_f32 v4, v3, v4
	v_ldexp_f32 v1, v1, v5
	s_delay_alu instid0(VALU_DEP_1) | instskip(NEXT) | instid1(VALU_DEP_1)
	v_dual_add_f32 v6, 1.0, v6 :: v_dual_add_f32 v7, 1.0, v1
	v_dual_add_f32 v9, -1.0, v1 :: v_dual_add_f32 v4, v4, v6
	v_cmp_neq_f32_e32 vcc_lo, 0x7f800000, v3
	s_delay_alu instid0(VALU_DEP_3) | instskip(NEXT) | instid1(VALU_DEP_3)
	v_add_f32_e32 v6, -1.0, v7
	v_ldexp_f32 v4, v4, v5
	s_delay_alu instid0(VALU_DEP_2) | instskip(NEXT) | instid1(VALU_DEP_1)
	v_dual_sub_f32 v5, v1, v6 :: v_dual_add_f32 v6, 1.0, v9
	v_dual_add_f32 v8, v4, v5 :: v_dual_sub_f32 v1, v1, v6
	s_delay_alu instid0(VALU_DEP_1) | instskip(NEXT) | instid1(VALU_DEP_1)
	v_dual_add_f32 v11, v7, v8 :: v_dual_add_f32 v1, v4, v1
	v_rcp_f32_e32 v12, v11
	s_delay_alu instid0(VALU_DEP_1) | instskip(NEXT) | instid1(VALU_DEP_1)
	v_dual_add_f32 v5, v9, v1 :: v_dual_sub_f32 v4, v7, v11
	v_sub_f32_e32 v15, v9, v5
	s_delay_alu instid0(TRANS32_DEP_1) | instskip(NEXT) | instid1(VALU_DEP_2)
	v_mul_f32_e32 v13, v5, v12
	v_dual_add_f32 v14, v8, v4 :: v_dual_add_f32 v1, v1, v15
	s_delay_alu instid0(VALU_DEP_2) | instskip(NEXT) | instid1(VALU_DEP_1)
	v_mul_f32_e32 v6, v11, v13
	v_fma_f32 v8, v13, v11, -v6
	s_delay_alu instid0(VALU_DEP_1) | instskip(NEXT) | instid1(VALU_DEP_1)
	v_fmac_f32_e32 v8, v13, v14
	v_add_f32_e32 v4, v6, v8
	s_delay_alu instid0(VALU_DEP_1) | instskip(NEXT) | instid1(VALU_DEP_1)
	v_dual_sub_f32 v7, v5, v4 :: v_dual_mov_b32 v9, v4
	v_pk_add_f32 v[4:5], v[4:5], v[6:7] neg_lo:[0,1] neg_hi:[0,1]
	s_delay_alu instid0(VALU_DEP_1) | instskip(NEXT) | instid1(VALU_DEP_1)
	v_pk_add_f32 v[4:5], v[4:5], v[8:9] neg_lo:[0,1] neg_hi:[0,1]
	v_add_f32_e32 v1, v1, v5
	s_delay_alu instid0(VALU_DEP_1) | instskip(NEXT) | instid1(VALU_DEP_1)
	v_add_f32_e32 v1, v4, v1
	v_add_f32_e32 v5, v7, v1
	s_delay_alu instid0(VALU_DEP_1) | instskip(NEXT) | instid1(VALU_DEP_1)
	v_mul_f32_e32 v15, v12, v5
	v_mul_f32_e32 v8, v11, v15
	s_delay_alu instid0(VALU_DEP_1) | instskip(SKIP_1) | instid1(VALU_DEP_1)
	v_fma_f32 v6, v15, v11, -v8
	v_sub_f32_e32 v11, v7, v5
	v_dual_fmac_f32 v6, v15, v14 :: v_dual_add_f32 v1, v1, v11
	s_delay_alu instid0(VALU_DEP_1) | instskip(NEXT) | instid1(VALU_DEP_1)
	v_add_f32_e32 v4, v8, v6
	v_dual_sub_f32 v9, v5, v4 :: v_dual_mov_b32 v7, v4
	s_delay_alu instid0(VALU_DEP_1) | instskip(NEXT) | instid1(VALU_DEP_1)
	v_pk_add_f32 v[4:5], v[4:5], v[8:9] neg_lo:[0,1] neg_hi:[0,1]
	v_pk_add_f32 v[4:5], v[4:5], v[6:7] neg_lo:[0,1] neg_hi:[0,1]
	v_cvt_f32_i32_e32 v6, v10
	s_delay_alu instid0(VALU_DEP_2) | instskip(NEXT) | instid1(VALU_DEP_1)
	v_add_f32_e32 v1, v1, v5
	v_dual_add_f32 v8, v13, v15 :: v_dual_add_f32 v1, v4, v1
	s_delay_alu instid0(VALU_DEP_1) | instskip(NEXT) | instid1(VALU_DEP_1)
	v_sub_f32_e32 v4, v8, v13
	v_dual_add_f32 v1, v9, v1 :: v_dual_sub_f32 v4, v15, v4
	s_delay_alu instid0(VALU_DEP_1) | instskip(NEXT) | instid1(VALU_DEP_1)
	v_mul_f32_e32 v1, v12, v1
	v_dual_add_f32 v1, v4, v1 :: v_dual_mov_b32 v4, 0x3f317218
	s_delay_alu instid0(VALU_DEP_1) | instskip(NEXT) | instid1(VALU_DEP_1)
	v_add_f32_e32 v9, v8, v1
	v_mul_f32_e32 v5, v9, v9
	s_delay_alu instid0(VALU_DEP_1) | instskip(SKIP_1) | instid1(VALU_DEP_2)
	v_fmaak_f32 v11, s24, v5, 0x3ecc95a3
	v_mul_f32_e32 v7, v9, v5
	v_fmaak_f32 v5, v5, v11, 0x3f2aaada
	s_delay_alu instid0(VALU_DEP_1) | instskip(NEXT) | instid1(VALU_DEP_1)
	v_pk_mul_f32 v[4:5], v[6:7], v[4:5]
	v_fma_f32 v10, 0x3f317218, v6, -v4
	s_delay_alu instid0(VALU_DEP_1) | instskip(SKIP_1) | instid1(VALU_DEP_1)
	v_fmamk_f32 v6, v6, 0xb102e308, v10
	v_sub_f32_e32 v10, v9, v8
	v_sub_f32_e32 v1, v1, v10
	v_ldexp_f32 v7, v9, 1
	v_mov_b32_e32 v10, v4
	s_delay_alu instid0(VALU_DEP_3) | instskip(NEXT) | instid1(VALU_DEP_3)
	v_ldexp_f32 v1, v1, 1
	v_pk_add_f32 v[8:9], v[4:5], v[6:7]
	s_delay_alu instid0(VALU_DEP_1) | instskip(NEXT) | instid1(VALU_DEP_1)
	v_dual_sub_f32 v7, v9, v7 :: v_dual_mov_b32 v18, v9
	v_sub_f32_e32 v7, v5, v7
	s_delay_alu instid0(VALU_DEP_3) | instskip(NEXT) | instid1(VALU_DEP_2)
	v_pk_add_f32 v[4:5], v[8:9], v[4:5] neg_lo:[0,1] neg_hi:[0,1]
	v_dual_add_f32 v11, v1, v7 :: v_dual_mov_b32 v7, v8
	s_delay_alu instid0(VALU_DEP_1) | instskip(NEXT) | instid1(VALU_DEP_1)
	v_pk_add_f32 v[12:13], v[8:9], v[10:11]
	v_mov_b32_e32 v5, v13
	s_delay_alu instid0(VALU_DEP_1) | instskip(SKIP_2) | instid1(VALU_DEP_3)
	v_pk_add_f32 v[14:15], v[6:7], v[4:5]
	v_mov_b32_e32 v14, v13
	v_pk_add_f32 v[4:5], v[6:7], v[4:5] neg_lo:[0,1] neg_hi:[0,1]
	v_dual_mov_b32 v10, v15 :: v_dual_mov_b32 v5, v15
	s_delay_alu instid0(VALU_DEP_1) | instskip(SKIP_1) | instid1(VALU_DEP_2)
	v_pk_add_f32 v[16:17], v[10:11], v[8:9] neg_lo:[0,1] neg_hi:[0,1]
	v_dual_mov_b32 v9, v8 :: v_dual_mov_b32 v8, v11
	v_dual_mov_b32 v1, v16 :: v_dual_mov_b32 v19, v16
	s_delay_alu instid0(VALU_DEP_1) | instskip(NEXT) | instid1(VALU_DEP_2)
	v_pk_add_f32 v[12:13], v[12:13], v[0:1] neg_lo:[0,1] neg_hi:[0,1]
	v_pk_add_f32 v[6:7], v[14:15], v[18:19] neg_lo:[0,1] neg_hi:[0,1]
	v_mov_b32_e32 v12, v4
	s_delay_alu instid0(VALU_DEP_2) | instskip(NEXT) | instid1(VALU_DEP_1)
	v_pk_add_f32 v[6:7], v[8:9], v[6:7] neg_lo:[0,1] neg_hi:[0,1]
	v_pk_add_f32 v[8:9], v[12:13], v[6:7]
	s_delay_alu instid0(VALU_DEP_1) | instskip(NEXT) | instid1(VALU_DEP_1)
	v_mov_b32_e32 v12, v9
	v_pk_add_f32 v[12:13], v[8:9], v[12:13]
	s_delay_alu instid0(VALU_DEP_1) | instskip(NEXT) | instid1(VALU_DEP_1)
	v_pk_add_f32 v[10:11], v[10:11], v[12:13]
	v_mov_b32_e32 v9, v10
	s_delay_alu instid0(VALU_DEP_1) | instskip(NEXT) | instid1(VALU_DEP_1)
	v_pk_add_f32 v[14:15], v[8:9], v[4:5] neg_lo:[0,1] neg_hi:[0,1]
	v_sub_f32_e32 v1, v8, v14
	s_delay_alu instid0(VALU_DEP_1) | instskip(SKIP_1) | instid1(VALU_DEP_1)
	v_sub_f32_e32 v1, v4, v1
	v_mov_b32_e32 v7, v12
	v_pk_add_f32 v[6:7], v[6:7], v[14:15] neg_lo:[0,1] neg_hi:[0,1]
	s_delay_alu instid0(VALU_DEP_1) | instskip(NEXT) | instid1(VALU_DEP_1)
	v_add_f32_e32 v1, v6, v1
	v_add_f32_e32 v1, v1, v7
	s_delay_alu instid0(VALU_DEP_1) | instskip(NEXT) | instid1(VALU_DEP_1)
	v_add_f32_e32 v1, v10, v1
	v_cndmask_b32_e32 v1, 0x7f800000, v1, vcc_lo
	v_cmp_gt_f32_e64 vcc_lo, 0x33800000, |v3|
	s_delay_alu instid0(VALU_DEP_2) | instskip(NEXT) | instid1(VALU_DEP_1)
	v_cndmask_b32_e32 v1, v1, v3, vcc_lo
	v_div_scale_f32 v3, null, s14, s14, v1
	s_delay_alu instid0(VALU_DEP_1) | instskip(SKIP_1) | instid1(TRANS32_DEP_1)
	v_rcp_f32_e32 v4, v3
	v_nop
	v_fma_f32 v5, -v3, v4, 1.0
	s_delay_alu instid0(VALU_DEP_1) | instskip(SKIP_1) | instid1(VALU_DEP_1)
	v_fmac_f32_e32 v4, v5, v4
	v_div_scale_f32 v5, vcc_lo, v1, s14, v1
	v_mul_f32_e32 v6, v5, v4
	s_delay_alu instid0(VALU_DEP_1) | instskip(NEXT) | instid1(VALU_DEP_1)
	v_fma_f32 v7, -v3, v6, v5
	v_fmac_f32_e32 v6, v7, v4
	s_delay_alu instid0(VALU_DEP_1) | instskip(NEXT) | instid1(VALU_DEP_1)
	v_fma_f32 v3, -v3, v6, v5
	v_div_fmas_f32 v3, v3, v4, v6
	s_delay_alu instid0(VALU_DEP_1) | instskip(NEXT) | instid1(VALU_DEP_1)
	v_div_fixup_f32 v1, v3, s14, v1
	v_cvt_f16_f32_e32 v3, v1
.LBB23_210:
	s_or_b32 exec_lo, exec_lo, s16
	v_add_nc_u32_e32 v0, 0x80, v0
	global_store_b16 v2, v3, s[0:1]
	s_wait_xcnt 0x0
	s_or_b32 exec_lo, exec_lo, s5
	s_delay_alu instid0(SALU_CYCLE_1)
	s_mov_b32 s5, exec_lo
	v_cmpx_gt_i32_e64 s36, v0
	s_cbranch_execnz .LBB23_194
.LBB23_211:
	s_or_b32 exec_lo, exec_lo, s5
	s_delay_alu instid0(SALU_CYCLE_1)
	s_mov_b32 s5, exec_lo
	v_cmpx_gt_i32_e64 s36, v0
	s_cbranch_execz .LBB23_229
.LBB23_212:
	s_and_not1_b32 vcc_lo, exec_lo, s33
	s_cbranch_vccnz .LBB23_217
; %bb.213:
	s_and_not1_b32 vcc_lo, exec_lo, s38
	s_cbranch_vccnz .LBB23_218
; %bb.214:
	s_add_co_i32 s16, s37, 1
	s_cmp_eq_u32 s31, 2
	s_cbranch_scc1 .LBB23_237
; %bb.215:
	v_dual_mov_b32 v2, 0 :: v_dual_mov_b32 v3, 0
	v_mov_b32_e32 v1, v0
	s_and_b32 s24, s16, 28
	s_mov_b32 s25, 0
	s_mov_b64 s[26:27], s[12:13]
	s_mov_b64 s[28:29], s[22:23]
.LBB23_216:                             ; =>This Inner Loop Header: Depth=1
	s_clause 0x1
	s_load_b256 s[40:47], s[26:27], 0x4
	s_load_b128 s[56:59], s[26:27], 0x24
	s_load_b256 s[48:55], s[28:29], 0x0
	s_add_co_i32 s25, s25, 4
	s_wait_xcnt 0x0
	s_add_nc_u64 s[26:27], s[26:27], 48
	s_cmp_eq_u32 s24, s25
	s_add_nc_u64 s[28:29], s[28:29], 32
	s_wait_kmcnt 0x0
	v_mul_hi_u32 v4, s41, v1
	s_delay_alu instid0(VALU_DEP_1) | instskip(NEXT) | instid1(VALU_DEP_1)
	v_add_nc_u32_e32 v4, v1, v4
	v_lshrrev_b32_e32 v4, s42, v4
	s_delay_alu instid0(VALU_DEP_1) | instskip(NEXT) | instid1(VALU_DEP_1)
	v_mul_hi_u32 v5, s44, v4
	v_add_nc_u32_e32 v5, v4, v5
	s_delay_alu instid0(VALU_DEP_1) | instskip(NEXT) | instid1(VALU_DEP_1)
	v_lshrrev_b32_e32 v5, s45, v5
	v_mul_hi_u32 v6, s47, v5
	s_delay_alu instid0(VALU_DEP_1) | instskip(SKIP_1) | instid1(VALU_DEP_1)
	v_add_nc_u32_e32 v6, v5, v6
	v_mul_lo_u32 v7, v4, s40
	v_sub_nc_u32_e32 v1, v1, v7
	v_mul_lo_u32 v7, v5, s43
	s_delay_alu instid0(VALU_DEP_4) | instskip(NEXT) | instid1(VALU_DEP_3)
	v_lshrrev_b32_e32 v6, s56, v6
	v_mad_u32 v3, v1, s49, v3
	v_mad_u32 v1, v1, s48, v2
	s_delay_alu instid0(VALU_DEP_4) | instskip(NEXT) | instid1(VALU_DEP_4)
	v_sub_nc_u32_e32 v2, v4, v7
	v_mul_hi_u32 v8, s58, v6
	v_mul_lo_u32 v4, v6, s46
	s_delay_alu instid0(VALU_DEP_3) | instskip(SKIP_1) | instid1(VALU_DEP_4)
	v_mad_u32 v3, v2, s51, v3
	v_mad_u32 v2, v2, s50, v1
	v_add_nc_u32_e32 v7, v6, v8
	s_delay_alu instid0(VALU_DEP_1) | instskip(NEXT) | instid1(VALU_DEP_1)
	v_dual_sub_nc_u32 v4, v5, v4 :: v_dual_lshrrev_b32 v1, s59, v7
	v_mad_u32 v3, v4, s53, v3
	s_delay_alu instid0(VALU_DEP_4) | instskip(NEXT) | instid1(VALU_DEP_3)
	v_mad_u32 v2, v4, s52, v2
	v_mul_lo_u32 v5, v1, s57
	s_delay_alu instid0(VALU_DEP_1) | instskip(NEXT) | instid1(VALU_DEP_1)
	v_sub_nc_u32_e32 v4, v6, v5
	v_mad_u32 v3, v4, s55, v3
	s_delay_alu instid0(VALU_DEP_4)
	v_mad_u32 v2, v4, s54, v2
	s_cbranch_scc0 .LBB23_216
	s_branch .LBB23_238
.LBB23_217:
                                        ; implicit-def: $vgpr3
	s_branch .LBB23_242
.LBB23_218:
	v_dual_mov_b32 v3, 0 :: v_dual_mov_b32 v2, 0
	s_branch .LBB23_241
.LBB23_219:
	v_mov_b64_e32 v[2:3], 0
	v_mov_b32_e32 v1, v0
	s_mov_b32 s24, 0
.LBB23_220:
	s_and_b32 s16, s16, 3
	s_mov_b32 s25, 0
	s_cmp_eq_u32 s16, 0
	s_cbranch_scc1 .LBB23_223
; %bb.221:
	s_lshl_b32 s26, s24, 3
	s_mov_b32 s27, s25
	s_mul_u64 s[28:29], s[24:25], 12
	s_add_nc_u64 s[26:27], s[12:13], s[26:27]
	s_delay_alu instid0(SALU_CYCLE_1)
	s_add_nc_u64 s[24:25], s[26:27], 0xc4
	s_add_nc_u64 s[26:27], s[12:13], s[28:29]
.LBB23_222:                             ; =>This Inner Loop Header: Depth=1
	s_load_b96 s[40:42], s[26:27], 0x4
	s_load_b64 s[28:29], s[24:25], 0x0
	s_add_co_i32 s16, s16, -1
	s_wait_xcnt 0x0
	s_add_nc_u64 s[26:27], s[26:27], 12
	s_cmp_lg_u32 s16, 0
	s_add_nc_u64 s[24:25], s[24:25], 8
	s_wait_kmcnt 0x0
	v_mul_hi_u32 v4, s41, v1
	s_delay_alu instid0(VALU_DEP_1) | instskip(NEXT) | instid1(VALU_DEP_1)
	v_add_nc_u32_e32 v4, v1, v4
	v_lshrrev_b32_e32 v4, s42, v4
	s_delay_alu instid0(VALU_DEP_1) | instskip(NEXT) | instid1(VALU_DEP_1)
	v_mul_lo_u32 v5, v4, s40
	v_sub_nc_u32_e32 v1, v1, v5
	s_delay_alu instid0(VALU_DEP_1)
	v_mad_u32 v3, v1, s29, v3
	v_mad_u32 v2, v1, s28, v2
	v_mov_b32_e32 v1, v4
	s_cbranch_scc1 .LBB23_222
.LBB23_223:
	s_cbranch_execnz .LBB23_226
.LBB23_224:
	v_mov_b32_e32 v1, 0
	s_and_not1_b32 vcc_lo, exec_lo, s35
	s_delay_alu instid0(VALU_DEP_1) | instskip(NEXT) | instid1(VALU_DEP_1)
	v_mul_u64_e32 v[2:3], s[18:19], v[0:1]
	v_add_nc_u32_e32 v2, v0, v3
	s_delay_alu instid0(VALU_DEP_1) | instskip(NEXT) | instid1(VALU_DEP_1)
	v_lshrrev_b32_e32 v4, s6, v2
	v_mul_lo_u32 v2, v4, s4
	s_delay_alu instid0(VALU_DEP_1) | instskip(NEXT) | instid1(VALU_DEP_1)
	v_sub_nc_u32_e32 v2, v0, v2
	v_mul_lo_u32 v3, v2, s9
	v_mul_lo_u32 v2, v2, s8
	s_cbranch_vccnz .LBB23_226
; %bb.225:
	v_mov_b32_e32 v5, v1
	s_delay_alu instid0(VALU_DEP_1) | instskip(NEXT) | instid1(VALU_DEP_1)
	v_mul_u64_e32 v[6:7], s[20:21], v[4:5]
	v_add_nc_u32_e32 v1, v4, v7
	s_delay_alu instid0(VALU_DEP_1) | instskip(NEXT) | instid1(VALU_DEP_1)
	v_lshrrev_b32_e32 v1, s17, v1
	v_mul_lo_u32 v1, v1, s7
	s_delay_alu instid0(VALU_DEP_1) | instskip(NEXT) | instid1(VALU_DEP_1)
	v_sub_nc_u32_e32 v1, v4, v1
	v_mad_u32 v2, v1, s10, v2
	v_mad_u32 v3, v1, s11, v3
.LBB23_226:
	global_load_u16 v3, v3, s[2:3]
	s_mov_b32 s16, exec_lo
	s_wait_loadcnt 0x0
	v_cvt_f32_f16_e32 v1, v3
	s_delay_alu instid0(VALU_DEP_1) | instskip(SKIP_1) | instid1(VALU_DEP_1)
	v_mul_f32_e32 v1, s14, v1
	s_wait_xcnt 0x0
	v_cmpx_nlt_f32_e32 s15, v1
	s_cbranch_execz .LBB23_228
; %bb.227:
	v_mul_f32_e32 v3, 0x3fb8aa3b, v1
	v_cmp_ngt_f32_e32 vcc_lo, 0xc2ce8ed0, v1
	s_mov_b32 s24, 0x3e9b6dac
	s_delay_alu instid0(VALU_DEP_2) | instskip(SKIP_1) | instid1(VALU_DEP_2)
	v_rndne_f32_e32 v4, v3
	v_fma_f32 v5, 0x3fb8aa3b, v1, -v3
	v_sub_f32_e32 v3, v3, v4
	s_delay_alu instid0(VALU_DEP_2) | instskip(SKIP_1) | instid1(VALU_DEP_2)
	v_fmamk_f32 v5, v1, 0x32a5705f, v5
	v_cvt_i32_f32_e32 v4, v4
	v_add_f32_e32 v3, v3, v5
	s_delay_alu instid0(VALU_DEP_1) | instskip(SKIP_1) | instid1(TRANS32_DEP_1)
	v_exp_f32_e32 v3, v3
	v_nop
	v_ldexp_f32 v3, v3, v4
	s_delay_alu instid0(VALU_DEP_1) | instskip(SKIP_1) | instid1(VALU_DEP_2)
	v_cndmask_b32_e32 v3, 0, v3, vcc_lo
	v_cmp_nlt_f32_e32 vcc_lo, 0x42b17218, v1
	v_cndmask_b32_e32 v3, 0x7f800000, v3, vcc_lo
	s_delay_alu instid0(VALU_DEP_1) | instskip(NEXT) | instid1(VALU_DEP_1)
	v_add_f32_e32 v1, 1.0, v3
	v_cvt_f64_f32_e32 v[4:5], v1
	s_delay_alu instid0(VALU_DEP_1) | instskip(SKIP_1) | instid1(VALU_DEP_1)
	v_frexp_exp_i32_f64_e32 v4, v[4:5]
	v_frexp_mant_f32_e32 v5, v1
	v_cmp_gt_f32_e32 vcc_lo, 0x3f2aaaab, v5
	s_delay_alu instid0(VALU_DEP_3) | instskip(NEXT) | instid1(VALU_DEP_1)
	v_subrev_co_ci_u32_e64 v10, null, 0, v4, vcc_lo
	v_dual_add_f32 v4, -1.0, v1 :: v_dual_sub_nc_u32 v5, 0, v10
	s_delay_alu instid0(VALU_DEP_1) | instskip(NEXT) | instid1(VALU_DEP_2)
	v_dual_sub_f32 v6, v4, v1 :: v_dual_sub_f32 v4, v3, v4
	v_ldexp_f32 v1, v1, v5
	s_delay_alu instid0(VALU_DEP_1) | instskip(NEXT) | instid1(VALU_DEP_1)
	v_dual_add_f32 v6, 1.0, v6 :: v_dual_add_f32 v7, 1.0, v1
	v_dual_add_f32 v9, -1.0, v1 :: v_dual_add_f32 v4, v4, v6
	v_cmp_neq_f32_e32 vcc_lo, 0x7f800000, v3
	s_delay_alu instid0(VALU_DEP_3) | instskip(NEXT) | instid1(VALU_DEP_3)
	v_add_f32_e32 v6, -1.0, v7
	v_ldexp_f32 v4, v4, v5
	s_delay_alu instid0(VALU_DEP_2) | instskip(NEXT) | instid1(VALU_DEP_1)
	v_dual_sub_f32 v5, v1, v6 :: v_dual_add_f32 v6, 1.0, v9
	v_dual_add_f32 v8, v4, v5 :: v_dual_sub_f32 v1, v1, v6
	s_delay_alu instid0(VALU_DEP_1) | instskip(NEXT) | instid1(VALU_DEP_1)
	v_dual_add_f32 v11, v7, v8 :: v_dual_add_f32 v1, v4, v1
	v_rcp_f32_e32 v12, v11
	s_delay_alu instid0(VALU_DEP_1) | instskip(NEXT) | instid1(VALU_DEP_1)
	v_dual_add_f32 v5, v9, v1 :: v_dual_sub_f32 v4, v7, v11
	v_sub_f32_e32 v15, v9, v5
	s_delay_alu instid0(TRANS32_DEP_1) | instskip(NEXT) | instid1(VALU_DEP_2)
	v_mul_f32_e32 v13, v5, v12
	v_dual_add_f32 v14, v8, v4 :: v_dual_add_f32 v1, v1, v15
	s_delay_alu instid0(VALU_DEP_2) | instskip(NEXT) | instid1(VALU_DEP_1)
	v_mul_f32_e32 v6, v11, v13
	v_fma_f32 v8, v13, v11, -v6
	s_delay_alu instid0(VALU_DEP_1) | instskip(NEXT) | instid1(VALU_DEP_1)
	v_fmac_f32_e32 v8, v13, v14
	v_add_f32_e32 v4, v6, v8
	s_delay_alu instid0(VALU_DEP_1) | instskip(NEXT) | instid1(VALU_DEP_1)
	v_dual_sub_f32 v7, v5, v4 :: v_dual_mov_b32 v9, v4
	v_pk_add_f32 v[4:5], v[4:5], v[6:7] neg_lo:[0,1] neg_hi:[0,1]
	s_delay_alu instid0(VALU_DEP_1) | instskip(NEXT) | instid1(VALU_DEP_1)
	v_pk_add_f32 v[4:5], v[4:5], v[8:9] neg_lo:[0,1] neg_hi:[0,1]
	v_add_f32_e32 v1, v1, v5
	s_delay_alu instid0(VALU_DEP_1) | instskip(NEXT) | instid1(VALU_DEP_1)
	v_add_f32_e32 v1, v4, v1
	v_add_f32_e32 v5, v7, v1
	s_delay_alu instid0(VALU_DEP_1) | instskip(NEXT) | instid1(VALU_DEP_1)
	v_mul_f32_e32 v15, v12, v5
	v_mul_f32_e32 v8, v11, v15
	s_delay_alu instid0(VALU_DEP_1) | instskip(SKIP_1) | instid1(VALU_DEP_1)
	v_fma_f32 v6, v15, v11, -v8
	v_sub_f32_e32 v11, v7, v5
	v_dual_fmac_f32 v6, v15, v14 :: v_dual_add_f32 v1, v1, v11
	s_delay_alu instid0(VALU_DEP_1) | instskip(NEXT) | instid1(VALU_DEP_1)
	v_add_f32_e32 v4, v8, v6
	v_dual_sub_f32 v9, v5, v4 :: v_dual_mov_b32 v7, v4
	s_delay_alu instid0(VALU_DEP_1) | instskip(NEXT) | instid1(VALU_DEP_1)
	v_pk_add_f32 v[4:5], v[4:5], v[8:9] neg_lo:[0,1] neg_hi:[0,1]
	v_pk_add_f32 v[4:5], v[4:5], v[6:7] neg_lo:[0,1] neg_hi:[0,1]
	v_cvt_f32_i32_e32 v6, v10
	s_delay_alu instid0(VALU_DEP_2) | instskip(NEXT) | instid1(VALU_DEP_1)
	v_add_f32_e32 v1, v1, v5
	v_dual_add_f32 v8, v13, v15 :: v_dual_add_f32 v1, v4, v1
	s_delay_alu instid0(VALU_DEP_1) | instskip(NEXT) | instid1(VALU_DEP_1)
	v_sub_f32_e32 v4, v8, v13
	v_dual_add_f32 v1, v9, v1 :: v_dual_sub_f32 v4, v15, v4
	s_delay_alu instid0(VALU_DEP_1) | instskip(NEXT) | instid1(VALU_DEP_1)
	v_mul_f32_e32 v1, v12, v1
	v_dual_add_f32 v1, v4, v1 :: v_dual_mov_b32 v4, 0x3f317218
	s_delay_alu instid0(VALU_DEP_1) | instskip(NEXT) | instid1(VALU_DEP_1)
	v_add_f32_e32 v9, v8, v1
	v_mul_f32_e32 v5, v9, v9
	s_delay_alu instid0(VALU_DEP_1) | instskip(SKIP_1) | instid1(VALU_DEP_2)
	v_fmaak_f32 v11, s24, v5, 0x3ecc95a3
	v_mul_f32_e32 v7, v9, v5
	v_fmaak_f32 v5, v5, v11, 0x3f2aaada
	s_delay_alu instid0(VALU_DEP_1) | instskip(NEXT) | instid1(VALU_DEP_1)
	v_pk_mul_f32 v[4:5], v[6:7], v[4:5]
	v_fma_f32 v10, 0x3f317218, v6, -v4
	s_delay_alu instid0(VALU_DEP_1) | instskip(SKIP_1) | instid1(VALU_DEP_1)
	v_fmamk_f32 v6, v6, 0xb102e308, v10
	v_sub_f32_e32 v10, v9, v8
	v_sub_f32_e32 v1, v1, v10
	v_ldexp_f32 v7, v9, 1
	v_mov_b32_e32 v10, v4
	s_delay_alu instid0(VALU_DEP_3) | instskip(NEXT) | instid1(VALU_DEP_3)
	v_ldexp_f32 v1, v1, 1
	v_pk_add_f32 v[8:9], v[4:5], v[6:7]
	s_delay_alu instid0(VALU_DEP_1) | instskip(NEXT) | instid1(VALU_DEP_1)
	v_dual_sub_f32 v7, v9, v7 :: v_dual_mov_b32 v18, v9
	v_sub_f32_e32 v7, v5, v7
	s_delay_alu instid0(VALU_DEP_3) | instskip(NEXT) | instid1(VALU_DEP_2)
	v_pk_add_f32 v[4:5], v[8:9], v[4:5] neg_lo:[0,1] neg_hi:[0,1]
	v_dual_add_f32 v11, v1, v7 :: v_dual_mov_b32 v7, v8
	s_delay_alu instid0(VALU_DEP_1) | instskip(NEXT) | instid1(VALU_DEP_1)
	v_pk_add_f32 v[12:13], v[8:9], v[10:11]
	v_mov_b32_e32 v5, v13
	s_delay_alu instid0(VALU_DEP_1) | instskip(SKIP_2) | instid1(VALU_DEP_3)
	v_pk_add_f32 v[14:15], v[6:7], v[4:5]
	v_mov_b32_e32 v14, v13
	v_pk_add_f32 v[4:5], v[6:7], v[4:5] neg_lo:[0,1] neg_hi:[0,1]
	v_dual_mov_b32 v10, v15 :: v_dual_mov_b32 v5, v15
	s_delay_alu instid0(VALU_DEP_1) | instskip(SKIP_1) | instid1(VALU_DEP_2)
	v_pk_add_f32 v[16:17], v[10:11], v[8:9] neg_lo:[0,1] neg_hi:[0,1]
	v_dual_mov_b32 v9, v8 :: v_dual_mov_b32 v8, v11
	v_dual_mov_b32 v1, v16 :: v_dual_mov_b32 v19, v16
	s_delay_alu instid0(VALU_DEP_1) | instskip(NEXT) | instid1(VALU_DEP_2)
	v_pk_add_f32 v[12:13], v[12:13], v[0:1] neg_lo:[0,1] neg_hi:[0,1]
	v_pk_add_f32 v[6:7], v[14:15], v[18:19] neg_lo:[0,1] neg_hi:[0,1]
	v_mov_b32_e32 v12, v4
	s_delay_alu instid0(VALU_DEP_2) | instskip(NEXT) | instid1(VALU_DEP_1)
	v_pk_add_f32 v[6:7], v[8:9], v[6:7] neg_lo:[0,1] neg_hi:[0,1]
	v_pk_add_f32 v[8:9], v[12:13], v[6:7]
	s_delay_alu instid0(VALU_DEP_1) | instskip(NEXT) | instid1(VALU_DEP_1)
	v_mov_b32_e32 v12, v9
	v_pk_add_f32 v[12:13], v[8:9], v[12:13]
	s_delay_alu instid0(VALU_DEP_1) | instskip(NEXT) | instid1(VALU_DEP_1)
	v_pk_add_f32 v[10:11], v[10:11], v[12:13]
	v_mov_b32_e32 v9, v10
	s_delay_alu instid0(VALU_DEP_1) | instskip(NEXT) | instid1(VALU_DEP_1)
	v_pk_add_f32 v[14:15], v[8:9], v[4:5] neg_lo:[0,1] neg_hi:[0,1]
	v_sub_f32_e32 v1, v8, v14
	s_delay_alu instid0(VALU_DEP_1) | instskip(SKIP_1) | instid1(VALU_DEP_1)
	v_sub_f32_e32 v1, v4, v1
	v_mov_b32_e32 v7, v12
	v_pk_add_f32 v[6:7], v[6:7], v[14:15] neg_lo:[0,1] neg_hi:[0,1]
	s_delay_alu instid0(VALU_DEP_1) | instskip(NEXT) | instid1(VALU_DEP_1)
	v_add_f32_e32 v1, v6, v1
	v_add_f32_e32 v1, v1, v7
	s_delay_alu instid0(VALU_DEP_1) | instskip(NEXT) | instid1(VALU_DEP_1)
	v_add_f32_e32 v1, v10, v1
	v_cndmask_b32_e32 v1, 0x7f800000, v1, vcc_lo
	v_cmp_gt_f32_e64 vcc_lo, 0x33800000, |v3|
	s_delay_alu instid0(VALU_DEP_2) | instskip(NEXT) | instid1(VALU_DEP_1)
	v_cndmask_b32_e32 v1, v1, v3, vcc_lo
	v_div_scale_f32 v3, null, s14, s14, v1
	s_delay_alu instid0(VALU_DEP_1) | instskip(SKIP_1) | instid1(TRANS32_DEP_1)
	v_rcp_f32_e32 v4, v3
	v_nop
	v_fma_f32 v5, -v3, v4, 1.0
	s_delay_alu instid0(VALU_DEP_1) | instskip(SKIP_1) | instid1(VALU_DEP_1)
	v_fmac_f32_e32 v4, v5, v4
	v_div_scale_f32 v5, vcc_lo, v1, s14, v1
	v_mul_f32_e32 v6, v5, v4
	s_delay_alu instid0(VALU_DEP_1) | instskip(NEXT) | instid1(VALU_DEP_1)
	v_fma_f32 v7, -v3, v6, v5
	v_fmac_f32_e32 v6, v7, v4
	s_delay_alu instid0(VALU_DEP_1) | instskip(NEXT) | instid1(VALU_DEP_1)
	v_fma_f32 v3, -v3, v6, v5
	v_div_fmas_f32 v3, v3, v4, v6
	s_delay_alu instid0(VALU_DEP_1) | instskip(NEXT) | instid1(VALU_DEP_1)
	v_div_fixup_f32 v1, v3, s14, v1
	v_cvt_f16_f32_e32 v3, v1
.LBB23_228:
	s_or_b32 exec_lo, exec_lo, s16
	v_add_nc_u32_e32 v0, 0x80, v0
	global_store_b16 v2, v3, s[0:1]
	s_wait_xcnt 0x0
	s_or_b32 exec_lo, exec_lo, s5
	s_delay_alu instid0(SALU_CYCLE_1)
	s_mov_b32 s5, exec_lo
	v_cmpx_gt_i32_e64 s36, v0
	s_cbranch_execnz .LBB23_212
.LBB23_229:
	s_or_b32 exec_lo, exec_lo, s5
	s_delay_alu instid0(SALU_CYCLE_1)
	s_mov_b32 s5, exec_lo
	v_cmpx_gt_i32_e64 s36, v0
	s_cbranch_execz .LBB23_247
.LBB23_230:
	s_and_not1_b32 vcc_lo, exec_lo, s33
	s_cbranch_vccnz .LBB23_235
; %bb.231:
	s_and_not1_b32 vcc_lo, exec_lo, s38
	s_cbranch_vccnz .LBB23_236
; %bb.232:
	s_add_co_i32 s16, s37, 1
	s_cmp_eq_u32 s31, 2
	s_cbranch_scc1 .LBB23_250
; %bb.233:
	v_dual_mov_b32 v2, 0 :: v_dual_mov_b32 v3, 0
	v_mov_b32_e32 v1, v0
	s_and_b32 s24, s16, 28
	s_mov_b32 s25, 0
	s_mov_b64 s[26:27], s[12:13]
	s_mov_b64 s[28:29], s[22:23]
.LBB23_234:                             ; =>This Inner Loop Header: Depth=1
	s_clause 0x1
	s_load_b256 s[40:47], s[26:27], 0x4
	s_load_b128 s[56:59], s[26:27], 0x24
	s_load_b256 s[48:55], s[28:29], 0x0
	s_add_co_i32 s25, s25, 4
	s_wait_xcnt 0x0
	s_add_nc_u64 s[26:27], s[26:27], 48
	s_cmp_eq_u32 s24, s25
	s_add_nc_u64 s[28:29], s[28:29], 32
	s_wait_kmcnt 0x0
	v_mul_hi_u32 v4, s41, v1
	s_delay_alu instid0(VALU_DEP_1) | instskip(NEXT) | instid1(VALU_DEP_1)
	v_add_nc_u32_e32 v4, v1, v4
	v_lshrrev_b32_e32 v4, s42, v4
	s_delay_alu instid0(VALU_DEP_1) | instskip(NEXT) | instid1(VALU_DEP_1)
	v_mul_hi_u32 v5, s44, v4
	v_add_nc_u32_e32 v5, v4, v5
	s_delay_alu instid0(VALU_DEP_1) | instskip(NEXT) | instid1(VALU_DEP_1)
	v_lshrrev_b32_e32 v5, s45, v5
	v_mul_hi_u32 v6, s47, v5
	s_delay_alu instid0(VALU_DEP_1) | instskip(SKIP_1) | instid1(VALU_DEP_1)
	v_add_nc_u32_e32 v6, v5, v6
	v_mul_lo_u32 v7, v4, s40
	v_sub_nc_u32_e32 v1, v1, v7
	v_mul_lo_u32 v7, v5, s43
	s_delay_alu instid0(VALU_DEP_4) | instskip(NEXT) | instid1(VALU_DEP_3)
	v_lshrrev_b32_e32 v6, s56, v6
	v_mad_u32 v3, v1, s49, v3
	v_mad_u32 v1, v1, s48, v2
	s_delay_alu instid0(VALU_DEP_4) | instskip(NEXT) | instid1(VALU_DEP_4)
	v_sub_nc_u32_e32 v2, v4, v7
	v_mul_hi_u32 v8, s58, v6
	v_mul_lo_u32 v4, v6, s46
	s_delay_alu instid0(VALU_DEP_3) | instskip(SKIP_1) | instid1(VALU_DEP_4)
	v_mad_u32 v3, v2, s51, v3
	v_mad_u32 v2, v2, s50, v1
	v_add_nc_u32_e32 v7, v6, v8
	s_delay_alu instid0(VALU_DEP_1) | instskip(NEXT) | instid1(VALU_DEP_1)
	v_dual_sub_nc_u32 v4, v5, v4 :: v_dual_lshrrev_b32 v1, s59, v7
	v_mad_u32 v3, v4, s53, v3
	s_delay_alu instid0(VALU_DEP_4) | instskip(NEXT) | instid1(VALU_DEP_3)
	v_mad_u32 v2, v4, s52, v2
	v_mul_lo_u32 v5, v1, s57
	s_delay_alu instid0(VALU_DEP_1) | instskip(NEXT) | instid1(VALU_DEP_1)
	v_sub_nc_u32_e32 v4, v6, v5
	v_mad_u32 v3, v4, s55, v3
	s_delay_alu instid0(VALU_DEP_4)
	v_mad_u32 v2, v4, s54, v2
	s_cbranch_scc0 .LBB23_234
	s_branch .LBB23_251
.LBB23_235:
                                        ; implicit-def: $vgpr3
	s_branch .LBB23_255
.LBB23_236:
	v_dual_mov_b32 v3, 0 :: v_dual_mov_b32 v2, 0
	s_branch .LBB23_254
.LBB23_237:
	v_mov_b64_e32 v[2:3], 0
	v_mov_b32_e32 v1, v0
	s_mov_b32 s24, 0
.LBB23_238:
	s_and_b32 s16, s16, 3
	s_mov_b32 s25, 0
	s_cmp_eq_u32 s16, 0
	s_cbranch_scc1 .LBB23_241
; %bb.239:
	s_lshl_b32 s26, s24, 3
	s_mov_b32 s27, s25
	s_mul_u64 s[28:29], s[24:25], 12
	s_add_nc_u64 s[26:27], s[12:13], s[26:27]
	s_delay_alu instid0(SALU_CYCLE_1)
	s_add_nc_u64 s[24:25], s[26:27], 0xc4
	s_add_nc_u64 s[26:27], s[12:13], s[28:29]
.LBB23_240:                             ; =>This Inner Loop Header: Depth=1
	s_load_b96 s[40:42], s[26:27], 0x4
	s_load_b64 s[28:29], s[24:25], 0x0
	s_add_co_i32 s16, s16, -1
	s_wait_xcnt 0x0
	s_add_nc_u64 s[26:27], s[26:27], 12
	s_cmp_lg_u32 s16, 0
	s_add_nc_u64 s[24:25], s[24:25], 8
	s_wait_kmcnt 0x0
	v_mul_hi_u32 v4, s41, v1
	s_delay_alu instid0(VALU_DEP_1) | instskip(NEXT) | instid1(VALU_DEP_1)
	v_add_nc_u32_e32 v4, v1, v4
	v_lshrrev_b32_e32 v4, s42, v4
	s_delay_alu instid0(VALU_DEP_1) | instskip(NEXT) | instid1(VALU_DEP_1)
	v_mul_lo_u32 v5, v4, s40
	v_sub_nc_u32_e32 v1, v1, v5
	s_delay_alu instid0(VALU_DEP_1)
	v_mad_u32 v3, v1, s29, v3
	v_mad_u32 v2, v1, s28, v2
	v_mov_b32_e32 v1, v4
	s_cbranch_scc1 .LBB23_240
.LBB23_241:
	s_cbranch_execnz .LBB23_244
.LBB23_242:
	v_mov_b32_e32 v1, 0
	s_and_not1_b32 vcc_lo, exec_lo, s35
	s_delay_alu instid0(VALU_DEP_1) | instskip(NEXT) | instid1(VALU_DEP_1)
	v_mul_u64_e32 v[2:3], s[18:19], v[0:1]
	v_add_nc_u32_e32 v2, v0, v3
	s_delay_alu instid0(VALU_DEP_1) | instskip(NEXT) | instid1(VALU_DEP_1)
	v_lshrrev_b32_e32 v4, s6, v2
	v_mul_lo_u32 v2, v4, s4
	s_delay_alu instid0(VALU_DEP_1) | instskip(NEXT) | instid1(VALU_DEP_1)
	v_sub_nc_u32_e32 v2, v0, v2
	v_mul_lo_u32 v3, v2, s9
	v_mul_lo_u32 v2, v2, s8
	s_cbranch_vccnz .LBB23_244
; %bb.243:
	v_mov_b32_e32 v5, v1
	s_delay_alu instid0(VALU_DEP_1) | instskip(NEXT) | instid1(VALU_DEP_1)
	v_mul_u64_e32 v[6:7], s[20:21], v[4:5]
	v_add_nc_u32_e32 v1, v4, v7
	s_delay_alu instid0(VALU_DEP_1) | instskip(NEXT) | instid1(VALU_DEP_1)
	v_lshrrev_b32_e32 v1, s17, v1
	v_mul_lo_u32 v1, v1, s7
	s_delay_alu instid0(VALU_DEP_1) | instskip(NEXT) | instid1(VALU_DEP_1)
	v_sub_nc_u32_e32 v1, v4, v1
	v_mad_u32 v2, v1, s10, v2
	v_mad_u32 v3, v1, s11, v3
.LBB23_244:
	global_load_u16 v3, v3, s[2:3]
	s_mov_b32 s16, exec_lo
	s_wait_loadcnt 0x0
	v_cvt_f32_f16_e32 v1, v3
	s_delay_alu instid0(VALU_DEP_1) | instskip(SKIP_1) | instid1(VALU_DEP_1)
	v_mul_f32_e32 v1, s14, v1
	s_wait_xcnt 0x0
	v_cmpx_nlt_f32_e32 s15, v1
	s_cbranch_execz .LBB23_246
; %bb.245:
	v_mul_f32_e32 v3, 0x3fb8aa3b, v1
	v_cmp_ngt_f32_e32 vcc_lo, 0xc2ce8ed0, v1
	s_mov_b32 s24, 0x3e9b6dac
	s_delay_alu instid0(VALU_DEP_2) | instskip(SKIP_1) | instid1(VALU_DEP_2)
	v_rndne_f32_e32 v4, v3
	v_fma_f32 v5, 0x3fb8aa3b, v1, -v3
	v_sub_f32_e32 v3, v3, v4
	s_delay_alu instid0(VALU_DEP_2) | instskip(SKIP_1) | instid1(VALU_DEP_2)
	v_fmamk_f32 v5, v1, 0x32a5705f, v5
	v_cvt_i32_f32_e32 v4, v4
	v_add_f32_e32 v3, v3, v5
	s_delay_alu instid0(VALU_DEP_1) | instskip(SKIP_1) | instid1(TRANS32_DEP_1)
	v_exp_f32_e32 v3, v3
	v_nop
	v_ldexp_f32 v3, v3, v4
	s_delay_alu instid0(VALU_DEP_1) | instskip(SKIP_1) | instid1(VALU_DEP_2)
	v_cndmask_b32_e32 v3, 0, v3, vcc_lo
	v_cmp_nlt_f32_e32 vcc_lo, 0x42b17218, v1
	v_cndmask_b32_e32 v3, 0x7f800000, v3, vcc_lo
	s_delay_alu instid0(VALU_DEP_1) | instskip(NEXT) | instid1(VALU_DEP_1)
	v_add_f32_e32 v1, 1.0, v3
	v_cvt_f64_f32_e32 v[4:5], v1
	s_delay_alu instid0(VALU_DEP_1) | instskip(SKIP_1) | instid1(VALU_DEP_1)
	v_frexp_exp_i32_f64_e32 v4, v[4:5]
	v_frexp_mant_f32_e32 v5, v1
	v_cmp_gt_f32_e32 vcc_lo, 0x3f2aaaab, v5
	s_delay_alu instid0(VALU_DEP_3) | instskip(NEXT) | instid1(VALU_DEP_1)
	v_subrev_co_ci_u32_e64 v10, null, 0, v4, vcc_lo
	v_dual_add_f32 v4, -1.0, v1 :: v_dual_sub_nc_u32 v5, 0, v10
	s_delay_alu instid0(VALU_DEP_1) | instskip(NEXT) | instid1(VALU_DEP_2)
	v_dual_sub_f32 v6, v4, v1 :: v_dual_sub_f32 v4, v3, v4
	v_ldexp_f32 v1, v1, v5
	s_delay_alu instid0(VALU_DEP_1) | instskip(NEXT) | instid1(VALU_DEP_1)
	v_dual_add_f32 v6, 1.0, v6 :: v_dual_add_f32 v7, 1.0, v1
	v_dual_add_f32 v9, -1.0, v1 :: v_dual_add_f32 v4, v4, v6
	v_cmp_neq_f32_e32 vcc_lo, 0x7f800000, v3
	s_delay_alu instid0(VALU_DEP_3) | instskip(NEXT) | instid1(VALU_DEP_3)
	v_add_f32_e32 v6, -1.0, v7
	v_ldexp_f32 v4, v4, v5
	s_delay_alu instid0(VALU_DEP_2) | instskip(NEXT) | instid1(VALU_DEP_1)
	v_dual_sub_f32 v5, v1, v6 :: v_dual_add_f32 v6, 1.0, v9
	v_dual_add_f32 v8, v4, v5 :: v_dual_sub_f32 v1, v1, v6
	s_delay_alu instid0(VALU_DEP_1) | instskip(NEXT) | instid1(VALU_DEP_1)
	v_dual_add_f32 v11, v7, v8 :: v_dual_add_f32 v1, v4, v1
	v_rcp_f32_e32 v12, v11
	s_delay_alu instid0(VALU_DEP_1) | instskip(NEXT) | instid1(VALU_DEP_1)
	v_dual_add_f32 v5, v9, v1 :: v_dual_sub_f32 v4, v7, v11
	v_sub_f32_e32 v15, v9, v5
	s_delay_alu instid0(TRANS32_DEP_1) | instskip(NEXT) | instid1(VALU_DEP_2)
	v_mul_f32_e32 v13, v5, v12
	v_dual_add_f32 v14, v8, v4 :: v_dual_add_f32 v1, v1, v15
	s_delay_alu instid0(VALU_DEP_2) | instskip(NEXT) | instid1(VALU_DEP_1)
	v_mul_f32_e32 v6, v11, v13
	v_fma_f32 v8, v13, v11, -v6
	s_delay_alu instid0(VALU_DEP_1) | instskip(NEXT) | instid1(VALU_DEP_1)
	v_fmac_f32_e32 v8, v13, v14
	v_add_f32_e32 v4, v6, v8
	s_delay_alu instid0(VALU_DEP_1) | instskip(NEXT) | instid1(VALU_DEP_1)
	v_dual_sub_f32 v7, v5, v4 :: v_dual_mov_b32 v9, v4
	v_pk_add_f32 v[4:5], v[4:5], v[6:7] neg_lo:[0,1] neg_hi:[0,1]
	s_delay_alu instid0(VALU_DEP_1) | instskip(NEXT) | instid1(VALU_DEP_1)
	v_pk_add_f32 v[4:5], v[4:5], v[8:9] neg_lo:[0,1] neg_hi:[0,1]
	v_add_f32_e32 v1, v1, v5
	s_delay_alu instid0(VALU_DEP_1) | instskip(NEXT) | instid1(VALU_DEP_1)
	v_add_f32_e32 v1, v4, v1
	v_add_f32_e32 v5, v7, v1
	s_delay_alu instid0(VALU_DEP_1) | instskip(NEXT) | instid1(VALU_DEP_1)
	v_mul_f32_e32 v15, v12, v5
	v_mul_f32_e32 v8, v11, v15
	s_delay_alu instid0(VALU_DEP_1) | instskip(SKIP_1) | instid1(VALU_DEP_1)
	v_fma_f32 v6, v15, v11, -v8
	v_sub_f32_e32 v11, v7, v5
	v_dual_fmac_f32 v6, v15, v14 :: v_dual_add_f32 v1, v1, v11
	s_delay_alu instid0(VALU_DEP_1) | instskip(NEXT) | instid1(VALU_DEP_1)
	v_add_f32_e32 v4, v8, v6
	v_dual_sub_f32 v9, v5, v4 :: v_dual_mov_b32 v7, v4
	s_delay_alu instid0(VALU_DEP_1) | instskip(NEXT) | instid1(VALU_DEP_1)
	v_pk_add_f32 v[4:5], v[4:5], v[8:9] neg_lo:[0,1] neg_hi:[0,1]
	v_pk_add_f32 v[4:5], v[4:5], v[6:7] neg_lo:[0,1] neg_hi:[0,1]
	v_cvt_f32_i32_e32 v6, v10
	s_delay_alu instid0(VALU_DEP_2) | instskip(NEXT) | instid1(VALU_DEP_1)
	v_add_f32_e32 v1, v1, v5
	v_dual_add_f32 v8, v13, v15 :: v_dual_add_f32 v1, v4, v1
	s_delay_alu instid0(VALU_DEP_1) | instskip(NEXT) | instid1(VALU_DEP_1)
	v_sub_f32_e32 v4, v8, v13
	v_dual_add_f32 v1, v9, v1 :: v_dual_sub_f32 v4, v15, v4
	s_delay_alu instid0(VALU_DEP_1) | instskip(NEXT) | instid1(VALU_DEP_1)
	v_mul_f32_e32 v1, v12, v1
	v_dual_add_f32 v1, v4, v1 :: v_dual_mov_b32 v4, 0x3f317218
	s_delay_alu instid0(VALU_DEP_1) | instskip(NEXT) | instid1(VALU_DEP_1)
	v_add_f32_e32 v9, v8, v1
	v_mul_f32_e32 v5, v9, v9
	s_delay_alu instid0(VALU_DEP_1) | instskip(SKIP_1) | instid1(VALU_DEP_2)
	v_fmaak_f32 v11, s24, v5, 0x3ecc95a3
	v_mul_f32_e32 v7, v9, v5
	v_fmaak_f32 v5, v5, v11, 0x3f2aaada
	s_delay_alu instid0(VALU_DEP_1) | instskip(NEXT) | instid1(VALU_DEP_1)
	v_pk_mul_f32 v[4:5], v[6:7], v[4:5]
	v_fma_f32 v10, 0x3f317218, v6, -v4
	s_delay_alu instid0(VALU_DEP_1) | instskip(SKIP_1) | instid1(VALU_DEP_1)
	v_fmamk_f32 v6, v6, 0xb102e308, v10
	v_sub_f32_e32 v10, v9, v8
	v_sub_f32_e32 v1, v1, v10
	v_ldexp_f32 v7, v9, 1
	v_mov_b32_e32 v10, v4
	s_delay_alu instid0(VALU_DEP_3) | instskip(NEXT) | instid1(VALU_DEP_3)
	v_ldexp_f32 v1, v1, 1
	v_pk_add_f32 v[8:9], v[4:5], v[6:7]
	s_delay_alu instid0(VALU_DEP_1) | instskip(NEXT) | instid1(VALU_DEP_1)
	v_dual_sub_f32 v7, v9, v7 :: v_dual_mov_b32 v18, v9
	v_sub_f32_e32 v7, v5, v7
	s_delay_alu instid0(VALU_DEP_3) | instskip(NEXT) | instid1(VALU_DEP_2)
	v_pk_add_f32 v[4:5], v[8:9], v[4:5] neg_lo:[0,1] neg_hi:[0,1]
	v_dual_add_f32 v11, v1, v7 :: v_dual_mov_b32 v7, v8
	s_delay_alu instid0(VALU_DEP_1) | instskip(NEXT) | instid1(VALU_DEP_1)
	v_pk_add_f32 v[12:13], v[8:9], v[10:11]
	v_mov_b32_e32 v5, v13
	s_delay_alu instid0(VALU_DEP_1) | instskip(SKIP_2) | instid1(VALU_DEP_3)
	v_pk_add_f32 v[14:15], v[6:7], v[4:5]
	v_mov_b32_e32 v14, v13
	v_pk_add_f32 v[4:5], v[6:7], v[4:5] neg_lo:[0,1] neg_hi:[0,1]
	v_dual_mov_b32 v10, v15 :: v_dual_mov_b32 v5, v15
	s_delay_alu instid0(VALU_DEP_1) | instskip(SKIP_1) | instid1(VALU_DEP_2)
	v_pk_add_f32 v[16:17], v[10:11], v[8:9] neg_lo:[0,1] neg_hi:[0,1]
	v_dual_mov_b32 v9, v8 :: v_dual_mov_b32 v8, v11
	v_dual_mov_b32 v1, v16 :: v_dual_mov_b32 v19, v16
	s_delay_alu instid0(VALU_DEP_1) | instskip(NEXT) | instid1(VALU_DEP_2)
	v_pk_add_f32 v[12:13], v[12:13], v[0:1] neg_lo:[0,1] neg_hi:[0,1]
	v_pk_add_f32 v[6:7], v[14:15], v[18:19] neg_lo:[0,1] neg_hi:[0,1]
	v_mov_b32_e32 v12, v4
	s_delay_alu instid0(VALU_DEP_2) | instskip(NEXT) | instid1(VALU_DEP_1)
	v_pk_add_f32 v[6:7], v[8:9], v[6:7] neg_lo:[0,1] neg_hi:[0,1]
	v_pk_add_f32 v[8:9], v[12:13], v[6:7]
	s_delay_alu instid0(VALU_DEP_1) | instskip(NEXT) | instid1(VALU_DEP_1)
	v_mov_b32_e32 v12, v9
	v_pk_add_f32 v[12:13], v[8:9], v[12:13]
	s_delay_alu instid0(VALU_DEP_1) | instskip(NEXT) | instid1(VALU_DEP_1)
	v_pk_add_f32 v[10:11], v[10:11], v[12:13]
	v_mov_b32_e32 v9, v10
	s_delay_alu instid0(VALU_DEP_1) | instskip(NEXT) | instid1(VALU_DEP_1)
	v_pk_add_f32 v[14:15], v[8:9], v[4:5] neg_lo:[0,1] neg_hi:[0,1]
	v_sub_f32_e32 v1, v8, v14
	s_delay_alu instid0(VALU_DEP_1) | instskip(SKIP_1) | instid1(VALU_DEP_1)
	v_sub_f32_e32 v1, v4, v1
	v_mov_b32_e32 v7, v12
	v_pk_add_f32 v[6:7], v[6:7], v[14:15] neg_lo:[0,1] neg_hi:[0,1]
	s_delay_alu instid0(VALU_DEP_1) | instskip(NEXT) | instid1(VALU_DEP_1)
	v_add_f32_e32 v1, v6, v1
	v_add_f32_e32 v1, v1, v7
	s_delay_alu instid0(VALU_DEP_1) | instskip(NEXT) | instid1(VALU_DEP_1)
	v_add_f32_e32 v1, v10, v1
	v_cndmask_b32_e32 v1, 0x7f800000, v1, vcc_lo
	v_cmp_gt_f32_e64 vcc_lo, 0x33800000, |v3|
	s_delay_alu instid0(VALU_DEP_2) | instskip(NEXT) | instid1(VALU_DEP_1)
	v_cndmask_b32_e32 v1, v1, v3, vcc_lo
	v_div_scale_f32 v3, null, s14, s14, v1
	s_delay_alu instid0(VALU_DEP_1) | instskip(SKIP_1) | instid1(TRANS32_DEP_1)
	v_rcp_f32_e32 v4, v3
	v_nop
	v_fma_f32 v5, -v3, v4, 1.0
	s_delay_alu instid0(VALU_DEP_1) | instskip(SKIP_1) | instid1(VALU_DEP_1)
	v_fmac_f32_e32 v4, v5, v4
	v_div_scale_f32 v5, vcc_lo, v1, s14, v1
	v_mul_f32_e32 v6, v5, v4
	s_delay_alu instid0(VALU_DEP_1) | instskip(NEXT) | instid1(VALU_DEP_1)
	v_fma_f32 v7, -v3, v6, v5
	v_fmac_f32_e32 v6, v7, v4
	s_delay_alu instid0(VALU_DEP_1) | instskip(NEXT) | instid1(VALU_DEP_1)
	v_fma_f32 v3, -v3, v6, v5
	v_div_fmas_f32 v3, v3, v4, v6
	s_delay_alu instid0(VALU_DEP_1) | instskip(NEXT) | instid1(VALU_DEP_1)
	v_div_fixup_f32 v1, v3, s14, v1
	v_cvt_f16_f32_e32 v3, v1
.LBB23_246:
	s_or_b32 exec_lo, exec_lo, s16
	v_add_nc_u32_e32 v0, 0x80, v0
	global_store_b16 v2, v3, s[0:1]
	s_wait_xcnt 0x0
	s_or_b32 exec_lo, exec_lo, s5
	s_delay_alu instid0(SALU_CYCLE_1)
	s_mov_b32 s5, exec_lo
	v_cmpx_gt_i32_e64 s36, v0
	s_cbranch_execnz .LBB23_230
.LBB23_247:
	s_or_b32 exec_lo, exec_lo, s5
	s_delay_alu instid0(SALU_CYCLE_1)
	s_mov_b32 s5, exec_lo
	v_cmpx_gt_i32_e64 s36, v0
	s_cbranch_execnz .LBB23_260
.LBB23_248:
	s_or_b32 exec_lo, exec_lo, s5
                                        ; implicit-def: $vgpr16
                                        ; implicit-def: $vgpr0
	s_and_not1_saveexec_b32 s0, s34
	s_cbranch_execnz .LBB23_8
.LBB23_249:
	s_endpgm
.LBB23_250:
	v_mov_b64_e32 v[2:3], 0
	v_mov_b32_e32 v1, v0
	s_mov_b32 s24, 0
.LBB23_251:
	s_and_b32 s16, s16, 3
	s_mov_b32 s25, 0
	s_cmp_eq_u32 s16, 0
	s_cbranch_scc1 .LBB23_254
; %bb.252:
	s_lshl_b32 s26, s24, 3
	s_mov_b32 s27, s25
	s_mul_u64 s[28:29], s[24:25], 12
	s_add_nc_u64 s[26:27], s[12:13], s[26:27]
	s_delay_alu instid0(SALU_CYCLE_1)
	s_add_nc_u64 s[24:25], s[26:27], 0xc4
	s_add_nc_u64 s[26:27], s[12:13], s[28:29]
.LBB23_253:                             ; =>This Inner Loop Header: Depth=1
	s_load_b96 s[40:42], s[26:27], 0x4
	s_load_b64 s[28:29], s[24:25], 0x0
	s_add_co_i32 s16, s16, -1
	s_wait_xcnt 0x0
	s_add_nc_u64 s[26:27], s[26:27], 12
	s_cmp_lg_u32 s16, 0
	s_add_nc_u64 s[24:25], s[24:25], 8
	s_wait_kmcnt 0x0
	v_mul_hi_u32 v4, s41, v1
	s_delay_alu instid0(VALU_DEP_1) | instskip(NEXT) | instid1(VALU_DEP_1)
	v_add_nc_u32_e32 v4, v1, v4
	v_lshrrev_b32_e32 v4, s42, v4
	s_delay_alu instid0(VALU_DEP_1) | instskip(NEXT) | instid1(VALU_DEP_1)
	v_mul_lo_u32 v5, v4, s40
	v_sub_nc_u32_e32 v1, v1, v5
	s_delay_alu instid0(VALU_DEP_1)
	v_mad_u32 v3, v1, s29, v3
	v_mad_u32 v2, v1, s28, v2
	v_mov_b32_e32 v1, v4
	s_cbranch_scc1 .LBB23_253
.LBB23_254:
	s_cbranch_execnz .LBB23_257
.LBB23_255:
	v_mov_b32_e32 v1, 0
	s_and_not1_b32 vcc_lo, exec_lo, s35
	s_delay_alu instid0(VALU_DEP_1) | instskip(NEXT) | instid1(VALU_DEP_1)
	v_mul_u64_e32 v[2:3], s[18:19], v[0:1]
	v_add_nc_u32_e32 v2, v0, v3
	s_delay_alu instid0(VALU_DEP_1) | instskip(NEXT) | instid1(VALU_DEP_1)
	v_lshrrev_b32_e32 v4, s6, v2
	v_mul_lo_u32 v2, v4, s4
	s_delay_alu instid0(VALU_DEP_1) | instskip(NEXT) | instid1(VALU_DEP_1)
	v_sub_nc_u32_e32 v2, v0, v2
	v_mul_lo_u32 v3, v2, s9
	v_mul_lo_u32 v2, v2, s8
	s_cbranch_vccnz .LBB23_257
; %bb.256:
	v_mov_b32_e32 v5, v1
	s_delay_alu instid0(VALU_DEP_1) | instskip(NEXT) | instid1(VALU_DEP_1)
	v_mul_u64_e32 v[6:7], s[20:21], v[4:5]
	v_add_nc_u32_e32 v1, v4, v7
	s_delay_alu instid0(VALU_DEP_1) | instskip(NEXT) | instid1(VALU_DEP_1)
	v_lshrrev_b32_e32 v1, s17, v1
	v_mul_lo_u32 v1, v1, s7
	s_delay_alu instid0(VALU_DEP_1) | instskip(NEXT) | instid1(VALU_DEP_1)
	v_sub_nc_u32_e32 v1, v4, v1
	v_mad_u32 v2, v1, s10, v2
	v_mad_u32 v3, v1, s11, v3
.LBB23_257:
	global_load_u16 v3, v3, s[2:3]
	s_mov_b32 s16, exec_lo
	s_wait_loadcnt 0x0
	v_cvt_f32_f16_e32 v1, v3
	s_delay_alu instid0(VALU_DEP_1) | instskip(SKIP_1) | instid1(VALU_DEP_1)
	v_mul_f32_e32 v1, s14, v1
	s_wait_xcnt 0x0
	v_cmpx_nlt_f32_e32 s15, v1
	s_cbranch_execz .LBB23_259
; %bb.258:
	v_mul_f32_e32 v3, 0x3fb8aa3b, v1
	v_cmp_ngt_f32_e32 vcc_lo, 0xc2ce8ed0, v1
	s_mov_b32 s24, 0x3e9b6dac
	s_delay_alu instid0(VALU_DEP_2) | instskip(SKIP_1) | instid1(VALU_DEP_2)
	v_rndne_f32_e32 v4, v3
	v_fma_f32 v5, 0x3fb8aa3b, v1, -v3
	v_sub_f32_e32 v3, v3, v4
	s_delay_alu instid0(VALU_DEP_2) | instskip(SKIP_1) | instid1(VALU_DEP_2)
	v_fmamk_f32 v5, v1, 0x32a5705f, v5
	v_cvt_i32_f32_e32 v4, v4
	v_add_f32_e32 v3, v3, v5
	s_delay_alu instid0(VALU_DEP_1) | instskip(SKIP_1) | instid1(TRANS32_DEP_1)
	v_exp_f32_e32 v3, v3
	v_nop
	v_ldexp_f32 v3, v3, v4
	s_delay_alu instid0(VALU_DEP_1) | instskip(SKIP_1) | instid1(VALU_DEP_2)
	v_cndmask_b32_e32 v3, 0, v3, vcc_lo
	v_cmp_nlt_f32_e32 vcc_lo, 0x42b17218, v1
	v_cndmask_b32_e32 v3, 0x7f800000, v3, vcc_lo
	s_delay_alu instid0(VALU_DEP_1) | instskip(NEXT) | instid1(VALU_DEP_1)
	v_add_f32_e32 v1, 1.0, v3
	v_cvt_f64_f32_e32 v[4:5], v1
	s_delay_alu instid0(VALU_DEP_1) | instskip(SKIP_1) | instid1(VALU_DEP_1)
	v_frexp_exp_i32_f64_e32 v4, v[4:5]
	v_frexp_mant_f32_e32 v5, v1
	v_cmp_gt_f32_e32 vcc_lo, 0x3f2aaaab, v5
	s_delay_alu instid0(VALU_DEP_3) | instskip(NEXT) | instid1(VALU_DEP_1)
	v_subrev_co_ci_u32_e64 v10, null, 0, v4, vcc_lo
	v_dual_add_f32 v4, -1.0, v1 :: v_dual_sub_nc_u32 v5, 0, v10
	s_delay_alu instid0(VALU_DEP_1) | instskip(NEXT) | instid1(VALU_DEP_2)
	v_dual_sub_f32 v6, v4, v1 :: v_dual_sub_f32 v4, v3, v4
	v_ldexp_f32 v1, v1, v5
	s_delay_alu instid0(VALU_DEP_1) | instskip(NEXT) | instid1(VALU_DEP_1)
	v_dual_add_f32 v6, 1.0, v6 :: v_dual_add_f32 v7, 1.0, v1
	v_dual_add_f32 v9, -1.0, v1 :: v_dual_add_f32 v4, v4, v6
	v_cmp_neq_f32_e32 vcc_lo, 0x7f800000, v3
	s_delay_alu instid0(VALU_DEP_3) | instskip(NEXT) | instid1(VALU_DEP_3)
	v_add_f32_e32 v6, -1.0, v7
	v_ldexp_f32 v4, v4, v5
	s_delay_alu instid0(VALU_DEP_2) | instskip(NEXT) | instid1(VALU_DEP_1)
	v_dual_sub_f32 v5, v1, v6 :: v_dual_add_f32 v6, 1.0, v9
	v_dual_add_f32 v8, v4, v5 :: v_dual_sub_f32 v1, v1, v6
	s_delay_alu instid0(VALU_DEP_1) | instskip(NEXT) | instid1(VALU_DEP_1)
	v_dual_add_f32 v11, v7, v8 :: v_dual_add_f32 v1, v4, v1
	v_rcp_f32_e32 v12, v11
	s_delay_alu instid0(VALU_DEP_1) | instskip(NEXT) | instid1(VALU_DEP_1)
	v_dual_add_f32 v5, v9, v1 :: v_dual_sub_f32 v4, v7, v11
	v_sub_f32_e32 v15, v9, v5
	s_delay_alu instid0(TRANS32_DEP_1) | instskip(NEXT) | instid1(VALU_DEP_2)
	v_mul_f32_e32 v13, v5, v12
	v_dual_add_f32 v14, v8, v4 :: v_dual_add_f32 v1, v1, v15
	s_delay_alu instid0(VALU_DEP_2) | instskip(NEXT) | instid1(VALU_DEP_1)
	v_mul_f32_e32 v6, v11, v13
	v_fma_f32 v8, v13, v11, -v6
	s_delay_alu instid0(VALU_DEP_1) | instskip(NEXT) | instid1(VALU_DEP_1)
	v_fmac_f32_e32 v8, v13, v14
	v_add_f32_e32 v4, v6, v8
	s_delay_alu instid0(VALU_DEP_1) | instskip(NEXT) | instid1(VALU_DEP_1)
	v_dual_sub_f32 v7, v5, v4 :: v_dual_mov_b32 v9, v4
	v_pk_add_f32 v[4:5], v[4:5], v[6:7] neg_lo:[0,1] neg_hi:[0,1]
	s_delay_alu instid0(VALU_DEP_1) | instskip(NEXT) | instid1(VALU_DEP_1)
	v_pk_add_f32 v[4:5], v[4:5], v[8:9] neg_lo:[0,1] neg_hi:[0,1]
	v_add_f32_e32 v1, v1, v5
	s_delay_alu instid0(VALU_DEP_1) | instskip(NEXT) | instid1(VALU_DEP_1)
	v_add_f32_e32 v1, v4, v1
	v_add_f32_e32 v5, v7, v1
	s_delay_alu instid0(VALU_DEP_1) | instskip(NEXT) | instid1(VALU_DEP_1)
	v_mul_f32_e32 v15, v12, v5
	v_mul_f32_e32 v8, v11, v15
	s_delay_alu instid0(VALU_DEP_1) | instskip(SKIP_1) | instid1(VALU_DEP_1)
	v_fma_f32 v6, v15, v11, -v8
	v_sub_f32_e32 v11, v7, v5
	v_dual_fmac_f32 v6, v15, v14 :: v_dual_add_f32 v1, v1, v11
	s_delay_alu instid0(VALU_DEP_1) | instskip(NEXT) | instid1(VALU_DEP_1)
	v_add_f32_e32 v4, v8, v6
	v_dual_sub_f32 v9, v5, v4 :: v_dual_mov_b32 v7, v4
	s_delay_alu instid0(VALU_DEP_1) | instskip(NEXT) | instid1(VALU_DEP_1)
	v_pk_add_f32 v[4:5], v[4:5], v[8:9] neg_lo:[0,1] neg_hi:[0,1]
	v_pk_add_f32 v[4:5], v[4:5], v[6:7] neg_lo:[0,1] neg_hi:[0,1]
	v_cvt_f32_i32_e32 v6, v10
	s_delay_alu instid0(VALU_DEP_2) | instskip(NEXT) | instid1(VALU_DEP_1)
	v_add_f32_e32 v1, v1, v5
	v_dual_add_f32 v8, v13, v15 :: v_dual_add_f32 v1, v4, v1
	s_delay_alu instid0(VALU_DEP_1) | instskip(NEXT) | instid1(VALU_DEP_1)
	v_sub_f32_e32 v4, v8, v13
	v_dual_add_f32 v1, v9, v1 :: v_dual_sub_f32 v4, v15, v4
	s_delay_alu instid0(VALU_DEP_1) | instskip(NEXT) | instid1(VALU_DEP_1)
	v_mul_f32_e32 v1, v12, v1
	v_dual_add_f32 v1, v4, v1 :: v_dual_mov_b32 v4, 0x3f317218
	s_delay_alu instid0(VALU_DEP_1) | instskip(NEXT) | instid1(VALU_DEP_1)
	v_add_f32_e32 v9, v8, v1
	v_mul_f32_e32 v5, v9, v9
	s_delay_alu instid0(VALU_DEP_1) | instskip(SKIP_1) | instid1(VALU_DEP_2)
	v_fmaak_f32 v11, s24, v5, 0x3ecc95a3
	v_mul_f32_e32 v7, v9, v5
	v_fmaak_f32 v5, v5, v11, 0x3f2aaada
	s_delay_alu instid0(VALU_DEP_1) | instskip(NEXT) | instid1(VALU_DEP_1)
	v_pk_mul_f32 v[4:5], v[6:7], v[4:5]
	v_fma_f32 v10, 0x3f317218, v6, -v4
	s_delay_alu instid0(VALU_DEP_1) | instskip(SKIP_1) | instid1(VALU_DEP_1)
	v_fmamk_f32 v6, v6, 0xb102e308, v10
	v_sub_f32_e32 v10, v9, v8
	v_sub_f32_e32 v1, v1, v10
	v_ldexp_f32 v7, v9, 1
	v_mov_b32_e32 v10, v4
	s_delay_alu instid0(VALU_DEP_3) | instskip(NEXT) | instid1(VALU_DEP_3)
	v_ldexp_f32 v1, v1, 1
	v_pk_add_f32 v[8:9], v[4:5], v[6:7]
	s_delay_alu instid0(VALU_DEP_1) | instskip(NEXT) | instid1(VALU_DEP_1)
	v_dual_sub_f32 v7, v9, v7 :: v_dual_mov_b32 v18, v9
	v_sub_f32_e32 v7, v5, v7
	s_delay_alu instid0(VALU_DEP_3) | instskip(NEXT) | instid1(VALU_DEP_2)
	v_pk_add_f32 v[4:5], v[8:9], v[4:5] neg_lo:[0,1] neg_hi:[0,1]
	v_dual_add_f32 v11, v1, v7 :: v_dual_mov_b32 v7, v8
	s_delay_alu instid0(VALU_DEP_1) | instskip(NEXT) | instid1(VALU_DEP_1)
	v_pk_add_f32 v[12:13], v[8:9], v[10:11]
	v_mov_b32_e32 v5, v13
	s_delay_alu instid0(VALU_DEP_1) | instskip(SKIP_2) | instid1(VALU_DEP_3)
	v_pk_add_f32 v[14:15], v[6:7], v[4:5]
	v_mov_b32_e32 v14, v13
	v_pk_add_f32 v[4:5], v[6:7], v[4:5] neg_lo:[0,1] neg_hi:[0,1]
	v_dual_mov_b32 v10, v15 :: v_dual_mov_b32 v5, v15
	s_delay_alu instid0(VALU_DEP_1) | instskip(SKIP_1) | instid1(VALU_DEP_2)
	v_pk_add_f32 v[16:17], v[10:11], v[8:9] neg_lo:[0,1] neg_hi:[0,1]
	v_dual_mov_b32 v9, v8 :: v_dual_mov_b32 v8, v11
	v_dual_mov_b32 v1, v16 :: v_dual_mov_b32 v19, v16
	s_delay_alu instid0(VALU_DEP_1) | instskip(NEXT) | instid1(VALU_DEP_2)
	v_pk_add_f32 v[12:13], v[12:13], v[0:1] neg_lo:[0,1] neg_hi:[0,1]
	v_pk_add_f32 v[6:7], v[14:15], v[18:19] neg_lo:[0,1] neg_hi:[0,1]
	v_mov_b32_e32 v12, v4
	s_delay_alu instid0(VALU_DEP_2) | instskip(NEXT) | instid1(VALU_DEP_1)
	v_pk_add_f32 v[6:7], v[8:9], v[6:7] neg_lo:[0,1] neg_hi:[0,1]
	v_pk_add_f32 v[8:9], v[12:13], v[6:7]
	s_delay_alu instid0(VALU_DEP_1) | instskip(NEXT) | instid1(VALU_DEP_1)
	v_mov_b32_e32 v12, v9
	v_pk_add_f32 v[12:13], v[8:9], v[12:13]
	s_delay_alu instid0(VALU_DEP_1) | instskip(NEXT) | instid1(VALU_DEP_1)
	v_pk_add_f32 v[10:11], v[10:11], v[12:13]
	v_mov_b32_e32 v9, v10
	s_delay_alu instid0(VALU_DEP_1) | instskip(NEXT) | instid1(VALU_DEP_1)
	v_pk_add_f32 v[14:15], v[8:9], v[4:5] neg_lo:[0,1] neg_hi:[0,1]
	v_sub_f32_e32 v1, v8, v14
	s_delay_alu instid0(VALU_DEP_1) | instskip(SKIP_1) | instid1(VALU_DEP_1)
	v_sub_f32_e32 v1, v4, v1
	v_mov_b32_e32 v7, v12
	v_pk_add_f32 v[6:7], v[6:7], v[14:15] neg_lo:[0,1] neg_hi:[0,1]
	s_delay_alu instid0(VALU_DEP_1) | instskip(NEXT) | instid1(VALU_DEP_1)
	v_add_f32_e32 v1, v6, v1
	v_add_f32_e32 v1, v1, v7
	s_delay_alu instid0(VALU_DEP_1) | instskip(NEXT) | instid1(VALU_DEP_1)
	v_add_f32_e32 v1, v10, v1
	v_cndmask_b32_e32 v1, 0x7f800000, v1, vcc_lo
	v_cmp_gt_f32_e64 vcc_lo, 0x33800000, |v3|
	s_delay_alu instid0(VALU_DEP_2) | instskip(NEXT) | instid1(VALU_DEP_1)
	v_cndmask_b32_e32 v1, v1, v3, vcc_lo
	v_div_scale_f32 v3, null, s14, s14, v1
	s_delay_alu instid0(VALU_DEP_1) | instskip(SKIP_1) | instid1(TRANS32_DEP_1)
	v_rcp_f32_e32 v4, v3
	v_nop
	v_fma_f32 v5, -v3, v4, 1.0
	s_delay_alu instid0(VALU_DEP_1) | instskip(SKIP_1) | instid1(VALU_DEP_1)
	v_fmac_f32_e32 v4, v5, v4
	v_div_scale_f32 v5, vcc_lo, v1, s14, v1
	v_mul_f32_e32 v6, v5, v4
	s_delay_alu instid0(VALU_DEP_1) | instskip(NEXT) | instid1(VALU_DEP_1)
	v_fma_f32 v7, -v3, v6, v5
	v_fmac_f32_e32 v6, v7, v4
	s_delay_alu instid0(VALU_DEP_1) | instskip(NEXT) | instid1(VALU_DEP_1)
	v_fma_f32 v3, -v3, v6, v5
	v_div_fmas_f32 v3, v3, v4, v6
	s_delay_alu instid0(VALU_DEP_1) | instskip(NEXT) | instid1(VALU_DEP_1)
	v_div_fixup_f32 v1, v3, s14, v1
	v_cvt_f16_f32_e32 v3, v1
.LBB23_259:
	s_or_b32 exec_lo, exec_lo, s16
	v_add_nc_u32_e32 v0, 0x80, v0
	global_store_b16 v2, v3, s[0:1]
	s_wait_xcnt 0x0
	s_or_b32 exec_lo, exec_lo, s5
	s_delay_alu instid0(SALU_CYCLE_1)
	s_mov_b32 s5, exec_lo
	v_cmpx_gt_i32_e64 s36, v0
	s_cbranch_execz .LBB23_248
.LBB23_260:
	s_and_not1_b32 vcc_lo, exec_lo, s33
	s_cbranch_vccnz .LBB23_265
; %bb.261:
	s_and_not1_b32 vcc_lo, exec_lo, s38
	s_cbranch_vccnz .LBB23_266
; %bb.262:
	s_add_co_i32 s37, s37, 1
	s_cmp_eq_u32 s31, 2
	s_cbranch_scc1 .LBB23_267
; %bb.263:
	v_dual_mov_b32 v2, 0 :: v_dual_mov_b32 v3, 0
	v_mov_b32_e32 v1, v0
	s_and_b32 s24, s37, 28
	s_mov_b32 s16, 0
	s_mov_b64 s[26:27], s[12:13]
.LBB23_264:                             ; =>This Inner Loop Header: Depth=1
	s_clause 0x1
	s_load_b256 s[40:47], s[26:27], 0x4
	s_load_b128 s[56:59], s[26:27], 0x24
	s_load_b256 s[48:55], s[22:23], 0x0
	s_add_co_i32 s16, s16, 4
	s_wait_xcnt 0x0
	s_add_nc_u64 s[26:27], s[26:27], 48
	s_cmp_eq_u32 s24, s16
	s_add_nc_u64 s[22:23], s[22:23], 32
	s_wait_kmcnt 0x0
	v_mul_hi_u32 v4, s41, v1
	s_delay_alu instid0(VALU_DEP_1) | instskip(NEXT) | instid1(VALU_DEP_1)
	v_add_nc_u32_e32 v4, v1, v4
	v_lshrrev_b32_e32 v4, s42, v4
	s_delay_alu instid0(VALU_DEP_1) | instskip(NEXT) | instid1(VALU_DEP_1)
	v_mul_hi_u32 v5, s44, v4
	v_add_nc_u32_e32 v5, v4, v5
	s_delay_alu instid0(VALU_DEP_1) | instskip(NEXT) | instid1(VALU_DEP_1)
	v_lshrrev_b32_e32 v5, s45, v5
	v_mul_hi_u32 v6, s47, v5
	s_delay_alu instid0(VALU_DEP_1) | instskip(SKIP_1) | instid1(VALU_DEP_1)
	v_add_nc_u32_e32 v6, v5, v6
	v_mul_lo_u32 v7, v4, s40
	v_sub_nc_u32_e32 v1, v1, v7
	v_mul_lo_u32 v7, v5, s43
	s_delay_alu instid0(VALU_DEP_4) | instskip(NEXT) | instid1(VALU_DEP_3)
	v_lshrrev_b32_e32 v6, s56, v6
	v_mad_u32 v3, v1, s49, v3
	v_mad_u32 v1, v1, s48, v2
	s_delay_alu instid0(VALU_DEP_4) | instskip(NEXT) | instid1(VALU_DEP_4)
	v_sub_nc_u32_e32 v2, v4, v7
	v_mul_hi_u32 v8, s58, v6
	v_mul_lo_u32 v4, v6, s46
	s_delay_alu instid0(VALU_DEP_3) | instskip(SKIP_1) | instid1(VALU_DEP_4)
	v_mad_u32 v3, v2, s51, v3
	v_mad_u32 v2, v2, s50, v1
	v_add_nc_u32_e32 v7, v6, v8
	s_delay_alu instid0(VALU_DEP_1) | instskip(NEXT) | instid1(VALU_DEP_1)
	v_dual_sub_nc_u32 v4, v5, v4 :: v_dual_lshrrev_b32 v1, s59, v7
	v_mad_u32 v3, v4, s53, v3
	s_delay_alu instid0(VALU_DEP_4) | instskip(NEXT) | instid1(VALU_DEP_3)
	v_mad_u32 v2, v4, s52, v2
	v_mul_lo_u32 v5, v1, s57
	s_delay_alu instid0(VALU_DEP_1) | instskip(NEXT) | instid1(VALU_DEP_1)
	v_sub_nc_u32_e32 v4, v6, v5
	v_mad_u32 v3, v4, s55, v3
	s_delay_alu instid0(VALU_DEP_4)
	v_mad_u32 v2, v4, s54, v2
	s_cbranch_scc0 .LBB23_264
	s_branch .LBB23_268
.LBB23_265:
                                        ; implicit-def: $vgpr3
	s_branch .LBB23_272
.LBB23_266:
	v_dual_mov_b32 v3, 0 :: v_dual_mov_b32 v2, 0
	s_branch .LBB23_271
.LBB23_267:
	v_mov_b64_e32 v[2:3], 0
	v_mov_b32_e32 v1, v0
	s_mov_b32 s24, 0
.LBB23_268:
	s_and_b32 s16, s37, 3
	s_mov_b32 s25, 0
	s_cmp_eq_u32 s16, 0
	s_cbranch_scc1 .LBB23_271
; %bb.269:
	s_lshl_b32 s22, s24, 3
	s_mov_b32 s23, s25
	s_mul_u64 s[24:25], s[24:25], 12
	s_add_nc_u64 s[22:23], s[12:13], s[22:23]
	s_add_nc_u64 s[24:25], s[12:13], s[24:25]
	;; [unrolled: 1-line block ×3, first 2 shown]
.LBB23_270:                             ; =>This Inner Loop Header: Depth=1
	s_load_b96 s[36:38], s[24:25], 0x4
	s_load_b64 s[26:27], s[22:23], 0x0
	s_add_co_i32 s16, s16, -1
	s_wait_xcnt 0x0
	s_add_nc_u64 s[24:25], s[24:25], 12
	s_cmp_lg_u32 s16, 0
	s_add_nc_u64 s[22:23], s[22:23], 8
	s_wait_kmcnt 0x0
	v_mul_hi_u32 v4, s37, v1
	s_delay_alu instid0(VALU_DEP_1) | instskip(NEXT) | instid1(VALU_DEP_1)
	v_add_nc_u32_e32 v4, v1, v4
	v_lshrrev_b32_e32 v4, s38, v4
	s_delay_alu instid0(VALU_DEP_1) | instskip(NEXT) | instid1(VALU_DEP_1)
	v_mul_lo_u32 v5, v4, s36
	v_sub_nc_u32_e32 v1, v1, v5
	s_delay_alu instid0(VALU_DEP_1)
	v_mad_u32 v3, v1, s27, v3
	v_mad_u32 v2, v1, s26, v2
	v_mov_b32_e32 v1, v4
	s_cbranch_scc1 .LBB23_270
.LBB23_271:
	s_cbranch_execnz .LBB23_274
.LBB23_272:
	v_mov_b32_e32 v1, 0
	s_and_not1_b32 vcc_lo, exec_lo, s35
	s_delay_alu instid0(VALU_DEP_1) | instskip(NEXT) | instid1(VALU_DEP_1)
	v_mul_u64_e32 v[2:3], s[18:19], v[0:1]
	v_add_nc_u32_e32 v2, v0, v3
	s_delay_alu instid0(VALU_DEP_1) | instskip(NEXT) | instid1(VALU_DEP_1)
	v_lshrrev_b32_e32 v4, s6, v2
	v_mul_lo_u32 v2, v4, s4
	s_delay_alu instid0(VALU_DEP_1) | instskip(NEXT) | instid1(VALU_DEP_1)
	v_sub_nc_u32_e32 v0, v0, v2
	v_mul_lo_u32 v3, v0, s9
	v_mul_lo_u32 v2, v0, s8
	s_cbranch_vccnz .LBB23_274
; %bb.273:
	v_mov_b32_e32 v5, v1
	s_delay_alu instid0(VALU_DEP_1) | instskip(NEXT) | instid1(VALU_DEP_1)
	v_mul_u64_e32 v[0:1], s[20:21], v[4:5]
	v_add_nc_u32_e32 v0, v4, v1
	s_delay_alu instid0(VALU_DEP_1) | instskip(NEXT) | instid1(VALU_DEP_1)
	v_lshrrev_b32_e32 v0, s17, v0
	v_mul_lo_u32 v0, v0, s7
	s_delay_alu instid0(VALU_DEP_1) | instskip(NEXT) | instid1(VALU_DEP_1)
	v_sub_nc_u32_e32 v0, v4, v0
	v_mad_u32 v2, v0, s10, v2
	v_mad_u32 v3, v0, s11, v3
.LBB23_274:
	global_load_u16 v1, v3, s[2:3]
	s_wait_xcnt 0x0
	s_mov_b32 s2, exec_lo
	s_wait_loadcnt 0x0
	v_cvt_f32_f16_e32 v0, v1
	s_delay_alu instid0(VALU_DEP_1) | instskip(NEXT) | instid1(VALU_DEP_1)
	v_mul_f32_e32 v0, s14, v0
	v_cmpx_nlt_f32_e32 s15, v0
	s_cbranch_execz .LBB23_276
; %bb.275:
	v_mul_f32_e32 v1, 0x3fb8aa3b, v0
	v_cmp_ngt_f32_e32 vcc_lo, 0xc2ce8ed0, v0
	s_mov_b32 s3, 0x3e9b6dac
	s_delay_alu instid0(VALU_DEP_2) | instskip(SKIP_1) | instid1(VALU_DEP_1)
	v_rndne_f32_e32 v3, v1
	v_fma_f32 v4, 0x3fb8aa3b, v0, -v1
	v_dual_sub_f32 v1, v1, v3 :: v_dual_fmamk_f32 v4, v0, 0x32a5705f, v4
	v_cvt_i32_f32_e32 v3, v3
	s_delay_alu instid0(VALU_DEP_2) | instskip(NEXT) | instid1(VALU_DEP_1)
	v_add_f32_e32 v1, v1, v4
	v_exp_f32_e32 v1, v1
	v_nop
	s_delay_alu instid0(TRANS32_DEP_1) | instskip(NEXT) | instid1(VALU_DEP_1)
	v_ldexp_f32 v1, v1, v3
	v_cndmask_b32_e32 v1, 0, v1, vcc_lo
	v_cmp_nlt_f32_e32 vcc_lo, 0x42b17218, v0
	s_delay_alu instid0(VALU_DEP_2) | instskip(NEXT) | instid1(VALU_DEP_1)
	v_cndmask_b32_e32 v18, 0x7f800000, v1, vcc_lo
	v_add_f32_e32 v3, 1.0, v18
	s_delay_alu instid0(VALU_DEP_1) | instskip(NEXT) | instid1(VALU_DEP_1)
	v_cvt_f64_f32_e32 v[0:1], v3
	v_frexp_exp_i32_f64_e32 v0, v[0:1]
	v_frexp_mant_f32_e32 v1, v3
	s_delay_alu instid0(VALU_DEP_1) | instskip(NEXT) | instid1(VALU_DEP_3)
	v_cmp_gt_f32_e32 vcc_lo, 0x3f2aaaab, v1
	v_subrev_co_ci_u32_e64 v8, null, 0, v0, vcc_lo
	s_delay_alu instid0(VALU_DEP_1) | instskip(SKIP_1) | instid1(VALU_DEP_2)
	v_dual_add_f32 v0, -1.0, v3 :: v_dual_sub_nc_u32 v1, 0, v8
	v_cmp_neq_f32_e32 vcc_lo, 0x7f800000, v18
	v_sub_f32_e32 v4, v0, v3
	s_delay_alu instid0(VALU_DEP_3) | instskip(SKIP_1) | instid1(VALU_DEP_2)
	v_ldexp_f32 v3, v3, v1
	v_sub_f32_e32 v0, v18, v0
	v_dual_add_f32 v4, 1.0, v4 :: v_dual_add_f32 v7, -1.0, v3
	s_delay_alu instid0(VALU_DEP_1) | instskip(NEXT) | instid1(VALU_DEP_1)
	v_dual_add_f32 v5, 1.0, v3 :: v_dual_add_f32 v0, v0, v4
	v_add_f32_e32 v4, -1.0, v5
	s_delay_alu instid0(VALU_DEP_2) | instskip(NEXT) | instid1(VALU_DEP_2)
	v_ldexp_f32 v0, v0, v1
	v_dual_sub_f32 v1, v3, v4 :: v_dual_add_f32 v4, 1.0, v7
	s_delay_alu instid0(VALU_DEP_1) | instskip(NEXT) | instid1(VALU_DEP_1)
	v_dual_add_f32 v6, v0, v1 :: v_dual_sub_f32 v1, v3, v4
	v_dual_add_f32 v3, v5, v6 :: v_dual_add_f32 v9, v0, v1
	s_delay_alu instid0(VALU_DEP_1) | instskip(NEXT) | instid1(VALU_DEP_1)
	v_rcp_f32_e32 v10, v3
	v_dual_add_f32 v1, v7, v9 :: v_dual_sub_f32 v0, v5, v3
	s_delay_alu instid0(TRANS32_DEP_1) | instid1(VALU_DEP_1)
	v_dual_sub_f32 v13, v7, v1 :: v_dual_mul_f32 v11, v1, v10
	s_delay_alu instid0(VALU_DEP_1) | instskip(NEXT) | instid1(VALU_DEP_1)
	v_dual_add_f32 v12, v6, v0 :: v_dual_mul_f32 v4, v3, v11
	v_fma_f32 v6, v11, v3, -v4
	s_delay_alu instid0(VALU_DEP_1) | instskip(NEXT) | instid1(VALU_DEP_1)
	v_fmac_f32_e32 v6, v11, v12
	v_add_f32_e32 v0, v4, v6
	s_delay_alu instid0(VALU_DEP_1) | instskip(NEXT) | instid1(VALU_DEP_1)
	v_dual_sub_f32 v5, v1, v0 :: v_dual_mov_b32 v7, v0
	v_pk_add_f32 v[0:1], v[0:1], v[4:5] neg_lo:[0,1] neg_hi:[0,1]
	v_add_f32_e32 v4, v9, v13
	s_delay_alu instid0(VALU_DEP_2) | instskip(NEXT) | instid1(VALU_DEP_1)
	v_pk_add_f32 v[0:1], v[0:1], v[6:7] neg_lo:[0,1] neg_hi:[0,1]
	v_add_f32_e32 v1, v4, v1
	s_delay_alu instid0(VALU_DEP_1) | instskip(NEXT) | instid1(VALU_DEP_1)
	v_add_f32_e32 v9, v0, v1
	v_add_f32_e32 v1, v5, v9
	s_delay_alu instid0(VALU_DEP_1) | instskip(NEXT) | instid1(VALU_DEP_1)
	v_mul_f32_e32 v13, v10, v1
	v_mul_f32_e32 v6, v3, v13
	s_delay_alu instid0(VALU_DEP_1) | instskip(NEXT) | instid1(VALU_DEP_1)
	v_fma_f32 v4, v13, v3, -v6
	v_fmac_f32_e32 v4, v13, v12
	s_delay_alu instid0(VALU_DEP_1) | instskip(NEXT) | instid1(VALU_DEP_1)
	v_dual_add_f32 v0, v6, v4 :: v_dual_sub_f32 v3, v5, v1
	v_dual_sub_f32 v7, v1, v0 :: v_dual_mov_b32 v5, v0
	s_delay_alu instid0(VALU_DEP_2) | instskip(NEXT) | instid1(VALU_DEP_2)
	v_add_f32_e32 v3, v9, v3
	v_pk_add_f32 v[0:1], v[0:1], v[6:7] neg_lo:[0,1] neg_hi:[0,1]
	s_delay_alu instid0(VALU_DEP_1) | instskip(SKIP_1) | instid1(VALU_DEP_2)
	v_pk_add_f32 v[0:1], v[0:1], v[4:5] neg_lo:[0,1] neg_hi:[0,1]
	v_cvt_f32_i32_e32 v4, v8
	v_add_f32_e32 v1, v3, v1
	s_delay_alu instid0(VALU_DEP_1) | instskip(NEXT) | instid1(VALU_DEP_1)
	v_add_f32_e32 v0, v0, v1
	v_add_f32_e32 v0, v7, v0
	s_delay_alu instid0(VALU_DEP_1) | instskip(NEXT) | instid1(VALU_DEP_1)
	v_dual_mul_f32 v0, v10, v0 :: v_dual_add_f32 v3, v11, v13
	v_sub_f32_e32 v1, v3, v11
	s_delay_alu instid0(VALU_DEP_1) | instskip(NEXT) | instid1(VALU_DEP_1)
	v_sub_f32_e32 v1, v13, v1
	v_dual_add_f32 v9, v1, v0 :: v_dual_mov_b32 v0, 0x3f317218
	s_delay_alu instid0(VALU_DEP_1) | instskip(NEXT) | instid1(VALU_DEP_1)
	v_add_f32_e32 v6, v3, v9
	v_dual_mul_f32 v1, v6, v6 :: v_dual_sub_f32 v3, v6, v3
	s_delay_alu instid0(VALU_DEP_1) | instskip(SKIP_1) | instid1(VALU_DEP_1)
	v_mul_f32_e32 v5, v6, v1
	v_fmaak_f32 v7, s3, v1, 0x3ecc95a3
	v_fmaak_f32 v1, v1, v7, 0x3f2aaada
	s_delay_alu instid0(VALU_DEP_1) | instskip(SKIP_1) | instid1(VALU_DEP_2)
	v_pk_mul_f32 v[0:1], v[4:5], v[0:1]
	v_ldexp_f32 v5, v6, 1
	v_fma_f32 v7, 0x3f317218, v4, -v0
	v_mov_b32_e32 v8, v0
	s_delay_alu instid0(VALU_DEP_2) | instskip(NEXT) | instid1(VALU_DEP_1)
	v_fmamk_f32 v4, v4, 0xb102e308, v7
	v_pk_add_f32 v[6:7], v[0:1], v[4:5]
	s_delay_alu instid0(VALU_DEP_1) | instskip(NEXT) | instid1(VALU_DEP_1)
	v_dual_sub_f32 v3, v9, v3 :: v_dual_sub_f32 v5, v7, v5
	v_ldexp_f32 v3, v3, 1
	s_delay_alu instid0(VALU_DEP_2) | instskip(NEXT) | instid1(VALU_DEP_4)
	v_dual_mov_b32 v16, v7 :: v_dual_sub_f32 v5, v1, v5
	v_pk_add_f32 v[0:1], v[6:7], v[0:1] neg_lo:[0,1] neg_hi:[0,1]
	s_delay_alu instid0(VALU_DEP_2) | instskip(NEXT) | instid1(VALU_DEP_1)
	v_dual_add_f32 v9, v3, v5 :: v_dual_mov_b32 v5, v6
	v_pk_add_f32 v[10:11], v[6:7], v[8:9]
	s_delay_alu instid0(VALU_DEP_1) | instskip(NEXT) | instid1(VALU_DEP_1)
	v_mov_b32_e32 v1, v11
	v_pk_add_f32 v[12:13], v[4:5], v[0:1]
	v_mov_b32_e32 v12, v11
	v_pk_add_f32 v[0:1], v[4:5], v[0:1] neg_lo:[0,1] neg_hi:[0,1]
	s_delay_alu instid0(VALU_DEP_3) | instskip(NEXT) | instid1(VALU_DEP_1)
	v_dual_mov_b32 v8, v13 :: v_dual_mov_b32 v1, v13
	v_pk_add_f32 v[14:15], v[8:9], v[6:7] neg_lo:[0,1] neg_hi:[0,1]
	v_dual_mov_b32 v7, v6 :: v_dual_mov_b32 v6, v9
	s_delay_alu instid0(VALU_DEP_2) | instskip(NEXT) | instid1(VALU_DEP_1)
	v_dual_mov_b32 v3, v14 :: v_dual_mov_b32 v17, v14
	v_pk_add_f32 v[10:11], v[10:11], v[2:3] neg_lo:[0,1] neg_hi:[0,1]
	s_delay_alu instid0(VALU_DEP_2) | instskip(SKIP_1) | instid1(VALU_DEP_2)
	v_pk_add_f32 v[4:5], v[12:13], v[16:17] neg_lo:[0,1] neg_hi:[0,1]
	v_mov_b32_e32 v10, v0
	v_pk_add_f32 v[4:5], v[6:7], v[4:5] neg_lo:[0,1] neg_hi:[0,1]
	s_delay_alu instid0(VALU_DEP_1) | instskip(NEXT) | instid1(VALU_DEP_1)
	v_pk_add_f32 v[6:7], v[10:11], v[4:5]
	v_mov_b32_e32 v10, v7
	s_delay_alu instid0(VALU_DEP_1) | instskip(NEXT) | instid1(VALU_DEP_1)
	v_pk_add_f32 v[10:11], v[6:7], v[10:11]
	v_pk_add_f32 v[8:9], v[8:9], v[10:11]
	s_delay_alu instid0(VALU_DEP_1) | instskip(NEXT) | instid1(VALU_DEP_1)
	v_mov_b32_e32 v7, v8
	v_pk_add_f32 v[12:13], v[6:7], v[0:1] neg_lo:[0,1] neg_hi:[0,1]
	s_delay_alu instid0(VALU_DEP_1) | instskip(NEXT) | instid1(VALU_DEP_1)
	v_sub_f32_e32 v1, v6, v12
	v_dual_mov_b32 v5, v10 :: v_dual_sub_f32 v0, v0, v1
	s_delay_alu instid0(VALU_DEP_1) | instskip(NEXT) | instid1(VALU_DEP_1)
	v_pk_add_f32 v[4:5], v[4:5], v[12:13] neg_lo:[0,1] neg_hi:[0,1]
	v_add_f32_e32 v0, v4, v0
	s_delay_alu instid0(VALU_DEP_1) | instskip(NEXT) | instid1(VALU_DEP_1)
	v_add_f32_e32 v0, v0, v5
	v_add_f32_e32 v0, v8, v0
	s_delay_alu instid0(VALU_DEP_1) | instskip(SKIP_1) | instid1(VALU_DEP_2)
	v_cndmask_b32_e32 v0, 0x7f800000, v0, vcc_lo
	v_cmp_gt_f32_e64 vcc_lo, 0x33800000, |v18|
	v_cndmask_b32_e32 v0, v0, v18, vcc_lo
	s_delay_alu instid0(VALU_DEP_1) | instskip(NEXT) | instid1(VALU_DEP_1)
	v_div_scale_f32 v1, null, s14, s14, v0
	v_rcp_f32_e32 v3, v1
	v_nop
	s_delay_alu instid0(TRANS32_DEP_1) | instskip(NEXT) | instid1(VALU_DEP_1)
	v_fma_f32 v4, -v1, v3, 1.0
	v_fmac_f32_e32 v3, v4, v3
	v_div_scale_f32 v4, vcc_lo, v0, s14, v0
	s_delay_alu instid0(VALU_DEP_1) | instskip(NEXT) | instid1(VALU_DEP_1)
	v_mul_f32_e32 v5, v4, v3
	v_fma_f32 v6, -v1, v5, v4
	s_delay_alu instid0(VALU_DEP_1) | instskip(NEXT) | instid1(VALU_DEP_1)
	v_fmac_f32_e32 v5, v6, v3
	v_fma_f32 v1, -v1, v5, v4
	s_delay_alu instid0(VALU_DEP_1) | instskip(NEXT) | instid1(VALU_DEP_1)
	v_div_fmas_f32 v1, v1, v3, v5
	v_div_fixup_f32 v0, v1, s14, v0
	s_delay_alu instid0(VALU_DEP_1)
	v_cvt_f16_f32_e32 v1, v0
.LBB23_276:
	s_or_b32 exec_lo, exec_lo, s2
	global_store_b16 v2, v1, s[0:1]
	s_wait_xcnt 0x0
	s_or_b32 exec_lo, exec_lo, s5
                                        ; implicit-def: $vgpr16
                                        ; implicit-def: $vgpr0
	s_and_not1_saveexec_b32 s0, s34
	s_cbranch_execz .LBB23_249
	s_branch .LBB23_8
	.section	.rodata,"a",@progbits
	.p2align	6, 0x0
	.amdhsa_kernel _ZN2at6native32elementwise_kernel_manual_unrollILi128ELi8EZNS0_22gpu_kernel_impl_nocastIZZZNS0_12_GLOBAL__N_115softplus_kernelERNS_18TensorIteratorBaseERKN3c106ScalarES9_ENKUlvE_clEvENKUlvE1_clEvEUlNS6_4HalfEE_EEvS5_RKT_EUlibE_EEviT1_
		.amdhsa_group_segment_fixed_size 0
		.amdhsa_private_segment_fixed_size 0
		.amdhsa_kernarg_size 360
		.amdhsa_user_sgpr_count 2
		.amdhsa_user_sgpr_dispatch_ptr 0
		.amdhsa_user_sgpr_queue_ptr 0
		.amdhsa_user_sgpr_kernarg_segment_ptr 1
		.amdhsa_user_sgpr_dispatch_id 0
		.amdhsa_user_sgpr_kernarg_preload_length 0
		.amdhsa_user_sgpr_kernarg_preload_offset 0
		.amdhsa_user_sgpr_private_segment_size 0
		.amdhsa_wavefront_size32 1
		.amdhsa_uses_dynamic_stack 0
		.amdhsa_enable_private_segment 0
		.amdhsa_system_sgpr_workgroup_id_x 1
		.amdhsa_system_sgpr_workgroup_id_y 0
		.amdhsa_system_sgpr_workgroup_id_z 0
		.amdhsa_system_sgpr_workgroup_info 0
		.amdhsa_system_vgpr_workitem_id 0
		.amdhsa_next_free_vgpr 33
		.amdhsa_next_free_sgpr 60
		.amdhsa_named_barrier_count 0
		.amdhsa_reserve_vcc 1
		.amdhsa_float_round_mode_32 0
		.amdhsa_float_round_mode_16_64 0
		.amdhsa_float_denorm_mode_32 3
		.amdhsa_float_denorm_mode_16_64 3
		.amdhsa_fp16_overflow 0
		.amdhsa_memory_ordered 1
		.amdhsa_forward_progress 1
		.amdhsa_inst_pref_size 227
		.amdhsa_round_robin_scheduling 0
		.amdhsa_exception_fp_ieee_invalid_op 0
		.amdhsa_exception_fp_denorm_src 0
		.amdhsa_exception_fp_ieee_div_zero 0
		.amdhsa_exception_fp_ieee_overflow 0
		.amdhsa_exception_fp_ieee_underflow 0
		.amdhsa_exception_fp_ieee_inexact 0
		.amdhsa_exception_int_div_zero 0
	.end_amdhsa_kernel
	.section	.text._ZN2at6native32elementwise_kernel_manual_unrollILi128ELi8EZNS0_22gpu_kernel_impl_nocastIZZZNS0_12_GLOBAL__N_115softplus_kernelERNS_18TensorIteratorBaseERKN3c106ScalarES9_ENKUlvE_clEvENKUlvE1_clEvEUlNS6_4HalfEE_EEvS5_RKT_EUlibE_EEviT1_,"axG",@progbits,_ZN2at6native32elementwise_kernel_manual_unrollILi128ELi8EZNS0_22gpu_kernel_impl_nocastIZZZNS0_12_GLOBAL__N_115softplus_kernelERNS_18TensorIteratorBaseERKN3c106ScalarES9_ENKUlvE_clEvENKUlvE1_clEvEUlNS6_4HalfEE_EEvS5_RKT_EUlibE_EEviT1_,comdat
.Lfunc_end23:
	.size	_ZN2at6native32elementwise_kernel_manual_unrollILi128ELi8EZNS0_22gpu_kernel_impl_nocastIZZZNS0_12_GLOBAL__N_115softplus_kernelERNS_18TensorIteratorBaseERKN3c106ScalarES9_ENKUlvE_clEvENKUlvE1_clEvEUlNS6_4HalfEE_EEvS5_RKT_EUlibE_EEviT1_, .Lfunc_end23-_ZN2at6native32elementwise_kernel_manual_unrollILi128ELi8EZNS0_22gpu_kernel_impl_nocastIZZZNS0_12_GLOBAL__N_115softplus_kernelERNS_18TensorIteratorBaseERKN3c106ScalarES9_ENKUlvE_clEvENKUlvE1_clEvEUlNS6_4HalfEE_EEvS5_RKT_EUlibE_EEviT1_
                                        ; -- End function
	.set _ZN2at6native32elementwise_kernel_manual_unrollILi128ELi8EZNS0_22gpu_kernel_impl_nocastIZZZNS0_12_GLOBAL__N_115softplus_kernelERNS_18TensorIteratorBaseERKN3c106ScalarES9_ENKUlvE_clEvENKUlvE1_clEvEUlNS6_4HalfEE_EEvS5_RKT_EUlibE_EEviT1_.num_vgpr, 33
	.set _ZN2at6native32elementwise_kernel_manual_unrollILi128ELi8EZNS0_22gpu_kernel_impl_nocastIZZZNS0_12_GLOBAL__N_115softplus_kernelERNS_18TensorIteratorBaseERKN3c106ScalarES9_ENKUlvE_clEvENKUlvE1_clEvEUlNS6_4HalfEE_EEvS5_RKT_EUlibE_EEviT1_.num_agpr, 0
	.set _ZN2at6native32elementwise_kernel_manual_unrollILi128ELi8EZNS0_22gpu_kernel_impl_nocastIZZZNS0_12_GLOBAL__N_115softplus_kernelERNS_18TensorIteratorBaseERKN3c106ScalarES9_ENKUlvE_clEvENKUlvE1_clEvEUlNS6_4HalfEE_EEvS5_RKT_EUlibE_EEviT1_.numbered_sgpr, 60
	.set _ZN2at6native32elementwise_kernel_manual_unrollILi128ELi8EZNS0_22gpu_kernel_impl_nocastIZZZNS0_12_GLOBAL__N_115softplus_kernelERNS_18TensorIteratorBaseERKN3c106ScalarES9_ENKUlvE_clEvENKUlvE1_clEvEUlNS6_4HalfEE_EEvS5_RKT_EUlibE_EEviT1_.num_named_barrier, 0
	.set _ZN2at6native32elementwise_kernel_manual_unrollILi128ELi8EZNS0_22gpu_kernel_impl_nocastIZZZNS0_12_GLOBAL__N_115softplus_kernelERNS_18TensorIteratorBaseERKN3c106ScalarES9_ENKUlvE_clEvENKUlvE1_clEvEUlNS6_4HalfEE_EEvS5_RKT_EUlibE_EEviT1_.private_seg_size, 0
	.set _ZN2at6native32elementwise_kernel_manual_unrollILi128ELi8EZNS0_22gpu_kernel_impl_nocastIZZZNS0_12_GLOBAL__N_115softplus_kernelERNS_18TensorIteratorBaseERKN3c106ScalarES9_ENKUlvE_clEvENKUlvE1_clEvEUlNS6_4HalfEE_EEvS5_RKT_EUlibE_EEviT1_.uses_vcc, 1
	.set _ZN2at6native32elementwise_kernel_manual_unrollILi128ELi8EZNS0_22gpu_kernel_impl_nocastIZZZNS0_12_GLOBAL__N_115softplus_kernelERNS_18TensorIteratorBaseERKN3c106ScalarES9_ENKUlvE_clEvENKUlvE1_clEvEUlNS6_4HalfEE_EEvS5_RKT_EUlibE_EEviT1_.uses_flat_scratch, 0
	.set _ZN2at6native32elementwise_kernel_manual_unrollILi128ELi8EZNS0_22gpu_kernel_impl_nocastIZZZNS0_12_GLOBAL__N_115softplus_kernelERNS_18TensorIteratorBaseERKN3c106ScalarES9_ENKUlvE_clEvENKUlvE1_clEvEUlNS6_4HalfEE_EEvS5_RKT_EUlibE_EEviT1_.has_dyn_sized_stack, 0
	.set _ZN2at6native32elementwise_kernel_manual_unrollILi128ELi8EZNS0_22gpu_kernel_impl_nocastIZZZNS0_12_GLOBAL__N_115softplus_kernelERNS_18TensorIteratorBaseERKN3c106ScalarES9_ENKUlvE_clEvENKUlvE1_clEvEUlNS6_4HalfEE_EEvS5_RKT_EUlibE_EEviT1_.has_recursion, 0
	.set _ZN2at6native32elementwise_kernel_manual_unrollILi128ELi8EZNS0_22gpu_kernel_impl_nocastIZZZNS0_12_GLOBAL__N_115softplus_kernelERNS_18TensorIteratorBaseERKN3c106ScalarES9_ENKUlvE_clEvENKUlvE1_clEvEUlNS6_4HalfEE_EEvS5_RKT_EUlibE_EEviT1_.has_indirect_call, 0
	.section	.AMDGPU.csdata,"",@progbits
; Kernel info:
; codeLenInByte = 28940
; TotalNumSgprs: 62
; NumVgprs: 33
; ScratchSize: 0
; MemoryBound: 0
; FloatMode: 240
; IeeeMode: 1
; LDSByteSize: 0 bytes/workgroup (compile time only)
; SGPRBlocks: 0
; VGPRBlocks: 2
; NumSGPRsForWavesPerEU: 62
; NumVGPRsForWavesPerEU: 33
; NamedBarCnt: 0
; Occupancy: 16
; WaveLimiterHint : 1
; COMPUTE_PGM_RSRC2:SCRATCH_EN: 0
; COMPUTE_PGM_RSRC2:USER_SGPR: 2
; COMPUTE_PGM_RSRC2:TRAP_HANDLER: 0
; COMPUTE_PGM_RSRC2:TGID_X_EN: 1
; COMPUTE_PGM_RSRC2:TGID_Y_EN: 0
; COMPUTE_PGM_RSRC2:TGID_Z_EN: 0
; COMPUTE_PGM_RSRC2:TIDIG_COMP_CNT: 0
	.section	.text._ZN2at6native32elementwise_kernel_manual_unrollILi128ELi4EZNS0_15gpu_kernel_implIZZZNS0_12_GLOBAL__N_115softplus_kernelERNS_18TensorIteratorBaseERKN3c106ScalarES9_ENKUlvE_clEvENKUlvE1_clEvEUlNS6_4HalfEE_EEvS5_RKT_EUlibE_EEviT1_,"axG",@progbits,_ZN2at6native32elementwise_kernel_manual_unrollILi128ELi4EZNS0_15gpu_kernel_implIZZZNS0_12_GLOBAL__N_115softplus_kernelERNS_18TensorIteratorBaseERKN3c106ScalarES9_ENKUlvE_clEvENKUlvE1_clEvEUlNS6_4HalfEE_EEvS5_RKT_EUlibE_EEviT1_,comdat
	.globl	_ZN2at6native32elementwise_kernel_manual_unrollILi128ELi4EZNS0_15gpu_kernel_implIZZZNS0_12_GLOBAL__N_115softplus_kernelERNS_18TensorIteratorBaseERKN3c106ScalarES9_ENKUlvE_clEvENKUlvE1_clEvEUlNS6_4HalfEE_EEvS5_RKT_EUlibE_EEviT1_ ; -- Begin function _ZN2at6native32elementwise_kernel_manual_unrollILi128ELi4EZNS0_15gpu_kernel_implIZZZNS0_12_GLOBAL__N_115softplus_kernelERNS_18TensorIteratorBaseERKN3c106ScalarES9_ENKUlvE_clEvENKUlvE1_clEvEUlNS6_4HalfEE_EEvS5_RKT_EUlibE_EEviT1_
	.p2align	8
	.type	_ZN2at6native32elementwise_kernel_manual_unrollILi128ELi4EZNS0_15gpu_kernel_implIZZZNS0_12_GLOBAL__N_115softplus_kernelERNS_18TensorIteratorBaseERKN3c106ScalarES9_ENKUlvE_clEvENKUlvE1_clEvEUlNS6_4HalfEE_EEvS5_RKT_EUlibE_EEviT1_,@function
_ZN2at6native32elementwise_kernel_manual_unrollILi128ELi4EZNS0_15gpu_kernel_implIZZZNS0_12_GLOBAL__N_115softplus_kernelERNS_18TensorIteratorBaseERKN3c106ScalarES9_ENKUlvE_clEvENKUlvE1_clEvEUlNS6_4HalfEE_EEvS5_RKT_EUlibE_EEviT1_: ; @_ZN2at6native32elementwise_kernel_manual_unrollILi128ELi4EZNS0_15gpu_kernel_implIZZZNS0_12_GLOBAL__N_115softplus_kernelERNS_18TensorIteratorBaseERKN3c106ScalarES9_ENKUlvE_clEvENKUlvE1_clEvEUlNS6_4HalfEE_EEvS5_RKT_EUlibE_EEviT1_
; %bb.0:
	s_load_b32 s2, s[0:1], 0x28
	s_bfe_u32 s3, ttmp6, 0x4000c
	s_clause 0x1
	s_load_b32 s14, s[0:1], 0x0
	s_load_b256 s[4:11], s[0:1], 0x8
	s_add_co_i32 s3, s3, 1
	s_and_b32 s12, ttmp6, 15
	s_wait_xcnt 0x0
	s_mul_i32 s0, ttmp9, s3
	s_getreg_b32 s13, hwreg(HW_REG_IB_STS2, 6, 4)
	s_add_co_i32 s12, s12, s0
	s_mov_b32 s1, 0
	s_wait_kmcnt 0x0
	s_bfe_u32 s3, s2, 0x80008
	s_cmp_eq_u32 s13, 0
	s_mov_b32 s13, 0
	s_cselect_b32 s0, ttmp9, s12
	s_delay_alu instid0(SALU_CYCLE_1) | instskip(SKIP_1) | instid1(VALU_DEP_1)
	v_lshl_or_b32 v4, s0, 9, v0
	s_mov_b32 s0, exec_lo
	v_or_b32_e32 v0, 0x180, v4
	s_delay_alu instid0(VALU_DEP_1)
	v_cmpx_le_i32_e64 s14, v0
	s_xor_b32 s12, exec_lo, s0
	s_cbranch_execz .LBB24_1039
; %bb.1:
	s_mov_b32 s19, -1
	s_mov_b32 s17, 0
	s_mov_b32 s15, 0
	s_mov_b32 s16, exec_lo
	v_cmpx_gt_i32_e64 s14, v4
	s_cbranch_execz .LBB24_254
; %bb.2:
	v_mul_lo_u32 v0, v4, s9
	s_and_b32 s0, 0xffff, s3
	s_delay_alu instid0(SALU_CYCLE_1) | instskip(NEXT) | instid1(VALU_DEP_1)
	s_cmp_lt_i32 s0, 11
	v_ashrrev_i32_e32 v1, 31, v0
	s_delay_alu instid0(VALU_DEP_1)
	v_add_nc_u64_e32 v[0:1], s[6:7], v[0:1]
	s_cbranch_scc1 .LBB24_9
; %bb.3:
	s_cmp_gt_i32 s0, 25
	s_cbranch_scc0 .LBB24_20
; %bb.4:
	s_cmp_gt_i32 s0, 28
	s_cbranch_scc0 .LBB24_23
	;; [unrolled: 3-line block ×4, first 2 shown]
; %bb.7:
	s_cmp_eq_u32 s0, 46
	s_mov_b32 s18, 0
	s_cbranch_scc0 .LBB24_29
; %bb.8:
	global_load_b32 v2, v[0:1], off
	s_mov_b32 s13, -1
	s_wait_loadcnt 0x0
	v_lshlrev_b32_e32 v2, 16, v2
	s_delay_alu instid0(VALU_DEP_1)
	v_cvt_f16_f32_e32 v2, v2
	s_branch .LBB24_31
.LBB24_9:
                                        ; implicit-def: $vgpr2
	s_cbranch_execnz .LBB24_204
.LBB24_10:
	s_and_not1_b32 vcc_lo, exec_lo, s13
	s_cbranch_vccnz .LBB24_251
.LBB24_11:
	s_wait_loadcnt 0x0
	s_delay_alu instid0(VALU_DEP_1) | instskip(SKIP_1) | instid1(VALU_DEP_1)
	v_cvt_f32_f16_e32 v0, v2
	s_mov_b32 s0, exec_lo
	v_mul_f32_e32 v0, s10, v0
	s_delay_alu instid0(VALU_DEP_1)
	v_cmpx_nlt_f32_e32 s11, v0
	s_cbranch_execz .LBB24_13
; %bb.12:
	v_mul_f32_e32 v1, 0x3fb8aa3b, v0
	v_cmp_ngt_f32_e32 vcc_lo, 0xc2ce8ed0, v0
	s_mov_b32 s13, 0x3e9b6dac
	s_delay_alu instid0(VALU_DEP_2) | instskip(SKIP_1) | instid1(VALU_DEP_2)
	v_rndne_f32_e32 v2, v1
	v_fma_f32 v3, 0x3fb8aa3b, v0, -v1
	v_sub_f32_e32 v1, v1, v2
	s_delay_alu instid0(VALU_DEP_2) | instskip(SKIP_1) | instid1(VALU_DEP_2)
	v_fmamk_f32 v3, v0, 0x32a5705f, v3
	v_cvt_i32_f32_e32 v2, v2
	v_add_f32_e32 v1, v1, v3
	s_delay_alu instid0(VALU_DEP_1) | instskip(SKIP_1) | instid1(TRANS32_DEP_1)
	v_exp_f32_e32 v1, v1
	v_nop
	v_ldexp_f32 v1, v1, v2
	s_delay_alu instid0(VALU_DEP_1) | instskip(SKIP_1) | instid1(VALU_DEP_2)
	v_cndmask_b32_e32 v1, 0, v1, vcc_lo
	v_cmp_nlt_f32_e32 vcc_lo, 0x42b17218, v0
	v_cndmask_b32_e32 v18, 0x7f800000, v1, vcc_lo
	s_delay_alu instid0(VALU_DEP_1) | instskip(NEXT) | instid1(VALU_DEP_1)
	v_add_f32_e32 v2, 1.0, v18
	v_cvt_f64_f32_e32 v[0:1], v2
	s_delay_alu instid0(VALU_DEP_1) | instskip(SKIP_1) | instid1(VALU_DEP_1)
	v_frexp_exp_i32_f64_e32 v0, v[0:1]
	v_frexp_mant_f32_e32 v1, v2
	v_cmp_gt_f32_e32 vcc_lo, 0x3f2aaaab, v1
	s_delay_alu instid0(VALU_DEP_3) | instskip(NEXT) | instid1(VALU_DEP_1)
	v_subrev_co_ci_u32_e64 v5, null, 0, v0, vcc_lo
	v_dual_add_f32 v0, -1.0, v2 :: v_dual_sub_nc_u32 v1, 0, v5
	s_delay_alu instid0(VALU_DEP_1) | instskip(NEXT) | instid1(VALU_DEP_2)
	v_dual_sub_f32 v3, v0, v2 :: v_dual_sub_f32 v0, v18, v0
	v_ldexp_f32 v2, v2, v1
	s_delay_alu instid0(VALU_DEP_1) | instskip(NEXT) | instid1(VALU_DEP_1)
	v_dual_add_f32 v3, 1.0, v3 :: v_dual_add_f32 v6, 1.0, v2
	v_dual_add_f32 v7, -1.0, v2 :: v_dual_add_f32 v0, v0, v3
	s_delay_alu instid0(VALU_DEP_2) | instskip(SKIP_1) | instid1(VALU_DEP_3)
	v_add_f32_e32 v3, -1.0, v6
	v_cmp_neq_f32_e32 vcc_lo, 0x7f800000, v18
	v_ldexp_f32 v0, v0, v1
	s_delay_alu instid0(VALU_DEP_3) | instskip(NEXT) | instid1(VALU_DEP_1)
	v_sub_f32_e32 v1, v2, v3
	v_dual_add_f32 v3, 1.0, v7 :: v_dual_add_f32 v8, v0, v1
	s_delay_alu instid0(VALU_DEP_1) | instskip(NEXT) | instid1(VALU_DEP_1)
	v_sub_f32_e32 v1, v2, v3
	v_dual_add_f32 v9, v6, v8 :: v_dual_add_f32 v10, v0, v1
	s_delay_alu instid0(VALU_DEP_1) | instskip(NEXT) | instid1(VALU_DEP_1)
	v_rcp_f32_e32 v11, v9
	v_dual_add_f32 v1, v7, v10 :: v_dual_sub_f32 v0, v6, v9
	s_delay_alu instid0(TRANS32_DEP_1) | instid1(VALU_DEP_1)
	v_dual_sub_f32 v13, v7, v1 :: v_dual_mul_f32 v12, v1, v11
	s_delay_alu instid0(VALU_DEP_2) | instskip(NEXT) | instid1(VALU_DEP_2)
	v_add_f32_e32 v8, v8, v0
	v_mul_f32_e32 v2, v9, v12
	s_delay_alu instid0(VALU_DEP_1) | instskip(NEXT) | instid1(VALU_DEP_1)
	v_fma_f32 v6, v12, v9, -v2
	v_fmac_f32_e32 v6, v12, v8
	s_delay_alu instid0(VALU_DEP_1) | instskip(NEXT) | instid1(VALU_DEP_1)
	v_add_f32_e32 v0, v2, v6
	v_dual_sub_f32 v3, v1, v0 :: v_dual_mov_b32 v7, v0
	s_delay_alu instid0(VALU_DEP_1) | instskip(SKIP_1) | instid1(VALU_DEP_2)
	v_pk_add_f32 v[0:1], v[0:1], v[2:3] neg_lo:[0,1] neg_hi:[0,1]
	v_add_f32_e32 v2, v10, v13
	v_pk_add_f32 v[0:1], v[0:1], v[6:7] neg_lo:[0,1] neg_hi:[0,1]
	s_delay_alu instid0(VALU_DEP_1) | instskip(NEXT) | instid1(VALU_DEP_1)
	v_add_f32_e32 v1, v2, v1
	v_add_f32_e32 v10, v0, v1
	s_delay_alu instid0(VALU_DEP_1) | instskip(NEXT) | instid1(VALU_DEP_1)
	v_add_f32_e32 v1, v3, v10
	v_mul_f32_e32 v13, v11, v1
	s_delay_alu instid0(VALU_DEP_1) | instskip(NEXT) | instid1(VALU_DEP_1)
	v_mul_f32_e32 v6, v9, v13
	v_fma_f32 v2, v13, v9, -v6
	s_delay_alu instid0(VALU_DEP_1) | instskip(NEXT) | instid1(VALU_DEP_1)
	v_dual_fmac_f32 v2, v13, v8 :: v_dual_sub_f32 v8, v3, v1
	v_add_f32_e32 v0, v6, v2
	s_delay_alu instid0(VALU_DEP_1) | instskip(NEXT) | instid1(VALU_DEP_1)
	v_dual_sub_f32 v7, v1, v0 :: v_dual_mov_b32 v3, v0
	v_pk_add_f32 v[0:1], v[0:1], v[6:7] neg_lo:[0,1] neg_hi:[0,1]
	s_delay_alu instid0(VALU_DEP_1) | instskip(SKIP_2) | instid1(VALU_DEP_2)
	v_pk_add_f32 v[0:1], v[0:1], v[2:3] neg_lo:[0,1] neg_hi:[0,1]
	v_add_f32_e32 v6, v10, v8
	v_cvt_f32_i32_e32 v2, v5
	v_add_f32_e32 v1, v6, v1
	s_delay_alu instid0(VALU_DEP_1) | instskip(NEXT) | instid1(VALU_DEP_1)
	v_add_f32_e32 v0, v0, v1
	v_dual_add_f32 v6, v12, v13 :: v_dual_add_f32 v0, v7, v0
	s_delay_alu instid0(VALU_DEP_1) | instskip(NEXT) | instid1(VALU_DEP_1)
	v_sub_f32_e32 v1, v6, v12
	v_dual_mul_f32 v0, v11, v0 :: v_dual_sub_f32 v1, v13, v1
	s_delay_alu instid0(VALU_DEP_1) | instskip(NEXT) | instid1(VALU_DEP_1)
	v_add_f32_e32 v8, v1, v0
	v_dual_mov_b32 v0, 0x3f317218 :: v_dual_add_f32 v7, v6, v8
	s_delay_alu instid0(VALU_DEP_1) | instskip(NEXT) | instid1(VALU_DEP_1)
	v_mul_f32_e32 v1, v7, v7
	v_fmaak_f32 v9, s13, v1, 0x3ecc95a3
	v_mul_f32_e32 v3, v7, v1
	s_delay_alu instid0(VALU_DEP_2) | instskip(NEXT) | instid1(VALU_DEP_1)
	v_fmaak_f32 v1, v1, v9, 0x3f2aaada
	v_pk_mul_f32 v[0:1], v[2:3], v[0:1]
	s_delay_alu instid0(VALU_DEP_1) | instskip(NEXT) | instid1(VALU_DEP_1)
	v_fma_f32 v5, 0x3f317218, v2, -v0
	v_dual_fmamk_f32 v2, v2, 0xb102e308, v5 :: v_dual_sub_f32 v5, v7, v6
	s_delay_alu instid0(VALU_DEP_1) | instskip(SKIP_2) | instid1(VALU_DEP_3)
	v_sub_f32_e32 v5, v8, v5
	v_ldexp_f32 v3, v7, 1
	v_mov_b32_e32 v8, v0
	v_ldexp_f32 v5, v5, 1
	s_delay_alu instid0(VALU_DEP_3) | instskip(NEXT) | instid1(VALU_DEP_1)
	v_pk_add_f32 v[6:7], v[0:1], v[2:3]
	v_dual_sub_f32 v3, v7, v3 :: v_dual_mov_b32 v16, v7
	s_delay_alu instid0(VALU_DEP_1) | instskip(NEXT) | instid1(VALU_DEP_3)
	v_sub_f32_e32 v3, v1, v3
	v_pk_add_f32 v[0:1], v[6:7], v[0:1] neg_lo:[0,1] neg_hi:[0,1]
	s_delay_alu instid0(VALU_DEP_2) | instskip(NEXT) | instid1(VALU_DEP_1)
	v_dual_add_f32 v9, v5, v3 :: v_dual_mov_b32 v3, v6
	v_pk_add_f32 v[10:11], v[6:7], v[8:9]
	s_delay_alu instid0(VALU_DEP_1) | instskip(NEXT) | instid1(VALU_DEP_1)
	v_mov_b32_e32 v1, v11
	v_pk_add_f32 v[12:13], v[2:3], v[0:1]
	v_mov_b32_e32 v12, v11
	v_pk_add_f32 v[0:1], v[2:3], v[0:1] neg_lo:[0,1] neg_hi:[0,1]
	s_delay_alu instid0(VALU_DEP_3) | instskip(NEXT) | instid1(VALU_DEP_1)
	v_dual_mov_b32 v8, v13 :: v_dual_mov_b32 v1, v13
	v_pk_add_f32 v[14:15], v[8:9], v[6:7] neg_lo:[0,1] neg_hi:[0,1]
	v_dual_mov_b32 v7, v6 :: v_dual_mov_b32 v6, v9
	s_delay_alu instid0(VALU_DEP_2) | instskip(NEXT) | instid1(VALU_DEP_1)
	v_dual_mov_b32 v5, v14 :: v_dual_mov_b32 v17, v14
	v_pk_add_f32 v[10:11], v[10:11], v[4:5] neg_lo:[0,1] neg_hi:[0,1]
	s_delay_alu instid0(VALU_DEP_2) | instskip(SKIP_1) | instid1(VALU_DEP_2)
	v_pk_add_f32 v[2:3], v[12:13], v[16:17] neg_lo:[0,1] neg_hi:[0,1]
	v_mov_b32_e32 v10, v0
	v_pk_add_f32 v[2:3], v[6:7], v[2:3] neg_lo:[0,1] neg_hi:[0,1]
	s_delay_alu instid0(VALU_DEP_1) | instskip(NEXT) | instid1(VALU_DEP_1)
	v_pk_add_f32 v[6:7], v[10:11], v[2:3]
	v_mov_b32_e32 v10, v7
	s_delay_alu instid0(VALU_DEP_1) | instskip(NEXT) | instid1(VALU_DEP_1)
	v_pk_add_f32 v[10:11], v[6:7], v[10:11]
	v_pk_add_f32 v[8:9], v[8:9], v[10:11]
	s_delay_alu instid0(VALU_DEP_1) | instskip(NEXT) | instid1(VALU_DEP_1)
	v_mov_b32_e32 v7, v8
	v_pk_add_f32 v[12:13], v[6:7], v[0:1] neg_lo:[0,1] neg_hi:[0,1]
	s_delay_alu instid0(VALU_DEP_1) | instskip(NEXT) | instid1(VALU_DEP_1)
	v_sub_f32_e32 v1, v6, v12
	v_dual_mov_b32 v3, v10 :: v_dual_sub_f32 v0, v0, v1
	s_delay_alu instid0(VALU_DEP_1) | instskip(NEXT) | instid1(VALU_DEP_1)
	v_pk_add_f32 v[2:3], v[2:3], v[12:13] neg_lo:[0,1] neg_hi:[0,1]
	v_add_f32_e32 v0, v2, v0
	s_delay_alu instid0(VALU_DEP_1) | instskip(NEXT) | instid1(VALU_DEP_1)
	v_add_f32_e32 v0, v0, v3
	v_add_f32_e32 v0, v8, v0
	s_delay_alu instid0(VALU_DEP_1) | instskip(SKIP_1) | instid1(VALU_DEP_2)
	v_cndmask_b32_e32 v0, 0x7f800000, v0, vcc_lo
	v_cmp_gt_f32_e64 vcc_lo, 0x33800000, |v18|
	v_cndmask_b32_e32 v0, v0, v18, vcc_lo
	s_delay_alu instid0(VALU_DEP_1) | instskip(NEXT) | instid1(VALU_DEP_1)
	v_div_scale_f32 v1, null, s10, s10, v0
	v_rcp_f32_e32 v2, v1
	v_nop
	s_delay_alu instid0(TRANS32_DEP_1) | instskip(NEXT) | instid1(VALU_DEP_1)
	v_fma_f32 v3, -v1, v2, 1.0
	v_fmac_f32_e32 v2, v3, v2
	v_div_scale_f32 v3, vcc_lo, v0, s10, v0
	s_delay_alu instid0(VALU_DEP_1) | instskip(NEXT) | instid1(VALU_DEP_1)
	v_mul_f32_e32 v5, v3, v2
	v_fma_f32 v6, -v1, v5, v3
	s_delay_alu instid0(VALU_DEP_1) | instskip(NEXT) | instid1(VALU_DEP_1)
	v_fmac_f32_e32 v5, v6, v2
	v_fma_f32 v1, -v1, v5, v3
	s_delay_alu instid0(VALU_DEP_1) | instskip(NEXT) | instid1(VALU_DEP_1)
	v_div_fmas_f32 v1, v1, v2, v5
	v_div_fixup_f32 v0, v1, s10, v0
	s_delay_alu instid0(VALU_DEP_1)
	v_cvt_f16_f32_e32 v2, v0
.LBB24_13:
	s_or_b32 exec_lo, exec_lo, s0
	v_mul_lo_u32 v0, v4, s8
	s_and_b32 s13, s2, 0xff
	s_delay_alu instid0(SALU_CYCLE_1) | instskip(NEXT) | instid1(VALU_DEP_1)
	s_cmp_lt_i32 s13, 11
	v_ashrrev_i32_e32 v1, 31, v0
	s_delay_alu instid0(VALU_DEP_1)
	v_add_nc_u64_e32 v[0:1], s[4:5], v[0:1]
	s_cbranch_scc1 .LBB24_21
; %bb.14:
	s_and_b32 s18, 0xffff, s13
	s_delay_alu instid0(SALU_CYCLE_1)
	s_cmp_gt_i32 s18, 25
	s_cbranch_scc0 .LBB24_24
; %bb.15:
	s_cmp_gt_i32 s18, 28
	s_cbranch_scc0 .LBB24_26
; %bb.16:
	;; [unrolled: 3-line block ×4, first 2 shown]
	s_mov_b32 s20, 0
	s_mov_b32 s0, -1
	s_cmp_eq_u32 s18, 46
	s_mov_b32 s19, 0
	s_cbranch_scc0 .LBB24_35
; %bb.19:
	v_cvt_f32_f16_e32 v3, v2
	v_cmp_o_f16_e32 vcc_lo, v2, v2
	s_mov_b32 s19, -1
	s_mov_b32 s0, 0
	s_delay_alu instid0(VALU_DEP_2) | instskip(NEXT) | instid1(VALU_DEP_1)
	v_bfe_u32 v5, v3, 16, 1
	v_add3_u32 v3, v3, v5, 0x7fff
	s_delay_alu instid0(VALU_DEP_1) | instskip(NEXT) | instid1(VALU_DEP_1)
	v_lshrrev_b32_e32 v3, 16, v3
	v_cndmask_b32_e32 v3, 0x7fc0, v3, vcc_lo
	global_store_b32 v[0:1], v3, off
	s_branch .LBB24_35
.LBB24_20:
                                        ; implicit-def: $vgpr2
	s_cbranch_execnz .LBB24_169
	s_branch .LBB24_203
.LBB24_21:
	s_mov_b32 s0, 0
	s_mov_b32 s19, 0
	s_cbranch_execnz .LBB24_104
.LBB24_22:
	s_and_not1_b32 vcc_lo, exec_lo, s19
	s_cbranch_vccnz .LBB24_252
	s_branch .LBB24_142
.LBB24_23:
	s_mov_b32 s18, -1
                                        ; implicit-def: $vgpr2
	s_branch .LBB24_150
.LBB24_24:
	s_mov_b32 s20, -1
	s_mov_b32 s0, 0
	s_mov_b32 s19, 0
	s_branch .LBB24_62
.LBB24_25:
	s_mov_b32 s18, -1
                                        ; implicit-def: $vgpr2
	s_branch .LBB24_145
.LBB24_26:
	s_mov_b32 s20, -1
	s_mov_b32 s0, 0
	s_mov_b32 s19, 0
	s_branch .LBB24_45
.LBB24_27:
	s_mov_b32 s18, -1
	s_branch .LBB24_30
.LBB24_28:
	s_mov_b32 s20, -1
	s_mov_b32 s0, 0
	s_mov_b32 s19, 0
	s_branch .LBB24_41
.LBB24_29:
	s_mov_b32 s15, -1
.LBB24_30:
                                        ; implicit-def: $vgpr2
.LBB24_31:
	s_and_b32 vcc_lo, exec_lo, s18
	s_cbranch_vccz .LBB24_144
; %bb.32:
	s_cmp_eq_u32 s0, 44
	s_cbranch_scc0 .LBB24_143
; %bb.33:
	global_load_u8 v2, v[0:1], off
	s_mov_b32 s15, 0
	s_mov_b32 s13, -1
	s_wait_loadcnt 0x0
	v_lshlrev_b32_e32 v3, 23, v2
	v_cmp_ne_u32_e32 vcc_lo, 0xff, v2
	s_delay_alu instid0(VALU_DEP_2) | instskip(NEXT) | instid1(VALU_DEP_1)
	v_cvt_f16_f32_e32 v3, v3
	v_cndmask_b32_e32 v3, 0x7e00, v3, vcc_lo
	v_cmp_ne_u32_e32 vcc_lo, 0, v2
	s_delay_alu instid0(VALU_DEP_2)
	v_cndmask_b32_e32 v2, 0, v3, vcc_lo
	s_branch .LBB24_144
.LBB24_34:
	s_mov_b32 s20, -1
	s_mov_b32 s0, 0
	s_mov_b32 s19, 0
.LBB24_35:
	s_and_b32 vcc_lo, exec_lo, s20
	s_cbranch_vccz .LBB24_40
; %bb.36:
	s_cmp_eq_u32 s18, 44
	s_mov_b32 s0, -1
	s_cbranch_scc0 .LBB24_40
; %bb.37:
	s_wait_xcnt 0x0
	v_cvt_f32_f16_e32 v3, v2
	v_mov_b32_e32 v5, 0xff
	s_mov_b32 s19, exec_lo
	s_delay_alu instid0(VALU_DEP_2) | instskip(NEXT) | instid1(VALU_DEP_1)
	v_bfe_u32 v6, v3, 23, 8
	v_cmpx_ne_u32_e32 0xff, v6
	s_cbranch_execz .LBB24_39
; %bb.38:
	v_and_b32_e32 v5, 0x400000, v3
	v_and_or_b32 v6, 0x3fffff, v3, v6
	v_lshrrev_b32_e32 v3, 23, v3
	s_delay_alu instid0(VALU_DEP_3) | instskip(NEXT) | instid1(VALU_DEP_3)
	v_cmp_ne_u32_e32 vcc_lo, 0, v5
	v_cmp_ne_u32_e64 s0, 0, v6
	s_and_b32 s0, vcc_lo, s0
	s_delay_alu instid0(SALU_CYCLE_1) | instskip(NEXT) | instid1(VALU_DEP_1)
	v_cndmask_b32_e64 v5, 0, 1, s0
	v_add_nc_u32_e32 v5, v3, v5
.LBB24_39:
	s_or_b32 exec_lo, exec_lo, s19
	s_mov_b32 s19, -1
	s_mov_b32 s0, 0
	global_store_b8 v[0:1], v5, off
.LBB24_40:
	s_mov_b32 s20, 0
.LBB24_41:
	s_delay_alu instid0(SALU_CYCLE_1)
	s_and_b32 vcc_lo, exec_lo, s20
	s_cbranch_vccz .LBB24_44
; %bb.42:
	s_cmp_eq_u32 s18, 29
	s_mov_b32 s0, -1
	s_cbranch_scc0 .LBB24_44
; %bb.43:
	s_wait_xcnt 0x0
	v_cvt_f32_f16_e32 v3, v2
	v_mov_b32_e32 v7, 0
	s_mov_b32 s19, -1
	s_mov_b32 s0, 0
	s_mov_b32 s20, 0
	v_cvt_u32_f32_e32 v6, v3
	global_store_b64 v[0:1], v[6:7], off
	s_branch .LBB24_45
.LBB24_44:
	s_mov_b32 s20, 0
.LBB24_45:
	s_delay_alu instid0(SALU_CYCLE_1)
	s_and_b32 vcc_lo, exec_lo, s20
	s_cbranch_vccz .LBB24_61
; %bb.46:
	s_cmp_lt_i32 s18, 27
	s_mov_b32 s19, -1
	s_cbranch_scc1 .LBB24_52
; %bb.47:
	s_cmp_gt_i32 s18, 27
	s_cbranch_scc0 .LBB24_49
; %bb.48:
	s_wait_xcnt 0x0
	v_cvt_f32_f16_e32 v3, v2
	s_mov_b32 s19, 0
	s_delay_alu instid0(VALU_DEP_1)
	v_cvt_u32_f32_e32 v3, v3
	global_store_b32 v[0:1], v3, off
.LBB24_49:
	s_and_not1_b32 vcc_lo, exec_lo, s19
	s_cbranch_vccnz .LBB24_51
; %bb.50:
	s_wait_xcnt 0x0
	v_cvt_u16_f16_e32 v3, v2
	global_store_b16 v[0:1], v3, off
.LBB24_51:
	s_mov_b32 s19, 0
.LBB24_52:
	s_delay_alu instid0(SALU_CYCLE_1)
	s_and_not1_b32 vcc_lo, exec_lo, s19
	s_cbranch_vccnz .LBB24_60
; %bb.53:
	s_wait_xcnt 0x0
	v_cvt_f32_f16_e32 v3, v2
	v_mov_b32_e32 v6, 0x80
	s_mov_b32 s19, exec_lo
	s_delay_alu instid0(VALU_DEP_2) | instskip(NEXT) | instid1(VALU_DEP_1)
	v_and_b32_e32 v5, 0x7fffffff, v3
	v_cmpx_gt_u32_e32 0x43800000, v5
	s_cbranch_execz .LBB24_59
; %bb.54:
	v_cmp_lt_u32_e32 vcc_lo, 0x3bffffff, v5
	s_mov_b32 s20, 0
                                        ; implicit-def: $vgpr5
	s_and_saveexec_b32 s21, vcc_lo
	s_delay_alu instid0(SALU_CYCLE_1)
	s_xor_b32 s21, exec_lo, s21
	s_cbranch_execz .LBB24_283
; %bb.55:
	v_bfe_u32 v5, v3, 20, 1
	s_mov_b32 s20, exec_lo
	s_delay_alu instid0(VALU_DEP_1) | instskip(NEXT) | instid1(VALU_DEP_1)
	v_add3_u32 v5, v3, v5, 0x487ffff
	v_lshrrev_b32_e32 v5, 20, v5
	s_and_not1_saveexec_b32 s21, s21
	s_cbranch_execnz .LBB24_284
.LBB24_56:
	s_or_b32 exec_lo, exec_lo, s21
	v_mov_b32_e32 v6, 0
	s_and_saveexec_b32 s21, s20
.LBB24_57:
	v_lshrrev_b32_e32 v3, 24, v3
	s_delay_alu instid0(VALU_DEP_1)
	v_and_or_b32 v6, 0x80, v3, v5
.LBB24_58:
	s_or_b32 exec_lo, exec_lo, s21
.LBB24_59:
	s_delay_alu instid0(SALU_CYCLE_1)
	s_or_b32 exec_lo, exec_lo, s19
	global_store_b8 v[0:1], v6, off
.LBB24_60:
	s_mov_b32 s19, -1
.LBB24_61:
	s_mov_b32 s20, 0
.LBB24_62:
	s_delay_alu instid0(SALU_CYCLE_1)
	s_and_b32 vcc_lo, exec_lo, s20
	s_cbranch_vccz .LBB24_103
; %bb.63:
	s_cmp_gt_i32 s18, 22
	s_mov_b32 s20, -1
	s_cbranch_scc0 .LBB24_95
; %bb.64:
	s_cmp_lt_i32 s18, 24
	s_mov_b32 s19, -1
	s_cbranch_scc1 .LBB24_84
; %bb.65:
	s_cmp_gt_i32 s18, 24
	s_cbranch_scc0 .LBB24_73
; %bb.66:
	s_wait_xcnt 0x0
	v_cvt_f32_f16_e32 v3, v2
	v_mov_b32_e32 v6, 0x80
	s_mov_b32 s19, exec_lo
	s_delay_alu instid0(VALU_DEP_2) | instskip(NEXT) | instid1(VALU_DEP_1)
	v_and_b32_e32 v5, 0x7fffffff, v3
	v_cmpx_gt_u32_e32 0x47800000, v5
	s_cbranch_execz .LBB24_72
; %bb.67:
	v_cmp_lt_u32_e32 vcc_lo, 0x37ffffff, v5
	s_mov_b32 s20, 0
                                        ; implicit-def: $vgpr5
	s_and_saveexec_b32 s21, vcc_lo
	s_delay_alu instid0(SALU_CYCLE_1)
	s_xor_b32 s21, exec_lo, s21
	s_cbranch_execz .LBB24_287
; %bb.68:
	v_bfe_u32 v5, v3, 21, 1
	s_mov_b32 s20, exec_lo
	s_delay_alu instid0(VALU_DEP_1) | instskip(NEXT) | instid1(VALU_DEP_1)
	v_add3_u32 v5, v3, v5, 0x88fffff
	v_lshrrev_b32_e32 v5, 21, v5
	s_and_not1_saveexec_b32 s21, s21
	s_cbranch_execnz .LBB24_288
.LBB24_69:
	s_or_b32 exec_lo, exec_lo, s21
	v_mov_b32_e32 v6, 0
	s_and_saveexec_b32 s21, s20
.LBB24_70:
	v_lshrrev_b32_e32 v3, 24, v3
	s_delay_alu instid0(VALU_DEP_1)
	v_and_or_b32 v6, 0x80, v3, v5
.LBB24_71:
	s_or_b32 exec_lo, exec_lo, s21
.LBB24_72:
	s_delay_alu instid0(SALU_CYCLE_1)
	s_or_b32 exec_lo, exec_lo, s19
	s_mov_b32 s19, 0
	global_store_b8 v[0:1], v6, off
.LBB24_73:
	s_and_b32 vcc_lo, exec_lo, s19
	s_cbranch_vccz .LBB24_83
; %bb.74:
	s_wait_xcnt 0x0
	v_cvt_f32_f16_e32 v3, v2
	s_mov_b32 s19, exec_lo
                                        ; implicit-def: $vgpr5
	s_delay_alu instid0(VALU_DEP_1) | instskip(NEXT) | instid1(VALU_DEP_1)
	v_and_b32_e32 v6, 0x7fffffff, v3
	v_cmpx_gt_u32_e32 0x43f00000, v6
	s_xor_b32 s19, exec_lo, s19
	s_cbranch_execz .LBB24_80
; %bb.75:
	s_mov_b32 s20, exec_lo
                                        ; implicit-def: $vgpr5
	v_cmpx_lt_u32_e32 0x3c7fffff, v6
	s_xor_b32 s20, exec_lo, s20
; %bb.76:
	v_bfe_u32 v5, v3, 20, 1
	s_delay_alu instid0(VALU_DEP_1) | instskip(NEXT) | instid1(VALU_DEP_1)
	v_add3_u32 v5, v3, v5, 0x407ffff
	v_and_b32_e32 v6, 0xff00000, v5
	v_lshrrev_b32_e32 v5, 20, v5
	s_delay_alu instid0(VALU_DEP_2) | instskip(NEXT) | instid1(VALU_DEP_2)
	v_cmp_ne_u32_e32 vcc_lo, 0x7f00000, v6
	v_cndmask_b32_e32 v5, 0x7e, v5, vcc_lo
; %bb.77:
	s_and_not1_saveexec_b32 s20, s20
; %bb.78:
	v_add_f32_e64 v5, 0x46800000, |v3|
; %bb.79:
	s_or_b32 exec_lo, exec_lo, s20
                                        ; implicit-def: $vgpr6
.LBB24_80:
	s_and_not1_saveexec_b32 s19, s19
; %bb.81:
	v_mov_b32_e32 v5, 0x7f
	v_cmp_lt_u32_e32 vcc_lo, 0x7f800000, v6
	s_delay_alu instid0(VALU_DEP_2)
	v_cndmask_b32_e32 v5, 0x7e, v5, vcc_lo
; %bb.82:
	s_or_b32 exec_lo, exec_lo, s19
	v_lshrrev_b32_e32 v3, 24, v3
	s_delay_alu instid0(VALU_DEP_1)
	v_and_or_b32 v3, 0x80, v3, v5
	global_store_b8 v[0:1], v3, off
.LBB24_83:
	s_mov_b32 s19, 0
.LBB24_84:
	s_delay_alu instid0(SALU_CYCLE_1)
	s_and_not1_b32 vcc_lo, exec_lo, s19
	s_cbranch_vccnz .LBB24_94
; %bb.85:
	s_wait_xcnt 0x0
	v_cvt_f32_f16_e32 v3, v2
	s_mov_b32 s19, exec_lo
                                        ; implicit-def: $vgpr5
	s_delay_alu instid0(VALU_DEP_1) | instskip(NEXT) | instid1(VALU_DEP_1)
	v_and_b32_e32 v6, 0x7fffffff, v3
	v_cmpx_gt_u32_e32 0x47800000, v6
	s_xor_b32 s19, exec_lo, s19
	s_cbranch_execz .LBB24_91
; %bb.86:
	s_mov_b32 s20, exec_lo
                                        ; implicit-def: $vgpr5
	v_cmpx_lt_u32_e32 0x387fffff, v6
	s_xor_b32 s20, exec_lo, s20
; %bb.87:
	v_bfe_u32 v5, v3, 21, 1
	s_delay_alu instid0(VALU_DEP_1) | instskip(NEXT) | instid1(VALU_DEP_1)
	v_add3_u32 v5, v3, v5, 0x80fffff
	v_lshrrev_b32_e32 v5, 21, v5
; %bb.88:
	s_and_not1_saveexec_b32 s20, s20
; %bb.89:
	v_add_f32_e64 v5, 0x43000000, |v3|
; %bb.90:
	s_or_b32 exec_lo, exec_lo, s20
                                        ; implicit-def: $vgpr6
.LBB24_91:
	s_and_not1_saveexec_b32 s19, s19
; %bb.92:
	v_mov_b32_e32 v5, 0x7f
	v_cmp_lt_u32_e32 vcc_lo, 0x7f800000, v6
	s_delay_alu instid0(VALU_DEP_2)
	v_cndmask_b32_e32 v5, 0x7c, v5, vcc_lo
; %bb.93:
	s_or_b32 exec_lo, exec_lo, s19
	v_lshrrev_b32_e32 v3, 24, v3
	s_delay_alu instid0(VALU_DEP_1)
	v_and_or_b32 v3, 0x80, v3, v5
	global_store_b8 v[0:1], v3, off
.LBB24_94:
	s_mov_b32 s20, 0
	s_mov_b32 s19, -1
.LBB24_95:
	s_and_not1_b32 vcc_lo, exec_lo, s20
	s_cbranch_vccnz .LBB24_103
; %bb.96:
	s_cmp_gt_i32 s18, 14
	s_mov_b32 s20, -1
	s_cbranch_scc0 .LBB24_100
; %bb.97:
	s_cmp_eq_u32 s18, 15
	s_mov_b32 s0, -1
	s_cbranch_scc0 .LBB24_99
; %bb.98:
	s_wait_xcnt 0x0
	v_cvt_f32_f16_e32 v3, v2
	v_cmp_o_f16_e32 vcc_lo, v2, v2
	s_mov_b32 s19, -1
	s_mov_b32 s0, 0
	s_delay_alu instid0(VALU_DEP_2) | instskip(NEXT) | instid1(VALU_DEP_1)
	v_bfe_u32 v5, v3, 16, 1
	v_add3_u32 v3, v3, v5, 0x7fff
	s_delay_alu instid0(VALU_DEP_1) | instskip(NEXT) | instid1(VALU_DEP_1)
	v_lshrrev_b32_e32 v3, 16, v3
	v_cndmask_b32_e32 v3, 0x7fc0, v3, vcc_lo
	global_store_b16 v[0:1], v3, off
.LBB24_99:
	s_mov_b32 s20, 0
.LBB24_100:
	s_delay_alu instid0(SALU_CYCLE_1)
	s_and_b32 vcc_lo, exec_lo, s20
	s_cbranch_vccz .LBB24_103
; %bb.101:
	s_cmp_eq_u32 s18, 11
	s_mov_b32 s0, -1
	s_cbranch_scc0 .LBB24_103
; %bb.102:
	s_wait_xcnt 0x0
	v_and_b32_e32 v3, 0x7fff, v2
	s_mov_b32 s0, 0
	s_mov_b32 s19, -1
	s_delay_alu instid0(VALU_DEP_1)
	v_cmp_ne_u16_e32 vcc_lo, 0, v3
	v_cndmask_b32_e64 v3, 0, 1, vcc_lo
	global_store_b8 v[0:1], v3, off
.LBB24_103:
	s_branch .LBB24_22
.LBB24_104:
	s_and_b32 s13, 0xffff, s13
	s_mov_b32 s18, -1
	s_cmp_lt_i32 s13, 5
	s_cbranch_scc1 .LBB24_125
; %bb.105:
	s_cmp_lt_i32 s13, 8
	s_cbranch_scc1 .LBB24_115
; %bb.106:
	;; [unrolled: 3-line block ×3, first 2 shown]
	s_cmp_gt_i32 s13, 9
	s_cbranch_scc0 .LBB24_109
; %bb.108:
	s_wait_xcnt 0x0
	v_cvt_f32_f16_e32 v3, v2
	v_mov_b32_e32 v8, 0
	s_mov_b32 s18, 0
	s_delay_alu instid0(VALU_DEP_2) | instskip(NEXT) | instid1(VALU_DEP_2)
	v_cvt_f64_f32_e32 v[6:7], v3
	v_mov_b32_e32 v9, v8
	global_store_b128 v[0:1], v[6:9], off
.LBB24_109:
	s_and_not1_b32 vcc_lo, exec_lo, s18
	s_cbranch_vccnz .LBB24_111
; %bb.110:
	s_wait_xcnt 0x0
	v_cvt_f32_f16_e32 v6, v2
	v_mov_b32_e32 v7, 0
	global_store_b64 v[0:1], v[6:7], off
.LBB24_111:
	s_mov_b32 s18, 0
.LBB24_112:
	s_delay_alu instid0(SALU_CYCLE_1)
	s_and_not1_b32 vcc_lo, exec_lo, s18
	s_cbranch_vccnz .LBB24_114
; %bb.113:
	s_wait_xcnt 0x0
	v_and_b32_e32 v3, 0xffff, v2
	global_store_b32 v[0:1], v3, off
.LBB24_114:
	s_mov_b32 s18, 0
.LBB24_115:
	s_delay_alu instid0(SALU_CYCLE_1)
	s_and_not1_b32 vcc_lo, exec_lo, s18
	s_cbranch_vccnz .LBB24_124
; %bb.116:
	s_cmp_lt_i32 s13, 6
	s_mov_b32 s18, -1
	s_cbranch_scc1 .LBB24_122
; %bb.117:
	s_cmp_gt_i32 s13, 6
	s_cbranch_scc0 .LBB24_119
; %bb.118:
	s_wait_xcnt 0x0
	v_cvt_f32_f16_e32 v3, v2
	s_mov_b32 s18, 0
	s_delay_alu instid0(VALU_DEP_1)
	v_cvt_f64_f32_e32 v[6:7], v3
	global_store_b64 v[0:1], v[6:7], off
.LBB24_119:
	s_and_not1_b32 vcc_lo, exec_lo, s18
	s_cbranch_vccnz .LBB24_121
; %bb.120:
	s_wait_xcnt 0x0
	v_cvt_f32_f16_e32 v3, v2
	global_store_b32 v[0:1], v3, off
.LBB24_121:
	s_mov_b32 s18, 0
.LBB24_122:
	s_delay_alu instid0(SALU_CYCLE_1)
	s_and_not1_b32 vcc_lo, exec_lo, s18
	s_cbranch_vccnz .LBB24_124
; %bb.123:
	global_store_b16 v[0:1], v2, off
.LBB24_124:
	s_mov_b32 s18, 0
.LBB24_125:
	s_delay_alu instid0(SALU_CYCLE_1)
	s_and_not1_b32 vcc_lo, exec_lo, s18
	s_cbranch_vccnz .LBB24_141
; %bb.126:
	s_cmp_lt_i32 s13, 2
	s_mov_b32 s18, -1
	s_cbranch_scc1 .LBB24_136
; %bb.127:
	s_cmp_lt_i32 s13, 3
	s_cbranch_scc1 .LBB24_133
; %bb.128:
	s_cmp_gt_i32 s13, 3
	s_cbranch_scc0 .LBB24_130
; %bb.129:
	s_wait_xcnt 0x0
	v_cvt_f32_f16_e32 v3, v2
	s_mov_b32 s18, 0
	s_delay_alu instid0(VALU_DEP_1) | instskip(NEXT) | instid1(VALU_DEP_1)
	v_cvt_i32_f32_e32 v6, v3
	v_ashrrev_i32_e32 v7, 31, v6
	global_store_b64 v[0:1], v[6:7], off
.LBB24_130:
	s_and_not1_b32 vcc_lo, exec_lo, s18
	s_cbranch_vccnz .LBB24_132
; %bb.131:
	s_wait_xcnt 0x0
	v_cvt_f32_f16_e32 v3, v2
	s_delay_alu instid0(VALU_DEP_1)
	v_cvt_i32_f32_e32 v3, v3
	global_store_b32 v[0:1], v3, off
.LBB24_132:
	s_mov_b32 s18, 0
.LBB24_133:
	s_delay_alu instid0(SALU_CYCLE_1)
	s_and_not1_b32 vcc_lo, exec_lo, s18
	s_cbranch_vccnz .LBB24_135
; %bb.134:
	s_wait_xcnt 0x0
	v_cvt_i16_f16_e32 v3, v2
	global_store_b16 v[0:1], v3, off
.LBB24_135:
	s_mov_b32 s18, 0
.LBB24_136:
	s_delay_alu instid0(SALU_CYCLE_1)
	s_and_not1_b32 vcc_lo, exec_lo, s18
	s_cbranch_vccnz .LBB24_141
; %bb.137:
	s_cmp_gt_i32 s13, 0
	s_mov_b32 s13, -1
	s_cbranch_scc0 .LBB24_139
; %bb.138:
	s_wait_xcnt 0x0
	v_cvt_i16_f16_e32 v3, v2
	s_mov_b32 s13, 0
	global_store_b8 v[0:1], v3, off
.LBB24_139:
	s_and_not1_b32 vcc_lo, exec_lo, s13
	s_cbranch_vccnz .LBB24_141
; %bb.140:
	s_wait_xcnt 0x0
	v_cvt_f32_f16_e32 v2, v2
	s_delay_alu instid0(VALU_DEP_1)
	v_cvt_i32_f32_e32 v2, v2
	global_store_b8 v[0:1], v2, off
.LBB24_141:
.LBB24_142:
	v_add_nc_u32_e32 v4, 0x80, v4
	s_mov_b32 s18, -1
	s_branch .LBB24_253
.LBB24_143:
	s_mov_b32 s15, -1
                                        ; implicit-def: $vgpr2
.LBB24_144:
	s_mov_b32 s18, 0
.LBB24_145:
	s_delay_alu instid0(SALU_CYCLE_1)
	s_and_b32 vcc_lo, exec_lo, s18
	s_cbranch_vccz .LBB24_149
; %bb.146:
	s_cmp_eq_u32 s0, 29
	s_cbranch_scc0 .LBB24_148
; %bb.147:
	global_load_b64 v[2:3], v[0:1], off
	s_mov_b32 s13, -1
	s_mov_b32 s15, 0
	s_mov_b32 s18, 0
	s_wait_loadcnt 0x0
	v_clz_i32_u32_e32 v5, v3
	s_delay_alu instid0(VALU_DEP_1) | instskip(NEXT) | instid1(VALU_DEP_1)
	v_min_u32_e32 v5, 32, v5
	v_lshlrev_b64_e32 v[2:3], v5, v[2:3]
	s_delay_alu instid0(VALU_DEP_1) | instskip(NEXT) | instid1(VALU_DEP_1)
	v_min_u32_e32 v2, 1, v2
	v_dual_sub_nc_u32 v3, 32, v5 :: v_dual_bitop2_b32 v2, v3, v2 bitop3:0x54
	s_delay_alu instid0(VALU_DEP_1) | instskip(NEXT) | instid1(VALU_DEP_1)
	v_cvt_f32_u32_e32 v2, v2
	v_ldexp_f32 v2, v2, v3
	s_delay_alu instid0(VALU_DEP_1)
	v_cvt_f16_f32_e32 v2, v2
	s_branch .LBB24_150
.LBB24_148:
	s_mov_b32 s15, -1
                                        ; implicit-def: $vgpr2
.LBB24_149:
	s_mov_b32 s18, 0
.LBB24_150:
	s_delay_alu instid0(SALU_CYCLE_1)
	s_and_b32 vcc_lo, exec_lo, s18
	s_cbranch_vccz .LBB24_168
; %bb.151:
	s_cmp_lt_i32 s0, 27
	s_cbranch_scc1 .LBB24_154
; %bb.152:
	s_cmp_gt_i32 s0, 27
	s_cbranch_scc0 .LBB24_155
; %bb.153:
	global_load_b32 v2, v[0:1], off
	s_mov_b32 s13, 0
	s_wait_loadcnt 0x0
	v_cvt_f32_u32_e32 v2, v2
	s_delay_alu instid0(VALU_DEP_1)
	v_cvt_f16_f32_e32 v2, v2
	s_branch .LBB24_156
.LBB24_154:
	s_mov_b32 s13, -1
                                        ; implicit-def: $vgpr2
	s_branch .LBB24_159
.LBB24_155:
	s_mov_b32 s13, -1
                                        ; implicit-def: $vgpr2
.LBB24_156:
	s_delay_alu instid0(SALU_CYCLE_1)
	s_and_not1_b32 vcc_lo, exec_lo, s13
	s_cbranch_vccnz .LBB24_158
; %bb.157:
	global_load_u16 v2, v[0:1], off
	s_wait_loadcnt 0x0
	v_cvt_f16_u16_e32 v2, v2
.LBB24_158:
	s_mov_b32 s13, 0
.LBB24_159:
	s_delay_alu instid0(SALU_CYCLE_1)
	s_and_not1_b32 vcc_lo, exec_lo, s13
	s_cbranch_vccnz .LBB24_167
; %bb.160:
	global_load_u8 v3, v[0:1], off
	s_mov_b32 s13, 0
	s_mov_b32 s18, exec_lo
	s_wait_loadcnt 0x0
	v_cmpx_lt_i16_e32 0x7f, v3
	s_xor_b32 s18, exec_lo, s18
	s_cbranch_execz .LBB24_180
; %bb.161:
	s_mov_b32 s13, -1
	s_mov_b32 s19, exec_lo
	v_cmpx_eq_u16_e32 0x80, v3
; %bb.162:
	s_xor_b32 s13, exec_lo, -1
; %bb.163:
	s_or_b32 exec_lo, exec_lo, s19
	s_delay_alu instid0(SALU_CYCLE_1)
	s_and_b32 s13, s13, exec_lo
	s_or_saveexec_b32 s18, s18
	v_mov_b32_e32 v2, 0x7e00
	s_xor_b32 exec_lo, exec_lo, s18
	s_cbranch_execnz .LBB24_181
.LBB24_164:
	s_or_b32 exec_lo, exec_lo, s18
	s_and_saveexec_b32 s18, s13
	s_cbranch_execz .LBB24_166
.LBB24_165:
	v_and_b32_e32 v2, 0xffff, v3
	s_delay_alu instid0(VALU_DEP_1) | instskip(SKIP_1) | instid1(VALU_DEP_2)
	v_dual_lshlrev_b32 v3, 24, v3 :: v_dual_bitop2_b32 v5, 7, v2 bitop3:0x40
	v_bfe_u32 v8, v2, 3, 4
	v_and_b32_e32 v3, 0x80000000, v3
	s_delay_alu instid0(VALU_DEP_3) | instskip(NEXT) | instid1(VALU_DEP_3)
	v_clz_i32_u32_e32 v6, v5
	v_cmp_eq_u32_e32 vcc_lo, 0, v8
	s_delay_alu instid0(VALU_DEP_2) | instskip(NEXT) | instid1(VALU_DEP_1)
	v_min_u32_e32 v6, 32, v6
	v_subrev_nc_u32_e32 v7, 28, v6
	v_sub_nc_u32_e32 v6, 29, v6
	s_delay_alu instid0(VALU_DEP_2) | instskip(NEXT) | instid1(VALU_DEP_2)
	v_lshlrev_b32_e32 v2, v7, v2
	v_cndmask_b32_e32 v6, v8, v6, vcc_lo
	s_delay_alu instid0(VALU_DEP_2) | instskip(NEXT) | instid1(VALU_DEP_1)
	v_and_b32_e32 v2, 7, v2
	v_cndmask_b32_e32 v2, v5, v2, vcc_lo
	s_delay_alu instid0(VALU_DEP_3) | instskip(NEXT) | instid1(VALU_DEP_2)
	v_lshl_add_u32 v5, v6, 23, 0x3b800000
	v_lshlrev_b32_e32 v2, 20, v2
	s_delay_alu instid0(VALU_DEP_1) | instskip(NEXT) | instid1(VALU_DEP_1)
	v_or3_b32 v2, v3, v5, v2
	v_cvt_f16_f32_e32 v2, v2
.LBB24_166:
	s_or_b32 exec_lo, exec_lo, s18
.LBB24_167:
	s_mov_b32 s13, -1
.LBB24_168:
	s_branch .LBB24_203
.LBB24_169:
	s_cmp_gt_i32 s0, 22
	s_cbranch_scc0 .LBB24_179
; %bb.170:
	s_cmp_lt_i32 s0, 24
	s_cbranch_scc1 .LBB24_182
; %bb.171:
	s_cmp_gt_i32 s0, 24
	s_cbranch_scc0 .LBB24_183
; %bb.172:
	global_load_u8 v3, v[0:1], off
	s_mov_b32 s13, 0
	s_mov_b32 s18, exec_lo
	s_wait_loadcnt 0x0
	v_cmpx_lt_i16_e32 0x7f, v3
	s_xor_b32 s18, exec_lo, s18
	s_cbranch_execz .LBB24_195
; %bb.173:
	s_mov_b32 s13, -1
	s_mov_b32 s19, exec_lo
	v_cmpx_eq_u16_e32 0x80, v3
; %bb.174:
	s_xor_b32 s13, exec_lo, -1
; %bb.175:
	s_or_b32 exec_lo, exec_lo, s19
	s_delay_alu instid0(SALU_CYCLE_1)
	s_and_b32 s13, s13, exec_lo
	s_or_saveexec_b32 s18, s18
	v_mov_b32_e32 v2, 0x7e00
	s_xor_b32 exec_lo, exec_lo, s18
	s_cbranch_execnz .LBB24_196
.LBB24_176:
	s_or_b32 exec_lo, exec_lo, s18
	s_and_saveexec_b32 s18, s13
	s_cbranch_execz .LBB24_178
.LBB24_177:
	v_and_b32_e32 v2, 0xffff, v3
	s_delay_alu instid0(VALU_DEP_1) | instskip(SKIP_1) | instid1(VALU_DEP_2)
	v_dual_lshlrev_b32 v3, 24, v3 :: v_dual_bitop2_b32 v5, 3, v2 bitop3:0x40
	v_bfe_u32 v8, v2, 2, 5
	v_and_b32_e32 v3, 0x80000000, v3
	s_delay_alu instid0(VALU_DEP_3) | instskip(NEXT) | instid1(VALU_DEP_3)
	v_clz_i32_u32_e32 v6, v5
	v_cmp_eq_u32_e32 vcc_lo, 0, v8
	s_delay_alu instid0(VALU_DEP_2) | instskip(NEXT) | instid1(VALU_DEP_1)
	v_min_u32_e32 v6, 32, v6
	v_subrev_nc_u32_e32 v7, 29, v6
	v_sub_nc_u32_e32 v6, 30, v6
	s_delay_alu instid0(VALU_DEP_2) | instskip(NEXT) | instid1(VALU_DEP_2)
	v_lshlrev_b32_e32 v2, v7, v2
	v_cndmask_b32_e32 v6, v8, v6, vcc_lo
	s_delay_alu instid0(VALU_DEP_2) | instskip(NEXT) | instid1(VALU_DEP_1)
	v_and_b32_e32 v2, 3, v2
	v_cndmask_b32_e32 v2, v5, v2, vcc_lo
	s_delay_alu instid0(VALU_DEP_3) | instskip(NEXT) | instid1(VALU_DEP_2)
	v_lshl_add_u32 v5, v6, 23, 0x37800000
	v_lshlrev_b32_e32 v2, 21, v2
	s_delay_alu instid0(VALU_DEP_1) | instskip(NEXT) | instid1(VALU_DEP_1)
	v_or3_b32 v2, v3, v5, v2
	v_cvt_f16_f32_e32 v2, v2
.LBB24_178:
	s_or_b32 exec_lo, exec_lo, s18
	s_mov_b32 s13, 0
	s_branch .LBB24_184
.LBB24_179:
	s_mov_b32 s18, -1
                                        ; implicit-def: $vgpr2
	s_branch .LBB24_190
.LBB24_180:
	s_or_saveexec_b32 s18, s18
	v_mov_b32_e32 v2, 0x7e00
	s_xor_b32 exec_lo, exec_lo, s18
	s_cbranch_execz .LBB24_164
.LBB24_181:
	v_cmp_ne_u16_e32 vcc_lo, 0, v3
	v_mov_b32_e32 v2, v3
	s_and_not1_b32 s13, s13, exec_lo
	s_and_b32 s19, vcc_lo, exec_lo
	s_delay_alu instid0(SALU_CYCLE_1)
	s_or_b32 s13, s13, s19
	s_or_b32 exec_lo, exec_lo, s18
	s_and_saveexec_b32 s18, s13
	s_cbranch_execnz .LBB24_165
	s_branch .LBB24_166
.LBB24_182:
	s_mov_b32 s13, -1
                                        ; implicit-def: $vgpr2
	s_branch .LBB24_187
.LBB24_183:
	s_mov_b32 s13, -1
                                        ; implicit-def: $vgpr2
.LBB24_184:
	s_delay_alu instid0(SALU_CYCLE_1)
	s_and_b32 vcc_lo, exec_lo, s13
	s_cbranch_vccz .LBB24_186
; %bb.185:
	global_load_u8 v2, v[0:1], off
	s_wait_loadcnt 0x0
	v_lshlrev_b32_e32 v2, 24, v2
	s_delay_alu instid0(VALU_DEP_1) | instskip(NEXT) | instid1(VALU_DEP_1)
	v_and_b32_e32 v3, 0x7f000000, v2
	v_clz_i32_u32_e32 v5, v3
	v_add_nc_u32_e32 v7, 0x1000000, v3
	v_cmp_ne_u32_e32 vcc_lo, 0, v3
	s_delay_alu instid0(VALU_DEP_3) | instskip(NEXT) | instid1(VALU_DEP_1)
	v_min_u32_e32 v5, 32, v5
	v_sub_nc_u32_e64 v5, v5, 4 clamp
	s_delay_alu instid0(VALU_DEP_1) | instskip(NEXT) | instid1(VALU_DEP_1)
	v_dual_lshlrev_b32 v6, v5, v3 :: v_dual_lshlrev_b32 v5, 23, v5
	v_lshrrev_b32_e32 v6, 4, v6
	s_delay_alu instid0(VALU_DEP_1) | instskip(NEXT) | instid1(VALU_DEP_1)
	v_dual_sub_nc_u32 v5, v6, v5 :: v_dual_ashrrev_i32 v6, 8, v7
	v_add_nc_u32_e32 v5, 0x3c000000, v5
	s_delay_alu instid0(VALU_DEP_1) | instskip(NEXT) | instid1(VALU_DEP_1)
	v_and_or_b32 v5, 0x7f800000, v6, v5
	v_cndmask_b32_e32 v3, 0, v5, vcc_lo
	s_delay_alu instid0(VALU_DEP_1) | instskip(NEXT) | instid1(VALU_DEP_1)
	v_and_or_b32 v2, 0x80000000, v2, v3
	v_cvt_f16_f32_e32 v2, v2
.LBB24_186:
	s_mov_b32 s13, 0
.LBB24_187:
	s_delay_alu instid0(SALU_CYCLE_1)
	s_and_not1_b32 vcc_lo, exec_lo, s13
	s_cbranch_vccnz .LBB24_189
; %bb.188:
	global_load_u8 v2, v[0:1], off
	s_wait_loadcnt 0x0
	v_lshlrev_b32_e32 v3, 25, v2
	v_lshlrev_b16 v2, 8, v2
	s_delay_alu instid0(VALU_DEP_2) | instskip(NEXT) | instid1(VALU_DEP_2)
	v_cmp_gt_u32_e32 vcc_lo, 0x8000000, v3
	v_and_or_b32 v6, 0x7f00, v2, 0.5
	v_lshrrev_b32_e32 v5, 4, v3
	v_bfe_i32 v2, v2, 0, 16
	s_delay_alu instid0(VALU_DEP_3) | instskip(NEXT) | instid1(VALU_DEP_3)
	v_add_f32_e32 v6, -0.5, v6
	v_or_b32_e32 v5, 0x70000000, v5
	s_delay_alu instid0(VALU_DEP_1) | instskip(NEXT) | instid1(VALU_DEP_1)
	v_mul_f32_e32 v5, 0x7800000, v5
	v_cndmask_b32_e32 v3, v5, v6, vcc_lo
	s_delay_alu instid0(VALU_DEP_1) | instskip(NEXT) | instid1(VALU_DEP_1)
	v_and_or_b32 v2, 0x80000000, v2, v3
	v_cvt_f16_f32_e32 v2, v2
.LBB24_189:
	s_mov_b32 s18, 0
	s_mov_b32 s13, -1
.LBB24_190:
	s_and_not1_b32 vcc_lo, exec_lo, s18
	s_cbranch_vccnz .LBB24_203
; %bb.191:
	s_cmp_gt_i32 s0, 14
	s_cbranch_scc0 .LBB24_194
; %bb.192:
	s_cmp_eq_u32 s0, 15
	s_cbranch_scc0 .LBB24_197
; %bb.193:
	global_load_u16 v2, v[0:1], off
	s_mov_b32 s13, -1
	s_mov_b32 s15, 0
	s_wait_loadcnt 0x0
	v_lshlrev_b32_e32 v2, 16, v2
	s_delay_alu instid0(VALU_DEP_1)
	v_cvt_f16_f32_e32 v2, v2
	s_branch .LBB24_198
.LBB24_194:
	s_mov_b32 s18, -1
                                        ; implicit-def: $vgpr2
	s_branch .LBB24_199
.LBB24_195:
	s_or_saveexec_b32 s18, s18
	v_mov_b32_e32 v2, 0x7e00
	s_xor_b32 exec_lo, exec_lo, s18
	s_cbranch_execz .LBB24_176
.LBB24_196:
	v_cmp_ne_u16_e32 vcc_lo, 0, v3
	v_mov_b32_e32 v2, v3
	s_and_not1_b32 s13, s13, exec_lo
	s_and_b32 s19, vcc_lo, exec_lo
	s_delay_alu instid0(SALU_CYCLE_1)
	s_or_b32 s13, s13, s19
	s_or_b32 exec_lo, exec_lo, s18
	s_and_saveexec_b32 s18, s13
	s_cbranch_execnz .LBB24_177
	s_branch .LBB24_178
.LBB24_197:
	s_mov_b32 s15, -1
                                        ; implicit-def: $vgpr2
.LBB24_198:
	s_mov_b32 s18, 0
.LBB24_199:
	s_delay_alu instid0(SALU_CYCLE_1)
	s_and_b32 vcc_lo, exec_lo, s18
	s_cbranch_vccz .LBB24_203
; %bb.200:
	s_cmp_eq_u32 s0, 11
	s_cbranch_scc0 .LBB24_202
; %bb.201:
	global_load_u8 v2, v[0:1], off
	s_mov_b32 s15, 0
	s_mov_b32 s13, -1
	s_wait_loadcnt 0x0
	v_cmp_ne_u16_e32 vcc_lo, 0, v2
	v_cndmask_b32_e64 v2, 0, 0x3c00, vcc_lo
	s_branch .LBB24_203
.LBB24_202:
	s_mov_b32 s15, -1
                                        ; implicit-def: $vgpr2
.LBB24_203:
	s_branch .LBB24_10
.LBB24_204:
	s_cmp_lt_i32 s0, 5
	s_cbranch_scc1 .LBB24_209
; %bb.205:
	s_cmp_lt_i32 s0, 8
	s_cbranch_scc1 .LBB24_210
; %bb.206:
	;; [unrolled: 3-line block ×3, first 2 shown]
	s_cmp_gt_i32 s0, 9
	s_cbranch_scc0 .LBB24_212
; %bb.208:
	global_load_b64 v[2:3], v[0:1], off
	s_mov_b32 s13, 0
	s_wait_loadcnt 0x0
	v_and_or_b32 v2, 0x1ff, v3, v2
	v_lshrrev_b32_e32 v5, 8, v3
	v_bfe_u32 v6, v3, 20, 11
	v_lshrrev_b32_e32 v3, 16, v3
	s_delay_alu instid0(VALU_DEP_4) | instskip(NEXT) | instid1(VALU_DEP_3)
	v_cmp_ne_u32_e32 vcc_lo, 0, v2
	v_sub_nc_u32_e32 v7, 0x3f1, v6
	v_add_nc_u32_e32 v6, 0xfffffc10, v6
	v_cndmask_b32_e64 v2, 0, 1, vcc_lo
	s_delay_alu instid0(VALU_DEP_1) | instskip(NEXT) | instid1(VALU_DEP_4)
	v_and_or_b32 v2, 0xffe, v5, v2
	v_med3_i32 v5, v7, 0, 13
	s_delay_alu instid0(VALU_DEP_2) | instskip(NEXT) | instid1(VALU_DEP_1)
	v_or_b32_e32 v7, 0x1000, v2
	v_lshrrev_b32_e32 v8, v5, v7
	s_delay_alu instid0(VALU_DEP_1) | instskip(NEXT) | instid1(VALU_DEP_1)
	v_lshlrev_b32_e32 v5, v5, v8
	v_cmp_ne_u32_e32 vcc_lo, v5, v7
	v_lshl_or_b32 v7, v6, 12, v2
	v_cndmask_b32_e64 v5, 0, 1, vcc_lo
	v_cmp_gt_i32_e32 vcc_lo, 1, v6
	s_delay_alu instid0(VALU_DEP_2) | instskip(NEXT) | instid1(VALU_DEP_1)
	v_or_b32_e32 v5, v8, v5
	v_cndmask_b32_e32 v5, v7, v5, vcc_lo
	s_delay_alu instid0(VALU_DEP_1) | instskip(NEXT) | instid1(VALU_DEP_1)
	v_dual_lshrrev_b32 v5, 2, v5 :: v_dual_bitop2_b32 v7, 7, v5 bitop3:0x40
	v_cmp_lt_i32_e32 vcc_lo, 5, v7
	v_cndmask_b32_e64 v8, 0, 1, vcc_lo
	v_cmp_eq_u32_e32 vcc_lo, 3, v7
	v_cndmask_b32_e64 v7, 0, 1, vcc_lo
	v_cmp_ne_u32_e32 vcc_lo, 0, v2
	s_delay_alu instid0(VALU_DEP_2) | instskip(NEXT) | instid1(VALU_DEP_1)
	v_or_b32_e32 v7, v7, v8
	v_dual_mov_b32 v8, 0x7e00 :: v_dual_add_nc_u32 v5, v5, v7
	s_delay_alu instid0(VALU_DEP_1) | instskip(SKIP_1) | instid1(VALU_DEP_3)
	v_cndmask_b32_e32 v2, 0x7c00, v8, vcc_lo
	v_cmp_gt_i32_e32 vcc_lo, 31, v6
	v_cndmask_b32_e32 v5, 0x7c00, v5, vcc_lo
	v_cmp_eq_u32_e32 vcc_lo, 0x40f, v6
	s_delay_alu instid0(VALU_DEP_2) | instskip(NEXT) | instid1(VALU_DEP_1)
	v_cndmask_b32_e32 v2, v5, v2, vcc_lo
	v_and_or_b32 v2, 0x8000, v3, v2
	s_branch .LBB24_213
.LBB24_209:
                                        ; implicit-def: $vgpr2
	s_branch .LBB24_231
.LBB24_210:
	s_mov_b32 s13, -1
                                        ; implicit-def: $vgpr2
	s_branch .LBB24_219
.LBB24_211:
	s_mov_b32 s13, -1
                                        ; implicit-def: $vgpr2
	s_branch .LBB24_216
.LBB24_212:
	s_mov_b32 s13, -1
                                        ; implicit-def: $vgpr2
.LBB24_213:
	s_delay_alu instid0(SALU_CYCLE_1)
	s_and_not1_b32 vcc_lo, exec_lo, s13
	s_cbranch_vccnz .LBB24_215
; %bb.214:
	global_load_b32 v2, v[0:1], off
	s_wait_loadcnt 0x0
	v_cvt_f16_f32_e32 v2, v2
.LBB24_215:
	s_mov_b32 s13, 0
.LBB24_216:
	s_delay_alu instid0(SALU_CYCLE_1)
	s_and_not1_b32 vcc_lo, exec_lo, s13
	s_cbranch_vccnz .LBB24_218
; %bb.217:
	global_load_b32 v2, v[0:1], off
.LBB24_218:
	s_mov_b32 s13, 0
.LBB24_219:
	s_delay_alu instid0(SALU_CYCLE_1)
	s_and_not1_b32 vcc_lo, exec_lo, s13
	s_cbranch_vccnz .LBB24_230
; %bb.220:
	s_cmp_lt_i32 s0, 6
	s_cbranch_scc1 .LBB24_223
; %bb.221:
	s_cmp_gt_i32 s0, 6
	s_cbranch_scc0 .LBB24_224
; %bb.222:
	s_wait_loadcnt 0x0
	global_load_b64 v[2:3], v[0:1], off
	s_mov_b32 s13, 0
	s_wait_loadcnt 0x0
	v_and_or_b32 v2, 0x1ff, v3, v2
	v_lshrrev_b32_e32 v5, 8, v3
	v_bfe_u32 v6, v3, 20, 11
	v_lshrrev_b32_e32 v3, 16, v3
	s_delay_alu instid0(VALU_DEP_4) | instskip(NEXT) | instid1(VALU_DEP_3)
	v_cmp_ne_u32_e32 vcc_lo, 0, v2
	v_sub_nc_u32_e32 v7, 0x3f1, v6
	v_add_nc_u32_e32 v6, 0xfffffc10, v6
	v_cndmask_b32_e64 v2, 0, 1, vcc_lo
	s_delay_alu instid0(VALU_DEP_1) | instskip(NEXT) | instid1(VALU_DEP_4)
	v_and_or_b32 v2, 0xffe, v5, v2
	v_med3_i32 v5, v7, 0, 13
	s_delay_alu instid0(VALU_DEP_2) | instskip(NEXT) | instid1(VALU_DEP_1)
	v_or_b32_e32 v7, 0x1000, v2
	v_lshrrev_b32_e32 v8, v5, v7
	s_delay_alu instid0(VALU_DEP_1) | instskip(NEXT) | instid1(VALU_DEP_1)
	v_lshlrev_b32_e32 v5, v5, v8
	v_cmp_ne_u32_e32 vcc_lo, v5, v7
	v_lshl_or_b32 v7, v6, 12, v2
	v_cndmask_b32_e64 v5, 0, 1, vcc_lo
	v_cmp_gt_i32_e32 vcc_lo, 1, v6
	s_delay_alu instid0(VALU_DEP_2) | instskip(NEXT) | instid1(VALU_DEP_1)
	v_or_b32_e32 v5, v8, v5
	v_cndmask_b32_e32 v5, v7, v5, vcc_lo
	s_delay_alu instid0(VALU_DEP_1) | instskip(NEXT) | instid1(VALU_DEP_1)
	v_dual_lshrrev_b32 v5, 2, v5 :: v_dual_bitop2_b32 v7, 7, v5 bitop3:0x40
	v_cmp_lt_i32_e32 vcc_lo, 5, v7
	v_cndmask_b32_e64 v8, 0, 1, vcc_lo
	v_cmp_eq_u32_e32 vcc_lo, 3, v7
	v_cndmask_b32_e64 v7, 0, 1, vcc_lo
	v_cmp_ne_u32_e32 vcc_lo, 0, v2
	s_delay_alu instid0(VALU_DEP_2) | instskip(NEXT) | instid1(VALU_DEP_1)
	v_or_b32_e32 v7, v7, v8
	v_dual_mov_b32 v8, 0x7e00 :: v_dual_add_nc_u32 v5, v5, v7
	s_delay_alu instid0(VALU_DEP_1) | instskip(SKIP_1) | instid1(VALU_DEP_3)
	v_cndmask_b32_e32 v2, 0x7c00, v8, vcc_lo
	v_cmp_gt_i32_e32 vcc_lo, 31, v6
	v_cndmask_b32_e32 v5, 0x7c00, v5, vcc_lo
	v_cmp_eq_u32_e32 vcc_lo, 0x40f, v6
	s_delay_alu instid0(VALU_DEP_2) | instskip(NEXT) | instid1(VALU_DEP_1)
	v_cndmask_b32_e32 v2, v5, v2, vcc_lo
	v_and_or_b32 v2, 0x8000, v3, v2
	s_branch .LBB24_225
.LBB24_223:
	s_mov_b32 s13, -1
                                        ; implicit-def: $vgpr2
	s_branch .LBB24_228
.LBB24_224:
	s_mov_b32 s13, -1
                                        ; implicit-def: $vgpr2
.LBB24_225:
	s_delay_alu instid0(SALU_CYCLE_1)
	s_and_not1_b32 vcc_lo, exec_lo, s13
	s_cbranch_vccnz .LBB24_227
; %bb.226:
	s_wait_loadcnt 0x0
	global_load_b32 v2, v[0:1], off
	s_wait_loadcnt 0x0
	v_cvt_f16_f32_e32 v2, v2
.LBB24_227:
	s_mov_b32 s13, 0
.LBB24_228:
	s_delay_alu instid0(SALU_CYCLE_1)
	s_and_not1_b32 vcc_lo, exec_lo, s13
	s_cbranch_vccnz .LBB24_230
; %bb.229:
	s_wait_loadcnt 0x0
	global_load_u16 v2, v[0:1], off
.LBB24_230:
	s_cbranch_execnz .LBB24_250
.LBB24_231:
	s_cmp_lt_i32 s0, 2
	s_cbranch_scc1 .LBB24_235
; %bb.232:
	s_cmp_lt_i32 s0, 3
	s_cbranch_scc1 .LBB24_236
; %bb.233:
	s_cmp_gt_i32 s0, 3
	s_cbranch_scc0 .LBB24_237
; %bb.234:
	s_wait_loadcnt 0x0
	global_load_b64 v[2:3], v[0:1], off
	s_mov_b32 s13, 0
	s_wait_loadcnt 0x0
	v_xor_b32_e32 v5, v2, v3
	v_cls_i32_e32 v6, v3
	s_delay_alu instid0(VALU_DEP_2) | instskip(NEXT) | instid1(VALU_DEP_1)
	v_ashrrev_i32_e32 v5, 31, v5
	v_add_nc_u32_e32 v5, 32, v5
	s_delay_alu instid0(VALU_DEP_1) | instskip(NEXT) | instid1(VALU_DEP_1)
	v_add_min_u32_e64 v5, v6, -1, v5
	v_lshlrev_b64_e32 v[2:3], v5, v[2:3]
	s_delay_alu instid0(VALU_DEP_1) | instskip(NEXT) | instid1(VALU_DEP_1)
	v_min_u32_e32 v2, 1, v2
	v_dual_sub_nc_u32 v3, 32, v5 :: v_dual_bitop2_b32 v2, v3, v2 bitop3:0x54
	s_delay_alu instid0(VALU_DEP_1) | instskip(NEXT) | instid1(VALU_DEP_1)
	v_cvt_f32_i32_e32 v2, v2
	v_ldexp_f32 v2, v2, v3
	s_delay_alu instid0(VALU_DEP_1)
	v_cvt_f16_f32_e32 v2, v2
	s_branch .LBB24_238
.LBB24_235:
	s_mov_b32 s13, -1
                                        ; implicit-def: $vgpr2
	s_branch .LBB24_244
.LBB24_236:
	s_mov_b32 s13, -1
                                        ; implicit-def: $vgpr2
	s_branch .LBB24_241
.LBB24_237:
	s_mov_b32 s13, -1
                                        ; implicit-def: $vgpr2
.LBB24_238:
	s_delay_alu instid0(SALU_CYCLE_1)
	s_and_not1_b32 vcc_lo, exec_lo, s13
	s_cbranch_vccnz .LBB24_240
; %bb.239:
	s_wait_loadcnt 0x0
	global_load_b32 v2, v[0:1], off
	s_wait_loadcnt 0x0
	v_cvt_f32_i32_e32 v2, v2
	s_delay_alu instid0(VALU_DEP_1)
	v_cvt_f16_f32_e32 v2, v2
.LBB24_240:
	s_mov_b32 s13, 0
.LBB24_241:
	s_delay_alu instid0(SALU_CYCLE_1)
	s_and_not1_b32 vcc_lo, exec_lo, s13
	s_cbranch_vccnz .LBB24_243
; %bb.242:
	s_wait_loadcnt 0x0
	global_load_u16 v2, v[0:1], off
	s_wait_loadcnt 0x0
	v_cvt_f16_i16_e32 v2, v2
.LBB24_243:
	s_mov_b32 s13, 0
.LBB24_244:
	s_delay_alu instid0(SALU_CYCLE_1)
	s_and_not1_b32 vcc_lo, exec_lo, s13
	s_cbranch_vccnz .LBB24_250
; %bb.245:
	s_cmp_gt_i32 s0, 0
	s_mov_b32 s0, 0
	s_cbranch_scc0 .LBB24_247
; %bb.246:
	s_wait_loadcnt 0x0
	global_load_i8 v2, v[0:1], off
	s_wait_loadcnt 0x0
	v_cvt_f16_i16_e32 v2, v2
	s_branch .LBB24_248
.LBB24_247:
	s_mov_b32 s0, -1
                                        ; implicit-def: $vgpr2
.LBB24_248:
	s_delay_alu instid0(SALU_CYCLE_1)
	s_and_not1_b32 vcc_lo, exec_lo, s0
	s_cbranch_vccnz .LBB24_250
; %bb.249:
	global_load_u8 v0, v[0:1], off
	s_wait_loadcnt 0x0
	v_cvt_f16_u16_e32 v2, v0
.LBB24_250:
	s_branch .LBB24_11
.LBB24_251:
	s_mov_b32 s0, 0
.LBB24_252:
	s_mov_b32 s18, 0
                                        ; implicit-def: $vgpr4
.LBB24_253:
	s_and_b32 s13, s0, exec_lo
	s_and_b32 s15, s15, exec_lo
	s_or_not1_b32 s19, s18, exec_lo
.LBB24_254:
	s_wait_xcnt 0x0
	s_or_b32 exec_lo, exec_lo, s16
	s_mov_b32 s18, 0
	s_mov_b32 s0, 0
                                        ; implicit-def: $vgpr0_vgpr1
                                        ; implicit-def: $vgpr2
	s_and_saveexec_b32 s16, s19
	s_cbranch_execz .LBB24_263
; %bb.255:
	s_mov_b32 s0, -1
	s_mov_b32 s17, s15
	s_mov_b32 s18, s13
	s_mov_b32 s19, exec_lo
	v_cmpx_gt_i32_e64 s14, v4
	s_cbranch_execz .LBB24_519
; %bb.256:
	v_mul_lo_u32 v0, v4, s9
	s_and_b32 s0, 0xffff, s3
	s_delay_alu instid0(SALU_CYCLE_1) | instskip(NEXT) | instid1(VALU_DEP_1)
	s_cmp_lt_i32 s0, 11
	v_ashrrev_i32_e32 v1, 31, v0
	s_delay_alu instid0(VALU_DEP_1)
	v_add_nc_u64_e32 v[0:1], s[6:7], v[0:1]
	s_cbranch_scc1 .LBB24_266
; %bb.257:
	s_cmp_gt_i32 s0, 25
	s_cbranch_scc0 .LBB24_277
; %bb.258:
	s_cmp_gt_i32 s0, 28
	s_cbranch_scc0 .LBB24_279
	;; [unrolled: 3-line block ×4, first 2 shown]
; %bb.261:
	s_cmp_eq_u32 s0, 46
	s_mov_b32 s20, 0
	s_cbranch_scc0 .LBB24_289
; %bb.262:
	s_wait_loadcnt 0x0
	global_load_b32 v2, v[0:1], off
	s_mov_b32 s18, -1
	s_mov_b32 s17, 0
	s_wait_loadcnt 0x0
	v_lshlrev_b32_e32 v2, 16, v2
	s_delay_alu instid0(VALU_DEP_1)
	v_cvt_f16_f32_e32 v2, v2
	s_branch .LBB24_291
.LBB24_263:
	s_or_b32 exec_lo, exec_lo, s16
	s_mov_b32 s14, 0
	s_and_saveexec_b32 s16, s15
	s_cbranch_execnz .LBB24_869
.LBB24_264:
	s_or_b32 exec_lo, exec_lo, s16
	s_and_saveexec_b32 s15, s17
	s_delay_alu instid0(SALU_CYCLE_1)
	s_xor_b32 s15, exec_lo, s15
	s_cbranch_execz .LBB24_870
.LBB24_265:
	s_wait_loadcnt 0x0
	global_load_u8 v2, v[0:1], off
	s_or_b32 s0, s0, exec_lo
	s_wait_loadcnt 0x0
	v_cmp_ne_u16_e32 vcc_lo, 0, v2
	v_cndmask_b32_e64 v2, 0, 0x3c00, vcc_lo
	s_wait_xcnt 0x0
	s_or_b32 exec_lo, exec_lo, s15
	s_and_saveexec_b32 s15, s18
	s_cbranch_execz .LBB24_916
	s_branch .LBB24_871
.LBB24_266:
	s_mov_b32 s18, 0
	s_mov_b32 s17, s15
                                        ; implicit-def: $vgpr2
	s_cbranch_execnz .LBB24_468
.LBB24_267:
	s_and_not1_b32 vcc_lo, exec_lo, s18
	s_cbranch_vccnz .LBB24_516
.LBB24_268:
	s_wait_loadcnt 0x0
	s_delay_alu instid0(VALU_DEP_1) | instskip(SKIP_1) | instid1(VALU_DEP_1)
	v_cvt_f32_f16_e32 v0, v2
	s_mov_b32 s0, exec_lo
	v_mul_f32_e32 v0, s10, v0
	s_delay_alu instid0(VALU_DEP_1)
	v_cmpx_nlt_f32_e32 s11, v0
	s_cbranch_execz .LBB24_270
; %bb.269:
	v_mul_f32_e32 v1, 0x3fb8aa3b, v0
	v_cmp_ngt_f32_e32 vcc_lo, 0xc2ce8ed0, v0
	s_mov_b32 s18, 0x3e9b6dac
	s_delay_alu instid0(VALU_DEP_2) | instskip(SKIP_1) | instid1(VALU_DEP_2)
	v_rndne_f32_e32 v2, v1
	v_fma_f32 v3, 0x3fb8aa3b, v0, -v1
	v_sub_f32_e32 v1, v1, v2
	s_delay_alu instid0(VALU_DEP_2) | instskip(SKIP_1) | instid1(VALU_DEP_2)
	v_fmamk_f32 v3, v0, 0x32a5705f, v3
	v_cvt_i32_f32_e32 v2, v2
	v_add_f32_e32 v1, v1, v3
	s_delay_alu instid0(VALU_DEP_1) | instskip(SKIP_1) | instid1(TRANS32_DEP_1)
	v_exp_f32_e32 v1, v1
	v_nop
	v_ldexp_f32 v1, v1, v2
	s_delay_alu instid0(VALU_DEP_1) | instskip(SKIP_1) | instid1(VALU_DEP_2)
	v_cndmask_b32_e32 v1, 0, v1, vcc_lo
	v_cmp_nlt_f32_e32 vcc_lo, 0x42b17218, v0
	v_cndmask_b32_e32 v18, 0x7f800000, v1, vcc_lo
	s_delay_alu instid0(VALU_DEP_1) | instskip(NEXT) | instid1(VALU_DEP_1)
	v_add_f32_e32 v2, 1.0, v18
	v_cvt_f64_f32_e32 v[0:1], v2
	s_delay_alu instid0(VALU_DEP_1) | instskip(SKIP_1) | instid1(VALU_DEP_1)
	v_frexp_exp_i32_f64_e32 v0, v[0:1]
	v_frexp_mant_f32_e32 v1, v2
	v_cmp_gt_f32_e32 vcc_lo, 0x3f2aaaab, v1
	s_delay_alu instid0(VALU_DEP_3) | instskip(NEXT) | instid1(VALU_DEP_1)
	v_subrev_co_ci_u32_e64 v5, null, 0, v0, vcc_lo
	v_dual_add_f32 v0, -1.0, v2 :: v_dual_sub_nc_u32 v1, 0, v5
	s_delay_alu instid0(VALU_DEP_1) | instskip(NEXT) | instid1(VALU_DEP_2)
	v_dual_sub_f32 v3, v0, v2 :: v_dual_sub_f32 v0, v18, v0
	v_ldexp_f32 v2, v2, v1
	s_delay_alu instid0(VALU_DEP_1) | instskip(NEXT) | instid1(VALU_DEP_1)
	v_dual_add_f32 v3, 1.0, v3 :: v_dual_add_f32 v6, 1.0, v2
	v_dual_add_f32 v7, -1.0, v2 :: v_dual_add_f32 v0, v0, v3
	s_delay_alu instid0(VALU_DEP_2) | instskip(SKIP_1) | instid1(VALU_DEP_3)
	v_add_f32_e32 v3, -1.0, v6
	v_cmp_neq_f32_e32 vcc_lo, 0x7f800000, v18
	v_ldexp_f32 v0, v0, v1
	s_delay_alu instid0(VALU_DEP_3) | instskip(NEXT) | instid1(VALU_DEP_1)
	v_sub_f32_e32 v1, v2, v3
	v_dual_add_f32 v3, 1.0, v7 :: v_dual_add_f32 v8, v0, v1
	s_delay_alu instid0(VALU_DEP_1) | instskip(NEXT) | instid1(VALU_DEP_1)
	v_sub_f32_e32 v1, v2, v3
	v_dual_add_f32 v9, v6, v8 :: v_dual_add_f32 v10, v0, v1
	s_delay_alu instid0(VALU_DEP_1) | instskip(NEXT) | instid1(VALU_DEP_1)
	v_rcp_f32_e32 v11, v9
	v_dual_add_f32 v1, v7, v10 :: v_dual_sub_f32 v0, v6, v9
	s_delay_alu instid0(TRANS32_DEP_1) | instid1(VALU_DEP_1)
	v_dual_sub_f32 v13, v7, v1 :: v_dual_mul_f32 v12, v1, v11
	s_delay_alu instid0(VALU_DEP_2) | instskip(NEXT) | instid1(VALU_DEP_2)
	v_add_f32_e32 v8, v8, v0
	v_mul_f32_e32 v2, v9, v12
	s_delay_alu instid0(VALU_DEP_1) | instskip(NEXT) | instid1(VALU_DEP_1)
	v_fma_f32 v6, v12, v9, -v2
	v_fmac_f32_e32 v6, v12, v8
	s_delay_alu instid0(VALU_DEP_1) | instskip(NEXT) | instid1(VALU_DEP_1)
	v_add_f32_e32 v0, v2, v6
	v_dual_sub_f32 v3, v1, v0 :: v_dual_mov_b32 v7, v0
	s_delay_alu instid0(VALU_DEP_1) | instskip(SKIP_1) | instid1(VALU_DEP_2)
	v_pk_add_f32 v[0:1], v[0:1], v[2:3] neg_lo:[0,1] neg_hi:[0,1]
	v_add_f32_e32 v2, v10, v13
	v_pk_add_f32 v[0:1], v[0:1], v[6:7] neg_lo:[0,1] neg_hi:[0,1]
	s_delay_alu instid0(VALU_DEP_1) | instskip(NEXT) | instid1(VALU_DEP_1)
	v_add_f32_e32 v1, v2, v1
	v_add_f32_e32 v10, v0, v1
	s_delay_alu instid0(VALU_DEP_1) | instskip(NEXT) | instid1(VALU_DEP_1)
	v_add_f32_e32 v1, v3, v10
	v_mul_f32_e32 v13, v11, v1
	s_delay_alu instid0(VALU_DEP_1) | instskip(NEXT) | instid1(VALU_DEP_1)
	v_mul_f32_e32 v6, v9, v13
	v_fma_f32 v2, v13, v9, -v6
	s_delay_alu instid0(VALU_DEP_1) | instskip(NEXT) | instid1(VALU_DEP_1)
	v_dual_fmac_f32 v2, v13, v8 :: v_dual_sub_f32 v8, v3, v1
	v_add_f32_e32 v0, v6, v2
	s_delay_alu instid0(VALU_DEP_1) | instskip(NEXT) | instid1(VALU_DEP_1)
	v_dual_sub_f32 v7, v1, v0 :: v_dual_mov_b32 v3, v0
	v_pk_add_f32 v[0:1], v[0:1], v[6:7] neg_lo:[0,1] neg_hi:[0,1]
	s_delay_alu instid0(VALU_DEP_1) | instskip(SKIP_2) | instid1(VALU_DEP_2)
	v_pk_add_f32 v[0:1], v[0:1], v[2:3] neg_lo:[0,1] neg_hi:[0,1]
	v_add_f32_e32 v6, v10, v8
	v_cvt_f32_i32_e32 v2, v5
	v_add_f32_e32 v1, v6, v1
	s_delay_alu instid0(VALU_DEP_1) | instskip(NEXT) | instid1(VALU_DEP_1)
	v_add_f32_e32 v0, v0, v1
	v_dual_add_f32 v6, v12, v13 :: v_dual_add_f32 v0, v7, v0
	s_delay_alu instid0(VALU_DEP_1) | instskip(NEXT) | instid1(VALU_DEP_1)
	v_sub_f32_e32 v1, v6, v12
	v_dual_mul_f32 v0, v11, v0 :: v_dual_sub_f32 v1, v13, v1
	s_delay_alu instid0(VALU_DEP_1) | instskip(NEXT) | instid1(VALU_DEP_1)
	v_add_f32_e32 v8, v1, v0
	v_dual_mov_b32 v0, 0x3f317218 :: v_dual_add_f32 v7, v6, v8
	s_delay_alu instid0(VALU_DEP_1) | instskip(NEXT) | instid1(VALU_DEP_1)
	v_mul_f32_e32 v1, v7, v7
	v_fmaak_f32 v9, s18, v1, 0x3ecc95a3
	v_mul_f32_e32 v3, v7, v1
	s_delay_alu instid0(VALU_DEP_2) | instskip(NEXT) | instid1(VALU_DEP_1)
	v_fmaak_f32 v1, v1, v9, 0x3f2aaada
	v_pk_mul_f32 v[0:1], v[2:3], v[0:1]
	s_delay_alu instid0(VALU_DEP_1) | instskip(NEXT) | instid1(VALU_DEP_1)
	v_fma_f32 v5, 0x3f317218, v2, -v0
	v_dual_fmamk_f32 v2, v2, 0xb102e308, v5 :: v_dual_sub_f32 v5, v7, v6
	s_delay_alu instid0(VALU_DEP_1) | instskip(SKIP_2) | instid1(VALU_DEP_3)
	v_sub_f32_e32 v5, v8, v5
	v_ldexp_f32 v3, v7, 1
	v_mov_b32_e32 v8, v0
	v_ldexp_f32 v5, v5, 1
	s_delay_alu instid0(VALU_DEP_3) | instskip(NEXT) | instid1(VALU_DEP_1)
	v_pk_add_f32 v[6:7], v[0:1], v[2:3]
	v_dual_sub_f32 v3, v7, v3 :: v_dual_mov_b32 v16, v7
	s_delay_alu instid0(VALU_DEP_1) | instskip(NEXT) | instid1(VALU_DEP_3)
	v_sub_f32_e32 v3, v1, v3
	v_pk_add_f32 v[0:1], v[6:7], v[0:1] neg_lo:[0,1] neg_hi:[0,1]
	s_delay_alu instid0(VALU_DEP_2) | instskip(NEXT) | instid1(VALU_DEP_1)
	v_dual_add_f32 v9, v5, v3 :: v_dual_mov_b32 v3, v6
	v_pk_add_f32 v[10:11], v[6:7], v[8:9]
	s_delay_alu instid0(VALU_DEP_1) | instskip(NEXT) | instid1(VALU_DEP_1)
	v_mov_b32_e32 v1, v11
	v_pk_add_f32 v[12:13], v[2:3], v[0:1]
	v_mov_b32_e32 v12, v11
	v_pk_add_f32 v[0:1], v[2:3], v[0:1] neg_lo:[0,1] neg_hi:[0,1]
	s_delay_alu instid0(VALU_DEP_3) | instskip(NEXT) | instid1(VALU_DEP_1)
	v_dual_mov_b32 v8, v13 :: v_dual_mov_b32 v1, v13
	v_pk_add_f32 v[14:15], v[8:9], v[6:7] neg_lo:[0,1] neg_hi:[0,1]
	v_dual_mov_b32 v7, v6 :: v_dual_mov_b32 v6, v9
	s_delay_alu instid0(VALU_DEP_2) | instskip(NEXT) | instid1(VALU_DEP_1)
	v_dual_mov_b32 v5, v14 :: v_dual_mov_b32 v17, v14
	v_pk_add_f32 v[10:11], v[10:11], v[4:5] neg_lo:[0,1] neg_hi:[0,1]
	s_delay_alu instid0(VALU_DEP_2) | instskip(SKIP_1) | instid1(VALU_DEP_2)
	v_pk_add_f32 v[2:3], v[12:13], v[16:17] neg_lo:[0,1] neg_hi:[0,1]
	v_mov_b32_e32 v10, v0
	v_pk_add_f32 v[2:3], v[6:7], v[2:3] neg_lo:[0,1] neg_hi:[0,1]
	s_delay_alu instid0(VALU_DEP_1) | instskip(NEXT) | instid1(VALU_DEP_1)
	v_pk_add_f32 v[6:7], v[10:11], v[2:3]
	v_mov_b32_e32 v10, v7
	s_delay_alu instid0(VALU_DEP_1) | instskip(NEXT) | instid1(VALU_DEP_1)
	v_pk_add_f32 v[10:11], v[6:7], v[10:11]
	v_pk_add_f32 v[8:9], v[8:9], v[10:11]
	s_delay_alu instid0(VALU_DEP_1) | instskip(NEXT) | instid1(VALU_DEP_1)
	v_mov_b32_e32 v7, v8
	v_pk_add_f32 v[12:13], v[6:7], v[0:1] neg_lo:[0,1] neg_hi:[0,1]
	s_delay_alu instid0(VALU_DEP_1) | instskip(NEXT) | instid1(VALU_DEP_1)
	v_sub_f32_e32 v1, v6, v12
	v_dual_mov_b32 v3, v10 :: v_dual_sub_f32 v0, v0, v1
	s_delay_alu instid0(VALU_DEP_1) | instskip(NEXT) | instid1(VALU_DEP_1)
	v_pk_add_f32 v[2:3], v[2:3], v[12:13] neg_lo:[0,1] neg_hi:[0,1]
	v_add_f32_e32 v0, v2, v0
	s_delay_alu instid0(VALU_DEP_1) | instskip(NEXT) | instid1(VALU_DEP_1)
	v_add_f32_e32 v0, v0, v3
	v_add_f32_e32 v0, v8, v0
	s_delay_alu instid0(VALU_DEP_1) | instskip(SKIP_1) | instid1(VALU_DEP_2)
	v_cndmask_b32_e32 v0, 0x7f800000, v0, vcc_lo
	v_cmp_gt_f32_e64 vcc_lo, 0x33800000, |v18|
	v_cndmask_b32_e32 v0, v0, v18, vcc_lo
	s_delay_alu instid0(VALU_DEP_1) | instskip(NEXT) | instid1(VALU_DEP_1)
	v_div_scale_f32 v1, null, s10, s10, v0
	v_rcp_f32_e32 v2, v1
	v_nop
	s_delay_alu instid0(TRANS32_DEP_1) | instskip(NEXT) | instid1(VALU_DEP_1)
	v_fma_f32 v3, -v1, v2, 1.0
	v_fmac_f32_e32 v2, v3, v2
	v_div_scale_f32 v3, vcc_lo, v0, s10, v0
	s_delay_alu instid0(VALU_DEP_1) | instskip(NEXT) | instid1(VALU_DEP_1)
	v_mul_f32_e32 v5, v3, v2
	v_fma_f32 v6, -v1, v5, v3
	s_delay_alu instid0(VALU_DEP_1) | instskip(NEXT) | instid1(VALU_DEP_1)
	v_fmac_f32_e32 v5, v6, v2
	v_fma_f32 v1, -v1, v5, v3
	s_delay_alu instid0(VALU_DEP_1) | instskip(NEXT) | instid1(VALU_DEP_1)
	v_div_fmas_f32 v1, v1, v2, v5
	v_div_fixup_f32 v0, v1, s10, v0
	s_delay_alu instid0(VALU_DEP_1)
	v_cvt_f16_f32_e32 v2, v0
.LBB24_270:
	s_or_b32 exec_lo, exec_lo, s0
	v_mul_lo_u32 v0, v4, s8
	s_and_b32 s18, s2, 0xff
	s_delay_alu instid0(SALU_CYCLE_1) | instskip(NEXT) | instid1(VALU_DEP_1)
	s_cmp_lt_i32 s18, 11
	v_ashrrev_i32_e32 v1, 31, v0
	s_delay_alu instid0(VALU_DEP_1)
	v_add_nc_u64_e32 v[0:1], s[4:5], v[0:1]
	s_cbranch_scc1 .LBB24_278
; %bb.271:
	s_and_b32 s20, 0xffff, s18
	s_delay_alu instid0(SALU_CYCLE_1)
	s_cmp_gt_i32 s20, 25
	s_cbranch_scc0 .LBB24_280
; %bb.272:
	s_cmp_gt_i32 s20, 28
	s_cbranch_scc0 .LBB24_282
; %bb.273:
	;; [unrolled: 3-line block ×4, first 2 shown]
	s_mov_b32 s22, 0
	s_mov_b32 s0, -1
	s_cmp_eq_u32 s20, 46
	s_mov_b32 s21, 0
	s_cbranch_scc0 .LBB24_295
; %bb.276:
	v_cvt_f32_f16_e32 v3, v2
	v_cmp_o_f16_e32 vcc_lo, v2, v2
	s_mov_b32 s21, -1
	s_mov_b32 s0, 0
	s_delay_alu instid0(VALU_DEP_2) | instskip(NEXT) | instid1(VALU_DEP_1)
	v_bfe_u32 v5, v3, 16, 1
	v_add3_u32 v3, v3, v5, 0x7fff
	s_delay_alu instid0(VALU_DEP_1) | instskip(NEXT) | instid1(VALU_DEP_1)
	v_lshrrev_b32_e32 v3, 16, v3
	v_cndmask_b32_e32 v3, 0x7fc0, v3, vcc_lo
	global_store_b32 v[0:1], v3, off
	s_branch .LBB24_295
.LBB24_277:
	s_mov_b32 s20, -1
	s_mov_b32 s18, 0
	s_mov_b32 s17, s15
                                        ; implicit-def: $vgpr2
	s_branch .LBB24_432
.LBB24_278:
	s_mov_b32 s20, -1
	s_mov_b32 s21, 0
	s_mov_b32 s0, s13
	s_branch .LBB24_364
.LBB24_279:
	s_mov_b32 s20, -1
	s_mov_b32 s18, 0
	s_mov_b32 s17, s15
                                        ; implicit-def: $vgpr2
	s_branch .LBB24_413
.LBB24_280:
	s_mov_b32 s22, -1
	s_mov_b32 s21, 0
	s_mov_b32 s0, s13
	s_branch .LBB24_322
.LBB24_281:
	s_mov_b32 s20, -1
	s_mov_b32 s18, 0
	s_mov_b32 s17, s15
                                        ; implicit-def: $vgpr2
	s_branch .LBB24_408
.LBB24_282:
	s_mov_b32 s22, -1
	s_mov_b32 s21, 0
	s_mov_b32 s0, s13
	s_branch .LBB24_305
.LBB24_283:
	s_and_not1_saveexec_b32 s21, s21
	s_cbranch_execz .LBB24_56
.LBB24_284:
	v_add_f32_e64 v5, 0x46000000, |v3|
	s_and_not1_b32 s20, s20, exec_lo
	s_delay_alu instid0(VALU_DEP_1) | instskip(NEXT) | instid1(VALU_DEP_1)
	v_and_b32_e32 v5, 0xff, v5
	v_cmp_ne_u32_e32 vcc_lo, 0, v5
	s_and_b32 s22, vcc_lo, exec_lo
	s_delay_alu instid0(SALU_CYCLE_1)
	s_or_b32 s20, s20, s22
	s_or_b32 exec_lo, exec_lo, s21
	v_mov_b32_e32 v6, 0
	s_and_saveexec_b32 s21, s20
	s_cbranch_execnz .LBB24_57
	s_branch .LBB24_58
.LBB24_285:
	s_mov_b32 s20, -1
	s_mov_b32 s18, 0
	s_mov_b32 s17, s15
	s_branch .LBB24_290
.LBB24_286:
	s_mov_b32 s22, -1
	s_mov_b32 s21, 0
	s_mov_b32 s0, s13
	s_branch .LBB24_301
.LBB24_287:
	s_and_not1_saveexec_b32 s21, s21
	s_cbranch_execz .LBB24_69
.LBB24_288:
	v_add_f32_e64 v5, 0x42800000, |v3|
	s_and_not1_b32 s20, s20, exec_lo
	s_delay_alu instid0(VALU_DEP_1) | instskip(NEXT) | instid1(VALU_DEP_1)
	v_and_b32_e32 v5, 0xff, v5
	v_cmp_ne_u32_e32 vcc_lo, 0, v5
	s_and_b32 s22, vcc_lo, exec_lo
	s_delay_alu instid0(SALU_CYCLE_1)
	s_or_b32 s20, s20, s22
	s_or_b32 exec_lo, exec_lo, s21
	v_mov_b32_e32 v6, 0
	s_and_saveexec_b32 s21, s20
	s_cbranch_execnz .LBB24_70
	s_branch .LBB24_71
.LBB24_289:
	s_mov_b32 s17, -1
	s_mov_b32 s18, 0
.LBB24_290:
                                        ; implicit-def: $vgpr2
.LBB24_291:
	s_and_b32 vcc_lo, exec_lo, s20
	s_cbranch_vccz .LBB24_407
; %bb.292:
	s_cmp_eq_u32 s0, 44
	s_cbranch_scc0 .LBB24_406
; %bb.293:
	s_wait_loadcnt 0x0
	global_load_u8 v2, v[0:1], off
	s_mov_b32 s17, 0
	s_mov_b32 s18, -1
	s_wait_loadcnt 0x0
	v_lshlrev_b32_e32 v3, 23, v2
	v_cmp_ne_u32_e32 vcc_lo, 0xff, v2
	s_delay_alu instid0(VALU_DEP_2) | instskip(NEXT) | instid1(VALU_DEP_1)
	v_cvt_f16_f32_e32 v3, v3
	v_cndmask_b32_e32 v3, 0x7e00, v3, vcc_lo
	v_cmp_ne_u32_e32 vcc_lo, 0, v2
	s_delay_alu instid0(VALU_DEP_2)
	v_cndmask_b32_e32 v2, 0, v3, vcc_lo
	s_branch .LBB24_407
.LBB24_294:
	s_mov_b32 s22, -1
	s_mov_b32 s21, 0
	s_mov_b32 s0, s13
.LBB24_295:
	s_and_b32 vcc_lo, exec_lo, s22
	s_cbranch_vccz .LBB24_300
; %bb.296:
	s_cmp_eq_u32 s20, 44
	s_mov_b32 s0, -1
	s_cbranch_scc0 .LBB24_300
; %bb.297:
	s_wait_xcnt 0x0
	v_cvt_f32_f16_e32 v3, v2
	v_mov_b32_e32 v5, 0xff
	s_mov_b32 s21, exec_lo
	s_delay_alu instid0(VALU_DEP_2) | instskip(NEXT) | instid1(VALU_DEP_1)
	v_bfe_u32 v6, v3, 23, 8
	v_cmpx_ne_u32_e32 0xff, v6
	s_cbranch_execz .LBB24_299
; %bb.298:
	v_and_b32_e32 v5, 0x400000, v3
	v_and_or_b32 v6, 0x3fffff, v3, v6
	v_lshrrev_b32_e32 v3, 23, v3
	s_delay_alu instid0(VALU_DEP_3) | instskip(NEXT) | instid1(VALU_DEP_3)
	v_cmp_ne_u32_e32 vcc_lo, 0, v5
	v_cmp_ne_u32_e64 s0, 0, v6
	s_and_b32 s0, vcc_lo, s0
	s_delay_alu instid0(SALU_CYCLE_1) | instskip(NEXT) | instid1(VALU_DEP_1)
	v_cndmask_b32_e64 v5, 0, 1, s0
	v_add_nc_u32_e32 v5, v3, v5
.LBB24_299:
	s_or_b32 exec_lo, exec_lo, s21
	s_mov_b32 s21, -1
	s_mov_b32 s0, 0
	global_store_b8 v[0:1], v5, off
.LBB24_300:
	s_mov_b32 s22, 0
.LBB24_301:
	s_delay_alu instid0(SALU_CYCLE_1)
	s_and_b32 vcc_lo, exec_lo, s22
	s_cbranch_vccz .LBB24_304
; %bb.302:
	s_cmp_eq_u32 s20, 29
	s_mov_b32 s0, -1
	s_cbranch_scc0 .LBB24_304
; %bb.303:
	s_wait_xcnt 0x0
	v_cvt_f32_f16_e32 v3, v2
	v_mov_b32_e32 v7, 0
	s_mov_b32 s21, -1
	s_mov_b32 s0, 0
	s_mov_b32 s22, 0
	v_cvt_u32_f32_e32 v6, v3
	global_store_b64 v[0:1], v[6:7], off
	s_branch .LBB24_305
.LBB24_304:
	s_mov_b32 s22, 0
.LBB24_305:
	s_delay_alu instid0(SALU_CYCLE_1)
	s_and_b32 vcc_lo, exec_lo, s22
	s_cbranch_vccz .LBB24_321
; %bb.306:
	s_cmp_lt_i32 s20, 27
	s_mov_b32 s21, -1
	s_cbranch_scc1 .LBB24_312
; %bb.307:
	s_cmp_gt_i32 s20, 27
	s_cbranch_scc0 .LBB24_309
; %bb.308:
	s_wait_xcnt 0x0
	v_cvt_f32_f16_e32 v3, v2
	s_mov_b32 s21, 0
	s_delay_alu instid0(VALU_DEP_1)
	v_cvt_u32_f32_e32 v3, v3
	global_store_b32 v[0:1], v3, off
.LBB24_309:
	s_and_not1_b32 vcc_lo, exec_lo, s21
	s_cbranch_vccnz .LBB24_311
; %bb.310:
	s_wait_xcnt 0x0
	v_cvt_u16_f16_e32 v3, v2
	global_store_b16 v[0:1], v3, off
.LBB24_311:
	s_mov_b32 s21, 0
.LBB24_312:
	s_delay_alu instid0(SALU_CYCLE_1)
	s_and_not1_b32 vcc_lo, exec_lo, s21
	s_cbranch_vccnz .LBB24_320
; %bb.313:
	s_wait_xcnt 0x0
	v_cvt_f32_f16_e32 v3, v2
	v_mov_b32_e32 v6, 0x80
	s_mov_b32 s21, exec_lo
	s_delay_alu instid0(VALU_DEP_2) | instskip(NEXT) | instid1(VALU_DEP_1)
	v_and_b32_e32 v5, 0x7fffffff, v3
	v_cmpx_gt_u32_e32 0x43800000, v5
	s_cbranch_execz .LBB24_319
; %bb.314:
	v_cmp_lt_u32_e32 vcc_lo, 0x3bffffff, v5
	s_mov_b32 s22, 0
                                        ; implicit-def: $vgpr5
	s_and_saveexec_b32 s23, vcc_lo
	s_delay_alu instid0(SALU_CYCLE_1)
	s_xor_b32 s23, exec_lo, s23
	s_cbranch_execz .LBB24_532
; %bb.315:
	v_bfe_u32 v5, v3, 20, 1
	s_mov_b32 s22, exec_lo
	s_delay_alu instid0(VALU_DEP_1) | instskip(NEXT) | instid1(VALU_DEP_1)
	v_add3_u32 v5, v3, v5, 0x487ffff
	v_lshrrev_b32_e32 v5, 20, v5
	s_and_not1_saveexec_b32 s23, s23
	s_cbranch_execnz .LBB24_533
.LBB24_316:
	s_or_b32 exec_lo, exec_lo, s23
	v_mov_b32_e32 v6, 0
	s_and_saveexec_b32 s23, s22
.LBB24_317:
	v_lshrrev_b32_e32 v3, 24, v3
	s_delay_alu instid0(VALU_DEP_1)
	v_and_or_b32 v6, 0x80, v3, v5
.LBB24_318:
	s_or_b32 exec_lo, exec_lo, s23
.LBB24_319:
	s_delay_alu instid0(SALU_CYCLE_1)
	s_or_b32 exec_lo, exec_lo, s21
	global_store_b8 v[0:1], v6, off
.LBB24_320:
	s_mov_b32 s21, -1
.LBB24_321:
	s_mov_b32 s22, 0
.LBB24_322:
	s_delay_alu instid0(SALU_CYCLE_1)
	s_and_b32 vcc_lo, exec_lo, s22
	s_cbranch_vccz .LBB24_363
; %bb.323:
	s_cmp_gt_i32 s20, 22
	s_mov_b32 s22, -1
	s_cbranch_scc0 .LBB24_355
; %bb.324:
	s_cmp_lt_i32 s20, 24
	s_mov_b32 s21, -1
	s_cbranch_scc1 .LBB24_344
; %bb.325:
	s_cmp_gt_i32 s20, 24
	s_cbranch_scc0 .LBB24_333
; %bb.326:
	s_wait_xcnt 0x0
	v_cvt_f32_f16_e32 v3, v2
	v_mov_b32_e32 v6, 0x80
	s_mov_b32 s21, exec_lo
	s_delay_alu instid0(VALU_DEP_2) | instskip(NEXT) | instid1(VALU_DEP_1)
	v_and_b32_e32 v5, 0x7fffffff, v3
	v_cmpx_gt_u32_e32 0x47800000, v5
	s_cbranch_execz .LBB24_332
; %bb.327:
	v_cmp_lt_u32_e32 vcc_lo, 0x37ffffff, v5
	s_mov_b32 s22, 0
                                        ; implicit-def: $vgpr5
	s_and_saveexec_b32 s23, vcc_lo
	s_delay_alu instid0(SALU_CYCLE_1)
	s_xor_b32 s23, exec_lo, s23
	s_cbranch_execz .LBB24_535
; %bb.328:
	v_bfe_u32 v5, v3, 21, 1
	s_mov_b32 s22, exec_lo
	s_delay_alu instid0(VALU_DEP_1) | instskip(NEXT) | instid1(VALU_DEP_1)
	v_add3_u32 v5, v3, v5, 0x88fffff
	v_lshrrev_b32_e32 v5, 21, v5
	s_and_not1_saveexec_b32 s23, s23
	s_cbranch_execnz .LBB24_536
.LBB24_329:
	s_or_b32 exec_lo, exec_lo, s23
	v_mov_b32_e32 v6, 0
	s_and_saveexec_b32 s23, s22
.LBB24_330:
	v_lshrrev_b32_e32 v3, 24, v3
	s_delay_alu instid0(VALU_DEP_1)
	v_and_or_b32 v6, 0x80, v3, v5
.LBB24_331:
	s_or_b32 exec_lo, exec_lo, s23
.LBB24_332:
	s_delay_alu instid0(SALU_CYCLE_1)
	s_or_b32 exec_lo, exec_lo, s21
	s_mov_b32 s21, 0
	global_store_b8 v[0:1], v6, off
.LBB24_333:
	s_and_b32 vcc_lo, exec_lo, s21
	s_cbranch_vccz .LBB24_343
; %bb.334:
	s_wait_xcnt 0x0
	v_cvt_f32_f16_e32 v3, v2
	s_mov_b32 s21, exec_lo
                                        ; implicit-def: $vgpr5
	s_delay_alu instid0(VALU_DEP_1) | instskip(NEXT) | instid1(VALU_DEP_1)
	v_and_b32_e32 v6, 0x7fffffff, v3
	v_cmpx_gt_u32_e32 0x43f00000, v6
	s_xor_b32 s21, exec_lo, s21
	s_cbranch_execz .LBB24_340
; %bb.335:
	s_mov_b32 s22, exec_lo
                                        ; implicit-def: $vgpr5
	v_cmpx_lt_u32_e32 0x3c7fffff, v6
	s_xor_b32 s22, exec_lo, s22
; %bb.336:
	v_bfe_u32 v5, v3, 20, 1
	s_delay_alu instid0(VALU_DEP_1) | instskip(NEXT) | instid1(VALU_DEP_1)
	v_add3_u32 v5, v3, v5, 0x407ffff
	v_and_b32_e32 v6, 0xff00000, v5
	v_lshrrev_b32_e32 v5, 20, v5
	s_delay_alu instid0(VALU_DEP_2) | instskip(NEXT) | instid1(VALU_DEP_2)
	v_cmp_ne_u32_e32 vcc_lo, 0x7f00000, v6
	v_cndmask_b32_e32 v5, 0x7e, v5, vcc_lo
; %bb.337:
	s_and_not1_saveexec_b32 s22, s22
; %bb.338:
	v_add_f32_e64 v5, 0x46800000, |v3|
; %bb.339:
	s_or_b32 exec_lo, exec_lo, s22
                                        ; implicit-def: $vgpr6
.LBB24_340:
	s_and_not1_saveexec_b32 s21, s21
; %bb.341:
	v_mov_b32_e32 v5, 0x7f
	v_cmp_lt_u32_e32 vcc_lo, 0x7f800000, v6
	s_delay_alu instid0(VALU_DEP_2)
	v_cndmask_b32_e32 v5, 0x7e, v5, vcc_lo
; %bb.342:
	s_or_b32 exec_lo, exec_lo, s21
	v_lshrrev_b32_e32 v3, 24, v3
	s_delay_alu instid0(VALU_DEP_1)
	v_and_or_b32 v3, 0x80, v3, v5
	global_store_b8 v[0:1], v3, off
.LBB24_343:
	s_mov_b32 s21, 0
.LBB24_344:
	s_delay_alu instid0(SALU_CYCLE_1)
	s_and_not1_b32 vcc_lo, exec_lo, s21
	s_cbranch_vccnz .LBB24_354
; %bb.345:
	s_wait_xcnt 0x0
	v_cvt_f32_f16_e32 v3, v2
	s_mov_b32 s21, exec_lo
                                        ; implicit-def: $vgpr5
	s_delay_alu instid0(VALU_DEP_1) | instskip(NEXT) | instid1(VALU_DEP_1)
	v_and_b32_e32 v6, 0x7fffffff, v3
	v_cmpx_gt_u32_e32 0x47800000, v6
	s_xor_b32 s21, exec_lo, s21
	s_cbranch_execz .LBB24_351
; %bb.346:
	s_mov_b32 s22, exec_lo
                                        ; implicit-def: $vgpr5
	v_cmpx_lt_u32_e32 0x387fffff, v6
	s_xor_b32 s22, exec_lo, s22
; %bb.347:
	v_bfe_u32 v5, v3, 21, 1
	s_delay_alu instid0(VALU_DEP_1) | instskip(NEXT) | instid1(VALU_DEP_1)
	v_add3_u32 v5, v3, v5, 0x80fffff
	v_lshrrev_b32_e32 v5, 21, v5
; %bb.348:
	s_and_not1_saveexec_b32 s22, s22
; %bb.349:
	v_add_f32_e64 v5, 0x43000000, |v3|
; %bb.350:
	s_or_b32 exec_lo, exec_lo, s22
                                        ; implicit-def: $vgpr6
.LBB24_351:
	s_and_not1_saveexec_b32 s21, s21
; %bb.352:
	v_mov_b32_e32 v5, 0x7f
	v_cmp_lt_u32_e32 vcc_lo, 0x7f800000, v6
	s_delay_alu instid0(VALU_DEP_2)
	v_cndmask_b32_e32 v5, 0x7c, v5, vcc_lo
; %bb.353:
	s_or_b32 exec_lo, exec_lo, s21
	v_lshrrev_b32_e32 v3, 24, v3
	s_delay_alu instid0(VALU_DEP_1)
	v_and_or_b32 v3, 0x80, v3, v5
	global_store_b8 v[0:1], v3, off
.LBB24_354:
	s_mov_b32 s22, 0
	s_mov_b32 s21, -1
.LBB24_355:
	s_and_not1_b32 vcc_lo, exec_lo, s22
	s_cbranch_vccnz .LBB24_363
; %bb.356:
	s_cmp_gt_i32 s20, 14
	s_mov_b32 s22, -1
	s_cbranch_scc0 .LBB24_360
; %bb.357:
	s_cmp_eq_u32 s20, 15
	s_mov_b32 s0, -1
	s_cbranch_scc0 .LBB24_359
; %bb.358:
	s_wait_xcnt 0x0
	v_cvt_f32_f16_e32 v3, v2
	v_cmp_o_f16_e32 vcc_lo, v2, v2
	s_mov_b32 s21, -1
	s_mov_b32 s0, 0
	s_delay_alu instid0(VALU_DEP_2) | instskip(NEXT) | instid1(VALU_DEP_1)
	v_bfe_u32 v5, v3, 16, 1
	v_add3_u32 v3, v3, v5, 0x7fff
	s_delay_alu instid0(VALU_DEP_1) | instskip(NEXT) | instid1(VALU_DEP_1)
	v_lshrrev_b32_e32 v3, 16, v3
	v_cndmask_b32_e32 v3, 0x7fc0, v3, vcc_lo
	global_store_b16 v[0:1], v3, off
.LBB24_359:
	s_mov_b32 s22, 0
.LBB24_360:
	s_delay_alu instid0(SALU_CYCLE_1)
	s_and_b32 vcc_lo, exec_lo, s22
	s_cbranch_vccz .LBB24_363
; %bb.361:
	s_cmp_eq_u32 s20, 11
	s_mov_b32 s0, -1
	s_cbranch_scc0 .LBB24_363
; %bb.362:
	s_wait_xcnt 0x0
	v_and_b32_e32 v3, 0x7fff, v2
	s_mov_b32 s0, 0
	s_mov_b32 s21, -1
	s_delay_alu instid0(VALU_DEP_1)
	v_cmp_ne_u16_e32 vcc_lo, 0, v3
	v_cndmask_b32_e64 v3, 0, 1, vcc_lo
	global_store_b8 v[0:1], v3, off
.LBB24_363:
	s_mov_b32 s20, 0
.LBB24_364:
	s_delay_alu instid0(SALU_CYCLE_1)
	s_and_b32 vcc_lo, exec_lo, s20
	s_cbranch_vccz .LBB24_403
; %bb.365:
	s_and_b32 s18, 0xffff, s18
	s_mov_b32 s20, -1
	s_cmp_lt_i32 s18, 5
	s_cbranch_scc1 .LBB24_386
; %bb.366:
	s_cmp_lt_i32 s18, 8
	s_cbranch_scc1 .LBB24_376
; %bb.367:
	;; [unrolled: 3-line block ×3, first 2 shown]
	s_cmp_gt_i32 s18, 9
	s_cbranch_scc0 .LBB24_370
; %bb.369:
	s_wait_xcnt 0x0
	v_cvt_f32_f16_e32 v3, v2
	v_mov_b32_e32 v8, 0
	s_mov_b32 s20, 0
	s_delay_alu instid0(VALU_DEP_2) | instskip(NEXT) | instid1(VALU_DEP_2)
	v_cvt_f64_f32_e32 v[6:7], v3
	v_mov_b32_e32 v9, v8
	global_store_b128 v[0:1], v[6:9], off
.LBB24_370:
	s_and_not1_b32 vcc_lo, exec_lo, s20
	s_cbranch_vccnz .LBB24_372
; %bb.371:
	s_wait_xcnt 0x0
	v_cvt_f32_f16_e32 v6, v2
	v_mov_b32_e32 v7, 0
	global_store_b64 v[0:1], v[6:7], off
.LBB24_372:
	s_mov_b32 s20, 0
.LBB24_373:
	s_delay_alu instid0(SALU_CYCLE_1)
	s_and_not1_b32 vcc_lo, exec_lo, s20
	s_cbranch_vccnz .LBB24_375
; %bb.374:
	s_wait_xcnt 0x0
	v_and_b32_e32 v3, 0xffff, v2
	global_store_b32 v[0:1], v3, off
.LBB24_375:
	s_mov_b32 s20, 0
.LBB24_376:
	s_delay_alu instid0(SALU_CYCLE_1)
	s_and_not1_b32 vcc_lo, exec_lo, s20
	s_cbranch_vccnz .LBB24_385
; %bb.377:
	s_cmp_lt_i32 s18, 6
	s_mov_b32 s20, -1
	s_cbranch_scc1 .LBB24_383
; %bb.378:
	s_cmp_gt_i32 s18, 6
	s_cbranch_scc0 .LBB24_380
; %bb.379:
	s_wait_xcnt 0x0
	v_cvt_f32_f16_e32 v3, v2
	s_mov_b32 s20, 0
	s_delay_alu instid0(VALU_DEP_1)
	v_cvt_f64_f32_e32 v[6:7], v3
	global_store_b64 v[0:1], v[6:7], off
.LBB24_380:
	s_and_not1_b32 vcc_lo, exec_lo, s20
	s_cbranch_vccnz .LBB24_382
; %bb.381:
	s_wait_xcnt 0x0
	v_cvt_f32_f16_e32 v3, v2
	global_store_b32 v[0:1], v3, off
.LBB24_382:
	s_mov_b32 s20, 0
.LBB24_383:
	s_delay_alu instid0(SALU_CYCLE_1)
	s_and_not1_b32 vcc_lo, exec_lo, s20
	s_cbranch_vccnz .LBB24_385
; %bb.384:
	global_store_b16 v[0:1], v2, off
.LBB24_385:
	s_mov_b32 s20, 0
.LBB24_386:
	s_delay_alu instid0(SALU_CYCLE_1)
	s_and_not1_b32 vcc_lo, exec_lo, s20
	s_cbranch_vccnz .LBB24_402
; %bb.387:
	s_cmp_lt_i32 s18, 2
	s_mov_b32 s20, -1
	s_cbranch_scc1 .LBB24_397
; %bb.388:
	s_cmp_lt_i32 s18, 3
	s_cbranch_scc1 .LBB24_394
; %bb.389:
	s_cmp_gt_i32 s18, 3
	s_cbranch_scc0 .LBB24_391
; %bb.390:
	s_wait_xcnt 0x0
	v_cvt_f32_f16_e32 v3, v2
	s_mov_b32 s20, 0
	s_delay_alu instid0(VALU_DEP_1) | instskip(NEXT) | instid1(VALU_DEP_1)
	v_cvt_i32_f32_e32 v6, v3
	v_ashrrev_i32_e32 v7, 31, v6
	global_store_b64 v[0:1], v[6:7], off
.LBB24_391:
	s_and_not1_b32 vcc_lo, exec_lo, s20
	s_cbranch_vccnz .LBB24_393
; %bb.392:
	s_wait_xcnt 0x0
	v_cvt_f32_f16_e32 v3, v2
	s_delay_alu instid0(VALU_DEP_1)
	v_cvt_i32_f32_e32 v3, v3
	global_store_b32 v[0:1], v3, off
.LBB24_393:
	s_mov_b32 s20, 0
.LBB24_394:
	s_delay_alu instid0(SALU_CYCLE_1)
	s_and_not1_b32 vcc_lo, exec_lo, s20
	s_cbranch_vccnz .LBB24_396
; %bb.395:
	s_wait_xcnt 0x0
	v_cvt_i16_f16_e32 v3, v2
	global_store_b16 v[0:1], v3, off
.LBB24_396:
	s_mov_b32 s20, 0
.LBB24_397:
	s_delay_alu instid0(SALU_CYCLE_1)
	s_and_not1_b32 vcc_lo, exec_lo, s20
	s_cbranch_vccnz .LBB24_402
; %bb.398:
	s_cmp_gt_i32 s18, 0
	s_mov_b32 s18, -1
	s_cbranch_scc0 .LBB24_400
; %bb.399:
	s_wait_xcnt 0x0
	v_cvt_i16_f16_e32 v3, v2
	s_mov_b32 s18, 0
	global_store_b8 v[0:1], v3, off
.LBB24_400:
	s_and_not1_b32 vcc_lo, exec_lo, s18
	s_cbranch_vccnz .LBB24_402
; %bb.401:
	s_wait_xcnt 0x0
	v_cvt_f32_f16_e32 v2, v2
	s_delay_alu instid0(VALU_DEP_1)
	v_cvt_i32_f32_e32 v2, v2
	global_store_b8 v[0:1], v2, off
.LBB24_402:
	s_mov_b32 s21, -1
.LBB24_403:
	s_delay_alu instid0(SALU_CYCLE_1)
	s_and_not1_b32 vcc_lo, exec_lo, s21
	s_cbranch_vccnz .LBB24_405
; %bb.404:
	v_add_nc_u32_e32 v4, 0x80, v4
	s_mov_b32 s20, -1
	s_branch .LBB24_518
.LBB24_405:
	s_mov_b32 s20, 0
	s_branch .LBB24_517
.LBB24_406:
	s_mov_b32 s17, -1
                                        ; implicit-def: $vgpr2
.LBB24_407:
	s_mov_b32 s20, 0
.LBB24_408:
	s_delay_alu instid0(SALU_CYCLE_1)
	s_and_b32 vcc_lo, exec_lo, s20
	s_cbranch_vccz .LBB24_412
; %bb.409:
	s_cmp_eq_u32 s0, 29
	s_cbranch_scc0 .LBB24_411
; %bb.410:
	s_wait_loadcnt 0x0
	global_load_b64 v[2:3], v[0:1], off
	s_mov_b32 s18, -1
	s_mov_b32 s17, 0
	s_mov_b32 s20, 0
	s_wait_loadcnt 0x0
	v_clz_i32_u32_e32 v5, v3
	s_delay_alu instid0(VALU_DEP_1) | instskip(NEXT) | instid1(VALU_DEP_1)
	v_min_u32_e32 v5, 32, v5
	v_lshlrev_b64_e32 v[2:3], v5, v[2:3]
	s_delay_alu instid0(VALU_DEP_1) | instskip(NEXT) | instid1(VALU_DEP_1)
	v_min_u32_e32 v2, 1, v2
	v_dual_sub_nc_u32 v3, 32, v5 :: v_dual_bitop2_b32 v2, v3, v2 bitop3:0x54
	s_delay_alu instid0(VALU_DEP_1) | instskip(NEXT) | instid1(VALU_DEP_1)
	v_cvt_f32_u32_e32 v2, v2
	v_ldexp_f32 v2, v2, v3
	s_delay_alu instid0(VALU_DEP_1)
	v_cvt_f16_f32_e32 v2, v2
	s_branch .LBB24_413
.LBB24_411:
	s_mov_b32 s17, -1
                                        ; implicit-def: $vgpr2
.LBB24_412:
	s_mov_b32 s20, 0
.LBB24_413:
	s_delay_alu instid0(SALU_CYCLE_1)
	s_and_b32 vcc_lo, exec_lo, s20
	s_cbranch_vccz .LBB24_431
; %bb.414:
	s_cmp_lt_i32 s0, 27
	s_cbranch_scc1 .LBB24_417
; %bb.415:
	s_cmp_gt_i32 s0, 27
	s_cbranch_scc0 .LBB24_418
; %bb.416:
	s_wait_loadcnt 0x0
	global_load_b32 v2, v[0:1], off
	s_mov_b32 s18, 0
	s_wait_loadcnt 0x0
	v_cvt_f32_u32_e32 v2, v2
	s_delay_alu instid0(VALU_DEP_1)
	v_cvt_f16_f32_e32 v2, v2
	s_branch .LBB24_419
.LBB24_417:
	s_mov_b32 s18, -1
                                        ; implicit-def: $vgpr2
	s_branch .LBB24_422
.LBB24_418:
	s_mov_b32 s18, -1
                                        ; implicit-def: $vgpr2
.LBB24_419:
	s_delay_alu instid0(SALU_CYCLE_1)
	s_and_not1_b32 vcc_lo, exec_lo, s18
	s_cbranch_vccnz .LBB24_421
; %bb.420:
	s_wait_loadcnt 0x0
	global_load_u16 v2, v[0:1], off
	s_wait_loadcnt 0x0
	v_cvt_f16_u16_e32 v2, v2
.LBB24_421:
	s_mov_b32 s18, 0
.LBB24_422:
	s_delay_alu instid0(SALU_CYCLE_1)
	s_and_not1_b32 vcc_lo, exec_lo, s18
	s_cbranch_vccnz .LBB24_430
; %bb.423:
	global_load_u8 v3, v[0:1], off
	s_mov_b32 s18, 0
	s_mov_b32 s20, exec_lo
	s_wait_loadcnt 0x0
	v_cmpx_lt_i16_e32 0x7f, v3
	s_xor_b32 s20, exec_lo, s20
	s_cbranch_execz .LBB24_444
; %bb.424:
	s_mov_b32 s18, -1
	s_mov_b32 s21, exec_lo
	v_cmpx_eq_u16_e32 0x80, v3
; %bb.425:
	s_xor_b32 s18, exec_lo, -1
; %bb.426:
	s_or_b32 exec_lo, exec_lo, s21
	s_delay_alu instid0(SALU_CYCLE_1)
	s_and_b32 s18, s18, exec_lo
	s_or_saveexec_b32 s20, s20
	v_mov_b32_e32 v2, 0x7e00
	s_xor_b32 exec_lo, exec_lo, s20
	s_cbranch_execnz .LBB24_445
.LBB24_427:
	s_or_b32 exec_lo, exec_lo, s20
	s_and_saveexec_b32 s20, s18
	s_cbranch_execz .LBB24_429
.LBB24_428:
	v_and_b32_e32 v2, 0xffff, v3
	s_delay_alu instid0(VALU_DEP_1) | instskip(SKIP_1) | instid1(VALU_DEP_2)
	v_dual_lshlrev_b32 v3, 24, v3 :: v_dual_bitop2_b32 v5, 7, v2 bitop3:0x40
	v_bfe_u32 v8, v2, 3, 4
	v_and_b32_e32 v3, 0x80000000, v3
	s_delay_alu instid0(VALU_DEP_3) | instskip(NEXT) | instid1(VALU_DEP_3)
	v_clz_i32_u32_e32 v6, v5
	v_cmp_eq_u32_e32 vcc_lo, 0, v8
	s_delay_alu instid0(VALU_DEP_2) | instskip(NEXT) | instid1(VALU_DEP_1)
	v_min_u32_e32 v6, 32, v6
	v_subrev_nc_u32_e32 v7, 28, v6
	v_sub_nc_u32_e32 v6, 29, v6
	s_delay_alu instid0(VALU_DEP_2) | instskip(NEXT) | instid1(VALU_DEP_2)
	v_lshlrev_b32_e32 v2, v7, v2
	v_cndmask_b32_e32 v6, v8, v6, vcc_lo
	s_delay_alu instid0(VALU_DEP_2) | instskip(NEXT) | instid1(VALU_DEP_1)
	v_and_b32_e32 v2, 7, v2
	v_cndmask_b32_e32 v2, v5, v2, vcc_lo
	s_delay_alu instid0(VALU_DEP_3) | instskip(NEXT) | instid1(VALU_DEP_2)
	v_lshl_add_u32 v5, v6, 23, 0x3b800000
	v_lshlrev_b32_e32 v2, 20, v2
	s_delay_alu instid0(VALU_DEP_1) | instskip(NEXT) | instid1(VALU_DEP_1)
	v_or3_b32 v2, v3, v5, v2
	v_cvt_f16_f32_e32 v2, v2
.LBB24_429:
	s_or_b32 exec_lo, exec_lo, s20
.LBB24_430:
	s_mov_b32 s18, -1
.LBB24_431:
	s_mov_b32 s20, 0
.LBB24_432:
	s_delay_alu instid0(SALU_CYCLE_1)
	s_and_b32 vcc_lo, exec_lo, s20
	s_cbranch_vccz .LBB24_467
; %bb.433:
	s_cmp_gt_i32 s0, 22
	s_cbranch_scc0 .LBB24_443
; %bb.434:
	s_cmp_lt_i32 s0, 24
	s_cbranch_scc1 .LBB24_446
; %bb.435:
	s_cmp_gt_i32 s0, 24
	s_cbranch_scc0 .LBB24_447
; %bb.436:
	global_load_u8 v3, v[0:1], off
	s_mov_b32 s18, 0
	s_mov_b32 s20, exec_lo
	s_wait_loadcnt 0x0
	v_cmpx_lt_i16_e32 0x7f, v3
	s_xor_b32 s20, exec_lo, s20
	s_cbranch_execz .LBB24_459
; %bb.437:
	s_mov_b32 s18, -1
	s_mov_b32 s21, exec_lo
	v_cmpx_eq_u16_e32 0x80, v3
; %bb.438:
	s_xor_b32 s18, exec_lo, -1
; %bb.439:
	s_or_b32 exec_lo, exec_lo, s21
	s_delay_alu instid0(SALU_CYCLE_1)
	s_and_b32 s18, s18, exec_lo
	s_or_saveexec_b32 s20, s20
	v_mov_b32_e32 v2, 0x7e00
	s_xor_b32 exec_lo, exec_lo, s20
	s_cbranch_execnz .LBB24_460
.LBB24_440:
	s_or_b32 exec_lo, exec_lo, s20
	s_and_saveexec_b32 s20, s18
	s_cbranch_execz .LBB24_442
.LBB24_441:
	v_and_b32_e32 v2, 0xffff, v3
	s_delay_alu instid0(VALU_DEP_1) | instskip(SKIP_1) | instid1(VALU_DEP_2)
	v_dual_lshlrev_b32 v3, 24, v3 :: v_dual_bitop2_b32 v5, 3, v2 bitop3:0x40
	v_bfe_u32 v8, v2, 2, 5
	v_and_b32_e32 v3, 0x80000000, v3
	s_delay_alu instid0(VALU_DEP_3) | instskip(NEXT) | instid1(VALU_DEP_3)
	v_clz_i32_u32_e32 v6, v5
	v_cmp_eq_u32_e32 vcc_lo, 0, v8
	s_delay_alu instid0(VALU_DEP_2) | instskip(NEXT) | instid1(VALU_DEP_1)
	v_min_u32_e32 v6, 32, v6
	v_subrev_nc_u32_e32 v7, 29, v6
	v_sub_nc_u32_e32 v6, 30, v6
	s_delay_alu instid0(VALU_DEP_2) | instskip(NEXT) | instid1(VALU_DEP_2)
	v_lshlrev_b32_e32 v2, v7, v2
	v_cndmask_b32_e32 v6, v8, v6, vcc_lo
	s_delay_alu instid0(VALU_DEP_2) | instskip(NEXT) | instid1(VALU_DEP_1)
	v_and_b32_e32 v2, 3, v2
	v_cndmask_b32_e32 v2, v5, v2, vcc_lo
	s_delay_alu instid0(VALU_DEP_3) | instskip(NEXT) | instid1(VALU_DEP_2)
	v_lshl_add_u32 v5, v6, 23, 0x37800000
	v_lshlrev_b32_e32 v2, 21, v2
	s_delay_alu instid0(VALU_DEP_1) | instskip(NEXT) | instid1(VALU_DEP_1)
	v_or3_b32 v2, v3, v5, v2
	v_cvt_f16_f32_e32 v2, v2
.LBB24_442:
	s_or_b32 exec_lo, exec_lo, s20
	s_mov_b32 s18, 0
	s_branch .LBB24_448
.LBB24_443:
	s_mov_b32 s20, -1
                                        ; implicit-def: $vgpr2
	s_branch .LBB24_454
.LBB24_444:
	s_or_saveexec_b32 s20, s20
	v_mov_b32_e32 v2, 0x7e00
	s_xor_b32 exec_lo, exec_lo, s20
	s_cbranch_execz .LBB24_427
.LBB24_445:
	v_cmp_ne_u16_e32 vcc_lo, 0, v3
	v_mov_b32_e32 v2, v3
	s_and_not1_b32 s18, s18, exec_lo
	s_and_b32 s21, vcc_lo, exec_lo
	s_delay_alu instid0(SALU_CYCLE_1)
	s_or_b32 s18, s18, s21
	s_or_b32 exec_lo, exec_lo, s20
	s_and_saveexec_b32 s20, s18
	s_cbranch_execnz .LBB24_428
	s_branch .LBB24_429
.LBB24_446:
	s_mov_b32 s18, -1
                                        ; implicit-def: $vgpr2
	s_branch .LBB24_451
.LBB24_447:
	s_mov_b32 s18, -1
                                        ; implicit-def: $vgpr2
.LBB24_448:
	s_delay_alu instid0(SALU_CYCLE_1)
	s_and_b32 vcc_lo, exec_lo, s18
	s_cbranch_vccz .LBB24_450
; %bb.449:
	s_wait_loadcnt 0x0
	global_load_u8 v2, v[0:1], off
	s_wait_loadcnt 0x0
	v_lshlrev_b32_e32 v2, 24, v2
	s_delay_alu instid0(VALU_DEP_1) | instskip(NEXT) | instid1(VALU_DEP_1)
	v_and_b32_e32 v3, 0x7f000000, v2
	v_clz_i32_u32_e32 v5, v3
	v_add_nc_u32_e32 v7, 0x1000000, v3
	v_cmp_ne_u32_e32 vcc_lo, 0, v3
	s_delay_alu instid0(VALU_DEP_3) | instskip(NEXT) | instid1(VALU_DEP_1)
	v_min_u32_e32 v5, 32, v5
	v_sub_nc_u32_e64 v5, v5, 4 clamp
	s_delay_alu instid0(VALU_DEP_1) | instskip(NEXT) | instid1(VALU_DEP_1)
	v_dual_lshlrev_b32 v6, v5, v3 :: v_dual_lshlrev_b32 v5, 23, v5
	v_lshrrev_b32_e32 v6, 4, v6
	s_delay_alu instid0(VALU_DEP_1) | instskip(NEXT) | instid1(VALU_DEP_1)
	v_dual_sub_nc_u32 v5, v6, v5 :: v_dual_ashrrev_i32 v6, 8, v7
	v_add_nc_u32_e32 v5, 0x3c000000, v5
	s_delay_alu instid0(VALU_DEP_1) | instskip(NEXT) | instid1(VALU_DEP_1)
	v_and_or_b32 v5, 0x7f800000, v6, v5
	v_cndmask_b32_e32 v3, 0, v5, vcc_lo
	s_delay_alu instid0(VALU_DEP_1) | instskip(NEXT) | instid1(VALU_DEP_1)
	v_and_or_b32 v2, 0x80000000, v2, v3
	v_cvt_f16_f32_e32 v2, v2
.LBB24_450:
	s_mov_b32 s18, 0
.LBB24_451:
	s_delay_alu instid0(SALU_CYCLE_1)
	s_and_not1_b32 vcc_lo, exec_lo, s18
	s_cbranch_vccnz .LBB24_453
; %bb.452:
	s_wait_loadcnt 0x0
	global_load_u8 v2, v[0:1], off
	s_wait_loadcnt 0x0
	v_lshlrev_b32_e32 v3, 25, v2
	v_lshlrev_b16 v2, 8, v2
	s_delay_alu instid0(VALU_DEP_2) | instskip(NEXT) | instid1(VALU_DEP_2)
	v_cmp_gt_u32_e32 vcc_lo, 0x8000000, v3
	v_and_or_b32 v6, 0x7f00, v2, 0.5
	v_lshrrev_b32_e32 v5, 4, v3
	v_bfe_i32 v2, v2, 0, 16
	s_delay_alu instid0(VALU_DEP_3) | instskip(NEXT) | instid1(VALU_DEP_3)
	v_add_f32_e32 v6, -0.5, v6
	v_or_b32_e32 v5, 0x70000000, v5
	s_delay_alu instid0(VALU_DEP_1) | instskip(NEXT) | instid1(VALU_DEP_1)
	v_mul_f32_e32 v5, 0x7800000, v5
	v_cndmask_b32_e32 v3, v5, v6, vcc_lo
	s_delay_alu instid0(VALU_DEP_1) | instskip(NEXT) | instid1(VALU_DEP_1)
	v_and_or_b32 v2, 0x80000000, v2, v3
	v_cvt_f16_f32_e32 v2, v2
.LBB24_453:
	s_mov_b32 s20, 0
	s_mov_b32 s18, -1
.LBB24_454:
	s_and_not1_b32 vcc_lo, exec_lo, s20
	s_cbranch_vccnz .LBB24_467
; %bb.455:
	s_cmp_gt_i32 s0, 14
	s_cbranch_scc0 .LBB24_458
; %bb.456:
	s_cmp_eq_u32 s0, 15
	s_cbranch_scc0 .LBB24_461
; %bb.457:
	s_wait_loadcnt 0x0
	global_load_u16 v2, v[0:1], off
	s_mov_b32 s18, -1
	s_mov_b32 s17, 0
	s_wait_loadcnt 0x0
	v_lshlrev_b32_e32 v2, 16, v2
	s_delay_alu instid0(VALU_DEP_1)
	v_cvt_f16_f32_e32 v2, v2
	s_branch .LBB24_462
.LBB24_458:
	s_mov_b32 s20, -1
                                        ; implicit-def: $vgpr2
	s_branch .LBB24_463
.LBB24_459:
	s_or_saveexec_b32 s20, s20
	v_mov_b32_e32 v2, 0x7e00
	s_xor_b32 exec_lo, exec_lo, s20
	s_cbranch_execz .LBB24_440
.LBB24_460:
	v_cmp_ne_u16_e32 vcc_lo, 0, v3
	v_mov_b32_e32 v2, v3
	s_and_not1_b32 s18, s18, exec_lo
	s_and_b32 s21, vcc_lo, exec_lo
	s_delay_alu instid0(SALU_CYCLE_1)
	s_or_b32 s18, s18, s21
	s_or_b32 exec_lo, exec_lo, s20
	s_and_saveexec_b32 s20, s18
	s_cbranch_execnz .LBB24_441
	s_branch .LBB24_442
.LBB24_461:
	s_mov_b32 s17, -1
                                        ; implicit-def: $vgpr2
.LBB24_462:
	s_mov_b32 s20, 0
.LBB24_463:
	s_delay_alu instid0(SALU_CYCLE_1)
	s_and_b32 vcc_lo, exec_lo, s20
	s_cbranch_vccz .LBB24_467
; %bb.464:
	s_cmp_eq_u32 s0, 11
	s_cbranch_scc0 .LBB24_466
; %bb.465:
	s_wait_loadcnt 0x0
	global_load_u8 v2, v[0:1], off
	s_mov_b32 s17, 0
	s_mov_b32 s18, -1
	s_wait_loadcnt 0x0
	v_cmp_ne_u16_e32 vcc_lo, 0, v2
	v_cndmask_b32_e64 v2, 0, 0x3c00, vcc_lo
	s_branch .LBB24_467
.LBB24_466:
	s_mov_b32 s17, -1
                                        ; implicit-def: $vgpr2
.LBB24_467:
	s_branch .LBB24_267
.LBB24_468:
	s_cmp_lt_i32 s0, 5
	s_cbranch_scc1 .LBB24_473
; %bb.469:
	s_cmp_lt_i32 s0, 8
	s_cbranch_scc1 .LBB24_474
; %bb.470:
	;; [unrolled: 3-line block ×3, first 2 shown]
	s_cmp_gt_i32 s0, 9
	s_cbranch_scc0 .LBB24_476
; %bb.472:
	s_wait_loadcnt 0x0
	global_load_b64 v[2:3], v[0:1], off
	s_mov_b32 s18, 0
	s_wait_loadcnt 0x0
	v_and_or_b32 v2, 0x1ff, v3, v2
	v_lshrrev_b32_e32 v5, 8, v3
	v_bfe_u32 v6, v3, 20, 11
	v_lshrrev_b32_e32 v3, 16, v3
	s_delay_alu instid0(VALU_DEP_4) | instskip(NEXT) | instid1(VALU_DEP_3)
	v_cmp_ne_u32_e32 vcc_lo, 0, v2
	v_sub_nc_u32_e32 v7, 0x3f1, v6
	v_add_nc_u32_e32 v6, 0xfffffc10, v6
	v_cndmask_b32_e64 v2, 0, 1, vcc_lo
	s_delay_alu instid0(VALU_DEP_1) | instskip(NEXT) | instid1(VALU_DEP_4)
	v_and_or_b32 v2, 0xffe, v5, v2
	v_med3_i32 v5, v7, 0, 13
	s_delay_alu instid0(VALU_DEP_2) | instskip(NEXT) | instid1(VALU_DEP_1)
	v_or_b32_e32 v7, 0x1000, v2
	v_lshrrev_b32_e32 v8, v5, v7
	s_delay_alu instid0(VALU_DEP_1) | instskip(NEXT) | instid1(VALU_DEP_1)
	v_lshlrev_b32_e32 v5, v5, v8
	v_cmp_ne_u32_e32 vcc_lo, v5, v7
	v_lshl_or_b32 v7, v6, 12, v2
	v_cndmask_b32_e64 v5, 0, 1, vcc_lo
	v_cmp_gt_i32_e32 vcc_lo, 1, v6
	s_delay_alu instid0(VALU_DEP_2) | instskip(NEXT) | instid1(VALU_DEP_1)
	v_or_b32_e32 v5, v8, v5
	v_cndmask_b32_e32 v5, v7, v5, vcc_lo
	s_delay_alu instid0(VALU_DEP_1) | instskip(NEXT) | instid1(VALU_DEP_1)
	v_dual_lshrrev_b32 v5, 2, v5 :: v_dual_bitop2_b32 v7, 7, v5 bitop3:0x40
	v_cmp_lt_i32_e32 vcc_lo, 5, v7
	v_cndmask_b32_e64 v8, 0, 1, vcc_lo
	v_cmp_eq_u32_e32 vcc_lo, 3, v7
	v_cndmask_b32_e64 v7, 0, 1, vcc_lo
	v_cmp_ne_u32_e32 vcc_lo, 0, v2
	s_delay_alu instid0(VALU_DEP_2) | instskip(NEXT) | instid1(VALU_DEP_1)
	v_or_b32_e32 v7, v7, v8
	v_dual_mov_b32 v8, 0x7e00 :: v_dual_add_nc_u32 v5, v5, v7
	s_delay_alu instid0(VALU_DEP_1) | instskip(SKIP_1) | instid1(VALU_DEP_3)
	v_cndmask_b32_e32 v2, 0x7c00, v8, vcc_lo
	v_cmp_gt_i32_e32 vcc_lo, 31, v6
	v_cndmask_b32_e32 v5, 0x7c00, v5, vcc_lo
	v_cmp_eq_u32_e32 vcc_lo, 0x40f, v6
	s_delay_alu instid0(VALU_DEP_2) | instskip(NEXT) | instid1(VALU_DEP_1)
	v_cndmask_b32_e32 v2, v5, v2, vcc_lo
	v_and_or_b32 v2, 0x8000, v3, v2
	s_branch .LBB24_477
.LBB24_473:
	s_mov_b32 s18, -1
                                        ; implicit-def: $vgpr2
	s_branch .LBB24_495
.LBB24_474:
	s_mov_b32 s18, -1
                                        ; implicit-def: $vgpr2
	s_branch .LBB24_483
.LBB24_475:
	s_mov_b32 s18, -1
                                        ; implicit-def: $vgpr2
	s_branch .LBB24_480
.LBB24_476:
	s_mov_b32 s18, -1
                                        ; implicit-def: $vgpr2
.LBB24_477:
	s_delay_alu instid0(SALU_CYCLE_1)
	s_and_not1_b32 vcc_lo, exec_lo, s18
	s_cbranch_vccnz .LBB24_479
; %bb.478:
	s_wait_loadcnt 0x0
	global_load_b32 v2, v[0:1], off
	s_wait_loadcnt 0x0
	v_cvt_f16_f32_e32 v2, v2
.LBB24_479:
	s_mov_b32 s18, 0
.LBB24_480:
	s_delay_alu instid0(SALU_CYCLE_1)
	s_and_not1_b32 vcc_lo, exec_lo, s18
	s_cbranch_vccnz .LBB24_482
; %bb.481:
	s_wait_loadcnt 0x0
	global_load_b32 v2, v[0:1], off
.LBB24_482:
	s_mov_b32 s18, 0
.LBB24_483:
	s_delay_alu instid0(SALU_CYCLE_1)
	s_and_not1_b32 vcc_lo, exec_lo, s18
	s_cbranch_vccnz .LBB24_494
; %bb.484:
	s_cmp_lt_i32 s0, 6
	s_cbranch_scc1 .LBB24_487
; %bb.485:
	s_cmp_gt_i32 s0, 6
	s_cbranch_scc0 .LBB24_488
; %bb.486:
	s_wait_loadcnt 0x0
	global_load_b64 v[2:3], v[0:1], off
	s_mov_b32 s18, 0
	s_wait_loadcnt 0x0
	v_and_or_b32 v2, 0x1ff, v3, v2
	v_lshrrev_b32_e32 v5, 8, v3
	v_bfe_u32 v6, v3, 20, 11
	v_lshrrev_b32_e32 v3, 16, v3
	s_delay_alu instid0(VALU_DEP_4) | instskip(NEXT) | instid1(VALU_DEP_3)
	v_cmp_ne_u32_e32 vcc_lo, 0, v2
	v_sub_nc_u32_e32 v7, 0x3f1, v6
	v_add_nc_u32_e32 v6, 0xfffffc10, v6
	v_cndmask_b32_e64 v2, 0, 1, vcc_lo
	s_delay_alu instid0(VALU_DEP_1) | instskip(NEXT) | instid1(VALU_DEP_4)
	v_and_or_b32 v2, 0xffe, v5, v2
	v_med3_i32 v5, v7, 0, 13
	s_delay_alu instid0(VALU_DEP_2) | instskip(NEXT) | instid1(VALU_DEP_1)
	v_or_b32_e32 v7, 0x1000, v2
	v_lshrrev_b32_e32 v8, v5, v7
	s_delay_alu instid0(VALU_DEP_1) | instskip(NEXT) | instid1(VALU_DEP_1)
	v_lshlrev_b32_e32 v5, v5, v8
	v_cmp_ne_u32_e32 vcc_lo, v5, v7
	v_lshl_or_b32 v7, v6, 12, v2
	v_cndmask_b32_e64 v5, 0, 1, vcc_lo
	v_cmp_gt_i32_e32 vcc_lo, 1, v6
	s_delay_alu instid0(VALU_DEP_2) | instskip(NEXT) | instid1(VALU_DEP_1)
	v_or_b32_e32 v5, v8, v5
	v_cndmask_b32_e32 v5, v7, v5, vcc_lo
	s_delay_alu instid0(VALU_DEP_1) | instskip(NEXT) | instid1(VALU_DEP_1)
	v_dual_lshrrev_b32 v5, 2, v5 :: v_dual_bitop2_b32 v7, 7, v5 bitop3:0x40
	v_cmp_lt_i32_e32 vcc_lo, 5, v7
	v_cndmask_b32_e64 v8, 0, 1, vcc_lo
	v_cmp_eq_u32_e32 vcc_lo, 3, v7
	v_cndmask_b32_e64 v7, 0, 1, vcc_lo
	v_cmp_ne_u32_e32 vcc_lo, 0, v2
	s_delay_alu instid0(VALU_DEP_2) | instskip(NEXT) | instid1(VALU_DEP_1)
	v_or_b32_e32 v7, v7, v8
	v_dual_mov_b32 v8, 0x7e00 :: v_dual_add_nc_u32 v5, v5, v7
	s_delay_alu instid0(VALU_DEP_1) | instskip(SKIP_1) | instid1(VALU_DEP_3)
	v_cndmask_b32_e32 v2, 0x7c00, v8, vcc_lo
	v_cmp_gt_i32_e32 vcc_lo, 31, v6
	v_cndmask_b32_e32 v5, 0x7c00, v5, vcc_lo
	v_cmp_eq_u32_e32 vcc_lo, 0x40f, v6
	s_delay_alu instid0(VALU_DEP_2) | instskip(NEXT) | instid1(VALU_DEP_1)
	v_cndmask_b32_e32 v2, v5, v2, vcc_lo
	v_and_or_b32 v2, 0x8000, v3, v2
	s_branch .LBB24_489
.LBB24_487:
	s_mov_b32 s18, -1
                                        ; implicit-def: $vgpr2
	s_branch .LBB24_492
.LBB24_488:
	s_mov_b32 s18, -1
                                        ; implicit-def: $vgpr2
.LBB24_489:
	s_delay_alu instid0(SALU_CYCLE_1)
	s_and_not1_b32 vcc_lo, exec_lo, s18
	s_cbranch_vccnz .LBB24_491
; %bb.490:
	s_wait_loadcnt 0x0
	global_load_b32 v2, v[0:1], off
	s_wait_loadcnt 0x0
	v_cvt_f16_f32_e32 v2, v2
.LBB24_491:
	s_mov_b32 s18, 0
.LBB24_492:
	s_delay_alu instid0(SALU_CYCLE_1)
	s_and_not1_b32 vcc_lo, exec_lo, s18
	s_cbranch_vccnz .LBB24_494
; %bb.493:
	s_wait_loadcnt 0x0
	global_load_u16 v2, v[0:1], off
.LBB24_494:
	s_mov_b32 s18, 0
.LBB24_495:
	s_delay_alu instid0(SALU_CYCLE_1)
	s_and_not1_b32 vcc_lo, exec_lo, s18
	s_cbranch_vccnz .LBB24_515
; %bb.496:
	s_cmp_lt_i32 s0, 2
	s_cbranch_scc1 .LBB24_500
; %bb.497:
	s_cmp_lt_i32 s0, 3
	s_cbranch_scc1 .LBB24_501
; %bb.498:
	s_cmp_gt_i32 s0, 3
	s_cbranch_scc0 .LBB24_502
; %bb.499:
	s_wait_loadcnt 0x0
	global_load_b64 v[2:3], v[0:1], off
	s_mov_b32 s18, 0
	s_wait_loadcnt 0x0
	v_xor_b32_e32 v5, v2, v3
	v_cls_i32_e32 v6, v3
	s_delay_alu instid0(VALU_DEP_2) | instskip(NEXT) | instid1(VALU_DEP_1)
	v_ashrrev_i32_e32 v5, 31, v5
	v_add_nc_u32_e32 v5, 32, v5
	s_delay_alu instid0(VALU_DEP_1) | instskip(NEXT) | instid1(VALU_DEP_1)
	v_add_min_u32_e64 v5, v6, -1, v5
	v_lshlrev_b64_e32 v[2:3], v5, v[2:3]
	s_delay_alu instid0(VALU_DEP_1) | instskip(NEXT) | instid1(VALU_DEP_1)
	v_min_u32_e32 v2, 1, v2
	v_dual_sub_nc_u32 v3, 32, v5 :: v_dual_bitop2_b32 v2, v3, v2 bitop3:0x54
	s_delay_alu instid0(VALU_DEP_1) | instskip(NEXT) | instid1(VALU_DEP_1)
	v_cvt_f32_i32_e32 v2, v2
	v_ldexp_f32 v2, v2, v3
	s_delay_alu instid0(VALU_DEP_1)
	v_cvt_f16_f32_e32 v2, v2
	s_branch .LBB24_503
.LBB24_500:
	s_mov_b32 s18, -1
                                        ; implicit-def: $vgpr2
	s_branch .LBB24_509
.LBB24_501:
	s_mov_b32 s18, -1
                                        ; implicit-def: $vgpr2
	s_branch .LBB24_506
.LBB24_502:
	s_mov_b32 s18, -1
                                        ; implicit-def: $vgpr2
.LBB24_503:
	s_delay_alu instid0(SALU_CYCLE_1)
	s_and_not1_b32 vcc_lo, exec_lo, s18
	s_cbranch_vccnz .LBB24_505
; %bb.504:
	s_wait_loadcnt 0x0
	global_load_b32 v2, v[0:1], off
	s_wait_loadcnt 0x0
	v_cvt_f32_i32_e32 v2, v2
	s_delay_alu instid0(VALU_DEP_1)
	v_cvt_f16_f32_e32 v2, v2
.LBB24_505:
	s_mov_b32 s18, 0
.LBB24_506:
	s_delay_alu instid0(SALU_CYCLE_1)
	s_and_not1_b32 vcc_lo, exec_lo, s18
	s_cbranch_vccnz .LBB24_508
; %bb.507:
	s_wait_loadcnt 0x0
	global_load_u16 v2, v[0:1], off
	s_wait_loadcnt 0x0
	v_cvt_f16_i16_e32 v2, v2
.LBB24_508:
	s_mov_b32 s18, 0
.LBB24_509:
	s_delay_alu instid0(SALU_CYCLE_1)
	s_and_not1_b32 vcc_lo, exec_lo, s18
	s_cbranch_vccnz .LBB24_515
; %bb.510:
	s_cmp_gt_i32 s0, 0
	s_mov_b32 s0, 0
	s_cbranch_scc0 .LBB24_512
; %bb.511:
	s_wait_loadcnt 0x0
	global_load_i8 v2, v[0:1], off
	s_wait_loadcnt 0x0
	v_cvt_f16_i16_e32 v2, v2
	s_branch .LBB24_513
.LBB24_512:
	s_mov_b32 s0, -1
                                        ; implicit-def: $vgpr2
.LBB24_513:
	s_delay_alu instid0(SALU_CYCLE_1)
	s_and_not1_b32 vcc_lo, exec_lo, s0
	s_cbranch_vccnz .LBB24_515
; %bb.514:
	global_load_u8 v0, v[0:1], off
	s_wait_loadcnt 0x0
	v_cvt_f16_u16_e32 v2, v0
.LBB24_515:
	s_branch .LBB24_268
.LBB24_516:
	s_mov_b32 s20, 0
	s_mov_b32 s0, s13
.LBB24_517:
                                        ; implicit-def: $vgpr4
.LBB24_518:
	s_and_not1_b32 s18, s13, exec_lo
	s_and_b32 s0, s0, exec_lo
	s_and_not1_b32 s21, s15, exec_lo
	s_and_b32 s17, s17, exec_lo
	s_or_b32 s18, s18, s0
	s_or_b32 s17, s21, s17
	s_or_not1_b32 s0, s20, exec_lo
.LBB24_519:
	s_wait_xcnt 0x0
	s_or_b32 exec_lo, exec_lo, s19
	s_mov_b32 s20, 0
	s_mov_b32 s21, 0
	;; [unrolled: 1-line block ×3, first 2 shown]
                                        ; implicit-def: $vgpr0_vgpr1
                                        ; implicit-def: $vgpr2
	s_and_saveexec_b32 s19, s0
	s_cbranch_execz .LBB24_868
; %bb.520:
	s_mov_b32 s22, -1
	s_mov_b32 s0, s17
	s_mov_b32 s21, s18
	s_mov_b32 s20, exec_lo
	v_cmpx_gt_i32_e64 s14, v4
	s_cbranch_execz .LBB24_782
; %bb.521:
	v_mul_lo_u32 v0, v4, s9
	s_and_b32 s0, 0xffff, s3
	s_delay_alu instid0(SALU_CYCLE_1) | instskip(NEXT) | instid1(VALU_DEP_1)
	s_cmp_lt_i32 s0, 11
	v_ashrrev_i32_e32 v1, 31, v0
	s_delay_alu instid0(VALU_DEP_1)
	v_add_nc_u64_e32 v[0:1], s[6:7], v[0:1]
	s_cbranch_scc1 .LBB24_528
; %bb.522:
	s_cmp_gt_i32 s0, 25
	s_cbranch_scc0 .LBB24_529
; %bb.523:
	s_cmp_gt_i32 s0, 28
	s_cbranch_scc0 .LBB24_530
	;; [unrolled: 3-line block ×4, first 2 shown]
; %bb.526:
	s_cmp_eq_u32 s0, 46
	s_mov_b32 s23, 0
	s_cbranch_scc0 .LBB24_537
; %bb.527:
	s_wait_loadcnt 0x0
	global_load_b32 v2, v[0:1], off
	s_mov_b32 s21, 0
	s_wait_loadcnt 0x0
	v_lshlrev_b32_e32 v2, 16, v2
	s_delay_alu instid0(VALU_DEP_1)
	v_cvt_f16_f32_e32 v2, v2
	s_branch .LBB24_539
.LBB24_528:
	s_mov_b32 s23, -1
	s_mov_b32 s22, 0
	s_mov_b32 s21, s17
                                        ; implicit-def: $vgpr2
	s_branch .LBB24_604
.LBB24_529:
	s_mov_b32 s23, -1
	s_mov_b32 s22, 0
	s_mov_b32 s21, s17
                                        ; implicit-def: $vgpr2
	s_branch .LBB24_568
.LBB24_530:
	s_mov_b32 s23, -1
	s_mov_b32 s22, 0
	s_mov_b32 s21, s17
                                        ; implicit-def: $vgpr2
	s_branch .LBB24_549
.LBB24_531:
	s_mov_b32 s23, -1
	s_mov_b32 s22, 0
	s_mov_b32 s21, s17
                                        ; implicit-def: $vgpr2
	s_branch .LBB24_544
.LBB24_532:
	s_and_not1_saveexec_b32 s23, s23
	s_cbranch_execz .LBB24_316
.LBB24_533:
	v_add_f32_e64 v5, 0x46000000, |v3|
	s_and_not1_b32 s22, s22, exec_lo
	s_delay_alu instid0(VALU_DEP_1) | instskip(NEXT) | instid1(VALU_DEP_1)
	v_and_b32_e32 v5, 0xff, v5
	v_cmp_ne_u32_e32 vcc_lo, 0, v5
	s_and_b32 s24, vcc_lo, exec_lo
	s_delay_alu instid0(SALU_CYCLE_1)
	s_or_b32 s22, s22, s24
	s_or_b32 exec_lo, exec_lo, s23
	v_mov_b32_e32 v6, 0
	s_and_saveexec_b32 s23, s22
	s_cbranch_execnz .LBB24_317
	s_branch .LBB24_318
.LBB24_534:
	s_mov_b32 s23, -1
	s_mov_b32 s22, 0
	s_mov_b32 s21, s17
	s_branch .LBB24_538
.LBB24_535:
	s_and_not1_saveexec_b32 s23, s23
	s_cbranch_execz .LBB24_329
.LBB24_536:
	v_add_f32_e64 v5, 0x42800000, |v3|
	s_and_not1_b32 s22, s22, exec_lo
	s_delay_alu instid0(VALU_DEP_1) | instskip(NEXT) | instid1(VALU_DEP_1)
	v_and_b32_e32 v5, 0xff, v5
	v_cmp_ne_u32_e32 vcc_lo, 0, v5
	s_and_b32 s24, vcc_lo, exec_lo
	s_delay_alu instid0(SALU_CYCLE_1)
	s_or_b32 s22, s22, s24
	s_or_b32 exec_lo, exec_lo, s23
	v_mov_b32_e32 v6, 0
	s_and_saveexec_b32 s23, s22
	s_cbranch_execnz .LBB24_330
	s_branch .LBB24_331
.LBB24_537:
	s_mov_b32 s21, -1
	s_mov_b32 s22, 0
.LBB24_538:
                                        ; implicit-def: $vgpr2
.LBB24_539:
	s_and_b32 vcc_lo, exec_lo, s23
	s_cbranch_vccz .LBB24_543
; %bb.540:
	s_cmp_eq_u32 s0, 44
	s_cbranch_scc0 .LBB24_542
; %bb.541:
	s_wait_loadcnt 0x0
	global_load_u8 v2, v[0:1], off
	s_mov_b32 s21, 0
	s_mov_b32 s22, -1
	s_wait_loadcnt 0x0
	v_lshlrev_b32_e32 v3, 23, v2
	v_cmp_ne_u32_e32 vcc_lo, 0xff, v2
	s_delay_alu instid0(VALU_DEP_2) | instskip(NEXT) | instid1(VALU_DEP_1)
	v_cvt_f16_f32_e32 v3, v3
	v_cndmask_b32_e32 v3, 0x7e00, v3, vcc_lo
	v_cmp_ne_u32_e32 vcc_lo, 0, v2
	s_delay_alu instid0(VALU_DEP_2)
	v_cndmask_b32_e32 v2, 0, v3, vcc_lo
	s_branch .LBB24_543
.LBB24_542:
	s_mov_b32 s21, -1
                                        ; implicit-def: $vgpr2
.LBB24_543:
	s_mov_b32 s23, 0
.LBB24_544:
	s_delay_alu instid0(SALU_CYCLE_1)
	s_and_b32 vcc_lo, exec_lo, s23
	s_cbranch_vccz .LBB24_548
; %bb.545:
	s_cmp_eq_u32 s0, 29
	s_cbranch_scc0 .LBB24_547
; %bb.546:
	s_wait_loadcnt 0x0
	global_load_b64 v[2:3], v[0:1], off
	s_mov_b32 s22, -1
	s_mov_b32 s21, 0
	s_mov_b32 s23, 0
	s_wait_loadcnt 0x0
	v_clz_i32_u32_e32 v5, v3
	s_delay_alu instid0(VALU_DEP_1) | instskip(NEXT) | instid1(VALU_DEP_1)
	v_min_u32_e32 v5, 32, v5
	v_lshlrev_b64_e32 v[2:3], v5, v[2:3]
	s_delay_alu instid0(VALU_DEP_1) | instskip(NEXT) | instid1(VALU_DEP_1)
	v_min_u32_e32 v2, 1, v2
	v_dual_sub_nc_u32 v3, 32, v5 :: v_dual_bitop2_b32 v2, v3, v2 bitop3:0x54
	s_delay_alu instid0(VALU_DEP_1) | instskip(NEXT) | instid1(VALU_DEP_1)
	v_cvt_f32_u32_e32 v2, v2
	v_ldexp_f32 v2, v2, v3
	s_delay_alu instid0(VALU_DEP_1)
	v_cvt_f16_f32_e32 v2, v2
	s_branch .LBB24_549
.LBB24_547:
	s_mov_b32 s21, -1
                                        ; implicit-def: $vgpr2
.LBB24_548:
	s_mov_b32 s23, 0
.LBB24_549:
	s_delay_alu instid0(SALU_CYCLE_1)
	s_and_b32 vcc_lo, exec_lo, s23
	s_cbranch_vccz .LBB24_567
; %bb.550:
	s_cmp_lt_i32 s0, 27
	s_cbranch_scc1 .LBB24_553
; %bb.551:
	s_cmp_gt_i32 s0, 27
	s_cbranch_scc0 .LBB24_554
; %bb.552:
	s_wait_loadcnt 0x0
	global_load_b32 v2, v[0:1], off
	s_mov_b32 s22, 0
	s_wait_loadcnt 0x0
	v_cvt_f32_u32_e32 v2, v2
	s_delay_alu instid0(VALU_DEP_1)
	v_cvt_f16_f32_e32 v2, v2
	s_branch .LBB24_555
.LBB24_553:
	s_mov_b32 s22, -1
                                        ; implicit-def: $vgpr2
	s_branch .LBB24_558
.LBB24_554:
	s_mov_b32 s22, -1
                                        ; implicit-def: $vgpr2
.LBB24_555:
	s_delay_alu instid0(SALU_CYCLE_1)
	s_and_not1_b32 vcc_lo, exec_lo, s22
	s_cbranch_vccnz .LBB24_557
; %bb.556:
	s_wait_loadcnt 0x0
	global_load_u16 v2, v[0:1], off
	s_wait_loadcnt 0x0
	v_cvt_f16_u16_e32 v2, v2
.LBB24_557:
	s_mov_b32 s22, 0
.LBB24_558:
	s_delay_alu instid0(SALU_CYCLE_1)
	s_and_not1_b32 vcc_lo, exec_lo, s22
	s_cbranch_vccnz .LBB24_566
; %bb.559:
	global_load_u8 v3, v[0:1], off
	s_mov_b32 s22, 0
	s_mov_b32 s23, exec_lo
	s_wait_loadcnt 0x0
	v_cmpx_lt_i16_e32 0x7f, v3
	s_xor_b32 s23, exec_lo, s23
	s_cbranch_execz .LBB24_580
; %bb.560:
	s_mov_b32 s22, -1
	s_mov_b32 s24, exec_lo
	v_cmpx_eq_u16_e32 0x80, v3
; %bb.561:
	s_xor_b32 s22, exec_lo, -1
; %bb.562:
	s_or_b32 exec_lo, exec_lo, s24
	s_delay_alu instid0(SALU_CYCLE_1)
	s_and_b32 s22, s22, exec_lo
	s_or_saveexec_b32 s23, s23
	v_mov_b32_e32 v2, 0x7e00
	s_xor_b32 exec_lo, exec_lo, s23
	s_cbranch_execnz .LBB24_581
.LBB24_563:
	s_or_b32 exec_lo, exec_lo, s23
	s_and_saveexec_b32 s23, s22
	s_cbranch_execz .LBB24_565
.LBB24_564:
	v_and_b32_e32 v2, 0xffff, v3
	s_delay_alu instid0(VALU_DEP_1) | instskip(SKIP_1) | instid1(VALU_DEP_2)
	v_dual_lshlrev_b32 v3, 24, v3 :: v_dual_bitop2_b32 v5, 7, v2 bitop3:0x40
	v_bfe_u32 v8, v2, 3, 4
	v_and_b32_e32 v3, 0x80000000, v3
	s_delay_alu instid0(VALU_DEP_3) | instskip(NEXT) | instid1(VALU_DEP_3)
	v_clz_i32_u32_e32 v6, v5
	v_cmp_eq_u32_e32 vcc_lo, 0, v8
	s_delay_alu instid0(VALU_DEP_2) | instskip(NEXT) | instid1(VALU_DEP_1)
	v_min_u32_e32 v6, 32, v6
	v_subrev_nc_u32_e32 v7, 28, v6
	v_sub_nc_u32_e32 v6, 29, v6
	s_delay_alu instid0(VALU_DEP_2) | instskip(NEXT) | instid1(VALU_DEP_2)
	v_lshlrev_b32_e32 v2, v7, v2
	v_cndmask_b32_e32 v6, v8, v6, vcc_lo
	s_delay_alu instid0(VALU_DEP_2) | instskip(NEXT) | instid1(VALU_DEP_1)
	v_and_b32_e32 v2, 7, v2
	v_cndmask_b32_e32 v2, v5, v2, vcc_lo
	s_delay_alu instid0(VALU_DEP_3) | instskip(NEXT) | instid1(VALU_DEP_2)
	v_lshl_add_u32 v5, v6, 23, 0x3b800000
	v_lshlrev_b32_e32 v2, 20, v2
	s_delay_alu instid0(VALU_DEP_1) | instskip(NEXT) | instid1(VALU_DEP_1)
	v_or3_b32 v2, v3, v5, v2
	v_cvt_f16_f32_e32 v2, v2
.LBB24_565:
	s_or_b32 exec_lo, exec_lo, s23
.LBB24_566:
	s_mov_b32 s22, -1
.LBB24_567:
	s_mov_b32 s23, 0
.LBB24_568:
	s_delay_alu instid0(SALU_CYCLE_1)
	s_and_b32 vcc_lo, exec_lo, s23
	s_cbranch_vccz .LBB24_603
; %bb.569:
	s_cmp_gt_i32 s0, 22
	s_cbranch_scc0 .LBB24_579
; %bb.570:
	s_cmp_lt_i32 s0, 24
	s_cbranch_scc1 .LBB24_582
; %bb.571:
	s_cmp_gt_i32 s0, 24
	s_cbranch_scc0 .LBB24_583
; %bb.572:
	global_load_u8 v3, v[0:1], off
	s_mov_b32 s22, 0
	s_mov_b32 s23, exec_lo
	s_wait_loadcnt 0x0
	v_cmpx_lt_i16_e32 0x7f, v3
	s_xor_b32 s23, exec_lo, s23
	s_cbranch_execz .LBB24_595
; %bb.573:
	s_mov_b32 s22, -1
	s_mov_b32 s24, exec_lo
	v_cmpx_eq_u16_e32 0x80, v3
; %bb.574:
	s_xor_b32 s22, exec_lo, -1
; %bb.575:
	s_or_b32 exec_lo, exec_lo, s24
	s_delay_alu instid0(SALU_CYCLE_1)
	s_and_b32 s22, s22, exec_lo
	s_or_saveexec_b32 s23, s23
	v_mov_b32_e32 v2, 0x7e00
	s_xor_b32 exec_lo, exec_lo, s23
	s_cbranch_execnz .LBB24_596
.LBB24_576:
	s_or_b32 exec_lo, exec_lo, s23
	s_and_saveexec_b32 s23, s22
	s_cbranch_execz .LBB24_578
.LBB24_577:
	v_and_b32_e32 v2, 0xffff, v3
	s_delay_alu instid0(VALU_DEP_1) | instskip(SKIP_1) | instid1(VALU_DEP_2)
	v_dual_lshlrev_b32 v3, 24, v3 :: v_dual_bitop2_b32 v5, 3, v2 bitop3:0x40
	v_bfe_u32 v8, v2, 2, 5
	v_and_b32_e32 v3, 0x80000000, v3
	s_delay_alu instid0(VALU_DEP_3) | instskip(NEXT) | instid1(VALU_DEP_3)
	v_clz_i32_u32_e32 v6, v5
	v_cmp_eq_u32_e32 vcc_lo, 0, v8
	s_delay_alu instid0(VALU_DEP_2) | instskip(NEXT) | instid1(VALU_DEP_1)
	v_min_u32_e32 v6, 32, v6
	v_subrev_nc_u32_e32 v7, 29, v6
	v_sub_nc_u32_e32 v6, 30, v6
	s_delay_alu instid0(VALU_DEP_2) | instskip(NEXT) | instid1(VALU_DEP_2)
	v_lshlrev_b32_e32 v2, v7, v2
	v_cndmask_b32_e32 v6, v8, v6, vcc_lo
	s_delay_alu instid0(VALU_DEP_2) | instskip(NEXT) | instid1(VALU_DEP_1)
	v_and_b32_e32 v2, 3, v2
	v_cndmask_b32_e32 v2, v5, v2, vcc_lo
	s_delay_alu instid0(VALU_DEP_3) | instskip(NEXT) | instid1(VALU_DEP_2)
	v_lshl_add_u32 v5, v6, 23, 0x37800000
	v_lshlrev_b32_e32 v2, 21, v2
	s_delay_alu instid0(VALU_DEP_1) | instskip(NEXT) | instid1(VALU_DEP_1)
	v_or3_b32 v2, v3, v5, v2
	v_cvt_f16_f32_e32 v2, v2
.LBB24_578:
	s_or_b32 exec_lo, exec_lo, s23
	s_mov_b32 s22, 0
	s_branch .LBB24_584
.LBB24_579:
	s_mov_b32 s23, -1
                                        ; implicit-def: $vgpr2
	s_branch .LBB24_590
.LBB24_580:
	s_or_saveexec_b32 s23, s23
	v_mov_b32_e32 v2, 0x7e00
	s_xor_b32 exec_lo, exec_lo, s23
	s_cbranch_execz .LBB24_563
.LBB24_581:
	v_cmp_ne_u16_e32 vcc_lo, 0, v3
	v_mov_b32_e32 v2, v3
	s_and_not1_b32 s22, s22, exec_lo
	s_and_b32 s24, vcc_lo, exec_lo
	s_delay_alu instid0(SALU_CYCLE_1)
	s_or_b32 s22, s22, s24
	s_or_b32 exec_lo, exec_lo, s23
	s_and_saveexec_b32 s23, s22
	s_cbranch_execnz .LBB24_564
	s_branch .LBB24_565
.LBB24_582:
	s_mov_b32 s22, -1
                                        ; implicit-def: $vgpr2
	s_branch .LBB24_587
.LBB24_583:
	s_mov_b32 s22, -1
                                        ; implicit-def: $vgpr2
.LBB24_584:
	s_delay_alu instid0(SALU_CYCLE_1)
	s_and_b32 vcc_lo, exec_lo, s22
	s_cbranch_vccz .LBB24_586
; %bb.585:
	s_wait_loadcnt 0x0
	global_load_u8 v2, v[0:1], off
	s_wait_loadcnt 0x0
	v_lshlrev_b32_e32 v2, 24, v2
	s_delay_alu instid0(VALU_DEP_1) | instskip(NEXT) | instid1(VALU_DEP_1)
	v_and_b32_e32 v3, 0x7f000000, v2
	v_clz_i32_u32_e32 v5, v3
	v_add_nc_u32_e32 v7, 0x1000000, v3
	v_cmp_ne_u32_e32 vcc_lo, 0, v3
	s_delay_alu instid0(VALU_DEP_3) | instskip(NEXT) | instid1(VALU_DEP_1)
	v_min_u32_e32 v5, 32, v5
	v_sub_nc_u32_e64 v5, v5, 4 clamp
	s_delay_alu instid0(VALU_DEP_1) | instskip(NEXT) | instid1(VALU_DEP_1)
	v_dual_lshlrev_b32 v6, v5, v3 :: v_dual_lshlrev_b32 v5, 23, v5
	v_lshrrev_b32_e32 v6, 4, v6
	s_delay_alu instid0(VALU_DEP_1) | instskip(NEXT) | instid1(VALU_DEP_1)
	v_dual_sub_nc_u32 v5, v6, v5 :: v_dual_ashrrev_i32 v6, 8, v7
	v_add_nc_u32_e32 v5, 0x3c000000, v5
	s_delay_alu instid0(VALU_DEP_1) | instskip(NEXT) | instid1(VALU_DEP_1)
	v_and_or_b32 v5, 0x7f800000, v6, v5
	v_cndmask_b32_e32 v3, 0, v5, vcc_lo
	s_delay_alu instid0(VALU_DEP_1) | instskip(NEXT) | instid1(VALU_DEP_1)
	v_and_or_b32 v2, 0x80000000, v2, v3
	v_cvt_f16_f32_e32 v2, v2
.LBB24_586:
	s_mov_b32 s22, 0
.LBB24_587:
	s_delay_alu instid0(SALU_CYCLE_1)
	s_and_not1_b32 vcc_lo, exec_lo, s22
	s_cbranch_vccnz .LBB24_589
; %bb.588:
	s_wait_loadcnt 0x0
	global_load_u8 v2, v[0:1], off
	s_wait_loadcnt 0x0
	v_lshlrev_b32_e32 v3, 25, v2
	v_lshlrev_b16 v2, 8, v2
	s_delay_alu instid0(VALU_DEP_2) | instskip(NEXT) | instid1(VALU_DEP_2)
	v_cmp_gt_u32_e32 vcc_lo, 0x8000000, v3
	v_and_or_b32 v6, 0x7f00, v2, 0.5
	v_lshrrev_b32_e32 v5, 4, v3
	v_bfe_i32 v2, v2, 0, 16
	s_delay_alu instid0(VALU_DEP_3) | instskip(NEXT) | instid1(VALU_DEP_3)
	v_add_f32_e32 v6, -0.5, v6
	v_or_b32_e32 v5, 0x70000000, v5
	s_delay_alu instid0(VALU_DEP_1) | instskip(NEXT) | instid1(VALU_DEP_1)
	v_mul_f32_e32 v5, 0x7800000, v5
	v_cndmask_b32_e32 v3, v5, v6, vcc_lo
	s_delay_alu instid0(VALU_DEP_1) | instskip(NEXT) | instid1(VALU_DEP_1)
	v_and_or_b32 v2, 0x80000000, v2, v3
	v_cvt_f16_f32_e32 v2, v2
.LBB24_589:
	s_mov_b32 s23, 0
	s_mov_b32 s22, -1
.LBB24_590:
	s_and_not1_b32 vcc_lo, exec_lo, s23
	s_cbranch_vccnz .LBB24_603
; %bb.591:
	s_cmp_gt_i32 s0, 14
	s_cbranch_scc0 .LBB24_594
; %bb.592:
	s_cmp_eq_u32 s0, 15
	s_cbranch_scc0 .LBB24_597
; %bb.593:
	s_wait_loadcnt 0x0
	global_load_u16 v2, v[0:1], off
	s_mov_b32 s22, -1
	s_mov_b32 s21, 0
	s_wait_loadcnt 0x0
	v_lshlrev_b32_e32 v2, 16, v2
	s_delay_alu instid0(VALU_DEP_1)
	v_cvt_f16_f32_e32 v2, v2
	s_branch .LBB24_598
.LBB24_594:
	s_mov_b32 s23, -1
                                        ; implicit-def: $vgpr2
	s_branch .LBB24_599
.LBB24_595:
	s_or_saveexec_b32 s23, s23
	v_mov_b32_e32 v2, 0x7e00
	s_xor_b32 exec_lo, exec_lo, s23
	s_cbranch_execz .LBB24_576
.LBB24_596:
	v_cmp_ne_u16_e32 vcc_lo, 0, v3
	v_mov_b32_e32 v2, v3
	s_and_not1_b32 s22, s22, exec_lo
	s_and_b32 s24, vcc_lo, exec_lo
	s_delay_alu instid0(SALU_CYCLE_1)
	s_or_b32 s22, s22, s24
	s_or_b32 exec_lo, exec_lo, s23
	s_and_saveexec_b32 s23, s22
	s_cbranch_execnz .LBB24_577
	s_branch .LBB24_578
.LBB24_597:
	s_mov_b32 s21, -1
                                        ; implicit-def: $vgpr2
.LBB24_598:
	s_mov_b32 s23, 0
.LBB24_599:
	s_delay_alu instid0(SALU_CYCLE_1)
	s_and_b32 vcc_lo, exec_lo, s23
	s_cbranch_vccz .LBB24_603
; %bb.600:
	s_cmp_eq_u32 s0, 11
	s_cbranch_scc0 .LBB24_602
; %bb.601:
	s_wait_loadcnt 0x0
	global_load_u8 v2, v[0:1], off
	s_mov_b32 s21, 0
	s_mov_b32 s22, -1
	s_wait_loadcnt 0x0
	v_cmp_ne_u16_e32 vcc_lo, 0, v2
	v_cndmask_b32_e64 v2, 0, 0x3c00, vcc_lo
	s_branch .LBB24_603
.LBB24_602:
	s_mov_b32 s21, -1
                                        ; implicit-def: $vgpr2
.LBB24_603:
	s_mov_b32 s23, 0
.LBB24_604:
	s_delay_alu instid0(SALU_CYCLE_1)
	s_and_b32 vcc_lo, exec_lo, s23
	s_cbranch_vccz .LBB24_653
; %bb.605:
	s_cmp_lt_i32 s0, 5
	s_cbranch_scc1 .LBB24_610
; %bb.606:
	s_cmp_lt_i32 s0, 8
	s_cbranch_scc1 .LBB24_611
	;; [unrolled: 3-line block ×3, first 2 shown]
; %bb.608:
	s_cmp_gt_i32 s0, 9
	s_cbranch_scc0 .LBB24_613
; %bb.609:
	s_wait_loadcnt 0x0
	global_load_b64 v[2:3], v[0:1], off
	s_mov_b32 s22, 0
	s_wait_loadcnt 0x0
	v_and_or_b32 v2, 0x1ff, v3, v2
	v_lshrrev_b32_e32 v5, 8, v3
	v_bfe_u32 v6, v3, 20, 11
	v_lshrrev_b32_e32 v3, 16, v3
	s_delay_alu instid0(VALU_DEP_4) | instskip(NEXT) | instid1(VALU_DEP_3)
	v_cmp_ne_u32_e32 vcc_lo, 0, v2
	v_sub_nc_u32_e32 v7, 0x3f1, v6
	v_add_nc_u32_e32 v6, 0xfffffc10, v6
	v_cndmask_b32_e64 v2, 0, 1, vcc_lo
	s_delay_alu instid0(VALU_DEP_1) | instskip(NEXT) | instid1(VALU_DEP_4)
	v_and_or_b32 v2, 0xffe, v5, v2
	v_med3_i32 v5, v7, 0, 13
	s_delay_alu instid0(VALU_DEP_2) | instskip(NEXT) | instid1(VALU_DEP_1)
	v_or_b32_e32 v7, 0x1000, v2
	v_lshrrev_b32_e32 v8, v5, v7
	s_delay_alu instid0(VALU_DEP_1) | instskip(NEXT) | instid1(VALU_DEP_1)
	v_lshlrev_b32_e32 v5, v5, v8
	v_cmp_ne_u32_e32 vcc_lo, v5, v7
	v_lshl_or_b32 v7, v6, 12, v2
	v_cndmask_b32_e64 v5, 0, 1, vcc_lo
	v_cmp_gt_i32_e32 vcc_lo, 1, v6
	s_delay_alu instid0(VALU_DEP_2) | instskip(NEXT) | instid1(VALU_DEP_1)
	v_or_b32_e32 v5, v8, v5
	v_cndmask_b32_e32 v5, v7, v5, vcc_lo
	s_delay_alu instid0(VALU_DEP_1) | instskip(NEXT) | instid1(VALU_DEP_1)
	v_dual_lshrrev_b32 v5, 2, v5 :: v_dual_bitop2_b32 v7, 7, v5 bitop3:0x40
	v_cmp_lt_i32_e32 vcc_lo, 5, v7
	v_cndmask_b32_e64 v8, 0, 1, vcc_lo
	v_cmp_eq_u32_e32 vcc_lo, 3, v7
	v_cndmask_b32_e64 v7, 0, 1, vcc_lo
	v_cmp_ne_u32_e32 vcc_lo, 0, v2
	s_delay_alu instid0(VALU_DEP_2) | instskip(NEXT) | instid1(VALU_DEP_1)
	v_or_b32_e32 v7, v7, v8
	v_dual_mov_b32 v8, 0x7e00 :: v_dual_add_nc_u32 v5, v5, v7
	s_delay_alu instid0(VALU_DEP_1) | instskip(SKIP_1) | instid1(VALU_DEP_3)
	v_cndmask_b32_e32 v2, 0x7c00, v8, vcc_lo
	v_cmp_gt_i32_e32 vcc_lo, 31, v6
	v_cndmask_b32_e32 v5, 0x7c00, v5, vcc_lo
	v_cmp_eq_u32_e32 vcc_lo, 0x40f, v6
	s_delay_alu instid0(VALU_DEP_2) | instskip(NEXT) | instid1(VALU_DEP_1)
	v_cndmask_b32_e32 v2, v5, v2, vcc_lo
	v_and_or_b32 v2, 0x8000, v3, v2
	s_branch .LBB24_614
.LBB24_610:
	s_mov_b32 s22, -1
                                        ; implicit-def: $vgpr2
	s_branch .LBB24_632
.LBB24_611:
	s_mov_b32 s22, -1
                                        ; implicit-def: $vgpr2
	s_branch .LBB24_620
.LBB24_612:
	s_mov_b32 s22, -1
                                        ; implicit-def: $vgpr2
	s_branch .LBB24_617
.LBB24_613:
	s_mov_b32 s22, -1
                                        ; implicit-def: $vgpr2
.LBB24_614:
	s_delay_alu instid0(SALU_CYCLE_1)
	s_and_not1_b32 vcc_lo, exec_lo, s22
	s_cbranch_vccnz .LBB24_616
; %bb.615:
	s_wait_loadcnt 0x0
	global_load_b32 v2, v[0:1], off
	s_wait_loadcnt 0x0
	v_cvt_f16_f32_e32 v2, v2
.LBB24_616:
	s_mov_b32 s22, 0
.LBB24_617:
	s_delay_alu instid0(SALU_CYCLE_1)
	s_and_not1_b32 vcc_lo, exec_lo, s22
	s_cbranch_vccnz .LBB24_619
; %bb.618:
	s_wait_loadcnt 0x0
	global_load_b32 v2, v[0:1], off
.LBB24_619:
	s_mov_b32 s22, 0
.LBB24_620:
	s_delay_alu instid0(SALU_CYCLE_1)
	s_and_not1_b32 vcc_lo, exec_lo, s22
	s_cbranch_vccnz .LBB24_631
; %bb.621:
	s_cmp_lt_i32 s0, 6
	s_cbranch_scc1 .LBB24_624
; %bb.622:
	s_cmp_gt_i32 s0, 6
	s_cbranch_scc0 .LBB24_625
; %bb.623:
	s_wait_loadcnt 0x0
	global_load_b64 v[2:3], v[0:1], off
	s_mov_b32 s22, 0
	s_wait_loadcnt 0x0
	v_and_or_b32 v2, 0x1ff, v3, v2
	v_lshrrev_b32_e32 v5, 8, v3
	v_bfe_u32 v6, v3, 20, 11
	v_lshrrev_b32_e32 v3, 16, v3
	s_delay_alu instid0(VALU_DEP_4) | instskip(NEXT) | instid1(VALU_DEP_3)
	v_cmp_ne_u32_e32 vcc_lo, 0, v2
	v_sub_nc_u32_e32 v7, 0x3f1, v6
	v_add_nc_u32_e32 v6, 0xfffffc10, v6
	v_cndmask_b32_e64 v2, 0, 1, vcc_lo
	s_delay_alu instid0(VALU_DEP_1) | instskip(NEXT) | instid1(VALU_DEP_4)
	v_and_or_b32 v2, 0xffe, v5, v2
	v_med3_i32 v5, v7, 0, 13
	s_delay_alu instid0(VALU_DEP_2) | instskip(NEXT) | instid1(VALU_DEP_1)
	v_or_b32_e32 v7, 0x1000, v2
	v_lshrrev_b32_e32 v8, v5, v7
	s_delay_alu instid0(VALU_DEP_1) | instskip(NEXT) | instid1(VALU_DEP_1)
	v_lshlrev_b32_e32 v5, v5, v8
	v_cmp_ne_u32_e32 vcc_lo, v5, v7
	v_lshl_or_b32 v7, v6, 12, v2
	v_cndmask_b32_e64 v5, 0, 1, vcc_lo
	v_cmp_gt_i32_e32 vcc_lo, 1, v6
	s_delay_alu instid0(VALU_DEP_2) | instskip(NEXT) | instid1(VALU_DEP_1)
	v_or_b32_e32 v5, v8, v5
	v_cndmask_b32_e32 v5, v7, v5, vcc_lo
	s_delay_alu instid0(VALU_DEP_1) | instskip(NEXT) | instid1(VALU_DEP_1)
	v_dual_lshrrev_b32 v5, 2, v5 :: v_dual_bitop2_b32 v7, 7, v5 bitop3:0x40
	v_cmp_lt_i32_e32 vcc_lo, 5, v7
	v_cndmask_b32_e64 v8, 0, 1, vcc_lo
	v_cmp_eq_u32_e32 vcc_lo, 3, v7
	v_cndmask_b32_e64 v7, 0, 1, vcc_lo
	v_cmp_ne_u32_e32 vcc_lo, 0, v2
	s_delay_alu instid0(VALU_DEP_2) | instskip(NEXT) | instid1(VALU_DEP_1)
	v_or_b32_e32 v7, v7, v8
	v_dual_mov_b32 v8, 0x7e00 :: v_dual_add_nc_u32 v5, v5, v7
	s_delay_alu instid0(VALU_DEP_1) | instskip(SKIP_1) | instid1(VALU_DEP_3)
	v_cndmask_b32_e32 v2, 0x7c00, v8, vcc_lo
	v_cmp_gt_i32_e32 vcc_lo, 31, v6
	v_cndmask_b32_e32 v5, 0x7c00, v5, vcc_lo
	v_cmp_eq_u32_e32 vcc_lo, 0x40f, v6
	s_delay_alu instid0(VALU_DEP_2) | instskip(NEXT) | instid1(VALU_DEP_1)
	v_cndmask_b32_e32 v2, v5, v2, vcc_lo
	v_and_or_b32 v2, 0x8000, v3, v2
	s_branch .LBB24_626
.LBB24_624:
	s_mov_b32 s22, -1
                                        ; implicit-def: $vgpr2
	s_branch .LBB24_629
.LBB24_625:
	s_mov_b32 s22, -1
                                        ; implicit-def: $vgpr2
.LBB24_626:
	s_delay_alu instid0(SALU_CYCLE_1)
	s_and_not1_b32 vcc_lo, exec_lo, s22
	s_cbranch_vccnz .LBB24_628
; %bb.627:
	s_wait_loadcnt 0x0
	global_load_b32 v2, v[0:1], off
	s_wait_loadcnt 0x0
	v_cvt_f16_f32_e32 v2, v2
.LBB24_628:
	s_mov_b32 s22, 0
.LBB24_629:
	s_delay_alu instid0(SALU_CYCLE_1)
	s_and_not1_b32 vcc_lo, exec_lo, s22
	s_cbranch_vccnz .LBB24_631
; %bb.630:
	s_wait_loadcnt 0x0
	global_load_u16 v2, v[0:1], off
.LBB24_631:
	s_mov_b32 s22, 0
.LBB24_632:
	s_delay_alu instid0(SALU_CYCLE_1)
	s_and_not1_b32 vcc_lo, exec_lo, s22
	s_cbranch_vccnz .LBB24_652
; %bb.633:
	s_cmp_lt_i32 s0, 2
	s_cbranch_scc1 .LBB24_637
; %bb.634:
	s_cmp_lt_i32 s0, 3
	s_cbranch_scc1 .LBB24_638
; %bb.635:
	s_cmp_gt_i32 s0, 3
	s_cbranch_scc0 .LBB24_639
; %bb.636:
	s_wait_loadcnt 0x0
	global_load_b64 v[2:3], v[0:1], off
	s_mov_b32 s22, 0
	s_wait_loadcnt 0x0
	v_xor_b32_e32 v5, v2, v3
	v_cls_i32_e32 v6, v3
	s_delay_alu instid0(VALU_DEP_2) | instskip(NEXT) | instid1(VALU_DEP_1)
	v_ashrrev_i32_e32 v5, 31, v5
	v_add_nc_u32_e32 v5, 32, v5
	s_delay_alu instid0(VALU_DEP_1) | instskip(NEXT) | instid1(VALU_DEP_1)
	v_add_min_u32_e64 v5, v6, -1, v5
	v_lshlrev_b64_e32 v[2:3], v5, v[2:3]
	s_delay_alu instid0(VALU_DEP_1) | instskip(NEXT) | instid1(VALU_DEP_1)
	v_min_u32_e32 v2, 1, v2
	v_dual_sub_nc_u32 v3, 32, v5 :: v_dual_bitop2_b32 v2, v3, v2 bitop3:0x54
	s_delay_alu instid0(VALU_DEP_1) | instskip(NEXT) | instid1(VALU_DEP_1)
	v_cvt_f32_i32_e32 v2, v2
	v_ldexp_f32 v2, v2, v3
	s_delay_alu instid0(VALU_DEP_1)
	v_cvt_f16_f32_e32 v2, v2
	s_branch .LBB24_640
.LBB24_637:
	s_mov_b32 s22, -1
                                        ; implicit-def: $vgpr2
	s_branch .LBB24_646
.LBB24_638:
	s_mov_b32 s22, -1
                                        ; implicit-def: $vgpr2
	s_branch .LBB24_643
.LBB24_639:
	s_mov_b32 s22, -1
                                        ; implicit-def: $vgpr2
.LBB24_640:
	s_delay_alu instid0(SALU_CYCLE_1)
	s_and_not1_b32 vcc_lo, exec_lo, s22
	s_cbranch_vccnz .LBB24_642
; %bb.641:
	s_wait_loadcnt 0x0
	global_load_b32 v2, v[0:1], off
	s_wait_loadcnt 0x0
	v_cvt_f32_i32_e32 v2, v2
	s_delay_alu instid0(VALU_DEP_1)
	v_cvt_f16_f32_e32 v2, v2
.LBB24_642:
	s_mov_b32 s22, 0
.LBB24_643:
	s_delay_alu instid0(SALU_CYCLE_1)
	s_and_not1_b32 vcc_lo, exec_lo, s22
	s_cbranch_vccnz .LBB24_645
; %bb.644:
	s_wait_loadcnt 0x0
	global_load_u16 v2, v[0:1], off
	s_wait_loadcnt 0x0
	v_cvt_f16_i16_e32 v2, v2
.LBB24_645:
	s_mov_b32 s22, 0
.LBB24_646:
	s_delay_alu instid0(SALU_CYCLE_1)
	s_and_not1_b32 vcc_lo, exec_lo, s22
	s_cbranch_vccnz .LBB24_652
; %bb.647:
	s_cmp_gt_i32 s0, 0
	s_mov_b32 s0, 0
	s_cbranch_scc0 .LBB24_649
; %bb.648:
	s_wait_loadcnt 0x0
	global_load_i8 v2, v[0:1], off
	s_wait_loadcnt 0x0
	v_cvt_f16_i16_e32 v2, v2
	s_branch .LBB24_650
.LBB24_649:
	s_mov_b32 s0, -1
                                        ; implicit-def: $vgpr2
.LBB24_650:
	s_delay_alu instid0(SALU_CYCLE_1)
	s_and_not1_b32 vcc_lo, exec_lo, s0
	s_cbranch_vccnz .LBB24_652
; %bb.651:
	global_load_u8 v0, v[0:1], off
	s_wait_loadcnt 0x0
	v_cvt_f16_u16_e32 v2, v0
.LBB24_652:
	s_mov_b32 s22, -1
.LBB24_653:
	s_delay_alu instid0(SALU_CYCLE_1)
	s_and_not1_b32 vcc_lo, exec_lo, s22
	s_cbranch_vccnz .LBB24_663
; %bb.654:
	s_wait_loadcnt 0x0
	v_cvt_f32_f16_e32 v0, v2
	s_mov_b32 s0, exec_lo
	s_delay_alu instid0(VALU_DEP_1) | instskip(NEXT) | instid1(VALU_DEP_1)
	v_mul_f32_e32 v0, s10, v0
	v_cmpx_nlt_f32_e32 s11, v0
	s_cbranch_execz .LBB24_656
; %bb.655:
	v_mul_f32_e32 v1, 0x3fb8aa3b, v0
	v_cmp_ngt_f32_e32 vcc_lo, 0xc2ce8ed0, v0
	s_mov_b32 s22, 0x3e9b6dac
	s_delay_alu instid0(VALU_DEP_2) | instskip(SKIP_1) | instid1(VALU_DEP_2)
	v_rndne_f32_e32 v2, v1
	v_fma_f32 v3, 0x3fb8aa3b, v0, -v1
	v_sub_f32_e32 v1, v1, v2
	s_delay_alu instid0(VALU_DEP_2) | instskip(SKIP_1) | instid1(VALU_DEP_2)
	v_fmamk_f32 v3, v0, 0x32a5705f, v3
	v_cvt_i32_f32_e32 v2, v2
	v_add_f32_e32 v1, v1, v3
	s_delay_alu instid0(VALU_DEP_1) | instskip(SKIP_1) | instid1(TRANS32_DEP_1)
	v_exp_f32_e32 v1, v1
	v_nop
	v_ldexp_f32 v1, v1, v2
	s_delay_alu instid0(VALU_DEP_1) | instskip(SKIP_1) | instid1(VALU_DEP_2)
	v_cndmask_b32_e32 v1, 0, v1, vcc_lo
	v_cmp_nlt_f32_e32 vcc_lo, 0x42b17218, v0
	v_cndmask_b32_e32 v18, 0x7f800000, v1, vcc_lo
	s_delay_alu instid0(VALU_DEP_1) | instskip(NEXT) | instid1(VALU_DEP_1)
	v_add_f32_e32 v2, 1.0, v18
	v_cvt_f64_f32_e32 v[0:1], v2
	s_delay_alu instid0(VALU_DEP_1) | instskip(SKIP_1) | instid1(VALU_DEP_1)
	v_frexp_exp_i32_f64_e32 v0, v[0:1]
	v_frexp_mant_f32_e32 v1, v2
	v_cmp_gt_f32_e32 vcc_lo, 0x3f2aaaab, v1
	s_delay_alu instid0(VALU_DEP_3) | instskip(NEXT) | instid1(VALU_DEP_1)
	v_subrev_co_ci_u32_e64 v5, null, 0, v0, vcc_lo
	v_dual_add_f32 v0, -1.0, v2 :: v_dual_sub_nc_u32 v1, 0, v5
	s_delay_alu instid0(VALU_DEP_1) | instskip(NEXT) | instid1(VALU_DEP_2)
	v_dual_sub_f32 v3, v0, v2 :: v_dual_sub_f32 v0, v18, v0
	v_ldexp_f32 v2, v2, v1
	s_delay_alu instid0(VALU_DEP_1) | instskip(NEXT) | instid1(VALU_DEP_1)
	v_dual_add_f32 v3, 1.0, v3 :: v_dual_add_f32 v6, 1.0, v2
	v_dual_add_f32 v7, -1.0, v2 :: v_dual_add_f32 v0, v0, v3
	s_delay_alu instid0(VALU_DEP_2) | instskip(SKIP_1) | instid1(VALU_DEP_3)
	v_add_f32_e32 v3, -1.0, v6
	v_cmp_neq_f32_e32 vcc_lo, 0x7f800000, v18
	v_ldexp_f32 v0, v0, v1
	s_delay_alu instid0(VALU_DEP_3) | instskip(NEXT) | instid1(VALU_DEP_1)
	v_sub_f32_e32 v1, v2, v3
	v_dual_add_f32 v3, 1.0, v7 :: v_dual_add_f32 v8, v0, v1
	s_delay_alu instid0(VALU_DEP_1) | instskip(NEXT) | instid1(VALU_DEP_1)
	v_sub_f32_e32 v1, v2, v3
	v_dual_add_f32 v9, v6, v8 :: v_dual_add_f32 v10, v0, v1
	s_delay_alu instid0(VALU_DEP_1) | instskip(NEXT) | instid1(VALU_DEP_1)
	v_rcp_f32_e32 v11, v9
	v_dual_add_f32 v1, v7, v10 :: v_dual_sub_f32 v0, v6, v9
	s_delay_alu instid0(TRANS32_DEP_1) | instid1(VALU_DEP_1)
	v_dual_sub_f32 v13, v7, v1 :: v_dual_mul_f32 v12, v1, v11
	s_delay_alu instid0(VALU_DEP_2) | instskip(NEXT) | instid1(VALU_DEP_2)
	v_add_f32_e32 v8, v8, v0
	v_mul_f32_e32 v2, v9, v12
	s_delay_alu instid0(VALU_DEP_1) | instskip(NEXT) | instid1(VALU_DEP_1)
	v_fma_f32 v6, v12, v9, -v2
	v_fmac_f32_e32 v6, v12, v8
	s_delay_alu instid0(VALU_DEP_1) | instskip(NEXT) | instid1(VALU_DEP_1)
	v_add_f32_e32 v0, v2, v6
	v_dual_sub_f32 v3, v1, v0 :: v_dual_mov_b32 v7, v0
	s_delay_alu instid0(VALU_DEP_1) | instskip(SKIP_1) | instid1(VALU_DEP_2)
	v_pk_add_f32 v[0:1], v[0:1], v[2:3] neg_lo:[0,1] neg_hi:[0,1]
	v_add_f32_e32 v2, v10, v13
	v_pk_add_f32 v[0:1], v[0:1], v[6:7] neg_lo:[0,1] neg_hi:[0,1]
	s_delay_alu instid0(VALU_DEP_1) | instskip(NEXT) | instid1(VALU_DEP_1)
	v_add_f32_e32 v1, v2, v1
	v_add_f32_e32 v10, v0, v1
	s_delay_alu instid0(VALU_DEP_1) | instskip(NEXT) | instid1(VALU_DEP_1)
	v_add_f32_e32 v1, v3, v10
	v_mul_f32_e32 v13, v11, v1
	s_delay_alu instid0(VALU_DEP_1) | instskip(NEXT) | instid1(VALU_DEP_1)
	v_mul_f32_e32 v6, v9, v13
	v_fma_f32 v2, v13, v9, -v6
	s_delay_alu instid0(VALU_DEP_1) | instskip(NEXT) | instid1(VALU_DEP_1)
	v_dual_fmac_f32 v2, v13, v8 :: v_dual_sub_f32 v8, v3, v1
	v_add_f32_e32 v0, v6, v2
	s_delay_alu instid0(VALU_DEP_1) | instskip(NEXT) | instid1(VALU_DEP_1)
	v_dual_sub_f32 v7, v1, v0 :: v_dual_mov_b32 v3, v0
	v_pk_add_f32 v[0:1], v[0:1], v[6:7] neg_lo:[0,1] neg_hi:[0,1]
	s_delay_alu instid0(VALU_DEP_1) | instskip(SKIP_2) | instid1(VALU_DEP_2)
	v_pk_add_f32 v[0:1], v[0:1], v[2:3] neg_lo:[0,1] neg_hi:[0,1]
	v_add_f32_e32 v6, v10, v8
	v_cvt_f32_i32_e32 v2, v5
	v_add_f32_e32 v1, v6, v1
	s_delay_alu instid0(VALU_DEP_1) | instskip(NEXT) | instid1(VALU_DEP_1)
	v_add_f32_e32 v0, v0, v1
	v_dual_add_f32 v6, v12, v13 :: v_dual_add_f32 v0, v7, v0
	s_delay_alu instid0(VALU_DEP_1) | instskip(NEXT) | instid1(VALU_DEP_1)
	v_sub_f32_e32 v1, v6, v12
	v_dual_mul_f32 v0, v11, v0 :: v_dual_sub_f32 v1, v13, v1
	s_delay_alu instid0(VALU_DEP_1) | instskip(NEXT) | instid1(VALU_DEP_1)
	v_add_f32_e32 v8, v1, v0
	v_dual_mov_b32 v0, 0x3f317218 :: v_dual_add_f32 v7, v6, v8
	s_delay_alu instid0(VALU_DEP_1) | instskip(NEXT) | instid1(VALU_DEP_1)
	v_mul_f32_e32 v1, v7, v7
	v_fmaak_f32 v9, s22, v1, 0x3ecc95a3
	v_mul_f32_e32 v3, v7, v1
	s_delay_alu instid0(VALU_DEP_2) | instskip(NEXT) | instid1(VALU_DEP_1)
	v_fmaak_f32 v1, v1, v9, 0x3f2aaada
	v_pk_mul_f32 v[0:1], v[2:3], v[0:1]
	s_delay_alu instid0(VALU_DEP_1) | instskip(NEXT) | instid1(VALU_DEP_1)
	v_fma_f32 v5, 0x3f317218, v2, -v0
	v_dual_fmamk_f32 v2, v2, 0xb102e308, v5 :: v_dual_sub_f32 v5, v7, v6
	s_delay_alu instid0(VALU_DEP_1) | instskip(SKIP_2) | instid1(VALU_DEP_3)
	v_sub_f32_e32 v5, v8, v5
	v_ldexp_f32 v3, v7, 1
	v_mov_b32_e32 v8, v0
	v_ldexp_f32 v5, v5, 1
	s_delay_alu instid0(VALU_DEP_3) | instskip(NEXT) | instid1(VALU_DEP_1)
	v_pk_add_f32 v[6:7], v[0:1], v[2:3]
	v_dual_sub_f32 v3, v7, v3 :: v_dual_mov_b32 v16, v7
	s_delay_alu instid0(VALU_DEP_1) | instskip(NEXT) | instid1(VALU_DEP_3)
	v_sub_f32_e32 v3, v1, v3
	v_pk_add_f32 v[0:1], v[6:7], v[0:1] neg_lo:[0,1] neg_hi:[0,1]
	s_delay_alu instid0(VALU_DEP_2) | instskip(NEXT) | instid1(VALU_DEP_1)
	v_dual_add_f32 v9, v5, v3 :: v_dual_mov_b32 v3, v6
	v_pk_add_f32 v[10:11], v[6:7], v[8:9]
	s_delay_alu instid0(VALU_DEP_1) | instskip(NEXT) | instid1(VALU_DEP_1)
	v_mov_b32_e32 v1, v11
	v_pk_add_f32 v[12:13], v[2:3], v[0:1]
	v_mov_b32_e32 v12, v11
	v_pk_add_f32 v[0:1], v[2:3], v[0:1] neg_lo:[0,1] neg_hi:[0,1]
	s_delay_alu instid0(VALU_DEP_3) | instskip(NEXT) | instid1(VALU_DEP_1)
	v_dual_mov_b32 v8, v13 :: v_dual_mov_b32 v1, v13
	v_pk_add_f32 v[14:15], v[8:9], v[6:7] neg_lo:[0,1] neg_hi:[0,1]
	v_dual_mov_b32 v7, v6 :: v_dual_mov_b32 v6, v9
	s_delay_alu instid0(VALU_DEP_2) | instskip(NEXT) | instid1(VALU_DEP_1)
	v_dual_mov_b32 v5, v14 :: v_dual_mov_b32 v17, v14
	v_pk_add_f32 v[10:11], v[10:11], v[4:5] neg_lo:[0,1] neg_hi:[0,1]
	s_delay_alu instid0(VALU_DEP_2) | instskip(SKIP_1) | instid1(VALU_DEP_2)
	v_pk_add_f32 v[2:3], v[12:13], v[16:17] neg_lo:[0,1] neg_hi:[0,1]
	v_mov_b32_e32 v10, v0
	v_pk_add_f32 v[2:3], v[6:7], v[2:3] neg_lo:[0,1] neg_hi:[0,1]
	s_delay_alu instid0(VALU_DEP_1) | instskip(NEXT) | instid1(VALU_DEP_1)
	v_pk_add_f32 v[6:7], v[10:11], v[2:3]
	v_mov_b32_e32 v10, v7
	s_delay_alu instid0(VALU_DEP_1) | instskip(NEXT) | instid1(VALU_DEP_1)
	v_pk_add_f32 v[10:11], v[6:7], v[10:11]
	v_pk_add_f32 v[8:9], v[8:9], v[10:11]
	s_delay_alu instid0(VALU_DEP_1) | instskip(NEXT) | instid1(VALU_DEP_1)
	v_mov_b32_e32 v7, v8
	v_pk_add_f32 v[12:13], v[6:7], v[0:1] neg_lo:[0,1] neg_hi:[0,1]
	s_delay_alu instid0(VALU_DEP_1) | instskip(NEXT) | instid1(VALU_DEP_1)
	v_sub_f32_e32 v1, v6, v12
	v_dual_mov_b32 v3, v10 :: v_dual_sub_f32 v0, v0, v1
	s_delay_alu instid0(VALU_DEP_1) | instskip(NEXT) | instid1(VALU_DEP_1)
	v_pk_add_f32 v[2:3], v[2:3], v[12:13] neg_lo:[0,1] neg_hi:[0,1]
	v_add_f32_e32 v0, v2, v0
	s_delay_alu instid0(VALU_DEP_1) | instskip(NEXT) | instid1(VALU_DEP_1)
	v_add_f32_e32 v0, v0, v3
	v_add_f32_e32 v0, v8, v0
	s_delay_alu instid0(VALU_DEP_1) | instskip(SKIP_1) | instid1(VALU_DEP_2)
	v_cndmask_b32_e32 v0, 0x7f800000, v0, vcc_lo
	v_cmp_gt_f32_e64 vcc_lo, 0x33800000, |v18|
	v_cndmask_b32_e32 v0, v0, v18, vcc_lo
	s_delay_alu instid0(VALU_DEP_1) | instskip(NEXT) | instid1(VALU_DEP_1)
	v_div_scale_f32 v1, null, s10, s10, v0
	v_rcp_f32_e32 v2, v1
	v_nop
	s_delay_alu instid0(TRANS32_DEP_1) | instskip(NEXT) | instid1(VALU_DEP_1)
	v_fma_f32 v3, -v1, v2, 1.0
	v_fmac_f32_e32 v2, v3, v2
	v_div_scale_f32 v3, vcc_lo, v0, s10, v0
	s_delay_alu instid0(VALU_DEP_1) | instskip(NEXT) | instid1(VALU_DEP_1)
	v_mul_f32_e32 v5, v3, v2
	v_fma_f32 v6, -v1, v5, v3
	s_delay_alu instid0(VALU_DEP_1) | instskip(NEXT) | instid1(VALU_DEP_1)
	v_fmac_f32_e32 v5, v6, v2
	v_fma_f32 v1, -v1, v5, v3
	s_delay_alu instid0(VALU_DEP_1) | instskip(NEXT) | instid1(VALU_DEP_1)
	v_div_fmas_f32 v1, v1, v2, v5
	v_div_fixup_f32 v0, v1, s10, v0
	s_delay_alu instid0(VALU_DEP_1)
	v_cvt_f16_f32_e32 v2, v0
.LBB24_656:
	s_or_b32 exec_lo, exec_lo, s0
	v_mul_lo_u32 v0, v4, s8
	s_and_b32 s22, s2, 0xff
	s_delay_alu instid0(SALU_CYCLE_1) | instskip(NEXT) | instid1(VALU_DEP_1)
	s_cmp_lt_i32 s22, 11
	v_ashrrev_i32_e32 v1, 31, v0
	s_delay_alu instid0(VALU_DEP_1)
	v_add_nc_u64_e32 v[0:1], s[4:5], v[0:1]
	s_cbranch_scc1 .LBB24_664
; %bb.657:
	s_and_b32 s23, 0xffff, s22
	s_delay_alu instid0(SALU_CYCLE_1)
	s_cmp_gt_i32 s23, 25
	s_cbranch_scc0 .LBB24_665
; %bb.658:
	s_cmp_gt_i32 s23, 28
	s_cbranch_scc0 .LBB24_666
; %bb.659:
	;; [unrolled: 3-line block ×4, first 2 shown]
	s_mov_b32 s25, 0
	s_mov_b32 s0, -1
	s_cmp_eq_u32 s23, 46
	s_mov_b32 s24, 0
	s_cbranch_scc0 .LBB24_669
; %bb.662:
	v_cvt_f32_f16_e32 v3, v2
	v_cmp_o_f16_e32 vcc_lo, v2, v2
	s_mov_b32 s24, -1
	s_mov_b32 s0, 0
	s_delay_alu instid0(VALU_DEP_2) | instskip(NEXT) | instid1(VALU_DEP_1)
	v_bfe_u32 v5, v3, 16, 1
	v_add3_u32 v3, v3, v5, 0x7fff
	s_delay_alu instid0(VALU_DEP_1) | instskip(NEXT) | instid1(VALU_DEP_1)
	v_lshrrev_b32_e32 v3, 16, v3
	v_cndmask_b32_e32 v3, 0x7fc0, v3, vcc_lo
	global_store_b32 v[0:1], v3, off
	s_branch .LBB24_669
.LBB24_663:
	s_mov_b32 s22, 0
	s_mov_b32 s0, s18
	s_branch .LBB24_780
.LBB24_664:
	s_mov_b32 s23, -1
	s_mov_b32 s24, 0
	s_mov_b32 s0, s18
	s_branch .LBB24_738
.LBB24_665:
	s_mov_b32 s25, -1
	s_mov_b32 s24, 0
	s_mov_b32 s0, s18
	s_branch .LBB24_696
.LBB24_666:
	s_mov_b32 s25, -1
	s_mov_b32 s24, 0
	s_mov_b32 s0, s18
	s_branch .LBB24_679
.LBB24_667:
	s_mov_b32 s25, -1
	s_mov_b32 s24, 0
	s_mov_b32 s0, s18
	s_branch .LBB24_675
.LBB24_668:
	s_mov_b32 s25, -1
	s_mov_b32 s24, 0
	s_mov_b32 s0, s18
.LBB24_669:
	s_and_b32 vcc_lo, exec_lo, s25
	s_cbranch_vccz .LBB24_674
; %bb.670:
	s_cmp_eq_u32 s23, 44
	s_mov_b32 s0, -1
	s_cbranch_scc0 .LBB24_674
; %bb.671:
	s_wait_xcnt 0x0
	v_cvt_f32_f16_e32 v3, v2
	v_mov_b32_e32 v5, 0xff
	s_mov_b32 s24, exec_lo
	s_delay_alu instid0(VALU_DEP_2) | instskip(NEXT) | instid1(VALU_DEP_1)
	v_bfe_u32 v6, v3, 23, 8
	v_cmpx_ne_u32_e32 0xff, v6
	s_cbranch_execz .LBB24_673
; %bb.672:
	v_and_b32_e32 v5, 0x400000, v3
	v_and_or_b32 v6, 0x3fffff, v3, v6
	v_lshrrev_b32_e32 v3, 23, v3
	s_delay_alu instid0(VALU_DEP_3) | instskip(NEXT) | instid1(VALU_DEP_3)
	v_cmp_ne_u32_e32 vcc_lo, 0, v5
	v_cmp_ne_u32_e64 s0, 0, v6
	s_and_b32 s0, vcc_lo, s0
	s_delay_alu instid0(SALU_CYCLE_1) | instskip(NEXT) | instid1(VALU_DEP_1)
	v_cndmask_b32_e64 v5, 0, 1, s0
	v_add_nc_u32_e32 v5, v3, v5
.LBB24_673:
	s_or_b32 exec_lo, exec_lo, s24
	s_mov_b32 s24, -1
	s_mov_b32 s0, 0
	global_store_b8 v[0:1], v5, off
.LBB24_674:
	s_mov_b32 s25, 0
.LBB24_675:
	s_delay_alu instid0(SALU_CYCLE_1)
	s_and_b32 vcc_lo, exec_lo, s25
	s_cbranch_vccz .LBB24_678
; %bb.676:
	s_cmp_eq_u32 s23, 29
	s_mov_b32 s0, -1
	s_cbranch_scc0 .LBB24_678
; %bb.677:
	s_wait_xcnt 0x0
	v_cvt_f32_f16_e32 v3, v2
	v_mov_b32_e32 v7, 0
	s_mov_b32 s24, -1
	s_mov_b32 s0, 0
	s_mov_b32 s25, 0
	v_cvt_u32_f32_e32 v6, v3
	global_store_b64 v[0:1], v[6:7], off
	s_branch .LBB24_679
.LBB24_678:
	s_mov_b32 s25, 0
.LBB24_679:
	s_delay_alu instid0(SALU_CYCLE_1)
	s_and_b32 vcc_lo, exec_lo, s25
	s_cbranch_vccz .LBB24_695
; %bb.680:
	s_cmp_lt_i32 s23, 27
	s_mov_b32 s24, -1
	s_cbranch_scc1 .LBB24_686
; %bb.681:
	s_cmp_gt_i32 s23, 27
	s_cbranch_scc0 .LBB24_683
; %bb.682:
	s_wait_xcnt 0x0
	v_cvt_f32_f16_e32 v3, v2
	s_mov_b32 s24, 0
	s_delay_alu instid0(VALU_DEP_1)
	v_cvt_u32_f32_e32 v3, v3
	global_store_b32 v[0:1], v3, off
.LBB24_683:
	s_and_not1_b32 vcc_lo, exec_lo, s24
	s_cbranch_vccnz .LBB24_685
; %bb.684:
	s_wait_xcnt 0x0
	v_cvt_u16_f16_e32 v3, v2
	global_store_b16 v[0:1], v3, off
.LBB24_685:
	s_mov_b32 s24, 0
.LBB24_686:
	s_delay_alu instid0(SALU_CYCLE_1)
	s_and_not1_b32 vcc_lo, exec_lo, s24
	s_cbranch_vccnz .LBB24_694
; %bb.687:
	s_wait_xcnt 0x0
	v_cvt_f32_f16_e32 v3, v2
	v_mov_b32_e32 v6, 0x80
	s_mov_b32 s24, exec_lo
	s_delay_alu instid0(VALU_DEP_2) | instskip(NEXT) | instid1(VALU_DEP_1)
	v_and_b32_e32 v5, 0x7fffffff, v3
	v_cmpx_gt_u32_e32 0x43800000, v5
	s_cbranch_execz .LBB24_693
; %bb.688:
	v_cmp_lt_u32_e32 vcc_lo, 0x3bffffff, v5
	s_mov_b32 s25, 0
                                        ; implicit-def: $vgpr5
	s_and_saveexec_b32 s26, vcc_lo
	s_delay_alu instid0(SALU_CYCLE_1)
	s_xor_b32 s26, exec_lo, s26
	s_cbranch_execz .LBB24_795
; %bb.689:
	v_bfe_u32 v5, v3, 20, 1
	s_mov_b32 s25, exec_lo
	s_delay_alu instid0(VALU_DEP_1) | instskip(NEXT) | instid1(VALU_DEP_1)
	v_add3_u32 v5, v3, v5, 0x487ffff
	v_lshrrev_b32_e32 v5, 20, v5
	s_and_not1_saveexec_b32 s26, s26
	s_cbranch_execnz .LBB24_796
.LBB24_690:
	s_or_b32 exec_lo, exec_lo, s26
	v_mov_b32_e32 v6, 0
	s_and_saveexec_b32 s26, s25
.LBB24_691:
	v_lshrrev_b32_e32 v3, 24, v3
	s_delay_alu instid0(VALU_DEP_1)
	v_and_or_b32 v6, 0x80, v3, v5
.LBB24_692:
	s_or_b32 exec_lo, exec_lo, s26
.LBB24_693:
	s_delay_alu instid0(SALU_CYCLE_1)
	s_or_b32 exec_lo, exec_lo, s24
	global_store_b8 v[0:1], v6, off
.LBB24_694:
	s_mov_b32 s24, -1
.LBB24_695:
	s_mov_b32 s25, 0
.LBB24_696:
	s_delay_alu instid0(SALU_CYCLE_1)
	s_and_b32 vcc_lo, exec_lo, s25
	s_cbranch_vccz .LBB24_737
; %bb.697:
	s_cmp_gt_i32 s23, 22
	s_mov_b32 s25, -1
	s_cbranch_scc0 .LBB24_729
; %bb.698:
	s_cmp_lt_i32 s23, 24
	s_mov_b32 s24, -1
	s_cbranch_scc1 .LBB24_718
; %bb.699:
	s_cmp_gt_i32 s23, 24
	s_cbranch_scc0 .LBB24_707
; %bb.700:
	s_wait_xcnt 0x0
	v_cvt_f32_f16_e32 v3, v2
	v_mov_b32_e32 v6, 0x80
	s_mov_b32 s24, exec_lo
	s_delay_alu instid0(VALU_DEP_2) | instskip(NEXT) | instid1(VALU_DEP_1)
	v_and_b32_e32 v5, 0x7fffffff, v3
	v_cmpx_gt_u32_e32 0x47800000, v5
	s_cbranch_execz .LBB24_706
; %bb.701:
	v_cmp_lt_u32_e32 vcc_lo, 0x37ffffff, v5
	s_mov_b32 s25, 0
                                        ; implicit-def: $vgpr5
	s_and_saveexec_b32 s26, vcc_lo
	s_delay_alu instid0(SALU_CYCLE_1)
	s_xor_b32 s26, exec_lo, s26
	s_cbranch_execz .LBB24_798
; %bb.702:
	v_bfe_u32 v5, v3, 21, 1
	s_mov_b32 s25, exec_lo
	s_delay_alu instid0(VALU_DEP_1) | instskip(NEXT) | instid1(VALU_DEP_1)
	v_add3_u32 v5, v3, v5, 0x88fffff
	v_lshrrev_b32_e32 v5, 21, v5
	s_and_not1_saveexec_b32 s26, s26
	s_cbranch_execnz .LBB24_799
.LBB24_703:
	s_or_b32 exec_lo, exec_lo, s26
	v_mov_b32_e32 v6, 0
	s_and_saveexec_b32 s26, s25
.LBB24_704:
	v_lshrrev_b32_e32 v3, 24, v3
	s_delay_alu instid0(VALU_DEP_1)
	v_and_or_b32 v6, 0x80, v3, v5
.LBB24_705:
	s_or_b32 exec_lo, exec_lo, s26
.LBB24_706:
	s_delay_alu instid0(SALU_CYCLE_1)
	s_or_b32 exec_lo, exec_lo, s24
	s_mov_b32 s24, 0
	global_store_b8 v[0:1], v6, off
.LBB24_707:
	s_and_b32 vcc_lo, exec_lo, s24
	s_cbranch_vccz .LBB24_717
; %bb.708:
	s_wait_xcnt 0x0
	v_cvt_f32_f16_e32 v3, v2
	s_mov_b32 s24, exec_lo
                                        ; implicit-def: $vgpr5
	s_delay_alu instid0(VALU_DEP_1) | instskip(NEXT) | instid1(VALU_DEP_1)
	v_and_b32_e32 v6, 0x7fffffff, v3
	v_cmpx_gt_u32_e32 0x43f00000, v6
	s_xor_b32 s24, exec_lo, s24
	s_cbranch_execz .LBB24_714
; %bb.709:
	s_mov_b32 s25, exec_lo
                                        ; implicit-def: $vgpr5
	v_cmpx_lt_u32_e32 0x3c7fffff, v6
	s_xor_b32 s25, exec_lo, s25
; %bb.710:
	v_bfe_u32 v5, v3, 20, 1
	s_delay_alu instid0(VALU_DEP_1) | instskip(NEXT) | instid1(VALU_DEP_1)
	v_add3_u32 v5, v3, v5, 0x407ffff
	v_and_b32_e32 v6, 0xff00000, v5
	v_lshrrev_b32_e32 v5, 20, v5
	s_delay_alu instid0(VALU_DEP_2) | instskip(NEXT) | instid1(VALU_DEP_2)
	v_cmp_ne_u32_e32 vcc_lo, 0x7f00000, v6
	v_cndmask_b32_e32 v5, 0x7e, v5, vcc_lo
; %bb.711:
	s_and_not1_saveexec_b32 s25, s25
; %bb.712:
	v_add_f32_e64 v5, 0x46800000, |v3|
; %bb.713:
	s_or_b32 exec_lo, exec_lo, s25
                                        ; implicit-def: $vgpr6
.LBB24_714:
	s_and_not1_saveexec_b32 s24, s24
; %bb.715:
	v_mov_b32_e32 v5, 0x7f
	v_cmp_lt_u32_e32 vcc_lo, 0x7f800000, v6
	s_delay_alu instid0(VALU_DEP_2)
	v_cndmask_b32_e32 v5, 0x7e, v5, vcc_lo
; %bb.716:
	s_or_b32 exec_lo, exec_lo, s24
	v_lshrrev_b32_e32 v3, 24, v3
	s_delay_alu instid0(VALU_DEP_1)
	v_and_or_b32 v3, 0x80, v3, v5
	global_store_b8 v[0:1], v3, off
.LBB24_717:
	s_mov_b32 s24, 0
.LBB24_718:
	s_delay_alu instid0(SALU_CYCLE_1)
	s_and_not1_b32 vcc_lo, exec_lo, s24
	s_cbranch_vccnz .LBB24_728
; %bb.719:
	s_wait_xcnt 0x0
	v_cvt_f32_f16_e32 v3, v2
	s_mov_b32 s24, exec_lo
                                        ; implicit-def: $vgpr5
	s_delay_alu instid0(VALU_DEP_1) | instskip(NEXT) | instid1(VALU_DEP_1)
	v_and_b32_e32 v6, 0x7fffffff, v3
	v_cmpx_gt_u32_e32 0x47800000, v6
	s_xor_b32 s24, exec_lo, s24
	s_cbranch_execz .LBB24_725
; %bb.720:
	s_mov_b32 s25, exec_lo
                                        ; implicit-def: $vgpr5
	v_cmpx_lt_u32_e32 0x387fffff, v6
	s_xor_b32 s25, exec_lo, s25
; %bb.721:
	v_bfe_u32 v5, v3, 21, 1
	s_delay_alu instid0(VALU_DEP_1) | instskip(NEXT) | instid1(VALU_DEP_1)
	v_add3_u32 v5, v3, v5, 0x80fffff
	v_lshrrev_b32_e32 v5, 21, v5
; %bb.722:
	s_and_not1_saveexec_b32 s25, s25
; %bb.723:
	v_add_f32_e64 v5, 0x43000000, |v3|
; %bb.724:
	s_or_b32 exec_lo, exec_lo, s25
                                        ; implicit-def: $vgpr6
.LBB24_725:
	s_and_not1_saveexec_b32 s24, s24
; %bb.726:
	v_mov_b32_e32 v5, 0x7f
	v_cmp_lt_u32_e32 vcc_lo, 0x7f800000, v6
	s_delay_alu instid0(VALU_DEP_2)
	v_cndmask_b32_e32 v5, 0x7c, v5, vcc_lo
; %bb.727:
	s_or_b32 exec_lo, exec_lo, s24
	v_lshrrev_b32_e32 v3, 24, v3
	s_delay_alu instid0(VALU_DEP_1)
	v_and_or_b32 v3, 0x80, v3, v5
	global_store_b8 v[0:1], v3, off
.LBB24_728:
	s_mov_b32 s25, 0
	s_mov_b32 s24, -1
.LBB24_729:
	s_and_not1_b32 vcc_lo, exec_lo, s25
	s_cbranch_vccnz .LBB24_737
; %bb.730:
	s_cmp_gt_i32 s23, 14
	s_mov_b32 s25, -1
	s_cbranch_scc0 .LBB24_734
; %bb.731:
	s_cmp_eq_u32 s23, 15
	s_mov_b32 s0, -1
	s_cbranch_scc0 .LBB24_733
; %bb.732:
	s_wait_xcnt 0x0
	v_cvt_f32_f16_e32 v3, v2
	v_cmp_o_f16_e32 vcc_lo, v2, v2
	s_mov_b32 s24, -1
	s_mov_b32 s0, 0
	s_delay_alu instid0(VALU_DEP_2) | instskip(NEXT) | instid1(VALU_DEP_1)
	v_bfe_u32 v5, v3, 16, 1
	v_add3_u32 v3, v3, v5, 0x7fff
	s_delay_alu instid0(VALU_DEP_1) | instskip(NEXT) | instid1(VALU_DEP_1)
	v_lshrrev_b32_e32 v3, 16, v3
	v_cndmask_b32_e32 v3, 0x7fc0, v3, vcc_lo
	global_store_b16 v[0:1], v3, off
.LBB24_733:
	s_mov_b32 s25, 0
.LBB24_734:
	s_delay_alu instid0(SALU_CYCLE_1)
	s_and_b32 vcc_lo, exec_lo, s25
	s_cbranch_vccz .LBB24_737
; %bb.735:
	s_cmp_eq_u32 s23, 11
	s_mov_b32 s0, -1
	s_cbranch_scc0 .LBB24_737
; %bb.736:
	s_wait_xcnt 0x0
	v_and_b32_e32 v3, 0x7fff, v2
	s_mov_b32 s0, 0
	s_mov_b32 s24, -1
	s_delay_alu instid0(VALU_DEP_1)
	v_cmp_ne_u16_e32 vcc_lo, 0, v3
	v_cndmask_b32_e64 v3, 0, 1, vcc_lo
	global_store_b8 v[0:1], v3, off
.LBB24_737:
	s_mov_b32 s23, 0
.LBB24_738:
	s_delay_alu instid0(SALU_CYCLE_1)
	s_and_b32 vcc_lo, exec_lo, s23
	s_cbranch_vccz .LBB24_777
; %bb.739:
	s_and_b32 s22, 0xffff, s22
	s_mov_b32 s23, -1
	s_cmp_lt_i32 s22, 5
	s_cbranch_scc1 .LBB24_760
; %bb.740:
	s_cmp_lt_i32 s22, 8
	s_cbranch_scc1 .LBB24_750
; %bb.741:
	;; [unrolled: 3-line block ×3, first 2 shown]
	s_cmp_gt_i32 s22, 9
	s_cbranch_scc0 .LBB24_744
; %bb.743:
	s_wait_xcnt 0x0
	v_cvt_f32_f16_e32 v3, v2
	v_mov_b32_e32 v8, 0
	s_mov_b32 s23, 0
	s_delay_alu instid0(VALU_DEP_2) | instskip(NEXT) | instid1(VALU_DEP_2)
	v_cvt_f64_f32_e32 v[6:7], v3
	v_mov_b32_e32 v9, v8
	global_store_b128 v[0:1], v[6:9], off
.LBB24_744:
	s_and_not1_b32 vcc_lo, exec_lo, s23
	s_cbranch_vccnz .LBB24_746
; %bb.745:
	s_wait_xcnt 0x0
	v_cvt_f32_f16_e32 v6, v2
	v_mov_b32_e32 v7, 0
	global_store_b64 v[0:1], v[6:7], off
.LBB24_746:
	s_mov_b32 s23, 0
.LBB24_747:
	s_delay_alu instid0(SALU_CYCLE_1)
	s_and_not1_b32 vcc_lo, exec_lo, s23
	s_cbranch_vccnz .LBB24_749
; %bb.748:
	s_wait_xcnt 0x0
	v_and_b32_e32 v3, 0xffff, v2
	global_store_b32 v[0:1], v3, off
.LBB24_749:
	s_mov_b32 s23, 0
.LBB24_750:
	s_delay_alu instid0(SALU_CYCLE_1)
	s_and_not1_b32 vcc_lo, exec_lo, s23
	s_cbranch_vccnz .LBB24_759
; %bb.751:
	s_cmp_lt_i32 s22, 6
	s_mov_b32 s23, -1
	s_cbranch_scc1 .LBB24_757
; %bb.752:
	s_cmp_gt_i32 s22, 6
	s_cbranch_scc0 .LBB24_754
; %bb.753:
	s_wait_xcnt 0x0
	v_cvt_f32_f16_e32 v3, v2
	s_mov_b32 s23, 0
	s_delay_alu instid0(VALU_DEP_1)
	v_cvt_f64_f32_e32 v[6:7], v3
	global_store_b64 v[0:1], v[6:7], off
.LBB24_754:
	s_and_not1_b32 vcc_lo, exec_lo, s23
	s_cbranch_vccnz .LBB24_756
; %bb.755:
	s_wait_xcnt 0x0
	v_cvt_f32_f16_e32 v3, v2
	global_store_b32 v[0:1], v3, off
.LBB24_756:
	s_mov_b32 s23, 0
.LBB24_757:
	s_delay_alu instid0(SALU_CYCLE_1)
	s_and_not1_b32 vcc_lo, exec_lo, s23
	s_cbranch_vccnz .LBB24_759
; %bb.758:
	global_store_b16 v[0:1], v2, off
.LBB24_759:
	s_mov_b32 s23, 0
.LBB24_760:
	s_delay_alu instid0(SALU_CYCLE_1)
	s_and_not1_b32 vcc_lo, exec_lo, s23
	s_cbranch_vccnz .LBB24_776
; %bb.761:
	s_cmp_lt_i32 s22, 2
	s_mov_b32 s23, -1
	s_cbranch_scc1 .LBB24_771
; %bb.762:
	s_cmp_lt_i32 s22, 3
	s_cbranch_scc1 .LBB24_768
; %bb.763:
	s_cmp_gt_i32 s22, 3
	s_cbranch_scc0 .LBB24_765
; %bb.764:
	s_wait_xcnt 0x0
	v_cvt_f32_f16_e32 v3, v2
	s_mov_b32 s23, 0
	s_delay_alu instid0(VALU_DEP_1) | instskip(NEXT) | instid1(VALU_DEP_1)
	v_cvt_i32_f32_e32 v6, v3
	v_ashrrev_i32_e32 v7, 31, v6
	global_store_b64 v[0:1], v[6:7], off
.LBB24_765:
	s_and_not1_b32 vcc_lo, exec_lo, s23
	s_cbranch_vccnz .LBB24_767
; %bb.766:
	s_wait_xcnt 0x0
	v_cvt_f32_f16_e32 v3, v2
	s_delay_alu instid0(VALU_DEP_1)
	v_cvt_i32_f32_e32 v3, v3
	global_store_b32 v[0:1], v3, off
.LBB24_767:
	s_mov_b32 s23, 0
.LBB24_768:
	s_delay_alu instid0(SALU_CYCLE_1)
	s_and_not1_b32 vcc_lo, exec_lo, s23
	s_cbranch_vccnz .LBB24_770
; %bb.769:
	s_wait_xcnt 0x0
	v_cvt_i16_f16_e32 v3, v2
	global_store_b16 v[0:1], v3, off
.LBB24_770:
	s_mov_b32 s23, 0
.LBB24_771:
	s_delay_alu instid0(SALU_CYCLE_1)
	s_and_not1_b32 vcc_lo, exec_lo, s23
	s_cbranch_vccnz .LBB24_776
; %bb.772:
	s_cmp_gt_i32 s22, 0
	s_mov_b32 s22, -1
	s_cbranch_scc0 .LBB24_774
; %bb.773:
	s_wait_xcnt 0x0
	v_cvt_i16_f16_e32 v3, v2
	s_mov_b32 s22, 0
	global_store_b8 v[0:1], v3, off
.LBB24_774:
	s_and_not1_b32 vcc_lo, exec_lo, s22
	s_cbranch_vccnz .LBB24_776
; %bb.775:
	s_wait_xcnt 0x0
	v_cvt_f32_f16_e32 v2, v2
	s_delay_alu instid0(VALU_DEP_1)
	v_cvt_i32_f32_e32 v2, v2
	global_store_b8 v[0:1], v2, off
.LBB24_776:
	s_mov_b32 s24, -1
.LBB24_777:
	s_delay_alu instid0(SALU_CYCLE_1)
	s_and_not1_b32 vcc_lo, exec_lo, s24
	s_cbranch_vccnz .LBB24_779
; %bb.778:
	v_add_nc_u32_e32 v4, 0x80, v4
	s_mov_b32 s22, -1
	s_branch .LBB24_781
.LBB24_779:
	s_mov_b32 s22, 0
.LBB24_780:
                                        ; implicit-def: $vgpr4
.LBB24_781:
	s_and_not1_b32 s23, s18, exec_lo
	s_and_b32 s0, s0, exec_lo
	s_and_not1_b32 s24, s17, exec_lo
	s_and_b32 s25, s21, exec_lo
	s_or_b32 s21, s23, s0
	s_or_b32 s0, s24, s25
	s_or_not1_b32 s22, s22, exec_lo
.LBB24_782:
	s_wait_xcnt 0x0
	s_or_b32 exec_lo, exec_lo, s20
	s_mov_b32 s23, 0
	s_mov_b32 s24, 0
	;; [unrolled: 1-line block ×3, first 2 shown]
                                        ; implicit-def: $vgpr0_vgpr1
                                        ; implicit-def: $vgpr2
	s_and_saveexec_b32 s20, s22
	s_cbranch_execz .LBB24_867
; %bb.783:
	v_cmp_gt_i32_e32 vcc_lo, s14, v4
	s_mov_b32 s22, 0
	s_mov_b32 s23, s0
	;; [unrolled: 1-line block ×3, first 2 shown]
                                        ; implicit-def: $vgpr0_vgpr1
                                        ; implicit-def: $vgpr2
	s_and_saveexec_b32 s14, vcc_lo
	s_cbranch_execz .LBB24_866
; %bb.784:
	v_mul_lo_u32 v0, v4, s9
	s_and_b32 s22, 0xffff, s3
	s_delay_alu instid0(SALU_CYCLE_1) | instskip(NEXT) | instid1(VALU_DEP_1)
	s_cmp_lt_i32 s22, 11
	v_ashrrev_i32_e32 v1, 31, v0
	s_delay_alu instid0(VALU_DEP_1)
	v_add_nc_u64_e32 v[0:1], s[6:7], v[0:1]
	s_cbranch_scc1 .LBB24_791
; %bb.785:
	s_cmp_gt_i32 s22, 25
	s_cbranch_scc0 .LBB24_792
; %bb.786:
	s_cmp_gt_i32 s22, 28
	s_cbranch_scc0 .LBB24_793
	;; [unrolled: 3-line block ×4, first 2 shown]
; %bb.789:
	s_cmp_eq_u32 s22, 46
	s_cbranch_scc0 .LBB24_800
; %bb.790:
	s_wait_loadcnt 0x0
	global_load_b32 v2, v[0:1], off
	s_mov_b32 s23, 0
	s_mov_b32 s25, -1
	s_wait_loadcnt 0x0
	v_lshlrev_b32_e32 v2, 16, v2
	s_delay_alu instid0(VALU_DEP_1)
	v_cvt_f16_f32_e32 v2, v2
	s_branch .LBB24_802
.LBB24_791:
	s_mov_b32 s22, -1
	s_mov_b32 s23, s0
                                        ; implicit-def: $vgpr2
	s_branch .LBB24_865
.LBB24_792:
	s_mov_b32 s26, -1
	s_mov_b32 s23, s0
                                        ; implicit-def: $vgpr2
	s_branch .LBB24_831
.LBB24_793:
	s_mov_b32 s26, -1
	s_mov_b32 s23, s0
                                        ; implicit-def: $vgpr2
	s_branch .LBB24_812
.LBB24_794:
	s_mov_b32 s26, -1
	s_mov_b32 s23, s0
                                        ; implicit-def: $vgpr2
	s_branch .LBB24_807
.LBB24_795:
	s_and_not1_saveexec_b32 s26, s26
	s_cbranch_execz .LBB24_690
.LBB24_796:
	v_add_f32_e64 v5, 0x46000000, |v3|
	s_and_not1_b32 s25, s25, exec_lo
	s_delay_alu instid0(VALU_DEP_1) | instskip(NEXT) | instid1(VALU_DEP_1)
	v_and_b32_e32 v5, 0xff, v5
	v_cmp_ne_u32_e32 vcc_lo, 0, v5
	s_and_b32 s27, vcc_lo, exec_lo
	s_delay_alu instid0(SALU_CYCLE_1)
	s_or_b32 s25, s25, s27
	s_or_b32 exec_lo, exec_lo, s26
	v_mov_b32_e32 v6, 0
	s_and_saveexec_b32 s26, s25
	s_cbranch_execnz .LBB24_691
	s_branch .LBB24_692
.LBB24_797:
	s_mov_b32 s26, -1
	s_mov_b32 s23, s0
	s_branch .LBB24_801
.LBB24_798:
	s_and_not1_saveexec_b32 s26, s26
	s_cbranch_execz .LBB24_703
.LBB24_799:
	v_add_f32_e64 v5, 0x42800000, |v3|
	s_and_not1_b32 s25, s25, exec_lo
	s_delay_alu instid0(VALU_DEP_1) | instskip(NEXT) | instid1(VALU_DEP_1)
	v_and_b32_e32 v5, 0xff, v5
	v_cmp_ne_u32_e32 vcc_lo, 0, v5
	s_and_b32 s27, vcc_lo, exec_lo
	s_delay_alu instid0(SALU_CYCLE_1)
	s_or_b32 s25, s25, s27
	s_or_b32 exec_lo, exec_lo, s26
	v_mov_b32_e32 v6, 0
	s_and_saveexec_b32 s26, s25
	s_cbranch_execnz .LBB24_704
	s_branch .LBB24_705
.LBB24_800:
	s_mov_b32 s23, -1
.LBB24_801:
                                        ; implicit-def: $vgpr2
.LBB24_802:
	s_and_b32 vcc_lo, exec_lo, s26
	s_cbranch_vccz .LBB24_806
; %bb.803:
	s_cmp_eq_u32 s22, 44
	s_cbranch_scc0 .LBB24_805
; %bb.804:
	s_wait_loadcnt 0x0
	global_load_u8 v2, v[0:1], off
	s_mov_b32 s23, 0
	s_mov_b32 s25, -1
	s_wait_loadcnt 0x0
	v_lshlrev_b32_e32 v3, 23, v2
	v_cmp_ne_u32_e32 vcc_lo, 0xff, v2
	s_delay_alu instid0(VALU_DEP_2) | instskip(NEXT) | instid1(VALU_DEP_1)
	v_cvt_f16_f32_e32 v3, v3
	v_cndmask_b32_e32 v3, 0x7e00, v3, vcc_lo
	v_cmp_ne_u32_e32 vcc_lo, 0, v2
	s_delay_alu instid0(VALU_DEP_2)
	v_cndmask_b32_e32 v2, 0, v3, vcc_lo
	s_branch .LBB24_806
.LBB24_805:
	s_mov_b32 s23, -1
                                        ; implicit-def: $vgpr2
.LBB24_806:
	s_mov_b32 s26, 0
.LBB24_807:
	s_delay_alu instid0(SALU_CYCLE_1)
	s_and_b32 vcc_lo, exec_lo, s26
	s_cbranch_vccz .LBB24_811
; %bb.808:
	s_cmp_eq_u32 s22, 29
	s_cbranch_scc0 .LBB24_810
; %bb.809:
	s_wait_loadcnt 0x0
	global_load_b64 v[2:3], v[0:1], off
	s_mov_b32 s23, 0
	s_mov_b32 s25, -1
	s_mov_b32 s26, 0
	s_wait_loadcnt 0x0
	v_clz_i32_u32_e32 v5, v3
	s_delay_alu instid0(VALU_DEP_1) | instskip(NEXT) | instid1(VALU_DEP_1)
	v_min_u32_e32 v5, 32, v5
	v_lshlrev_b64_e32 v[2:3], v5, v[2:3]
	s_delay_alu instid0(VALU_DEP_1) | instskip(NEXT) | instid1(VALU_DEP_1)
	v_min_u32_e32 v2, 1, v2
	v_dual_sub_nc_u32 v3, 32, v5 :: v_dual_bitop2_b32 v2, v3, v2 bitop3:0x54
	s_delay_alu instid0(VALU_DEP_1) | instskip(NEXT) | instid1(VALU_DEP_1)
	v_cvt_f32_u32_e32 v2, v2
	v_ldexp_f32 v2, v2, v3
	s_delay_alu instid0(VALU_DEP_1)
	v_cvt_f16_f32_e32 v2, v2
	s_branch .LBB24_812
.LBB24_810:
	s_mov_b32 s23, -1
                                        ; implicit-def: $vgpr2
.LBB24_811:
	s_mov_b32 s26, 0
.LBB24_812:
	s_delay_alu instid0(SALU_CYCLE_1)
	s_and_b32 vcc_lo, exec_lo, s26
	s_cbranch_vccz .LBB24_830
; %bb.813:
	s_cmp_lt_i32 s22, 27
	s_cbranch_scc1 .LBB24_816
; %bb.814:
	s_cmp_gt_i32 s22, 27
	s_cbranch_scc0 .LBB24_817
; %bb.815:
	s_wait_loadcnt 0x0
	global_load_b32 v2, v[0:1], off
	s_mov_b32 s25, 0
	s_wait_loadcnt 0x0
	v_cvt_f32_u32_e32 v2, v2
	s_delay_alu instid0(VALU_DEP_1)
	v_cvt_f16_f32_e32 v2, v2
	s_branch .LBB24_818
.LBB24_816:
	s_mov_b32 s25, -1
                                        ; implicit-def: $vgpr2
	s_branch .LBB24_821
.LBB24_817:
	s_mov_b32 s25, -1
                                        ; implicit-def: $vgpr2
.LBB24_818:
	s_delay_alu instid0(SALU_CYCLE_1)
	s_and_not1_b32 vcc_lo, exec_lo, s25
	s_cbranch_vccnz .LBB24_820
; %bb.819:
	s_wait_loadcnt 0x0
	global_load_u16 v2, v[0:1], off
	s_wait_loadcnt 0x0
	v_cvt_f16_u16_e32 v2, v2
.LBB24_820:
	s_mov_b32 s25, 0
.LBB24_821:
	s_delay_alu instid0(SALU_CYCLE_1)
	s_and_not1_b32 vcc_lo, exec_lo, s25
	s_cbranch_vccnz .LBB24_829
; %bb.822:
	global_load_u8 v3, v[0:1], off
	s_mov_b32 s25, 0
	s_mov_b32 s26, exec_lo
	s_wait_loadcnt 0x0
	v_cmpx_lt_i16_e32 0x7f, v3
	s_xor_b32 s26, exec_lo, s26
	s_cbranch_execz .LBB24_843
; %bb.823:
	s_mov_b32 s25, -1
	s_mov_b32 s27, exec_lo
	v_cmpx_eq_u16_e32 0x80, v3
; %bb.824:
	s_xor_b32 s25, exec_lo, -1
; %bb.825:
	s_or_b32 exec_lo, exec_lo, s27
	s_delay_alu instid0(SALU_CYCLE_1)
	s_and_b32 s25, s25, exec_lo
	s_or_saveexec_b32 s26, s26
	v_mov_b32_e32 v2, 0x7e00
	s_xor_b32 exec_lo, exec_lo, s26
	s_cbranch_execnz .LBB24_844
.LBB24_826:
	s_or_b32 exec_lo, exec_lo, s26
	s_and_saveexec_b32 s26, s25
	s_cbranch_execz .LBB24_828
.LBB24_827:
	v_and_b32_e32 v2, 0xffff, v3
	s_delay_alu instid0(VALU_DEP_1) | instskip(SKIP_1) | instid1(VALU_DEP_2)
	v_dual_lshlrev_b32 v3, 24, v3 :: v_dual_bitop2_b32 v5, 7, v2 bitop3:0x40
	v_bfe_u32 v8, v2, 3, 4
	v_and_b32_e32 v3, 0x80000000, v3
	s_delay_alu instid0(VALU_DEP_3) | instskip(NEXT) | instid1(VALU_DEP_3)
	v_clz_i32_u32_e32 v6, v5
	v_cmp_eq_u32_e32 vcc_lo, 0, v8
	s_delay_alu instid0(VALU_DEP_2) | instskip(NEXT) | instid1(VALU_DEP_1)
	v_min_u32_e32 v6, 32, v6
	v_subrev_nc_u32_e32 v7, 28, v6
	v_sub_nc_u32_e32 v6, 29, v6
	s_delay_alu instid0(VALU_DEP_2) | instskip(NEXT) | instid1(VALU_DEP_2)
	v_lshlrev_b32_e32 v2, v7, v2
	v_cndmask_b32_e32 v6, v8, v6, vcc_lo
	s_delay_alu instid0(VALU_DEP_2) | instskip(NEXT) | instid1(VALU_DEP_1)
	v_and_b32_e32 v2, 7, v2
	v_cndmask_b32_e32 v2, v5, v2, vcc_lo
	s_delay_alu instid0(VALU_DEP_3) | instskip(NEXT) | instid1(VALU_DEP_2)
	v_lshl_add_u32 v5, v6, 23, 0x3b800000
	v_lshlrev_b32_e32 v2, 20, v2
	s_delay_alu instid0(VALU_DEP_1) | instskip(NEXT) | instid1(VALU_DEP_1)
	v_or3_b32 v2, v3, v5, v2
	v_cvt_f16_f32_e32 v2, v2
.LBB24_828:
	s_or_b32 exec_lo, exec_lo, s26
.LBB24_829:
	s_mov_b32 s25, -1
.LBB24_830:
	s_mov_b32 s26, 0
.LBB24_831:
	s_delay_alu instid0(SALU_CYCLE_1)
	s_and_b32 vcc_lo, exec_lo, s26
	s_cbranch_vccz .LBB24_864
; %bb.832:
	s_cmp_gt_i32 s22, 22
	s_cbranch_scc0 .LBB24_842
; %bb.833:
	s_cmp_lt_i32 s22, 24
	s_cbranch_scc1 .LBB24_845
; %bb.834:
	s_cmp_gt_i32 s22, 24
	s_cbranch_scc0 .LBB24_846
; %bb.835:
	global_load_u8 v3, v[0:1], off
	s_mov_b32 s25, exec_lo
	s_wait_loadcnt 0x0
	v_cmpx_lt_i16_e32 0x7f, v3
	s_xor_b32 s25, exec_lo, s25
	s_cbranch_execz .LBB24_858
; %bb.836:
	s_mov_b32 s24, -1
	s_mov_b32 s26, exec_lo
	v_cmpx_eq_u16_e32 0x80, v3
; %bb.837:
	s_xor_b32 s24, exec_lo, -1
; %bb.838:
	s_or_b32 exec_lo, exec_lo, s26
	s_delay_alu instid0(SALU_CYCLE_1)
	s_and_b32 s24, s24, exec_lo
	s_or_saveexec_b32 s25, s25
	v_mov_b32_e32 v2, 0x7e00
	s_xor_b32 exec_lo, exec_lo, s25
	s_cbranch_execnz .LBB24_859
.LBB24_839:
	s_or_b32 exec_lo, exec_lo, s25
	s_and_saveexec_b32 s25, s24
	s_cbranch_execz .LBB24_841
.LBB24_840:
	v_and_b32_e32 v2, 0xffff, v3
	s_delay_alu instid0(VALU_DEP_1) | instskip(SKIP_1) | instid1(VALU_DEP_2)
	v_dual_lshlrev_b32 v3, 24, v3 :: v_dual_bitop2_b32 v5, 3, v2 bitop3:0x40
	v_bfe_u32 v8, v2, 2, 5
	v_and_b32_e32 v3, 0x80000000, v3
	s_delay_alu instid0(VALU_DEP_3) | instskip(NEXT) | instid1(VALU_DEP_3)
	v_clz_i32_u32_e32 v6, v5
	v_cmp_eq_u32_e32 vcc_lo, 0, v8
	s_delay_alu instid0(VALU_DEP_2) | instskip(NEXT) | instid1(VALU_DEP_1)
	v_min_u32_e32 v6, 32, v6
	v_subrev_nc_u32_e32 v7, 29, v6
	v_sub_nc_u32_e32 v6, 30, v6
	s_delay_alu instid0(VALU_DEP_2) | instskip(NEXT) | instid1(VALU_DEP_2)
	v_lshlrev_b32_e32 v2, v7, v2
	v_cndmask_b32_e32 v6, v8, v6, vcc_lo
	s_delay_alu instid0(VALU_DEP_2) | instskip(NEXT) | instid1(VALU_DEP_1)
	v_and_b32_e32 v2, 3, v2
	v_cndmask_b32_e32 v2, v5, v2, vcc_lo
	s_delay_alu instid0(VALU_DEP_3) | instskip(NEXT) | instid1(VALU_DEP_2)
	v_lshl_add_u32 v5, v6, 23, 0x37800000
	v_lshlrev_b32_e32 v2, 21, v2
	s_delay_alu instid0(VALU_DEP_1) | instskip(NEXT) | instid1(VALU_DEP_1)
	v_or3_b32 v2, v3, v5, v2
	v_cvt_f16_f32_e32 v2, v2
.LBB24_841:
	s_or_b32 exec_lo, exec_lo, s25
	s_mov_b32 s24, 0
	s_branch .LBB24_847
.LBB24_842:
	s_mov_b32 s24, -1
                                        ; implicit-def: $vgpr2
	s_branch .LBB24_853
.LBB24_843:
	s_or_saveexec_b32 s26, s26
	v_mov_b32_e32 v2, 0x7e00
	s_xor_b32 exec_lo, exec_lo, s26
	s_cbranch_execz .LBB24_826
.LBB24_844:
	v_cmp_ne_u16_e32 vcc_lo, 0, v3
	v_mov_b32_e32 v2, v3
	s_and_not1_b32 s25, s25, exec_lo
	s_and_b32 s27, vcc_lo, exec_lo
	s_delay_alu instid0(SALU_CYCLE_1)
	s_or_b32 s25, s25, s27
	s_or_b32 exec_lo, exec_lo, s26
	s_and_saveexec_b32 s26, s25
	s_cbranch_execnz .LBB24_827
	s_branch .LBB24_828
.LBB24_845:
	s_mov_b32 s24, -1
                                        ; implicit-def: $vgpr2
	s_branch .LBB24_850
.LBB24_846:
	s_mov_b32 s24, -1
                                        ; implicit-def: $vgpr2
.LBB24_847:
	s_delay_alu instid0(SALU_CYCLE_1)
	s_and_b32 vcc_lo, exec_lo, s24
	s_cbranch_vccz .LBB24_849
; %bb.848:
	s_wait_loadcnt 0x0
	global_load_u8 v2, v[0:1], off
	s_wait_loadcnt 0x0
	v_lshlrev_b32_e32 v2, 24, v2
	s_delay_alu instid0(VALU_DEP_1) | instskip(NEXT) | instid1(VALU_DEP_1)
	v_and_b32_e32 v3, 0x7f000000, v2
	v_clz_i32_u32_e32 v5, v3
	v_add_nc_u32_e32 v7, 0x1000000, v3
	v_cmp_ne_u32_e32 vcc_lo, 0, v3
	s_delay_alu instid0(VALU_DEP_3) | instskip(NEXT) | instid1(VALU_DEP_1)
	v_min_u32_e32 v5, 32, v5
	v_sub_nc_u32_e64 v5, v5, 4 clamp
	s_delay_alu instid0(VALU_DEP_1) | instskip(NEXT) | instid1(VALU_DEP_1)
	v_dual_lshlrev_b32 v6, v5, v3 :: v_dual_lshlrev_b32 v5, 23, v5
	v_lshrrev_b32_e32 v6, 4, v6
	s_delay_alu instid0(VALU_DEP_1) | instskip(NEXT) | instid1(VALU_DEP_1)
	v_dual_sub_nc_u32 v5, v6, v5 :: v_dual_ashrrev_i32 v6, 8, v7
	v_add_nc_u32_e32 v5, 0x3c000000, v5
	s_delay_alu instid0(VALU_DEP_1) | instskip(NEXT) | instid1(VALU_DEP_1)
	v_and_or_b32 v5, 0x7f800000, v6, v5
	v_cndmask_b32_e32 v3, 0, v5, vcc_lo
	s_delay_alu instid0(VALU_DEP_1) | instskip(NEXT) | instid1(VALU_DEP_1)
	v_and_or_b32 v2, 0x80000000, v2, v3
	v_cvt_f16_f32_e32 v2, v2
.LBB24_849:
	s_mov_b32 s24, 0
.LBB24_850:
	s_delay_alu instid0(SALU_CYCLE_1)
	s_and_not1_b32 vcc_lo, exec_lo, s24
	s_cbranch_vccnz .LBB24_852
; %bb.851:
	s_wait_loadcnt 0x0
	global_load_u8 v2, v[0:1], off
	s_wait_loadcnt 0x0
	v_lshlrev_b32_e32 v3, 25, v2
	v_lshlrev_b16 v2, 8, v2
	s_delay_alu instid0(VALU_DEP_2) | instskip(NEXT) | instid1(VALU_DEP_2)
	v_cmp_gt_u32_e32 vcc_lo, 0x8000000, v3
	v_and_or_b32 v6, 0x7f00, v2, 0.5
	v_lshrrev_b32_e32 v5, 4, v3
	v_bfe_i32 v2, v2, 0, 16
	s_delay_alu instid0(VALU_DEP_3) | instskip(NEXT) | instid1(VALU_DEP_3)
	v_add_f32_e32 v6, -0.5, v6
	v_or_b32_e32 v5, 0x70000000, v5
	s_delay_alu instid0(VALU_DEP_1) | instskip(NEXT) | instid1(VALU_DEP_1)
	v_mul_f32_e32 v5, 0x7800000, v5
	v_cndmask_b32_e32 v3, v5, v6, vcc_lo
	s_delay_alu instid0(VALU_DEP_1) | instskip(NEXT) | instid1(VALU_DEP_1)
	v_and_or_b32 v2, 0x80000000, v2, v3
	v_cvt_f16_f32_e32 v2, v2
.LBB24_852:
	s_mov_b32 s24, 0
	s_mov_b32 s25, -1
.LBB24_853:
	s_and_not1_b32 vcc_lo, exec_lo, s24
	s_mov_b32 s24, 0
	s_cbranch_vccnz .LBB24_864
; %bb.854:
	s_cmp_gt_i32 s22, 14
	s_cbranch_scc0 .LBB24_857
; %bb.855:
	s_cmp_eq_u32 s22, 15
	s_cbranch_scc0 .LBB24_860
; %bb.856:
	s_wait_loadcnt 0x0
	global_load_u16 v2, v[0:1], off
	s_mov_b32 s23, 0
	s_mov_b32 s25, -1
	s_wait_loadcnt 0x0
	v_lshlrev_b32_e32 v2, 16, v2
	s_delay_alu instid0(VALU_DEP_1)
	v_cvt_f16_f32_e32 v2, v2
	s_branch .LBB24_862
.LBB24_857:
	s_mov_b32 s24, -1
	s_branch .LBB24_861
.LBB24_858:
	s_or_saveexec_b32 s25, s25
	v_mov_b32_e32 v2, 0x7e00
	s_xor_b32 exec_lo, exec_lo, s25
	s_cbranch_execz .LBB24_839
.LBB24_859:
	v_cmp_ne_u16_e32 vcc_lo, 0, v3
	v_mov_b32_e32 v2, v3
	s_and_not1_b32 s24, s24, exec_lo
	s_and_b32 s26, vcc_lo, exec_lo
	s_delay_alu instid0(SALU_CYCLE_1)
	s_or_b32 s24, s24, s26
	s_or_b32 exec_lo, exec_lo, s25
	s_and_saveexec_b32 s25, s24
	s_cbranch_execnz .LBB24_840
	s_branch .LBB24_841
.LBB24_860:
	s_mov_b32 s23, -1
.LBB24_861:
                                        ; implicit-def: $vgpr2
.LBB24_862:
	s_and_b32 vcc_lo, exec_lo, s24
	s_mov_b32 s24, 0
	s_cbranch_vccz .LBB24_864
; %bb.863:
	s_cmp_lg_u32 s22, 11
	s_mov_b32 s24, -1
	s_cselect_b32 s22, -1, 0
	s_and_not1_b32 s23, s23, exec_lo
	s_and_b32 s22, s22, exec_lo
	s_delay_alu instid0(SALU_CYCLE_1)
	s_or_b32 s23, s23, s22
.LBB24_864:
	s_mov_b32 s22, 0
.LBB24_865:
	s_and_not1_b32 s27, s0, exec_lo
	s_and_b32 s23, s23, exec_lo
	s_and_b32 s25, s25, exec_lo
	;; [unrolled: 1-line block ×4, first 2 shown]
	s_or_b32 s23, s27, s23
.LBB24_866:
	s_wait_xcnt 0x0
	s_or_b32 exec_lo, exec_lo, s14
	s_delay_alu instid0(SALU_CYCLE_1)
	s_and_not1_b32 s0, s0, exec_lo
	s_and_b32 s14, s23, exec_lo
	s_and_b32 s25, s25, exec_lo
	;; [unrolled: 1-line block ×4, first 2 shown]
	s_or_b32 s0, s0, s14
.LBB24_867:
	s_or_b32 exec_lo, exec_lo, s20
	s_delay_alu instid0(SALU_CYCLE_1)
	s_and_not1_b32 s14, s18, exec_lo
	s_and_b32 s18, s21, exec_lo
	s_and_b32 s0, s0, exec_lo
	s_or_b32 s18, s14, s18
	s_and_not1_b32 s14, s17, exec_lo
	s_and_b32 s22, s25, exec_lo
	s_and_b32 s21, s24, exec_lo
	;; [unrolled: 1-line block ×3, first 2 shown]
	s_or_b32 s17, s14, s0
.LBB24_868:
	s_or_b32 exec_lo, exec_lo, s19
	s_delay_alu instid0(SALU_CYCLE_1)
	s_and_not1_b32 s0, s13, exec_lo
	s_and_b32 s13, s18, exec_lo
	s_and_not1_b32 s14, s15, exec_lo
	s_and_b32 s15, s17, exec_lo
	s_or_b32 s13, s0, s13
	s_and_b32 s0, s22, exec_lo
	s_and_b32 s18, s21, exec_lo
	;; [unrolled: 1-line block ×3, first 2 shown]
	s_or_b32 s15, s14, s15
	s_or_b32 exec_lo, exec_lo, s16
	s_mov_b32 s14, 0
	s_and_saveexec_b32 s16, s15
	s_cbranch_execz .LBB24_264
.LBB24_869:
	s_mov_b32 s14, exec_lo
	s_and_not1_b32 s17, s17, exec_lo
	s_trap 2
	s_or_b32 exec_lo, exec_lo, s16
	s_and_saveexec_b32 s15, s17
	s_delay_alu instid0(SALU_CYCLE_1)
	s_xor_b32 s15, exec_lo, s15
	s_cbranch_execnz .LBB24_265
.LBB24_870:
	s_or_b32 exec_lo, exec_lo, s15
	s_and_saveexec_b32 s15, s18
	s_cbranch_execz .LBB24_916
.LBB24_871:
	s_sext_i32_i16 s16, s3
	s_delay_alu instid0(SALU_CYCLE_1)
	s_cmp_lt_i32 s16, 5
	s_cbranch_scc1 .LBB24_876
; %bb.872:
	s_cmp_lt_i32 s16, 8
	s_cbranch_scc1 .LBB24_877
; %bb.873:
	s_cmp_lt_i32 s16, 9
	s_cbranch_scc1 .LBB24_878
; %bb.874:
	s_cmp_gt_i32 s16, 9
	s_cbranch_scc0 .LBB24_879
; %bb.875:
	s_wait_loadcnt 0x0
	global_load_b64 v[2:3], v[0:1], off
	s_mov_b32 s16, 0
	s_wait_loadcnt 0x0
	v_and_or_b32 v2, 0x1ff, v3, v2
	v_lshrrev_b32_e32 v5, 8, v3
	v_bfe_u32 v6, v3, 20, 11
	v_lshrrev_b32_e32 v3, 16, v3
	s_delay_alu instid0(VALU_DEP_4) | instskip(NEXT) | instid1(VALU_DEP_3)
	v_cmp_ne_u32_e32 vcc_lo, 0, v2
	v_sub_nc_u32_e32 v7, 0x3f1, v6
	v_add_nc_u32_e32 v6, 0xfffffc10, v6
	v_cndmask_b32_e64 v2, 0, 1, vcc_lo
	s_delay_alu instid0(VALU_DEP_1) | instskip(NEXT) | instid1(VALU_DEP_4)
	v_and_or_b32 v2, 0xffe, v5, v2
	v_med3_i32 v5, v7, 0, 13
	s_delay_alu instid0(VALU_DEP_2) | instskip(NEXT) | instid1(VALU_DEP_1)
	v_or_b32_e32 v7, 0x1000, v2
	v_lshrrev_b32_e32 v8, v5, v7
	s_delay_alu instid0(VALU_DEP_1) | instskip(NEXT) | instid1(VALU_DEP_1)
	v_lshlrev_b32_e32 v5, v5, v8
	v_cmp_ne_u32_e32 vcc_lo, v5, v7
	v_lshl_or_b32 v7, v6, 12, v2
	v_cndmask_b32_e64 v5, 0, 1, vcc_lo
	v_cmp_gt_i32_e32 vcc_lo, 1, v6
	s_delay_alu instid0(VALU_DEP_2) | instskip(NEXT) | instid1(VALU_DEP_1)
	v_or_b32_e32 v5, v8, v5
	v_cndmask_b32_e32 v5, v7, v5, vcc_lo
	s_delay_alu instid0(VALU_DEP_1) | instskip(NEXT) | instid1(VALU_DEP_1)
	v_dual_lshrrev_b32 v5, 2, v5 :: v_dual_bitop2_b32 v7, 7, v5 bitop3:0x40
	v_cmp_lt_i32_e32 vcc_lo, 5, v7
	v_cndmask_b32_e64 v8, 0, 1, vcc_lo
	v_cmp_eq_u32_e32 vcc_lo, 3, v7
	v_cndmask_b32_e64 v7, 0, 1, vcc_lo
	v_cmp_ne_u32_e32 vcc_lo, 0, v2
	s_delay_alu instid0(VALU_DEP_2) | instskip(NEXT) | instid1(VALU_DEP_1)
	v_or_b32_e32 v7, v7, v8
	v_dual_mov_b32 v8, 0x7e00 :: v_dual_add_nc_u32 v5, v5, v7
	s_delay_alu instid0(VALU_DEP_1) | instskip(SKIP_1) | instid1(VALU_DEP_3)
	v_cndmask_b32_e32 v2, 0x7c00, v8, vcc_lo
	v_cmp_gt_i32_e32 vcc_lo, 31, v6
	v_cndmask_b32_e32 v5, 0x7c00, v5, vcc_lo
	v_cmp_eq_u32_e32 vcc_lo, 0x40f, v6
	s_delay_alu instid0(VALU_DEP_2) | instskip(NEXT) | instid1(VALU_DEP_1)
	v_cndmask_b32_e32 v2, v5, v2, vcc_lo
	v_and_or_b32 v2, 0x8000, v3, v2
	s_branch .LBB24_880
.LBB24_876:
                                        ; implicit-def: $vgpr2
	s_branch .LBB24_897
.LBB24_877:
                                        ; implicit-def: $vgpr2
	s_branch .LBB24_886
.LBB24_878:
	s_mov_b32 s16, -1
                                        ; implicit-def: $vgpr2
	s_branch .LBB24_883
.LBB24_879:
	s_mov_b32 s16, -1
                                        ; implicit-def: $vgpr2
.LBB24_880:
	s_delay_alu instid0(SALU_CYCLE_1)
	s_and_not1_b32 vcc_lo, exec_lo, s16
	s_cbranch_vccnz .LBB24_882
; %bb.881:
	s_wait_loadcnt 0x0
	global_load_b32 v2, v[0:1], off
	s_wait_loadcnt 0x0
	v_cvt_f16_f32_e32 v2, v2
.LBB24_882:
	s_mov_b32 s16, 0
.LBB24_883:
	s_delay_alu instid0(SALU_CYCLE_1)
	s_and_not1_b32 vcc_lo, exec_lo, s16
	s_cbranch_vccnz .LBB24_885
; %bb.884:
	s_wait_loadcnt 0x0
	global_load_b32 v2, v[0:1], off
.LBB24_885:
	s_cbranch_execnz .LBB24_896
.LBB24_886:
	s_sext_i32_i16 s16, s3
	s_delay_alu instid0(SALU_CYCLE_1)
	s_cmp_lt_i32 s16, 6
	s_cbranch_scc1 .LBB24_889
; %bb.887:
	s_cmp_gt_i32 s16, 6
	s_cbranch_scc0 .LBB24_890
; %bb.888:
	s_wait_loadcnt 0x0
	global_load_b64 v[2:3], v[0:1], off
	s_mov_b32 s16, 0
	s_wait_loadcnt 0x0
	v_and_or_b32 v2, 0x1ff, v3, v2
	v_lshrrev_b32_e32 v5, 8, v3
	v_bfe_u32 v6, v3, 20, 11
	v_lshrrev_b32_e32 v3, 16, v3
	s_delay_alu instid0(VALU_DEP_4) | instskip(NEXT) | instid1(VALU_DEP_3)
	v_cmp_ne_u32_e32 vcc_lo, 0, v2
	v_sub_nc_u32_e32 v7, 0x3f1, v6
	v_add_nc_u32_e32 v6, 0xfffffc10, v6
	v_cndmask_b32_e64 v2, 0, 1, vcc_lo
	s_delay_alu instid0(VALU_DEP_1) | instskip(NEXT) | instid1(VALU_DEP_4)
	v_and_or_b32 v2, 0xffe, v5, v2
	v_med3_i32 v5, v7, 0, 13
	s_delay_alu instid0(VALU_DEP_2) | instskip(NEXT) | instid1(VALU_DEP_1)
	v_or_b32_e32 v7, 0x1000, v2
	v_lshrrev_b32_e32 v8, v5, v7
	s_delay_alu instid0(VALU_DEP_1) | instskip(NEXT) | instid1(VALU_DEP_1)
	v_lshlrev_b32_e32 v5, v5, v8
	v_cmp_ne_u32_e32 vcc_lo, v5, v7
	v_lshl_or_b32 v7, v6, 12, v2
	v_cndmask_b32_e64 v5, 0, 1, vcc_lo
	v_cmp_gt_i32_e32 vcc_lo, 1, v6
	s_delay_alu instid0(VALU_DEP_2) | instskip(NEXT) | instid1(VALU_DEP_1)
	v_or_b32_e32 v5, v8, v5
	v_cndmask_b32_e32 v5, v7, v5, vcc_lo
	s_delay_alu instid0(VALU_DEP_1) | instskip(NEXT) | instid1(VALU_DEP_1)
	v_dual_lshrrev_b32 v5, 2, v5 :: v_dual_bitop2_b32 v7, 7, v5 bitop3:0x40
	v_cmp_lt_i32_e32 vcc_lo, 5, v7
	v_cndmask_b32_e64 v8, 0, 1, vcc_lo
	v_cmp_eq_u32_e32 vcc_lo, 3, v7
	v_cndmask_b32_e64 v7, 0, 1, vcc_lo
	v_cmp_ne_u32_e32 vcc_lo, 0, v2
	s_delay_alu instid0(VALU_DEP_2) | instskip(NEXT) | instid1(VALU_DEP_1)
	v_or_b32_e32 v7, v7, v8
	v_dual_mov_b32 v8, 0x7e00 :: v_dual_add_nc_u32 v5, v5, v7
	s_delay_alu instid0(VALU_DEP_1) | instskip(SKIP_1) | instid1(VALU_DEP_3)
	v_cndmask_b32_e32 v2, 0x7c00, v8, vcc_lo
	v_cmp_gt_i32_e32 vcc_lo, 31, v6
	v_cndmask_b32_e32 v5, 0x7c00, v5, vcc_lo
	v_cmp_eq_u32_e32 vcc_lo, 0x40f, v6
	s_delay_alu instid0(VALU_DEP_2) | instskip(NEXT) | instid1(VALU_DEP_1)
	v_cndmask_b32_e32 v2, v5, v2, vcc_lo
	v_and_or_b32 v2, 0x8000, v3, v2
	s_branch .LBB24_891
.LBB24_889:
	s_mov_b32 s16, -1
                                        ; implicit-def: $vgpr2
	s_branch .LBB24_894
.LBB24_890:
	s_mov_b32 s16, -1
                                        ; implicit-def: $vgpr2
.LBB24_891:
	s_delay_alu instid0(SALU_CYCLE_1)
	s_and_not1_b32 vcc_lo, exec_lo, s16
	s_cbranch_vccnz .LBB24_893
; %bb.892:
	s_wait_loadcnt 0x0
	global_load_b32 v2, v[0:1], off
	s_wait_loadcnt 0x0
	v_cvt_f16_f32_e32 v2, v2
.LBB24_893:
	s_mov_b32 s16, 0
.LBB24_894:
	s_delay_alu instid0(SALU_CYCLE_1)
	s_and_not1_b32 vcc_lo, exec_lo, s16
	s_cbranch_vccnz .LBB24_896
; %bb.895:
	s_wait_loadcnt 0x0
	global_load_u16 v2, v[0:1], off
.LBB24_896:
	s_cbranch_execnz .LBB24_915
.LBB24_897:
	s_sext_i32_i16 s16, s3
	s_delay_alu instid0(SALU_CYCLE_1)
	s_cmp_lt_i32 s16, 2
	s_cbranch_scc1 .LBB24_901
; %bb.898:
	s_cmp_lt_i32 s16, 3
	s_cbranch_scc1 .LBB24_902
; %bb.899:
	s_cmp_gt_i32 s16, 3
	s_cbranch_scc0 .LBB24_903
; %bb.900:
	s_wait_loadcnt 0x0
	global_load_b64 v[2:3], v[0:1], off
	s_mov_b32 s16, 0
	s_wait_loadcnt 0x0
	v_xor_b32_e32 v5, v2, v3
	v_cls_i32_e32 v6, v3
	s_delay_alu instid0(VALU_DEP_2) | instskip(NEXT) | instid1(VALU_DEP_1)
	v_ashrrev_i32_e32 v5, 31, v5
	v_add_nc_u32_e32 v5, 32, v5
	s_delay_alu instid0(VALU_DEP_1) | instskip(NEXT) | instid1(VALU_DEP_1)
	v_add_min_u32_e64 v5, v6, -1, v5
	v_lshlrev_b64_e32 v[2:3], v5, v[2:3]
	s_delay_alu instid0(VALU_DEP_1) | instskip(NEXT) | instid1(VALU_DEP_1)
	v_min_u32_e32 v2, 1, v2
	v_dual_sub_nc_u32 v3, 32, v5 :: v_dual_bitop2_b32 v2, v3, v2 bitop3:0x54
	s_delay_alu instid0(VALU_DEP_1) | instskip(NEXT) | instid1(VALU_DEP_1)
	v_cvt_f32_i32_e32 v2, v2
	v_ldexp_f32 v2, v2, v3
	s_delay_alu instid0(VALU_DEP_1)
	v_cvt_f16_f32_e32 v2, v2
	s_branch .LBB24_904
.LBB24_901:
                                        ; implicit-def: $vgpr2
	s_branch .LBB24_910
.LBB24_902:
	s_mov_b32 s16, -1
                                        ; implicit-def: $vgpr2
	s_branch .LBB24_907
.LBB24_903:
	s_mov_b32 s16, -1
                                        ; implicit-def: $vgpr2
.LBB24_904:
	s_delay_alu instid0(SALU_CYCLE_1)
	s_and_not1_b32 vcc_lo, exec_lo, s16
	s_cbranch_vccnz .LBB24_906
; %bb.905:
	s_wait_loadcnt 0x0
	global_load_b32 v2, v[0:1], off
	s_wait_loadcnt 0x0
	v_cvt_f32_i32_e32 v2, v2
	s_delay_alu instid0(VALU_DEP_1)
	v_cvt_f16_f32_e32 v2, v2
.LBB24_906:
	s_mov_b32 s16, 0
.LBB24_907:
	s_delay_alu instid0(SALU_CYCLE_1)
	s_and_not1_b32 vcc_lo, exec_lo, s16
	s_cbranch_vccnz .LBB24_909
; %bb.908:
	s_wait_loadcnt 0x0
	global_load_u16 v2, v[0:1], off
	s_wait_loadcnt 0x0
	v_cvt_f16_i16_e32 v2, v2
.LBB24_909:
	s_cbranch_execnz .LBB24_915
.LBB24_910:
	s_sext_i32_i16 s16, s3
	s_delay_alu instid0(SALU_CYCLE_1)
	s_cmp_gt_i32 s16, 0
	s_mov_b32 s16, 0
	s_cbranch_scc0 .LBB24_912
; %bb.911:
	s_wait_loadcnt 0x0
	global_load_i8 v2, v[0:1], off
	s_wait_loadcnt 0x0
	v_cvt_f16_i16_e32 v2, v2
	s_branch .LBB24_913
.LBB24_912:
	s_mov_b32 s16, -1
                                        ; implicit-def: $vgpr2
.LBB24_913:
	s_delay_alu instid0(SALU_CYCLE_1)
	s_and_not1_b32 vcc_lo, exec_lo, s16
	s_cbranch_vccnz .LBB24_915
; %bb.914:
	global_load_u8 v0, v[0:1], off
	s_wait_loadcnt 0x0
	v_cvt_f16_u16_e32 v2, v0
.LBB24_915:
	s_or_b32 s0, s0, exec_lo
.LBB24_916:
	s_wait_xcnt 0x0
	s_or_b32 exec_lo, exec_lo, s15
	s_mov_b32 s18, 0
	s_mov_b32 s17, 0
                                        ; implicit-def: $sgpr15
                                        ; implicit-def: $vgpr0_vgpr1
	s_and_saveexec_b32 s16, s0
	s_cbranch_execz .LBB24_926
; %bb.917:
	s_wait_loadcnt 0x0
	v_cvt_f32_f16_e32 v0, v2
	s_mov_b32 s0, exec_lo
	s_delay_alu instid0(VALU_DEP_1) | instskip(NEXT) | instid1(VALU_DEP_1)
	v_mul_f32_e32 v0, s10, v0
	v_cmpx_nlt_f32_e32 s11, v0
	s_cbranch_execz .LBB24_919
; %bb.918:
	v_mul_f32_e32 v1, 0x3fb8aa3b, v0
	v_cmp_ngt_f32_e32 vcc_lo, 0xc2ce8ed0, v0
	s_mov_b32 s15, 0x3e9b6dac
	s_delay_alu instid0(VALU_DEP_2) | instskip(SKIP_1) | instid1(VALU_DEP_2)
	v_rndne_f32_e32 v2, v1
	v_fma_f32 v3, 0x3fb8aa3b, v0, -v1
	v_sub_f32_e32 v1, v1, v2
	s_delay_alu instid0(VALU_DEP_2) | instskip(SKIP_1) | instid1(VALU_DEP_2)
	v_fmamk_f32 v3, v0, 0x32a5705f, v3
	v_cvt_i32_f32_e32 v2, v2
	v_add_f32_e32 v1, v1, v3
	s_delay_alu instid0(VALU_DEP_1) | instskip(SKIP_1) | instid1(TRANS32_DEP_1)
	v_exp_f32_e32 v1, v1
	v_nop
	v_ldexp_f32 v1, v1, v2
	s_delay_alu instid0(VALU_DEP_1) | instskip(SKIP_1) | instid1(VALU_DEP_2)
	v_cndmask_b32_e32 v1, 0, v1, vcc_lo
	v_cmp_nlt_f32_e32 vcc_lo, 0x42b17218, v0
	v_cndmask_b32_e32 v18, 0x7f800000, v1, vcc_lo
	s_delay_alu instid0(VALU_DEP_1) | instskip(NEXT) | instid1(VALU_DEP_1)
	v_add_f32_e32 v2, 1.0, v18
	v_cvt_f64_f32_e32 v[0:1], v2
	s_delay_alu instid0(VALU_DEP_1) | instskip(SKIP_1) | instid1(VALU_DEP_1)
	v_frexp_exp_i32_f64_e32 v0, v[0:1]
	v_frexp_mant_f32_e32 v1, v2
	v_cmp_gt_f32_e32 vcc_lo, 0x3f2aaaab, v1
	s_delay_alu instid0(VALU_DEP_3) | instskip(NEXT) | instid1(VALU_DEP_1)
	v_subrev_co_ci_u32_e64 v5, null, 0, v0, vcc_lo
	v_dual_add_f32 v0, -1.0, v2 :: v_dual_sub_nc_u32 v1, 0, v5
	s_delay_alu instid0(VALU_DEP_1) | instskip(NEXT) | instid1(VALU_DEP_2)
	v_dual_sub_f32 v3, v0, v2 :: v_dual_sub_f32 v0, v18, v0
	v_ldexp_f32 v2, v2, v1
	s_delay_alu instid0(VALU_DEP_1) | instskip(NEXT) | instid1(VALU_DEP_1)
	v_dual_add_f32 v3, 1.0, v3 :: v_dual_add_f32 v6, 1.0, v2
	v_dual_add_f32 v7, -1.0, v2 :: v_dual_add_f32 v0, v0, v3
	s_delay_alu instid0(VALU_DEP_2) | instskip(SKIP_1) | instid1(VALU_DEP_3)
	v_add_f32_e32 v3, -1.0, v6
	v_cmp_neq_f32_e32 vcc_lo, 0x7f800000, v18
	v_ldexp_f32 v0, v0, v1
	s_delay_alu instid0(VALU_DEP_3) | instskip(NEXT) | instid1(VALU_DEP_1)
	v_sub_f32_e32 v1, v2, v3
	v_dual_add_f32 v3, 1.0, v7 :: v_dual_add_f32 v8, v0, v1
	s_delay_alu instid0(VALU_DEP_1) | instskip(NEXT) | instid1(VALU_DEP_1)
	v_sub_f32_e32 v1, v2, v3
	v_dual_add_f32 v9, v6, v8 :: v_dual_add_f32 v10, v0, v1
	s_delay_alu instid0(VALU_DEP_1) | instskip(NEXT) | instid1(VALU_DEP_1)
	v_rcp_f32_e32 v11, v9
	v_dual_add_f32 v1, v7, v10 :: v_dual_sub_f32 v0, v6, v9
	s_delay_alu instid0(TRANS32_DEP_1) | instid1(VALU_DEP_1)
	v_dual_sub_f32 v13, v7, v1 :: v_dual_mul_f32 v12, v1, v11
	s_delay_alu instid0(VALU_DEP_2) | instskip(NEXT) | instid1(VALU_DEP_2)
	v_add_f32_e32 v8, v8, v0
	v_mul_f32_e32 v2, v9, v12
	s_delay_alu instid0(VALU_DEP_1) | instskip(NEXT) | instid1(VALU_DEP_1)
	v_fma_f32 v6, v12, v9, -v2
	v_fmac_f32_e32 v6, v12, v8
	s_delay_alu instid0(VALU_DEP_1) | instskip(NEXT) | instid1(VALU_DEP_1)
	v_add_f32_e32 v0, v2, v6
	v_dual_sub_f32 v3, v1, v0 :: v_dual_mov_b32 v7, v0
	s_delay_alu instid0(VALU_DEP_1) | instskip(SKIP_1) | instid1(VALU_DEP_2)
	v_pk_add_f32 v[0:1], v[0:1], v[2:3] neg_lo:[0,1] neg_hi:[0,1]
	v_add_f32_e32 v2, v10, v13
	v_pk_add_f32 v[0:1], v[0:1], v[6:7] neg_lo:[0,1] neg_hi:[0,1]
	s_delay_alu instid0(VALU_DEP_1) | instskip(NEXT) | instid1(VALU_DEP_1)
	v_add_f32_e32 v1, v2, v1
	v_add_f32_e32 v10, v0, v1
	s_delay_alu instid0(VALU_DEP_1) | instskip(NEXT) | instid1(VALU_DEP_1)
	v_add_f32_e32 v1, v3, v10
	v_mul_f32_e32 v13, v11, v1
	s_delay_alu instid0(VALU_DEP_1) | instskip(NEXT) | instid1(VALU_DEP_1)
	v_mul_f32_e32 v6, v9, v13
	v_fma_f32 v2, v13, v9, -v6
	s_delay_alu instid0(VALU_DEP_1) | instskip(NEXT) | instid1(VALU_DEP_1)
	v_dual_fmac_f32 v2, v13, v8 :: v_dual_sub_f32 v8, v3, v1
	v_add_f32_e32 v0, v6, v2
	s_delay_alu instid0(VALU_DEP_1) | instskip(NEXT) | instid1(VALU_DEP_1)
	v_dual_sub_f32 v7, v1, v0 :: v_dual_mov_b32 v3, v0
	v_pk_add_f32 v[0:1], v[0:1], v[6:7] neg_lo:[0,1] neg_hi:[0,1]
	s_delay_alu instid0(VALU_DEP_1) | instskip(SKIP_2) | instid1(VALU_DEP_2)
	v_pk_add_f32 v[0:1], v[0:1], v[2:3] neg_lo:[0,1] neg_hi:[0,1]
	v_add_f32_e32 v6, v10, v8
	v_cvt_f32_i32_e32 v2, v5
	v_add_f32_e32 v1, v6, v1
	s_delay_alu instid0(VALU_DEP_1) | instskip(NEXT) | instid1(VALU_DEP_1)
	v_add_f32_e32 v0, v0, v1
	v_dual_add_f32 v6, v12, v13 :: v_dual_add_f32 v0, v7, v0
	s_delay_alu instid0(VALU_DEP_1) | instskip(NEXT) | instid1(VALU_DEP_1)
	v_sub_f32_e32 v1, v6, v12
	v_dual_mul_f32 v0, v11, v0 :: v_dual_sub_f32 v1, v13, v1
	s_delay_alu instid0(VALU_DEP_1) | instskip(NEXT) | instid1(VALU_DEP_1)
	v_add_f32_e32 v8, v1, v0
	v_dual_mov_b32 v0, 0x3f317218 :: v_dual_add_f32 v7, v6, v8
	s_delay_alu instid0(VALU_DEP_1) | instskip(NEXT) | instid1(VALU_DEP_1)
	v_mul_f32_e32 v1, v7, v7
	v_fmaak_f32 v9, s15, v1, 0x3ecc95a3
	v_mul_f32_e32 v3, v7, v1
	s_delay_alu instid0(VALU_DEP_2) | instskip(NEXT) | instid1(VALU_DEP_1)
	v_fmaak_f32 v1, v1, v9, 0x3f2aaada
	v_pk_mul_f32 v[0:1], v[2:3], v[0:1]
	s_delay_alu instid0(VALU_DEP_1) | instskip(NEXT) | instid1(VALU_DEP_1)
	v_fma_f32 v5, 0x3f317218, v2, -v0
	v_dual_fmamk_f32 v2, v2, 0xb102e308, v5 :: v_dual_sub_f32 v5, v7, v6
	s_delay_alu instid0(VALU_DEP_1) | instskip(SKIP_2) | instid1(VALU_DEP_3)
	v_sub_f32_e32 v5, v8, v5
	v_ldexp_f32 v3, v7, 1
	v_mov_b32_e32 v8, v0
	v_ldexp_f32 v5, v5, 1
	s_delay_alu instid0(VALU_DEP_3) | instskip(NEXT) | instid1(VALU_DEP_1)
	v_pk_add_f32 v[6:7], v[0:1], v[2:3]
	v_dual_sub_f32 v3, v7, v3 :: v_dual_mov_b32 v16, v7
	s_delay_alu instid0(VALU_DEP_1) | instskip(NEXT) | instid1(VALU_DEP_3)
	v_sub_f32_e32 v3, v1, v3
	v_pk_add_f32 v[0:1], v[6:7], v[0:1] neg_lo:[0,1] neg_hi:[0,1]
	s_delay_alu instid0(VALU_DEP_2) | instskip(NEXT) | instid1(VALU_DEP_1)
	v_dual_add_f32 v9, v5, v3 :: v_dual_mov_b32 v3, v6
	v_pk_add_f32 v[10:11], v[6:7], v[8:9]
	s_delay_alu instid0(VALU_DEP_1) | instskip(NEXT) | instid1(VALU_DEP_1)
	v_mov_b32_e32 v1, v11
	v_pk_add_f32 v[12:13], v[2:3], v[0:1]
	v_mov_b32_e32 v12, v11
	v_pk_add_f32 v[0:1], v[2:3], v[0:1] neg_lo:[0,1] neg_hi:[0,1]
	s_delay_alu instid0(VALU_DEP_3) | instskip(NEXT) | instid1(VALU_DEP_1)
	v_dual_mov_b32 v8, v13 :: v_dual_mov_b32 v1, v13
	v_pk_add_f32 v[14:15], v[8:9], v[6:7] neg_lo:[0,1] neg_hi:[0,1]
	v_dual_mov_b32 v7, v6 :: v_dual_mov_b32 v6, v9
	s_delay_alu instid0(VALU_DEP_2) | instskip(NEXT) | instid1(VALU_DEP_1)
	v_dual_mov_b32 v5, v14 :: v_dual_mov_b32 v17, v14
	v_pk_add_f32 v[10:11], v[10:11], v[4:5] neg_lo:[0,1] neg_hi:[0,1]
	s_delay_alu instid0(VALU_DEP_2) | instskip(SKIP_1) | instid1(VALU_DEP_2)
	v_pk_add_f32 v[2:3], v[12:13], v[16:17] neg_lo:[0,1] neg_hi:[0,1]
	v_mov_b32_e32 v10, v0
	v_pk_add_f32 v[2:3], v[6:7], v[2:3] neg_lo:[0,1] neg_hi:[0,1]
	s_delay_alu instid0(VALU_DEP_1) | instskip(NEXT) | instid1(VALU_DEP_1)
	v_pk_add_f32 v[6:7], v[10:11], v[2:3]
	v_mov_b32_e32 v10, v7
	s_delay_alu instid0(VALU_DEP_1) | instskip(NEXT) | instid1(VALU_DEP_1)
	v_pk_add_f32 v[10:11], v[6:7], v[10:11]
	v_pk_add_f32 v[8:9], v[8:9], v[10:11]
	s_delay_alu instid0(VALU_DEP_1) | instskip(NEXT) | instid1(VALU_DEP_1)
	v_mov_b32_e32 v7, v8
	v_pk_add_f32 v[12:13], v[6:7], v[0:1] neg_lo:[0,1] neg_hi:[0,1]
	s_delay_alu instid0(VALU_DEP_1) | instskip(NEXT) | instid1(VALU_DEP_1)
	v_sub_f32_e32 v1, v6, v12
	v_dual_mov_b32 v3, v10 :: v_dual_sub_f32 v0, v0, v1
	s_delay_alu instid0(VALU_DEP_1) | instskip(NEXT) | instid1(VALU_DEP_1)
	v_pk_add_f32 v[2:3], v[2:3], v[12:13] neg_lo:[0,1] neg_hi:[0,1]
	v_add_f32_e32 v0, v2, v0
	s_delay_alu instid0(VALU_DEP_1) | instskip(NEXT) | instid1(VALU_DEP_1)
	v_add_f32_e32 v0, v0, v3
	v_add_f32_e32 v0, v8, v0
	s_delay_alu instid0(VALU_DEP_1) | instskip(SKIP_1) | instid1(VALU_DEP_2)
	v_cndmask_b32_e32 v0, 0x7f800000, v0, vcc_lo
	v_cmp_gt_f32_e64 vcc_lo, 0x33800000, |v18|
	v_cndmask_b32_e32 v0, v0, v18, vcc_lo
	s_delay_alu instid0(VALU_DEP_1) | instskip(NEXT) | instid1(VALU_DEP_1)
	v_div_scale_f32 v1, null, s10, s10, v0
	v_rcp_f32_e32 v2, v1
	v_nop
	s_delay_alu instid0(TRANS32_DEP_1) | instskip(NEXT) | instid1(VALU_DEP_1)
	v_fma_f32 v3, -v1, v2, 1.0
	v_fmac_f32_e32 v2, v3, v2
	v_div_scale_f32 v3, vcc_lo, v0, s10, v0
	s_delay_alu instid0(VALU_DEP_1) | instskip(NEXT) | instid1(VALU_DEP_1)
	v_mul_f32_e32 v5, v3, v2
	v_fma_f32 v6, -v1, v5, v3
	s_delay_alu instid0(VALU_DEP_1) | instskip(NEXT) | instid1(VALU_DEP_1)
	v_fmac_f32_e32 v5, v6, v2
	v_fma_f32 v1, -v1, v5, v3
	s_delay_alu instid0(VALU_DEP_1) | instskip(NEXT) | instid1(VALU_DEP_1)
	v_div_fmas_f32 v1, v1, v2, v5
	v_div_fixup_f32 v0, v1, s10, v0
	s_delay_alu instid0(VALU_DEP_1)
	v_cvt_f16_f32_e32 v2, v0
.LBB24_919:
	s_or_b32 exec_lo, exec_lo, s0
	v_mul_lo_u32 v0, v4, s8
	s_and_b32 s15, s2, 0xff
	s_delay_alu instid0(SALU_CYCLE_1) | instskip(NEXT) | instid1(VALU_DEP_1)
	s_cmp_lt_i32 s15, 11
	v_ashrrev_i32_e32 v1, 31, v0
	s_delay_alu instid0(VALU_DEP_1)
	v_add_nc_u64_e32 v[0:1], s[4:5], v[0:1]
	s_cbranch_scc1 .LBB24_929
; %bb.920:
	s_and_b32 s17, 0xffff, s15
	s_mov_b32 s18, -1
	s_cmp_gt_i32 s17, 25
	s_mov_b32 s0, s13
	s_cbranch_scc0 .LBB24_957
; %bb.921:
	s_cmp_gt_i32 s17, 28
	s_mov_b32 s0, s13
	s_cbranch_scc0 .LBB24_941
; %bb.922:
	;; [unrolled: 4-line block ×4, first 2 shown]
	s_cmp_eq_u32 s17, 46
	s_mov_b32 s0, -1
	s_cbranch_scc0 .LBB24_930
; %bb.925:
	v_cvt_f32_f16_e32 v3, v2
	v_cmp_o_f16_e32 vcc_lo, v2, v2
	s_mov_b32 s0, 0
	s_mov_b32 s18, 0
	s_delay_alu instid0(VALU_DEP_2) | instskip(NEXT) | instid1(VALU_DEP_1)
	v_bfe_u32 v4, v3, 16, 1
	v_add3_u32 v3, v3, v4, 0x7fff
	s_delay_alu instid0(VALU_DEP_1) | instskip(NEXT) | instid1(VALU_DEP_1)
	v_lshrrev_b32_e32 v3, 16, v3
	v_cndmask_b32_e32 v3, 0x7fc0, v3, vcc_lo
	global_store_b32 v[0:1], v3, off
	s_branch .LBB24_931
.LBB24_926:
	s_or_b32 exec_lo, exec_lo, s16
	s_and_saveexec_b32 s0, s13
	s_cbranch_execnz .LBB24_999
.LBB24_927:
	s_or_b32 exec_lo, exec_lo, s0
	s_and_saveexec_b32 s0, s18
	s_delay_alu instid0(SALU_CYCLE_1)
	s_xor_b32 s0, exec_lo, s0
	s_cbranch_execz .LBB24_1000
.LBB24_928:
	s_wait_loadcnt 0x0
	v_and_b32_e32 v3, 0x7fff, v2
	s_delay_alu instid0(VALU_DEP_1)
	v_cmp_ne_u16_e32 vcc_lo, 0, v3
	v_cndmask_b32_e64 v3, 0, 1, vcc_lo
	global_store_b8 v[0:1], v3, off
	s_wait_xcnt 0x0
	s_or_b32 exec_lo, exec_lo, s0
	s_and_saveexec_b32 s0, s17
	s_delay_alu instid0(SALU_CYCLE_1)
	s_xor_b32 s0, exec_lo, s0
	s_cbranch_execz .LBB24_1038
	s_branch .LBB24_1001
.LBB24_929:
	s_mov_b32 s19, 0
	s_mov_b32 s18, -1
	s_mov_b32 s0, s13
	s_branch .LBB24_998
.LBB24_930:
	s_mov_b32 s18, 0
.LBB24_931:
	s_delay_alu instid0(SALU_CYCLE_1)
	s_and_b32 vcc_lo, exec_lo, s18
	s_cbranch_vccz .LBB24_936
; %bb.932:
	s_cmp_eq_u32 s17, 44
	s_mov_b32 s0, -1
	s_cbranch_scc0 .LBB24_936
; %bb.933:
	s_wait_xcnt 0x0
	v_cvt_f32_f16_e32 v3, v2
	v_mov_b32_e32 v4, 0xff
	s_mov_b32 s18, exec_lo
	s_delay_alu instid0(VALU_DEP_2) | instskip(NEXT) | instid1(VALU_DEP_1)
	v_bfe_u32 v5, v3, 23, 8
	v_cmpx_ne_u32_e32 0xff, v5
	s_cbranch_execz .LBB24_935
; %bb.934:
	v_and_b32_e32 v4, 0x400000, v3
	v_and_or_b32 v5, 0x3fffff, v3, v5
	v_lshrrev_b32_e32 v3, 23, v3
	s_delay_alu instid0(VALU_DEP_3) | instskip(NEXT) | instid1(VALU_DEP_3)
	v_cmp_ne_u32_e32 vcc_lo, 0, v4
	v_cmp_ne_u32_e64 s0, 0, v5
	s_and_b32 s0, vcc_lo, s0
	s_delay_alu instid0(SALU_CYCLE_1) | instskip(NEXT) | instid1(VALU_DEP_1)
	v_cndmask_b32_e64 v4, 0, 1, s0
	v_add_nc_u32_e32 v4, v3, v4
.LBB24_935:
	s_or_b32 exec_lo, exec_lo, s18
	s_mov_b32 s0, 0
	global_store_b8 v[0:1], v4, off
.LBB24_936:
	s_mov_b32 s18, 0
.LBB24_937:
	s_delay_alu instid0(SALU_CYCLE_1)
	s_and_b32 vcc_lo, exec_lo, s18
	s_cbranch_vccz .LBB24_940
; %bb.938:
	s_cmp_eq_u32 s17, 29
	s_mov_b32 s0, -1
	s_cbranch_scc0 .LBB24_940
; %bb.939:
	s_wait_xcnt 0x0
	v_cvt_f32_f16_e32 v3, v2
	v_mov_b32_e32 v5, 0
	s_mov_b32 s0, 0
	s_mov_b32 s18, 0
	s_delay_alu instid0(VALU_DEP_2)
	v_cvt_u32_f32_e32 v4, v3
	global_store_b64 v[0:1], v[4:5], off
	s_branch .LBB24_941
.LBB24_940:
	s_mov_b32 s18, 0
.LBB24_941:
	s_delay_alu instid0(SALU_CYCLE_1)
	s_and_b32 vcc_lo, exec_lo, s18
	s_cbranch_vccz .LBB24_956
; %bb.942:
	s_cmp_lt_i32 s17, 27
	s_mov_b32 s18, -1
	s_cbranch_scc1 .LBB24_948
; %bb.943:
	s_cmp_gt_i32 s17, 27
	s_cbranch_scc0 .LBB24_945
; %bb.944:
	s_wait_xcnt 0x0
	v_cvt_f32_f16_e32 v3, v2
	s_mov_b32 s18, 0
	s_delay_alu instid0(VALU_DEP_1)
	v_cvt_u32_f32_e32 v3, v3
	global_store_b32 v[0:1], v3, off
.LBB24_945:
	s_and_not1_b32 vcc_lo, exec_lo, s18
	s_cbranch_vccnz .LBB24_947
; %bb.946:
	s_wait_xcnt 0x0
	v_cvt_u16_f16_e32 v3, v2
	global_store_b16 v[0:1], v3, off
.LBB24_947:
	s_mov_b32 s18, 0
.LBB24_948:
	s_delay_alu instid0(SALU_CYCLE_1)
	s_and_not1_b32 vcc_lo, exec_lo, s18
	s_cbranch_vccnz .LBB24_956
; %bb.949:
	s_wait_xcnt 0x0
	v_cvt_f32_f16_e32 v3, v2
	v_mov_b32_e32 v5, 0x80
	s_mov_b32 s18, exec_lo
	s_delay_alu instid0(VALU_DEP_2) | instskip(NEXT) | instid1(VALU_DEP_1)
	v_and_b32_e32 v4, 0x7fffffff, v3
	v_cmpx_gt_u32_e32 0x43800000, v4
	s_cbranch_execz .LBB24_955
; %bb.950:
	v_cmp_lt_u32_e32 vcc_lo, 0x3bffffff, v4
	s_mov_b32 s19, 0
                                        ; implicit-def: $vgpr4
	s_and_saveexec_b32 s20, vcc_lo
	s_delay_alu instid0(SALU_CYCLE_1)
	s_xor_b32 s20, exec_lo, s20
	s_cbranch_execz .LBB24_1053
; %bb.951:
	v_bfe_u32 v4, v3, 20, 1
	s_mov_b32 s19, exec_lo
	s_delay_alu instid0(VALU_DEP_1) | instskip(NEXT) | instid1(VALU_DEP_1)
	v_add3_u32 v4, v3, v4, 0x487ffff
	v_lshrrev_b32_e32 v4, 20, v4
	s_and_not1_saveexec_b32 s20, s20
	s_cbranch_execnz .LBB24_1054
.LBB24_952:
	s_or_b32 exec_lo, exec_lo, s20
	v_mov_b32_e32 v5, 0
	s_and_saveexec_b32 s20, s19
.LBB24_953:
	v_lshrrev_b32_e32 v3, 24, v3
	s_delay_alu instid0(VALU_DEP_1)
	v_and_or_b32 v5, 0x80, v3, v4
.LBB24_954:
	s_or_b32 exec_lo, exec_lo, s20
.LBB24_955:
	s_delay_alu instid0(SALU_CYCLE_1)
	s_or_b32 exec_lo, exec_lo, s18
	global_store_b8 v[0:1], v5, off
.LBB24_956:
	s_mov_b32 s18, 0
.LBB24_957:
	s_delay_alu instid0(SALU_CYCLE_1)
	s_and_b32 vcc_lo, exec_lo, s18
	s_mov_b32 s18, 0
	s_cbranch_vccz .LBB24_997
; %bb.958:
	s_cmp_gt_i32 s17, 22
	s_mov_b32 s19, -1
	s_cbranch_scc0 .LBB24_990
; %bb.959:
	s_cmp_lt_i32 s17, 24
	s_cbranch_scc1 .LBB24_979
; %bb.960:
	s_cmp_gt_i32 s17, 24
	s_cbranch_scc0 .LBB24_968
; %bb.961:
	s_wait_xcnt 0x0
	v_cvt_f32_f16_e32 v3, v2
	v_mov_b32_e32 v5, 0x80
	s_mov_b32 s19, exec_lo
	s_delay_alu instid0(VALU_DEP_2) | instskip(NEXT) | instid1(VALU_DEP_1)
	v_and_b32_e32 v4, 0x7fffffff, v3
	v_cmpx_gt_u32_e32 0x47800000, v4
	s_cbranch_execz .LBB24_967
; %bb.962:
	v_cmp_lt_u32_e32 vcc_lo, 0x37ffffff, v4
	s_mov_b32 s20, 0
                                        ; implicit-def: $vgpr4
	s_and_saveexec_b32 s21, vcc_lo
	s_delay_alu instid0(SALU_CYCLE_1)
	s_xor_b32 s21, exec_lo, s21
	s_cbranch_execz .LBB24_1181
; %bb.963:
	v_bfe_u32 v4, v3, 21, 1
	s_mov_b32 s20, exec_lo
	s_delay_alu instid0(VALU_DEP_1) | instskip(NEXT) | instid1(VALU_DEP_1)
	v_add3_u32 v4, v3, v4, 0x88fffff
	v_lshrrev_b32_e32 v4, 21, v4
	s_and_not1_saveexec_b32 s21, s21
	s_cbranch_execnz .LBB24_1182
.LBB24_964:
	s_or_b32 exec_lo, exec_lo, s21
	v_mov_b32_e32 v5, 0
	s_and_saveexec_b32 s21, s20
.LBB24_965:
	v_lshrrev_b32_e32 v3, 24, v3
	s_delay_alu instid0(VALU_DEP_1)
	v_and_or_b32 v5, 0x80, v3, v4
.LBB24_966:
	s_or_b32 exec_lo, exec_lo, s21
.LBB24_967:
	s_delay_alu instid0(SALU_CYCLE_1)
	s_or_b32 exec_lo, exec_lo, s19
	s_mov_b32 s19, 0
	global_store_b8 v[0:1], v5, off
.LBB24_968:
	s_and_b32 vcc_lo, exec_lo, s19
	s_cbranch_vccz .LBB24_978
; %bb.969:
	s_wait_xcnt 0x0
	v_cvt_f32_f16_e32 v3, v2
	s_mov_b32 s19, exec_lo
                                        ; implicit-def: $vgpr4
	s_delay_alu instid0(VALU_DEP_1) | instskip(NEXT) | instid1(VALU_DEP_1)
	v_and_b32_e32 v5, 0x7fffffff, v3
	v_cmpx_gt_u32_e32 0x43f00000, v5
	s_xor_b32 s19, exec_lo, s19
	s_cbranch_execz .LBB24_975
; %bb.970:
	s_mov_b32 s20, exec_lo
                                        ; implicit-def: $vgpr4
	v_cmpx_lt_u32_e32 0x3c7fffff, v5
	s_xor_b32 s20, exec_lo, s20
; %bb.971:
	v_bfe_u32 v4, v3, 20, 1
	s_delay_alu instid0(VALU_DEP_1) | instskip(NEXT) | instid1(VALU_DEP_1)
	v_add3_u32 v4, v3, v4, 0x407ffff
	v_and_b32_e32 v5, 0xff00000, v4
	v_lshrrev_b32_e32 v4, 20, v4
	s_delay_alu instid0(VALU_DEP_2) | instskip(NEXT) | instid1(VALU_DEP_2)
	v_cmp_ne_u32_e32 vcc_lo, 0x7f00000, v5
	v_cndmask_b32_e32 v4, 0x7e, v4, vcc_lo
; %bb.972:
	s_and_not1_saveexec_b32 s20, s20
; %bb.973:
	v_add_f32_e64 v4, 0x46800000, |v3|
; %bb.974:
	s_or_b32 exec_lo, exec_lo, s20
                                        ; implicit-def: $vgpr5
.LBB24_975:
	s_and_not1_saveexec_b32 s19, s19
; %bb.976:
	v_mov_b32_e32 v4, 0x7f
	v_cmp_lt_u32_e32 vcc_lo, 0x7f800000, v5
	s_delay_alu instid0(VALU_DEP_2)
	v_cndmask_b32_e32 v4, 0x7e, v4, vcc_lo
; %bb.977:
	s_or_b32 exec_lo, exec_lo, s19
	v_lshrrev_b32_e32 v3, 24, v3
	s_delay_alu instid0(VALU_DEP_1)
	v_and_or_b32 v3, 0x80, v3, v4
	global_store_b8 v[0:1], v3, off
.LBB24_978:
	s_mov_b32 s19, 0
.LBB24_979:
	s_delay_alu instid0(SALU_CYCLE_1)
	s_and_not1_b32 vcc_lo, exec_lo, s19
	s_cbranch_vccnz .LBB24_989
; %bb.980:
	s_wait_xcnt 0x0
	v_cvt_f32_f16_e32 v3, v2
	s_mov_b32 s19, exec_lo
                                        ; implicit-def: $vgpr4
	s_delay_alu instid0(VALU_DEP_1) | instskip(NEXT) | instid1(VALU_DEP_1)
	v_and_b32_e32 v5, 0x7fffffff, v3
	v_cmpx_gt_u32_e32 0x47800000, v5
	s_xor_b32 s19, exec_lo, s19
	s_cbranch_execz .LBB24_986
; %bb.981:
	s_mov_b32 s20, exec_lo
                                        ; implicit-def: $vgpr4
	v_cmpx_lt_u32_e32 0x387fffff, v5
	s_xor_b32 s20, exec_lo, s20
; %bb.982:
	v_bfe_u32 v4, v3, 21, 1
	s_delay_alu instid0(VALU_DEP_1) | instskip(NEXT) | instid1(VALU_DEP_1)
	v_add3_u32 v4, v3, v4, 0x80fffff
	v_lshrrev_b32_e32 v4, 21, v4
; %bb.983:
	s_and_not1_saveexec_b32 s20, s20
; %bb.984:
	v_add_f32_e64 v4, 0x43000000, |v3|
; %bb.985:
	s_or_b32 exec_lo, exec_lo, s20
                                        ; implicit-def: $vgpr5
.LBB24_986:
	s_and_not1_saveexec_b32 s19, s19
; %bb.987:
	v_mov_b32_e32 v4, 0x7f
	v_cmp_lt_u32_e32 vcc_lo, 0x7f800000, v5
	s_delay_alu instid0(VALU_DEP_2)
	v_cndmask_b32_e32 v4, 0x7c, v4, vcc_lo
; %bb.988:
	s_or_b32 exec_lo, exec_lo, s19
	v_lshrrev_b32_e32 v3, 24, v3
	s_delay_alu instid0(VALU_DEP_1)
	v_and_or_b32 v3, 0x80, v3, v4
	global_store_b8 v[0:1], v3, off
.LBB24_989:
	s_mov_b32 s19, 0
.LBB24_990:
	s_delay_alu instid0(SALU_CYCLE_1)
	s_and_not1_b32 vcc_lo, exec_lo, s19
	s_mov_b32 s19, 0
	s_cbranch_vccnz .LBB24_998
; %bb.991:
	s_cmp_gt_i32 s17, 14
	s_mov_b32 s19, -1
	s_cbranch_scc0 .LBB24_995
; %bb.992:
	s_cmp_eq_u32 s17, 15
	s_mov_b32 s0, -1
	s_cbranch_scc0 .LBB24_994
; %bb.993:
	s_wait_xcnt 0x0
	v_cvt_f32_f16_e32 v3, v2
	v_cmp_o_f16_e32 vcc_lo, v2, v2
	s_mov_b32 s0, 0
	s_delay_alu instid0(VALU_DEP_2) | instskip(NEXT) | instid1(VALU_DEP_1)
	v_bfe_u32 v4, v3, 16, 1
	v_add3_u32 v3, v3, v4, 0x7fff
	s_delay_alu instid0(VALU_DEP_1) | instskip(NEXT) | instid1(VALU_DEP_1)
	v_lshrrev_b32_e32 v3, 16, v3
	v_cndmask_b32_e32 v3, 0x7fc0, v3, vcc_lo
	global_store_b16 v[0:1], v3, off
.LBB24_994:
	s_mov_b32 s19, 0
.LBB24_995:
	s_delay_alu instid0(SALU_CYCLE_1)
	s_and_b32 vcc_lo, exec_lo, s19
	s_mov_b32 s19, 0
	s_cbranch_vccz .LBB24_998
; %bb.996:
	s_cmp_lg_u32 s17, 11
	s_mov_b32 s19, -1
	s_cselect_b32 s17, -1, 0
	s_and_not1_b32 s0, s0, exec_lo
	s_and_b32 s17, s17, exec_lo
	s_delay_alu instid0(SALU_CYCLE_1)
	s_or_b32 s0, s0, s17
	s_branch .LBB24_998
.LBB24_997:
	s_mov_b32 s19, 0
.LBB24_998:
	s_and_not1_b32 s13, s13, exec_lo
	s_and_b32 s0, s0, exec_lo
	s_and_b32 s17, s18, exec_lo
	;; [unrolled: 1-line block ×3, first 2 shown]
	s_or_b32 s13, s13, s0
	s_wait_xcnt 0x0
	s_or_b32 exec_lo, exec_lo, s16
	s_and_saveexec_b32 s0, s13
	s_cbranch_execz .LBB24_927
.LBB24_999:
	s_or_b32 s14, s14, exec_lo
	s_and_not1_b32 s18, s18, exec_lo
	s_trap 2
	s_or_b32 exec_lo, exec_lo, s0
	s_and_saveexec_b32 s0, s18
	s_delay_alu instid0(SALU_CYCLE_1)
	s_xor_b32 s0, exec_lo, s0
	s_cbranch_execnz .LBB24_928
.LBB24_1000:
	s_or_b32 exec_lo, exec_lo, s0
	s_and_saveexec_b32 s0, s17
	s_delay_alu instid0(SALU_CYCLE_1)
	s_xor_b32 s0, exec_lo, s0
	s_cbranch_execz .LBB24_1038
.LBB24_1001:
	s_sext_i32_i16 s16, s15
	s_mov_b32 s13, -1
	s_cmp_lt_i32 s16, 5
	s_cbranch_scc1 .LBB24_1022
; %bb.1002:
	s_cmp_lt_i32 s16, 8
	s_cbranch_scc1 .LBB24_1012
; %bb.1003:
	;; [unrolled: 3-line block ×3, first 2 shown]
	s_cmp_gt_i32 s16, 9
	s_cbranch_scc0 .LBB24_1006
; %bb.1005:
	s_wait_loadcnt 0x0
	v_cvt_f32_f16_e32 v3, v2
	v_mov_b32_e32 v6, 0
	s_mov_b32 s13, 0
	s_delay_alu instid0(VALU_DEP_2) | instskip(NEXT) | instid1(VALU_DEP_2)
	v_cvt_f64_f32_e32 v[4:5], v3
	v_mov_b32_e32 v7, v6
	global_store_b128 v[0:1], v[4:7], off
.LBB24_1006:
	s_and_not1_b32 vcc_lo, exec_lo, s13
	s_cbranch_vccnz .LBB24_1008
; %bb.1007:
	s_wait_loadcnt 0x0
	v_cvt_f32_f16_e32 v4, v2
	v_mov_b32_e32 v5, 0
	global_store_b64 v[0:1], v[4:5], off
.LBB24_1008:
	s_mov_b32 s13, 0
.LBB24_1009:
	s_delay_alu instid0(SALU_CYCLE_1)
	s_and_not1_b32 vcc_lo, exec_lo, s13
	s_cbranch_vccnz .LBB24_1011
; %bb.1010:
	s_wait_loadcnt 0x0
	v_and_b32_e32 v3, 0xffff, v2
	global_store_b32 v[0:1], v3, off
.LBB24_1011:
	s_mov_b32 s13, 0
.LBB24_1012:
	s_delay_alu instid0(SALU_CYCLE_1)
	s_and_not1_b32 vcc_lo, exec_lo, s13
	s_cbranch_vccnz .LBB24_1021
; %bb.1013:
	s_sext_i32_i16 s16, s15
	s_mov_b32 s13, -1
	s_cmp_lt_i32 s16, 6
	s_cbranch_scc1 .LBB24_1019
; %bb.1014:
	s_cmp_gt_i32 s16, 6
	s_cbranch_scc0 .LBB24_1016
; %bb.1015:
	s_wait_loadcnt 0x0
	v_cvt_f32_f16_e32 v3, v2
	s_mov_b32 s13, 0
	s_delay_alu instid0(VALU_DEP_1)
	v_cvt_f64_f32_e32 v[4:5], v3
	global_store_b64 v[0:1], v[4:5], off
.LBB24_1016:
	s_and_not1_b32 vcc_lo, exec_lo, s13
	s_cbranch_vccnz .LBB24_1018
; %bb.1017:
	s_wait_loadcnt 0x0
	v_cvt_f32_f16_e32 v3, v2
	global_store_b32 v[0:1], v3, off
.LBB24_1018:
	s_mov_b32 s13, 0
.LBB24_1019:
	s_delay_alu instid0(SALU_CYCLE_1)
	s_and_not1_b32 vcc_lo, exec_lo, s13
	s_cbranch_vccnz .LBB24_1021
; %bb.1020:
	s_wait_loadcnt 0x0
	global_store_b16 v[0:1], v2, off
.LBB24_1021:
	s_mov_b32 s13, 0
.LBB24_1022:
	s_delay_alu instid0(SALU_CYCLE_1)
	s_and_not1_b32 vcc_lo, exec_lo, s13
	s_cbranch_vccnz .LBB24_1038
; %bb.1023:
	s_sext_i32_i16 s16, s15
	s_mov_b32 s13, -1
	s_cmp_lt_i32 s16, 2
	s_cbranch_scc1 .LBB24_1033
; %bb.1024:
	s_cmp_lt_i32 s16, 3
	s_cbranch_scc1 .LBB24_1030
; %bb.1025:
	s_cmp_gt_i32 s16, 3
	s_cbranch_scc0 .LBB24_1027
; %bb.1026:
	s_wait_loadcnt 0x0
	v_cvt_f32_f16_e32 v3, v2
	s_mov_b32 s13, 0
	s_delay_alu instid0(VALU_DEP_1) | instskip(NEXT) | instid1(VALU_DEP_1)
	v_cvt_i32_f32_e32 v4, v3
	v_ashrrev_i32_e32 v5, 31, v4
	global_store_b64 v[0:1], v[4:5], off
.LBB24_1027:
	s_and_not1_b32 vcc_lo, exec_lo, s13
	s_cbranch_vccnz .LBB24_1029
; %bb.1028:
	s_wait_loadcnt 0x0
	v_cvt_f32_f16_e32 v3, v2
	s_delay_alu instid0(VALU_DEP_1)
	v_cvt_i32_f32_e32 v3, v3
	global_store_b32 v[0:1], v3, off
.LBB24_1029:
	s_mov_b32 s13, 0
.LBB24_1030:
	s_delay_alu instid0(SALU_CYCLE_1)
	s_and_not1_b32 vcc_lo, exec_lo, s13
	s_cbranch_vccnz .LBB24_1032
; %bb.1031:
	s_wait_loadcnt 0x0
	v_cvt_i16_f16_e32 v3, v2
	global_store_b16 v[0:1], v3, off
.LBB24_1032:
	s_mov_b32 s13, 0
.LBB24_1033:
	s_delay_alu instid0(SALU_CYCLE_1)
	s_and_not1_b32 vcc_lo, exec_lo, s13
	s_cbranch_vccnz .LBB24_1038
; %bb.1034:
	s_sext_i32_i16 s13, s15
	s_delay_alu instid0(SALU_CYCLE_1)
	s_cmp_gt_i32 s13, 0
	s_mov_b32 s13, -1
	s_cbranch_scc0 .LBB24_1036
; %bb.1035:
	s_wait_loadcnt 0x0
	v_cvt_i16_f16_e32 v3, v2
	s_mov_b32 s13, 0
	global_store_b8 v[0:1], v3, off
.LBB24_1036:
	s_and_not1_b32 vcc_lo, exec_lo, s13
	s_cbranch_vccnz .LBB24_1038
; %bb.1037:
	s_wait_loadcnt 0x0
	v_cvt_f32_f16_e32 v2, v2
	s_delay_alu instid0(VALU_DEP_1)
	v_cvt_i32_f32_e32 v2, v2
	global_store_b8 v[0:1], v2, off
.LBB24_1038:
	s_wait_xcnt 0x0
	s_or_b32 exec_lo, exec_lo, s0
	s_delay_alu instid0(SALU_CYCLE_1)
	s_and_b32 s13, s14, exec_lo
                                        ; implicit-def: $vgpr4
.LBB24_1039:
	s_or_saveexec_b32 s12, s12
	s_mov_b32 s0, 0
                                        ; implicit-def: $sgpr14
                                        ; implicit-def: $vgpr0_vgpr1
                                        ; implicit-def: $vgpr8
	s_xor_b32 exec_lo, exec_lo, s12
	s_cbranch_execz .LBB24_1644
; %bb.1040:
	v_mul_lo_u32 v0, s9, v4
	s_and_b32 s0, 0xffff, s3
	s_delay_alu instid0(SALU_CYCLE_1) | instskip(NEXT) | instid1(VALU_DEP_1)
	s_cmp_lt_i32 s0, 11
	v_ashrrev_i32_e32 v1, 31, v0
	s_wait_loadcnt 0x0
	s_delay_alu instid0(VALU_DEP_1)
	v_add_nc_u64_e32 v[2:3], s[6:7], v[0:1]
	s_cbranch_scc1 .LBB24_1047
; %bb.1041:
	s_cmp_gt_i32 s0, 25
	s_mov_b32 s3, 0
	s_cbranch_scc0 .LBB24_1049
; %bb.1042:
	s_cmp_gt_i32 s0, 28
	s_cbranch_scc0 .LBB24_1050
; %bb.1043:
	s_cmp_gt_i32 s0, 43
	;; [unrolled: 3-line block ×3, first 2 shown]
	s_cbranch_scc0 .LBB24_1052
; %bb.1045:
	s_cmp_eq_u32 s0, 46
	s_mov_b32 s15, 0
	s_cbranch_scc0 .LBB24_1055
; %bb.1046:
	global_load_b32 v1, v[2:3], off
	s_mov_b32 s14, -1
	s_wait_loadcnt 0x0
	v_lshlrev_b32_e32 v1, 16, v1
	s_delay_alu instid0(VALU_DEP_1)
	v_cvt_f16_f32_e32 v5, v1
	s_branch .LBB24_1057
.LBB24_1047:
	s_mov_b32 s14, 0
	s_mov_b32 s1, s13
                                        ; implicit-def: $vgpr5
	s_cbranch_execnz .LBB24_1120
.LBB24_1048:
	s_and_not1_b32 vcc_lo, exec_lo, s14
	s_cbranch_vccz .LBB24_1165
	s_branch .LBB24_1642
.LBB24_1049:
	s_mov_b32 s14, 0
                                        ; implicit-def: $vgpr5
	s_cbranch_execnz .LBB24_1085
	s_branch .LBB24_1116
.LBB24_1050:
	s_mov_b32 s15, -1
	s_mov_b32 s14, 0
                                        ; implicit-def: $vgpr5
	s_branch .LBB24_1066
.LBB24_1051:
	s_mov_b32 s14, 0
                                        ; implicit-def: $vgpr5
	s_cbranch_execnz .LBB24_1062
	s_branch .LBB24_1065
.LBB24_1052:
	s_mov_b32 s15, -1
	s_branch .LBB24_1056
.LBB24_1053:
	s_and_not1_saveexec_b32 s20, s20
	s_cbranch_execz .LBB24_952
.LBB24_1054:
	v_add_f32_e64 v4, 0x46000000, |v3|
	s_and_not1_b32 s19, s19, exec_lo
	s_delay_alu instid0(VALU_DEP_1) | instskip(NEXT) | instid1(VALU_DEP_1)
	v_and_b32_e32 v4, 0xff, v4
	v_cmp_ne_u32_e32 vcc_lo, 0, v4
	s_and_b32 s21, vcc_lo, exec_lo
	s_delay_alu instid0(SALU_CYCLE_1)
	s_or_b32 s19, s19, s21
	s_or_b32 exec_lo, exec_lo, s20
	v_mov_b32_e32 v5, 0
	s_and_saveexec_b32 s20, s19
	s_cbranch_execnz .LBB24_953
	s_branch .LBB24_954
.LBB24_1055:
	s_mov_b32 s1, -1
.LBB24_1056:
	s_mov_b32 s14, 0
                                        ; implicit-def: $vgpr5
.LBB24_1057:
	s_and_b32 vcc_lo, exec_lo, s15
	s_cbranch_vccz .LBB24_1060
; %bb.1058:
	s_cmp_eq_u32 s0, 44
	s_cbranch_scc0 .LBB24_1061
; %bb.1059:
	global_load_u8 v1, v[2:3], off
	s_mov_b32 s1, 0
	s_mov_b32 s14, -1
	s_wait_loadcnt 0x0
	v_lshlrev_b32_e32 v5, 23, v1
	v_cmp_ne_u32_e32 vcc_lo, 0xff, v1
	s_delay_alu instid0(VALU_DEP_2) | instskip(NEXT) | instid1(VALU_DEP_1)
	v_cvt_f16_f32_e32 v5, v5
	v_cndmask_b32_e32 v5, 0x7e00, v5, vcc_lo
	v_cmp_ne_u32_e32 vcc_lo, 0, v1
	s_delay_alu instid0(VALU_DEP_2)
	v_cndmask_b32_e32 v5, 0, v5, vcc_lo
.LBB24_1060:
	s_branch .LBB24_1065
.LBB24_1061:
	s_mov_b32 s1, -1
                                        ; implicit-def: $vgpr5
	s_branch .LBB24_1065
.LBB24_1062:
	s_cmp_eq_u32 s0, 29
	s_cbranch_scc0 .LBB24_1064
; %bb.1063:
	global_load_b64 v[6:7], v[2:3], off
	s_mov_b32 s1, 0
	s_mov_b32 s14, -1
	s_mov_b32 s15, 0
	s_wait_loadcnt 0x0
	v_clz_i32_u32_e32 v1, v7
	s_delay_alu instid0(VALU_DEP_1) | instskip(NEXT) | instid1(VALU_DEP_1)
	v_min_u32_e32 v1, 32, v1
	v_lshlrev_b64_e32 v[6:7], v1, v[6:7]
	v_sub_nc_u32_e32 v1, 32, v1
	s_delay_alu instid0(VALU_DEP_2) | instskip(NEXT) | instid1(VALU_DEP_1)
	v_min_u32_e32 v5, 1, v6
	v_or_b32_e32 v5, v7, v5
	s_delay_alu instid0(VALU_DEP_1) | instskip(NEXT) | instid1(VALU_DEP_1)
	v_cvt_f32_u32_e32 v5, v5
	v_ldexp_f32 v1, v5, v1
	s_delay_alu instid0(VALU_DEP_1)
	v_cvt_f16_f32_e32 v5, v1
	s_branch .LBB24_1066
.LBB24_1064:
	s_mov_b32 s1, -1
                                        ; implicit-def: $vgpr5
.LBB24_1065:
	s_mov_b32 s15, 0
.LBB24_1066:
	s_delay_alu instid0(SALU_CYCLE_1)
	s_and_b32 vcc_lo, exec_lo, s15
	s_cbranch_vccz .LBB24_1084
; %bb.1067:
	s_cmp_lt_i32 s0, 27
	s_cbranch_scc1 .LBB24_1070
; %bb.1068:
	s_cmp_gt_i32 s0, 27
	s_cbranch_scc0 .LBB24_1071
; %bb.1069:
	global_load_b32 v1, v[2:3], off
	s_mov_b32 s14, 0
	s_wait_loadcnt 0x0
	v_cvt_f32_u32_e32 v1, v1
	s_delay_alu instid0(VALU_DEP_1)
	v_cvt_f16_f32_e32 v5, v1
	s_branch .LBB24_1072
.LBB24_1070:
	s_mov_b32 s14, -1
                                        ; implicit-def: $vgpr5
	s_branch .LBB24_1075
.LBB24_1071:
	s_mov_b32 s14, -1
                                        ; implicit-def: $vgpr5
.LBB24_1072:
	s_delay_alu instid0(SALU_CYCLE_1)
	s_and_not1_b32 vcc_lo, exec_lo, s14
	s_cbranch_vccnz .LBB24_1074
; %bb.1073:
	global_load_u16 v1, v[2:3], off
	s_wait_loadcnt 0x0
	v_cvt_f16_u16_e32 v5, v1
.LBB24_1074:
	s_mov_b32 s14, 0
.LBB24_1075:
	s_delay_alu instid0(SALU_CYCLE_1)
	s_and_not1_b32 vcc_lo, exec_lo, s14
	s_cbranch_vccnz .LBB24_1083
; %bb.1076:
	global_load_u8 v1, v[2:3], off
	s_mov_b32 s14, 0
	s_mov_b32 s15, exec_lo
	s_wait_loadcnt 0x0
	v_cmpx_lt_i16_e32 0x7f, v1
	s_xor_b32 s15, exec_lo, s15
	s_cbranch_execz .LBB24_1096
; %bb.1077:
	s_mov_b32 s14, -1
	s_mov_b32 s16, exec_lo
	v_cmpx_eq_u16_e32 0x80, v1
; %bb.1078:
	s_xor_b32 s14, exec_lo, -1
; %bb.1079:
	s_or_b32 exec_lo, exec_lo, s16
	s_delay_alu instid0(SALU_CYCLE_1)
	s_and_b32 s14, s14, exec_lo
	s_or_saveexec_b32 s15, s15
	v_mov_b32_e32 v5, 0x7e00
	s_xor_b32 exec_lo, exec_lo, s15
	s_cbranch_execnz .LBB24_1097
.LBB24_1080:
	s_or_b32 exec_lo, exec_lo, s15
	s_and_saveexec_b32 s15, s14
	s_cbranch_execz .LBB24_1082
.LBB24_1081:
	v_and_b32_e32 v5, 0xffff, v1
	s_delay_alu instid0(VALU_DEP_1) | instskip(SKIP_1) | instid1(VALU_DEP_2)
	v_and_b32_e32 v6, 7, v5
	v_bfe_u32 v9, v5, 3, 4
	v_clz_i32_u32_e32 v7, v6
	s_delay_alu instid0(VALU_DEP_2) | instskip(NEXT) | instid1(VALU_DEP_2)
	v_cmp_eq_u32_e32 vcc_lo, 0, v9
	v_min_u32_e32 v7, 32, v7
	s_delay_alu instid0(VALU_DEP_1) | instskip(NEXT) | instid1(VALU_DEP_1)
	v_subrev_nc_u32_e32 v8, 28, v7
	v_dual_lshlrev_b32 v5, v8, v5 :: v_dual_sub_nc_u32 v7, 29, v7
	s_delay_alu instid0(VALU_DEP_1) | instskip(NEXT) | instid1(VALU_DEP_2)
	v_and_b32_e32 v5, 7, v5
	v_dual_lshlrev_b32 v1, 24, v1 :: v_dual_cndmask_b32 v7, v9, v7, vcc_lo
	s_delay_alu instid0(VALU_DEP_2) | instskip(NEXT) | instid1(VALU_DEP_2)
	v_cndmask_b32_e32 v5, v6, v5, vcc_lo
	v_and_b32_e32 v1, 0x80000000, v1
	s_delay_alu instid0(VALU_DEP_3) | instskip(NEXT) | instid1(VALU_DEP_3)
	v_lshl_add_u32 v6, v7, 23, 0x3b800000
	v_lshlrev_b32_e32 v5, 20, v5
	s_delay_alu instid0(VALU_DEP_1) | instskip(NEXT) | instid1(VALU_DEP_1)
	v_or3_b32 v1, v1, v6, v5
	v_cvt_f16_f32_e32 v5, v1
.LBB24_1082:
	s_or_b32 exec_lo, exec_lo, s15
.LBB24_1083:
	s_mov_b32 s14, -1
.LBB24_1084:
	s_branch .LBB24_1116
.LBB24_1085:
	s_cmp_gt_i32 s0, 22
	s_cbranch_scc0 .LBB24_1095
; %bb.1086:
	s_cmp_lt_i32 s0, 24
	s_cbranch_scc1 .LBB24_1098
; %bb.1087:
	s_cmp_gt_i32 s0, 24
	s_cbranch_scc0 .LBB24_1099
; %bb.1088:
	global_load_u8 v1, v[2:3], off
	s_mov_b32 s14, exec_lo
	s_wait_loadcnt 0x0
	v_cmpx_lt_i16_e32 0x7f, v1
	s_xor_b32 s14, exec_lo, s14
	s_cbranch_execz .LBB24_1110
; %bb.1089:
	s_mov_b32 s3, -1
	s_mov_b32 s15, exec_lo
	v_cmpx_eq_u16_e32 0x80, v1
; %bb.1090:
	s_xor_b32 s3, exec_lo, -1
; %bb.1091:
	s_or_b32 exec_lo, exec_lo, s15
	s_delay_alu instid0(SALU_CYCLE_1)
	s_and_b32 s3, s3, exec_lo
	s_or_saveexec_b32 s14, s14
	v_mov_b32_e32 v5, 0x7e00
	s_xor_b32 exec_lo, exec_lo, s14
	s_cbranch_execnz .LBB24_1111
.LBB24_1092:
	s_or_b32 exec_lo, exec_lo, s14
	s_and_saveexec_b32 s14, s3
	s_cbranch_execz .LBB24_1094
.LBB24_1093:
	v_and_b32_e32 v5, 0xffff, v1
	s_delay_alu instid0(VALU_DEP_1) | instskip(SKIP_1) | instid1(VALU_DEP_2)
	v_and_b32_e32 v6, 3, v5
	v_bfe_u32 v9, v5, 2, 5
	v_clz_i32_u32_e32 v7, v6
	s_delay_alu instid0(VALU_DEP_2) | instskip(NEXT) | instid1(VALU_DEP_2)
	v_cmp_eq_u32_e32 vcc_lo, 0, v9
	v_min_u32_e32 v7, 32, v7
	s_delay_alu instid0(VALU_DEP_1) | instskip(NEXT) | instid1(VALU_DEP_1)
	v_subrev_nc_u32_e32 v8, 29, v7
	v_dual_lshlrev_b32 v5, v8, v5 :: v_dual_sub_nc_u32 v7, 30, v7
	s_delay_alu instid0(VALU_DEP_1) | instskip(NEXT) | instid1(VALU_DEP_2)
	v_and_b32_e32 v5, 3, v5
	v_dual_lshlrev_b32 v1, 24, v1 :: v_dual_cndmask_b32 v7, v9, v7, vcc_lo
	s_delay_alu instid0(VALU_DEP_2) | instskip(NEXT) | instid1(VALU_DEP_2)
	v_cndmask_b32_e32 v5, v6, v5, vcc_lo
	v_and_b32_e32 v1, 0x80000000, v1
	s_delay_alu instid0(VALU_DEP_3) | instskip(NEXT) | instid1(VALU_DEP_3)
	v_lshl_add_u32 v6, v7, 23, 0x37800000
	v_lshlrev_b32_e32 v5, 21, v5
	s_delay_alu instid0(VALU_DEP_1) | instskip(NEXT) | instid1(VALU_DEP_1)
	v_or3_b32 v1, v1, v6, v5
	v_cvt_f16_f32_e32 v5, v1
.LBB24_1094:
	s_or_b32 exec_lo, exec_lo, s14
	s_mov_b32 s3, 0
	s_branch .LBB24_1100
.LBB24_1095:
                                        ; implicit-def: $vgpr5
	s_mov_b32 s3, 0
	s_branch .LBB24_1106
.LBB24_1096:
	s_or_saveexec_b32 s15, s15
	v_mov_b32_e32 v5, 0x7e00
	s_xor_b32 exec_lo, exec_lo, s15
	s_cbranch_execz .LBB24_1080
.LBB24_1097:
	v_cmp_ne_u16_e32 vcc_lo, 0, v1
	v_mov_b32_e32 v5, v1
	s_and_not1_b32 s14, s14, exec_lo
	s_and_b32 s16, vcc_lo, exec_lo
	s_delay_alu instid0(SALU_CYCLE_1)
	s_or_b32 s14, s14, s16
	s_or_b32 exec_lo, exec_lo, s15
	s_and_saveexec_b32 s15, s14
	s_cbranch_execnz .LBB24_1081
	s_branch .LBB24_1082
.LBB24_1098:
	s_mov_b32 s3, -1
                                        ; implicit-def: $vgpr5
	s_branch .LBB24_1103
.LBB24_1099:
	s_mov_b32 s3, -1
                                        ; implicit-def: $vgpr5
.LBB24_1100:
	s_delay_alu instid0(SALU_CYCLE_1)
	s_and_b32 vcc_lo, exec_lo, s3
	s_cbranch_vccz .LBB24_1102
; %bb.1101:
	global_load_u8 v1, v[2:3], off
	s_wait_loadcnt 0x0
	v_lshlrev_b32_e32 v1, 24, v1
	s_delay_alu instid0(VALU_DEP_1) | instskip(NEXT) | instid1(VALU_DEP_1)
	v_and_b32_e32 v5, 0x7f000000, v1
	v_clz_i32_u32_e32 v6, v5
	v_cmp_ne_u32_e32 vcc_lo, 0, v5
	v_add_nc_u32_e32 v8, 0x1000000, v5
	s_delay_alu instid0(VALU_DEP_3) | instskip(NEXT) | instid1(VALU_DEP_1)
	v_min_u32_e32 v6, 32, v6
	v_sub_nc_u32_e64 v6, v6, 4 clamp
	s_delay_alu instid0(VALU_DEP_1) | instskip(NEXT) | instid1(VALU_DEP_1)
	v_dual_lshlrev_b32 v7, v6, v5 :: v_dual_lshlrev_b32 v6, 23, v6
	v_lshrrev_b32_e32 v7, 4, v7
	s_delay_alu instid0(VALU_DEP_1) | instskip(NEXT) | instid1(VALU_DEP_1)
	v_dual_sub_nc_u32 v6, v7, v6 :: v_dual_ashrrev_i32 v7, 8, v8
	v_add_nc_u32_e32 v6, 0x3c000000, v6
	s_delay_alu instid0(VALU_DEP_1) | instskip(NEXT) | instid1(VALU_DEP_1)
	v_and_or_b32 v6, 0x7f800000, v7, v6
	v_cndmask_b32_e32 v5, 0, v6, vcc_lo
	s_delay_alu instid0(VALU_DEP_1) | instskip(NEXT) | instid1(VALU_DEP_1)
	v_and_or_b32 v1, 0x80000000, v1, v5
	v_cvt_f16_f32_e32 v5, v1
.LBB24_1102:
	s_mov_b32 s3, 0
.LBB24_1103:
	s_delay_alu instid0(SALU_CYCLE_1)
	s_and_not1_b32 vcc_lo, exec_lo, s3
	s_cbranch_vccnz .LBB24_1105
; %bb.1104:
	global_load_u8 v1, v[2:3], off
	s_wait_loadcnt 0x0
	v_lshlrev_b32_e32 v5, 25, v1
	v_lshlrev_b16 v1, 8, v1
	s_delay_alu instid0(VALU_DEP_1) | instskip(SKIP_1) | instid1(VALU_DEP_2)
	v_and_or_b32 v7, 0x7f00, v1, 0.5
	v_bfe_i32 v1, v1, 0, 16
	v_dual_add_f32 v7, -0.5, v7 :: v_dual_lshrrev_b32 v6, 4, v5
	v_cmp_gt_u32_e32 vcc_lo, 0x8000000, v5
	s_delay_alu instid0(VALU_DEP_2) | instskip(NEXT) | instid1(VALU_DEP_1)
	v_or_b32_e32 v6, 0x70000000, v6
	v_mul_f32_e32 v6, 0x7800000, v6
	s_delay_alu instid0(VALU_DEP_1) | instskip(NEXT) | instid1(VALU_DEP_1)
	v_cndmask_b32_e32 v5, v6, v7, vcc_lo
	v_and_or_b32 v1, 0x80000000, v1, v5
	s_delay_alu instid0(VALU_DEP_1)
	v_cvt_f16_f32_e32 v5, v1
.LBB24_1105:
	s_mov_b32 s14, -1
	s_mov_b32 s3, 0
	s_cbranch_execnz .LBB24_1116
.LBB24_1106:
	s_cmp_gt_i32 s0, 14
	s_cbranch_scc0 .LBB24_1109
; %bb.1107:
	s_cmp_eq_u32 s0, 15
	s_cbranch_scc0 .LBB24_1112
; %bb.1108:
	global_load_u16 v1, v[2:3], off
	s_mov_b32 s1, 0
	s_mov_b32 s14, -1
	s_wait_loadcnt 0x0
	v_lshlrev_b32_e32 v1, 16, v1
	s_delay_alu instid0(VALU_DEP_1)
	v_cvt_f16_f32_e32 v5, v1
	s_branch .LBB24_1114
.LBB24_1109:
	s_mov_b32 s3, -1
	s_branch .LBB24_1113
.LBB24_1110:
	s_or_saveexec_b32 s14, s14
	v_mov_b32_e32 v5, 0x7e00
	s_xor_b32 exec_lo, exec_lo, s14
	s_cbranch_execz .LBB24_1092
.LBB24_1111:
	v_cmp_ne_u16_e32 vcc_lo, 0, v1
	v_mov_b32_e32 v5, v1
	s_and_not1_b32 s3, s3, exec_lo
	s_and_b32 s15, vcc_lo, exec_lo
	s_delay_alu instid0(SALU_CYCLE_1)
	s_or_b32 s3, s3, s15
	s_or_b32 exec_lo, exec_lo, s14
	s_and_saveexec_b32 s14, s3
	s_cbranch_execnz .LBB24_1093
	s_branch .LBB24_1094
.LBB24_1112:
	s_mov_b32 s1, -1
.LBB24_1113:
                                        ; implicit-def: $vgpr5
.LBB24_1114:
	s_and_b32 vcc_lo, exec_lo, s3
	s_mov_b32 s3, 0
	s_cbranch_vccz .LBB24_1116
; %bb.1115:
	s_cmp_lg_u32 s0, 11
	s_mov_b32 s3, -1
	s_cselect_b32 s1, -1, 0
.LBB24_1116:
	s_delay_alu instid0(SALU_CYCLE_1)
	s_and_b32 vcc_lo, exec_lo, s1
	s_mov_b32 s1, s13
	s_cbranch_vccnz .LBB24_1179
; %bb.1117:
	s_and_not1_b32 vcc_lo, exec_lo, s3
	s_cbranch_vccnz .LBB24_1119
.LBB24_1118:
	global_load_u8 v1, v[2:3], off
	s_mov_b32 s14, -1
	s_wait_loadcnt 0x0
	v_cmp_ne_u16_e32 vcc_lo, 0, v1
	v_cndmask_b32_e64 v5, 0, 0x3c00, vcc_lo
.LBB24_1119:
	s_branch .LBB24_1048
.LBB24_1120:
	s_cmp_lt_i32 s0, 5
	s_cbranch_scc1 .LBB24_1125
; %bb.1121:
	s_cmp_lt_i32 s0, 8
	s_cbranch_scc1 .LBB24_1126
; %bb.1122:
	;; [unrolled: 3-line block ×3, first 2 shown]
	s_cmp_gt_i32 s0, 9
	s_cbranch_scc0 .LBB24_1128
; %bb.1124:
	global_load_b64 v[6:7], v[2:3], off
	s_mov_b32 s3, 0
	s_wait_loadcnt 0x0
	v_and_or_b32 v1, 0x1ff, v7, v6
	v_lshrrev_b32_e32 v5, 8, v7
	v_bfe_u32 v6, v7, 20, 11
	s_delay_alu instid0(VALU_DEP_3) | instskip(NEXT) | instid1(VALU_DEP_2)
	v_cmp_ne_u32_e32 vcc_lo, 0, v1
	v_sub_nc_u32_e32 v8, 0x3f1, v6
	v_add_nc_u32_e32 v6, 0xfffffc10, v6
	v_cndmask_b32_e64 v1, 0, 1, vcc_lo
	s_delay_alu instid0(VALU_DEP_1) | instskip(NEXT) | instid1(VALU_DEP_4)
	v_and_or_b32 v1, 0xffe, v5, v1
	v_med3_i32 v5, v8, 0, 13
	s_delay_alu instid0(VALU_DEP_2) | instskip(NEXT) | instid1(VALU_DEP_1)
	v_or_b32_e32 v8, 0x1000, v1
	v_lshrrev_b32_e32 v9, v5, v8
	s_delay_alu instid0(VALU_DEP_1) | instskip(NEXT) | instid1(VALU_DEP_1)
	v_lshlrev_b32_e32 v5, v5, v9
	v_cmp_ne_u32_e32 vcc_lo, v5, v8
	v_lshl_or_b32 v8, v6, 12, v1
	v_cndmask_b32_e64 v5, 0, 1, vcc_lo
	v_cmp_gt_i32_e32 vcc_lo, 1, v6
	s_delay_alu instid0(VALU_DEP_2) | instskip(NEXT) | instid1(VALU_DEP_1)
	v_or_b32_e32 v5, v9, v5
	v_cndmask_b32_e32 v5, v8, v5, vcc_lo
	s_delay_alu instid0(VALU_DEP_1) | instskip(NEXT) | instid1(VALU_DEP_1)
	v_dual_lshrrev_b32 v5, 2, v5 :: v_dual_bitop2_b32 v8, 7, v5 bitop3:0x40
	v_cmp_lt_i32_e32 vcc_lo, 5, v8
	v_cndmask_b32_e64 v9, 0, 1, vcc_lo
	v_cmp_eq_u32_e32 vcc_lo, 3, v8
	v_cndmask_b32_e64 v8, 0, 1, vcc_lo
	v_cmp_ne_u32_e32 vcc_lo, 0, v1
	s_delay_alu instid0(VALU_DEP_2) | instskip(SKIP_1) | instid1(VALU_DEP_2)
	v_or_b32_e32 v8, v8, v9
	v_mov_b32_e32 v9, 0x7e00
	v_add_nc_u32_e32 v5, v5, v8
	s_delay_alu instid0(VALU_DEP_2) | instskip(SKIP_1) | instid1(VALU_DEP_3)
	v_cndmask_b32_e32 v1, 0x7c00, v9, vcc_lo
	v_cmp_gt_i32_e32 vcc_lo, 31, v6
	v_cndmask_b32_e32 v5, 0x7c00, v5, vcc_lo
	v_cmp_eq_u32_e32 vcc_lo, 0x40f, v6
	s_delay_alu instid0(VALU_DEP_2) | instskip(NEXT) | instid1(VALU_DEP_1)
	v_dual_cndmask_b32 v1, v5, v1, vcc_lo :: v_dual_lshrrev_b32 v5, 16, v7
	v_and_or_b32 v5, 0x8000, v5, v1
	s_branch .LBB24_1129
.LBB24_1125:
                                        ; implicit-def: $vgpr5
	s_branch .LBB24_1146
.LBB24_1126:
                                        ; implicit-def: $vgpr5
	s_branch .LBB24_1135
.LBB24_1127:
	s_mov_b32 s3, -1
                                        ; implicit-def: $vgpr5
	s_branch .LBB24_1132
.LBB24_1128:
	s_mov_b32 s3, -1
                                        ; implicit-def: $vgpr5
.LBB24_1129:
	s_delay_alu instid0(SALU_CYCLE_1)
	s_and_not1_b32 vcc_lo, exec_lo, s3
	s_cbranch_vccnz .LBB24_1131
; %bb.1130:
	global_load_b32 v1, v[2:3], off
	s_wait_loadcnt 0x0
	v_cvt_f16_f32_e32 v5, v1
.LBB24_1131:
	s_mov_b32 s3, 0
.LBB24_1132:
	s_delay_alu instid0(SALU_CYCLE_1)
	s_and_not1_b32 vcc_lo, exec_lo, s3
	s_cbranch_vccnz .LBB24_1134
; %bb.1133:
	global_load_b32 v5, v[2:3], off
.LBB24_1134:
	s_cbranch_execnz .LBB24_1145
.LBB24_1135:
	s_cmp_lt_i32 s0, 6
	s_cbranch_scc1 .LBB24_1138
; %bb.1136:
	s_cmp_gt_i32 s0, 6
	s_cbranch_scc0 .LBB24_1139
; %bb.1137:
	global_load_b64 v[6:7], v[2:3], off
	s_mov_b32 s3, 0
	s_wait_loadcnt 0x0
	v_and_or_b32 v1, 0x1ff, v7, v6
	v_lshrrev_b32_e32 v5, 8, v7
	v_bfe_u32 v6, v7, 20, 11
	s_delay_alu instid0(VALU_DEP_3) | instskip(NEXT) | instid1(VALU_DEP_2)
	v_cmp_ne_u32_e32 vcc_lo, 0, v1
	v_sub_nc_u32_e32 v8, 0x3f1, v6
	v_add_nc_u32_e32 v6, 0xfffffc10, v6
	v_cndmask_b32_e64 v1, 0, 1, vcc_lo
	s_delay_alu instid0(VALU_DEP_1) | instskip(NEXT) | instid1(VALU_DEP_4)
	v_and_or_b32 v1, 0xffe, v5, v1
	v_med3_i32 v5, v8, 0, 13
	s_delay_alu instid0(VALU_DEP_2) | instskip(NEXT) | instid1(VALU_DEP_1)
	v_or_b32_e32 v8, 0x1000, v1
	v_lshrrev_b32_e32 v9, v5, v8
	s_delay_alu instid0(VALU_DEP_1) | instskip(NEXT) | instid1(VALU_DEP_1)
	v_lshlrev_b32_e32 v5, v5, v9
	v_cmp_ne_u32_e32 vcc_lo, v5, v8
	v_lshl_or_b32 v8, v6, 12, v1
	v_cndmask_b32_e64 v5, 0, 1, vcc_lo
	v_cmp_gt_i32_e32 vcc_lo, 1, v6
	s_delay_alu instid0(VALU_DEP_2) | instskip(NEXT) | instid1(VALU_DEP_1)
	v_or_b32_e32 v5, v9, v5
	v_cndmask_b32_e32 v5, v8, v5, vcc_lo
	s_delay_alu instid0(VALU_DEP_1) | instskip(NEXT) | instid1(VALU_DEP_1)
	v_dual_lshrrev_b32 v5, 2, v5 :: v_dual_bitop2_b32 v8, 7, v5 bitop3:0x40
	v_cmp_lt_i32_e32 vcc_lo, 5, v8
	v_cndmask_b32_e64 v9, 0, 1, vcc_lo
	v_cmp_eq_u32_e32 vcc_lo, 3, v8
	v_cndmask_b32_e64 v8, 0, 1, vcc_lo
	v_cmp_ne_u32_e32 vcc_lo, 0, v1
	s_delay_alu instid0(VALU_DEP_2) | instskip(SKIP_1) | instid1(VALU_DEP_2)
	v_or_b32_e32 v8, v8, v9
	v_mov_b32_e32 v9, 0x7e00
	v_add_nc_u32_e32 v5, v5, v8
	s_delay_alu instid0(VALU_DEP_2) | instskip(SKIP_1) | instid1(VALU_DEP_3)
	v_cndmask_b32_e32 v1, 0x7c00, v9, vcc_lo
	v_cmp_gt_i32_e32 vcc_lo, 31, v6
	v_cndmask_b32_e32 v5, 0x7c00, v5, vcc_lo
	v_cmp_eq_u32_e32 vcc_lo, 0x40f, v6
	s_delay_alu instid0(VALU_DEP_2) | instskip(NEXT) | instid1(VALU_DEP_1)
	v_dual_cndmask_b32 v1, v5, v1, vcc_lo :: v_dual_lshrrev_b32 v5, 16, v7
	v_and_or_b32 v5, 0x8000, v5, v1
	s_branch .LBB24_1140
.LBB24_1138:
	s_mov_b32 s3, -1
                                        ; implicit-def: $vgpr5
	s_branch .LBB24_1143
.LBB24_1139:
	s_mov_b32 s3, -1
                                        ; implicit-def: $vgpr5
.LBB24_1140:
	s_delay_alu instid0(SALU_CYCLE_1)
	s_and_not1_b32 vcc_lo, exec_lo, s3
	s_cbranch_vccnz .LBB24_1142
; %bb.1141:
	global_load_b32 v1, v[2:3], off
	s_wait_loadcnt 0x0
	v_cvt_f16_f32_e32 v5, v1
.LBB24_1142:
	s_mov_b32 s3, 0
.LBB24_1143:
	s_delay_alu instid0(SALU_CYCLE_1)
	s_and_not1_b32 vcc_lo, exec_lo, s3
	s_cbranch_vccnz .LBB24_1145
; %bb.1144:
	s_wait_loadcnt 0x0
	global_load_u16 v5, v[2:3], off
.LBB24_1145:
	s_cbranch_execnz .LBB24_1164
.LBB24_1146:
	s_cmp_lt_i32 s0, 2
	s_cbranch_scc1 .LBB24_1150
; %bb.1147:
	s_cmp_lt_i32 s0, 3
	s_cbranch_scc1 .LBB24_1151
; %bb.1148:
	s_cmp_gt_i32 s0, 3
	s_cbranch_scc0 .LBB24_1152
; %bb.1149:
	global_load_b64 v[6:7], v[2:3], off
	s_mov_b32 s3, 0
	s_wait_loadcnt 0x0
	v_xor_b32_e32 v1, v6, v7
	v_cls_i32_e32 v5, v7
	s_delay_alu instid0(VALU_DEP_2) | instskip(NEXT) | instid1(VALU_DEP_1)
	v_ashrrev_i32_e32 v1, 31, v1
	v_add_nc_u32_e32 v1, 32, v1
	s_delay_alu instid0(VALU_DEP_1) | instskip(NEXT) | instid1(VALU_DEP_1)
	v_add_min_u32_e64 v1, v5, -1, v1
	v_lshlrev_b64_e32 v[6:7], v1, v[6:7]
	v_sub_nc_u32_e32 v1, 32, v1
	s_delay_alu instid0(VALU_DEP_2) | instskip(NEXT) | instid1(VALU_DEP_1)
	v_min_u32_e32 v5, 1, v6
	v_or_b32_e32 v5, v7, v5
	s_delay_alu instid0(VALU_DEP_1) | instskip(NEXT) | instid1(VALU_DEP_1)
	v_cvt_f32_i32_e32 v5, v5
	v_ldexp_f32 v1, v5, v1
	s_delay_alu instid0(VALU_DEP_1)
	v_cvt_f16_f32_e32 v5, v1
	s_branch .LBB24_1153
.LBB24_1150:
                                        ; implicit-def: $vgpr5
	s_branch .LBB24_1159
.LBB24_1151:
	s_mov_b32 s3, -1
                                        ; implicit-def: $vgpr5
	s_branch .LBB24_1156
.LBB24_1152:
	s_mov_b32 s3, -1
                                        ; implicit-def: $vgpr5
.LBB24_1153:
	s_delay_alu instid0(SALU_CYCLE_1)
	s_and_not1_b32 vcc_lo, exec_lo, s3
	s_cbranch_vccnz .LBB24_1155
; %bb.1154:
	global_load_b32 v1, v[2:3], off
	s_wait_loadcnt 0x0
	v_cvt_f32_i32_e32 v1, v1
	s_delay_alu instid0(VALU_DEP_1)
	v_cvt_f16_f32_e32 v5, v1
.LBB24_1155:
	s_mov_b32 s3, 0
.LBB24_1156:
	s_delay_alu instid0(SALU_CYCLE_1)
	s_and_not1_b32 vcc_lo, exec_lo, s3
	s_cbranch_vccnz .LBB24_1158
; %bb.1157:
	global_load_u16 v1, v[2:3], off
	s_wait_loadcnt 0x0
	v_cvt_f16_i16_e32 v5, v1
.LBB24_1158:
	s_cbranch_execnz .LBB24_1164
.LBB24_1159:
	s_cmp_gt_i32 s0, 0
	s_mov_b32 s3, 0
	s_cbranch_scc0 .LBB24_1161
; %bb.1160:
	global_load_i8 v1, v[2:3], off
	s_wait_loadcnt 0x0
	v_cvt_f16_i16_e32 v5, v1
	s_branch .LBB24_1162
.LBB24_1161:
	s_mov_b32 s3, -1
                                        ; implicit-def: $vgpr5
.LBB24_1162:
	s_delay_alu instid0(SALU_CYCLE_1)
	s_and_not1_b32 vcc_lo, exec_lo, s3
	s_cbranch_vccnz .LBB24_1164
; %bb.1163:
	global_load_u8 v1, v[2:3], off
	s_wait_loadcnt 0x0
	v_cvt_f16_u16_e32 v5, v1
.LBB24_1164:
.LBB24_1165:
	s_wait_loadcnt 0x0
	s_delay_alu instid0(VALU_DEP_1) | instskip(SKIP_1) | instid1(VALU_DEP_1)
	v_cvt_f32_f16_e32 v1, v5
	s_mov_b32 s3, exec_lo
	v_mul_f32_e32 v1, s10, v1
	s_wait_xcnt 0x0
	s_delay_alu instid0(VALU_DEP_1)
	v_cmpx_nlt_f32_e32 s11, v1
	s_cbranch_execz .LBB24_1167
; %bb.1166:
	v_mul_f32_e32 v2, 0x3fb8aa3b, v1
	v_cmp_ngt_f32_e32 vcc_lo, 0xc2ce8ed0, v1
	s_mov_b32 s14, 0x3e9b6dac
	s_delay_alu instid0(VALU_DEP_2) | instskip(SKIP_1) | instid1(VALU_DEP_1)
	v_rndne_f32_e32 v3, v2
	v_fma_f32 v5, 0x3fb8aa3b, v1, -v2
	v_dual_sub_f32 v2, v2, v3 :: v_dual_fmamk_f32 v5, v1, 0x32a5705f, v5
	v_cvt_i32_f32_e32 v3, v3
	s_delay_alu instid0(VALU_DEP_2) | instskip(NEXT) | instid1(VALU_DEP_1)
	v_add_f32_e32 v2, v2, v5
	v_exp_f32_e32 v2, v2
	v_nop
	s_delay_alu instid0(TRANS32_DEP_1) | instskip(NEXT) | instid1(VALU_DEP_1)
	v_ldexp_f32 v2, v2, v3
	v_cndmask_b32_e32 v2, 0, v2, vcc_lo
	v_cmp_nlt_f32_e32 vcc_lo, 0x42b17218, v1
	s_delay_alu instid0(VALU_DEP_2) | instskip(NEXT) | instid1(VALU_DEP_1)
	v_cndmask_b32_e32 v5, 0x7f800000, v2, vcc_lo
	v_add_f32_e32 v1, 1.0, v5
	s_delay_alu instid0(VALU_DEP_1) | instskip(NEXT) | instid1(VALU_DEP_1)
	v_cvt_f64_f32_e32 v[2:3], v1
	v_frexp_exp_i32_f64_e32 v2, v[2:3]
	v_frexp_mant_f32_e32 v3, v1
	s_delay_alu instid0(VALU_DEP_1) | instskip(NEXT) | instid1(VALU_DEP_3)
	v_cmp_gt_f32_e32 vcc_lo, 0x3f2aaaab, v3
	v_subrev_co_ci_u32_e64 v10, null, 0, v2, vcc_lo
	v_add_f32_e32 v2, -1.0, v1
	v_cmp_neq_f32_e32 vcc_lo, 0x7f800000, v5
	s_delay_alu instid0(VALU_DEP_2) | instskip(SKIP_1) | instid1(VALU_DEP_2)
	v_dual_sub_f32 v6, v2, v1 :: v_dual_sub_nc_u32 v3, 0, v10
	v_sub_f32_e32 v2, v5, v2
	v_ldexp_f32 v1, v1, v3
	s_delay_alu instid0(VALU_DEP_1) | instskip(NEXT) | instid1(VALU_DEP_1)
	v_dual_add_f32 v6, 1.0, v6 :: v_dual_add_f32 v9, -1.0, v1
	v_dual_add_f32 v7, 1.0, v1 :: v_dual_add_f32 v2, v2, v6
	s_delay_alu instid0(VALU_DEP_1) | instskip(NEXT) | instid1(VALU_DEP_2)
	v_add_f32_e32 v6, -1.0, v7
	v_ldexp_f32 v2, v2, v3
	s_delay_alu instid0(VALU_DEP_2) | instskip(NEXT) | instid1(VALU_DEP_1)
	v_dual_sub_f32 v3, v1, v6 :: v_dual_add_f32 v6, 1.0, v9
	v_dual_add_f32 v8, v2, v3 :: v_dual_sub_f32 v1, v1, v6
	s_delay_alu instid0(VALU_DEP_1) | instskip(NEXT) | instid1(VALU_DEP_1)
	v_dual_add_f32 v11, v7, v8 :: v_dual_add_f32 v1, v2, v1
	v_rcp_f32_e32 v12, v11
	s_delay_alu instid0(VALU_DEP_1)
	v_dual_add_f32 v3, v9, v1 :: v_dual_sub_f32 v2, v7, v11
	s_delay_alu instid0(TRANS32_DEP_1) | instid1(VALU_DEP_1)
	v_dual_sub_f32 v15, v9, v3 :: v_dual_mul_f32 v13, v3, v12
	s_delay_alu instid0(VALU_DEP_1) | instskip(NEXT) | instid1(VALU_DEP_2)
	v_dual_add_f32 v14, v8, v2 :: v_dual_add_f32 v1, v1, v15
	v_mul_f32_e32 v6, v11, v13
	s_delay_alu instid0(VALU_DEP_1) | instskip(NEXT) | instid1(VALU_DEP_1)
	v_fma_f32 v8, v13, v11, -v6
	v_fmac_f32_e32 v8, v13, v14
	s_delay_alu instid0(VALU_DEP_1) | instskip(NEXT) | instid1(VALU_DEP_1)
	v_add_f32_e32 v2, v6, v8
	v_dual_sub_f32 v7, v3, v2 :: v_dual_mov_b32 v9, v2
	s_delay_alu instid0(VALU_DEP_1) | instskip(NEXT) | instid1(VALU_DEP_1)
	v_pk_add_f32 v[2:3], v[2:3], v[6:7] neg_lo:[0,1] neg_hi:[0,1]
	v_pk_add_f32 v[2:3], v[2:3], v[8:9] neg_lo:[0,1] neg_hi:[0,1]
	s_delay_alu instid0(VALU_DEP_1) | instskip(NEXT) | instid1(VALU_DEP_1)
	v_add_f32_e32 v1, v1, v3
	v_add_f32_e32 v1, v2, v1
	s_delay_alu instid0(VALU_DEP_1) | instskip(NEXT) | instid1(VALU_DEP_1)
	v_add_f32_e32 v3, v7, v1
	v_mul_f32_e32 v15, v12, v3
	s_delay_alu instid0(VALU_DEP_1) | instskip(NEXT) | instid1(VALU_DEP_1)
	v_mul_f32_e32 v8, v11, v15
	v_fma_f32 v6, v15, v11, -v8
	s_delay_alu instid0(VALU_DEP_1) | instskip(NEXT) | instid1(VALU_DEP_1)
	v_fmac_f32_e32 v6, v15, v14
	v_dual_add_f32 v2, v8, v6 :: v_dual_sub_f32 v11, v7, v3
	s_delay_alu instid0(VALU_DEP_1) | instskip(SKIP_1) | instid1(VALU_DEP_1)
	v_dual_mov_b32 v7, v2 :: v_dual_add_f32 v1, v1, v11
	v_sub_f32_e32 v9, v3, v2
	v_pk_add_f32 v[2:3], v[2:3], v[8:9] neg_lo:[0,1] neg_hi:[0,1]
	v_add_f32_e32 v8, v13, v15
	s_delay_alu instid0(VALU_DEP_2) | instskip(SKIP_1) | instid1(VALU_DEP_2)
	v_pk_add_f32 v[2:3], v[2:3], v[6:7] neg_lo:[0,1] neg_hi:[0,1]
	v_cvt_f32_i32_e32 v6, v10
	v_add_f32_e32 v1, v1, v3
	s_delay_alu instid0(VALU_DEP_1) | instskip(SKIP_1) | instid1(VALU_DEP_1)
	v_add_f32_e32 v1, v2, v1
	v_sub_f32_e32 v2, v8, v13
	v_dual_add_f32 v1, v9, v1 :: v_dual_sub_f32 v2, v15, v2
	s_delay_alu instid0(VALU_DEP_1) | instskip(NEXT) | instid1(VALU_DEP_1)
	v_mul_f32_e32 v1, v12, v1
	v_dual_add_f32 v1, v2, v1 :: v_dual_mov_b32 v2, 0x3f317218
	s_delay_alu instid0(VALU_DEP_1) | instskip(NEXT) | instid1(VALU_DEP_1)
	v_add_f32_e32 v9, v8, v1
	v_mul_f32_e32 v3, v9, v9
	s_delay_alu instid0(VALU_DEP_1) | instskip(SKIP_1) | instid1(VALU_DEP_2)
	v_fmaak_f32 v11, s14, v3, 0x3ecc95a3
	v_mul_f32_e32 v7, v9, v3
	v_fmaak_f32 v3, v3, v11, 0x3f2aaada
	s_delay_alu instid0(VALU_DEP_1) | instskip(NEXT) | instid1(VALU_DEP_1)
	v_pk_mul_f32 v[2:3], v[6:7], v[2:3]
	v_fma_f32 v10, 0x3f317218, v6, -v2
	s_delay_alu instid0(VALU_DEP_1) | instskip(SKIP_2) | instid1(VALU_DEP_2)
	v_fmamk_f32 v6, v6, 0xb102e308, v10
	v_ldexp_f32 v7, v9, 1
	v_sub_f32_e32 v10, v9, v8
	v_pk_add_f32 v[8:9], v[2:3], v[6:7]
	s_delay_alu instid0(VALU_DEP_1) | instskip(NEXT) | instid1(VALU_DEP_3)
	v_sub_f32_e32 v7, v9, v7
	v_dual_sub_f32 v1, v1, v10 :: v_dual_mov_b32 v10, v2
	s_delay_alu instid0(VALU_DEP_2) | instskip(NEXT) | instid1(VALU_DEP_2)
	v_sub_f32_e32 v7, v3, v7
	v_ldexp_f32 v1, v1, 1
	v_pk_add_f32 v[2:3], v[8:9], v[2:3] neg_lo:[0,1] neg_hi:[0,1]
	s_delay_alu instid0(VALU_DEP_2) | instskip(NEXT) | instid1(VALU_DEP_1)
	v_dual_add_f32 v11, v1, v7 :: v_dual_mov_b32 v7, v8
	v_pk_add_f32 v[12:13], v[8:9], v[10:11]
	s_delay_alu instid0(VALU_DEP_1) | instskip(NEXT) | instid1(VALU_DEP_1)
	v_dual_mov_b32 v18, v9 :: v_dual_mov_b32 v3, v13
	v_pk_add_f32 v[14:15], v[6:7], v[2:3]
	s_delay_alu instid0(VALU_DEP_1) | instskip(SKIP_2) | instid1(VALU_DEP_3)
	v_dual_mov_b32 v14, v13 :: v_dual_mov_b32 v10, v15
	v_pk_add_f32 v[2:3], v[6:7], v[2:3] neg_lo:[0,1] neg_hi:[0,1]
	v_mov_b32_e32 v3, v15
	v_pk_add_f32 v[16:17], v[10:11], v[8:9] neg_lo:[0,1] neg_hi:[0,1]
	v_dual_mov_b32 v9, v8 :: v_dual_mov_b32 v8, v11
	s_delay_alu instid0(VALU_DEP_2) | instskip(NEXT) | instid1(VALU_DEP_1)
	v_dual_mov_b32 v1, v16 :: v_dual_mov_b32 v19, v16
	v_pk_add_f32 v[12:13], v[12:13], v[0:1] neg_lo:[0,1] neg_hi:[0,1]
	s_delay_alu instid0(VALU_DEP_2) | instskip(SKIP_1) | instid1(VALU_DEP_2)
	v_pk_add_f32 v[6:7], v[14:15], v[18:19] neg_lo:[0,1] neg_hi:[0,1]
	v_mov_b32_e32 v12, v2
	v_pk_add_f32 v[6:7], v[8:9], v[6:7] neg_lo:[0,1] neg_hi:[0,1]
	s_delay_alu instid0(VALU_DEP_1) | instskip(NEXT) | instid1(VALU_DEP_1)
	v_pk_add_f32 v[8:9], v[12:13], v[6:7]
	v_mov_b32_e32 v12, v9
	s_delay_alu instid0(VALU_DEP_1) | instskip(NEXT) | instid1(VALU_DEP_1)
	v_pk_add_f32 v[12:13], v[8:9], v[12:13]
	v_pk_add_f32 v[10:11], v[10:11], v[12:13]
	s_delay_alu instid0(VALU_DEP_1) | instskip(NEXT) | instid1(VALU_DEP_1)
	v_mov_b32_e32 v9, v10
	v_pk_add_f32 v[14:15], v[8:9], v[2:3] neg_lo:[0,1] neg_hi:[0,1]
	s_delay_alu instid0(VALU_DEP_1) | instskip(NEXT) | instid1(VALU_DEP_1)
	v_sub_f32_e32 v1, v8, v14
	v_dual_mov_b32 v7, v12 :: v_dual_sub_f32 v1, v2, v1
	s_delay_alu instid0(VALU_DEP_1) | instskip(NEXT) | instid1(VALU_DEP_1)
	v_pk_add_f32 v[6:7], v[6:7], v[14:15] neg_lo:[0,1] neg_hi:[0,1]
	v_add_f32_e32 v1, v6, v1
	s_delay_alu instid0(VALU_DEP_1) | instskip(NEXT) | instid1(VALU_DEP_1)
	v_add_f32_e32 v1, v1, v7
	v_add_f32_e32 v1, v10, v1
	s_delay_alu instid0(VALU_DEP_1) | instskip(SKIP_1) | instid1(VALU_DEP_2)
	v_cndmask_b32_e32 v1, 0x7f800000, v1, vcc_lo
	v_cmp_gt_f32_e64 vcc_lo, 0x33800000, |v5|
	v_cndmask_b32_e32 v1, v1, v5, vcc_lo
	s_delay_alu instid0(VALU_DEP_1) | instskip(NEXT) | instid1(VALU_DEP_1)
	v_div_scale_f32 v2, null, s10, s10, v1
	v_rcp_f32_e32 v3, v2
	v_nop
	s_delay_alu instid0(TRANS32_DEP_1) | instskip(NEXT) | instid1(VALU_DEP_1)
	v_fma_f32 v5, -v2, v3, 1.0
	v_fmac_f32_e32 v3, v5, v3
	v_div_scale_f32 v5, vcc_lo, v1, s10, v1
	s_delay_alu instid0(VALU_DEP_1) | instskip(NEXT) | instid1(VALU_DEP_1)
	v_mul_f32_e32 v6, v5, v3
	v_fma_f32 v7, -v2, v6, v5
	s_delay_alu instid0(VALU_DEP_1) | instskip(NEXT) | instid1(VALU_DEP_1)
	v_fmac_f32_e32 v6, v7, v3
	v_fma_f32 v2, -v2, v6, v5
	s_delay_alu instid0(VALU_DEP_1) | instskip(NEXT) | instid1(VALU_DEP_1)
	v_div_fmas_f32 v2, v2, v3, v6
	v_div_fixup_f32 v1, v2, s10, v1
	s_delay_alu instid0(VALU_DEP_1)
	v_cvt_f16_f32_e32 v5, v1
.LBB24_1167:
	s_or_b32 exec_lo, exec_lo, s3
	s_lshl_b32 s3, s9, 7
	s_cmp_lt_i32 s0, 11
	v_add_nc_u32_e32 v0, s3, v0
	s_delay_alu instid0(VALU_DEP_1) | instskip(NEXT) | instid1(VALU_DEP_1)
	v_ashrrev_i32_e32 v1, 31, v0
	v_add_nc_u64_e32 v[2:3], s[6:7], v[0:1]
	s_cbranch_scc1 .LBB24_1174
; %bb.1168:
	s_cmp_gt_i32 s0, 25
	s_mov_b32 s14, 0
	s_cbranch_scc0 .LBB24_1176
; %bb.1169:
	s_cmp_gt_i32 s0, 28
	s_cbranch_scc0 .LBB24_1177
; %bb.1170:
	s_cmp_gt_i32 s0, 43
	;; [unrolled: 3-line block ×3, first 2 shown]
	s_cbranch_scc0 .LBB24_1180
; %bb.1172:
	s_cmp_eq_u32 s0, 46
	s_mov_b32 s16, 0
	s_cbranch_scc0 .LBB24_1183
; %bb.1173:
	global_load_b32 v1, v[2:3], off
	s_mov_b32 s9, 0
	s_mov_b32 s15, -1
	s_wait_loadcnt 0x0
	v_lshlrev_b32_e32 v1, 16, v1
	s_delay_alu instid0(VALU_DEP_1)
	v_cvt_f16_f32_e32 v6, v1
	s_branch .LBB24_1185
.LBB24_1174:
	s_mov_b32 s15, 0
                                        ; implicit-def: $vgpr6
	s_cbranch_execnz .LBB24_1250
.LBB24_1175:
	s_and_not1_b32 vcc_lo, exec_lo, s15
	s_cbranch_vccnz .LBB24_1642
	s_branch .LBB24_1297
.LBB24_1176:
	s_mov_b32 s15, 0
	s_mov_b32 s9, 0
                                        ; implicit-def: $vgpr6
	s_cbranch_execnz .LBB24_1214
	s_branch .LBB24_1246
.LBB24_1177:
	s_mov_b32 s16, -1
	s_mov_b32 s15, 0
	s_mov_b32 s9, 0
                                        ; implicit-def: $vgpr6
	s_branch .LBB24_1195
.LBB24_1178:
	s_mov_b32 s16, -1
	s_mov_b32 s15, 0
	s_mov_b32 s9, 0
                                        ; implicit-def: $vgpr6
	s_branch .LBB24_1190
.LBB24_1179:
	s_or_b32 s1, s13, exec_lo
	s_trap 2
	s_cbranch_execz .LBB24_1118
	s_branch .LBB24_1119
.LBB24_1180:
	s_mov_b32 s16, -1
	s_mov_b32 s15, 0
	s_mov_b32 s9, 0
	s_branch .LBB24_1184
.LBB24_1181:
	s_and_not1_saveexec_b32 s21, s21
	s_cbranch_execz .LBB24_964
.LBB24_1182:
	v_add_f32_e64 v4, 0x42800000, |v3|
	s_and_not1_b32 s20, s20, exec_lo
	s_delay_alu instid0(VALU_DEP_1) | instskip(NEXT) | instid1(VALU_DEP_1)
	v_and_b32_e32 v4, 0xff, v4
	v_cmp_ne_u32_e32 vcc_lo, 0, v4
	s_and_b32 s22, vcc_lo, exec_lo
	s_delay_alu instid0(SALU_CYCLE_1)
	s_or_b32 s20, s20, s22
	s_or_b32 exec_lo, exec_lo, s21
	v_mov_b32_e32 v5, 0
	s_and_saveexec_b32 s21, s20
	s_cbranch_execnz .LBB24_965
	s_branch .LBB24_966
.LBB24_1183:
	s_mov_b32 s9, -1
	s_mov_b32 s15, 0
.LBB24_1184:
                                        ; implicit-def: $vgpr6
.LBB24_1185:
	s_and_b32 vcc_lo, exec_lo, s16
	s_cbranch_vccz .LBB24_1189
; %bb.1186:
	s_cmp_eq_u32 s0, 44
	s_cbranch_scc0 .LBB24_1188
; %bb.1187:
	global_load_u8 v1, v[2:3], off
	s_mov_b32 s9, 0
	s_mov_b32 s15, -1
	s_wait_loadcnt 0x0
	v_lshlrev_b32_e32 v6, 23, v1
	v_cmp_ne_u32_e32 vcc_lo, 0xff, v1
	s_delay_alu instid0(VALU_DEP_2) | instskip(NEXT) | instid1(VALU_DEP_1)
	v_cvt_f16_f32_e32 v6, v6
	v_cndmask_b32_e32 v6, 0x7e00, v6, vcc_lo
	v_cmp_ne_u32_e32 vcc_lo, 0, v1
	s_delay_alu instid0(VALU_DEP_2)
	v_cndmask_b32_e32 v6, 0, v6, vcc_lo
	s_branch .LBB24_1189
.LBB24_1188:
	s_mov_b32 s9, -1
                                        ; implicit-def: $vgpr6
.LBB24_1189:
	s_mov_b32 s16, 0
.LBB24_1190:
	s_delay_alu instid0(SALU_CYCLE_1)
	s_and_b32 vcc_lo, exec_lo, s16
	s_cbranch_vccz .LBB24_1194
; %bb.1191:
	s_cmp_eq_u32 s0, 29
	s_cbranch_scc0 .LBB24_1193
; %bb.1192:
	global_load_b64 v[6:7], v[2:3], off
	s_mov_b32 s9, 0
	s_mov_b32 s15, -1
	s_mov_b32 s16, 0
	s_wait_loadcnt 0x0
	v_clz_i32_u32_e32 v1, v7
	s_delay_alu instid0(VALU_DEP_1) | instskip(NEXT) | instid1(VALU_DEP_1)
	v_min_u32_e32 v1, 32, v1
	v_lshlrev_b64_e32 v[6:7], v1, v[6:7]
	v_sub_nc_u32_e32 v1, 32, v1
	s_delay_alu instid0(VALU_DEP_2) | instskip(NEXT) | instid1(VALU_DEP_1)
	v_min_u32_e32 v6, 1, v6
	v_or_b32_e32 v6, v7, v6
	s_delay_alu instid0(VALU_DEP_1) | instskip(NEXT) | instid1(VALU_DEP_1)
	v_cvt_f32_u32_e32 v6, v6
	v_ldexp_f32 v1, v6, v1
	s_delay_alu instid0(VALU_DEP_1)
	v_cvt_f16_f32_e32 v6, v1
	s_branch .LBB24_1195
.LBB24_1193:
	s_mov_b32 s9, -1
                                        ; implicit-def: $vgpr6
.LBB24_1194:
	s_mov_b32 s16, 0
.LBB24_1195:
	s_delay_alu instid0(SALU_CYCLE_1)
	s_and_b32 vcc_lo, exec_lo, s16
	s_cbranch_vccz .LBB24_1213
; %bb.1196:
	s_cmp_lt_i32 s0, 27
	s_cbranch_scc1 .LBB24_1199
; %bb.1197:
	s_cmp_gt_i32 s0, 27
	s_cbranch_scc0 .LBB24_1200
; %bb.1198:
	global_load_b32 v1, v[2:3], off
	s_mov_b32 s15, 0
	s_wait_loadcnt 0x0
	v_cvt_f32_u32_e32 v1, v1
	s_delay_alu instid0(VALU_DEP_1)
	v_cvt_f16_f32_e32 v6, v1
	s_branch .LBB24_1201
.LBB24_1199:
	s_mov_b32 s15, -1
                                        ; implicit-def: $vgpr6
	s_branch .LBB24_1204
.LBB24_1200:
	s_mov_b32 s15, -1
                                        ; implicit-def: $vgpr6
.LBB24_1201:
	s_delay_alu instid0(SALU_CYCLE_1)
	s_and_not1_b32 vcc_lo, exec_lo, s15
	s_cbranch_vccnz .LBB24_1203
; %bb.1202:
	global_load_u16 v1, v[2:3], off
	s_wait_loadcnt 0x0
	v_cvt_f16_u16_e32 v6, v1
.LBB24_1203:
	s_mov_b32 s15, 0
.LBB24_1204:
	s_delay_alu instid0(SALU_CYCLE_1)
	s_and_not1_b32 vcc_lo, exec_lo, s15
	s_cbranch_vccnz .LBB24_1212
; %bb.1205:
	global_load_u8 v1, v[2:3], off
	s_mov_b32 s15, 0
	s_mov_b32 s16, exec_lo
	s_wait_loadcnt 0x0
	v_cmpx_lt_i16_e32 0x7f, v1
	s_xor_b32 s16, exec_lo, s16
	s_cbranch_execz .LBB24_1225
; %bb.1206:
	s_mov_b32 s15, -1
	s_mov_b32 s17, exec_lo
	v_cmpx_eq_u16_e32 0x80, v1
; %bb.1207:
	s_xor_b32 s15, exec_lo, -1
; %bb.1208:
	s_or_b32 exec_lo, exec_lo, s17
	s_delay_alu instid0(SALU_CYCLE_1)
	s_and_b32 s15, s15, exec_lo
	s_or_saveexec_b32 s16, s16
	v_mov_b32_e32 v6, 0x7e00
	s_xor_b32 exec_lo, exec_lo, s16
	s_cbranch_execnz .LBB24_1226
.LBB24_1209:
	s_or_b32 exec_lo, exec_lo, s16
	s_and_saveexec_b32 s16, s15
	s_cbranch_execz .LBB24_1211
.LBB24_1210:
	v_and_b32_e32 v6, 0xffff, v1
	s_delay_alu instid0(VALU_DEP_1) | instskip(SKIP_1) | instid1(VALU_DEP_2)
	v_and_b32_e32 v7, 7, v6
	v_bfe_u32 v10, v6, 3, 4
	v_clz_i32_u32_e32 v8, v7
	s_delay_alu instid0(VALU_DEP_2) | instskip(NEXT) | instid1(VALU_DEP_2)
	v_cmp_eq_u32_e32 vcc_lo, 0, v10
	v_min_u32_e32 v8, 32, v8
	s_delay_alu instid0(VALU_DEP_1) | instskip(NEXT) | instid1(VALU_DEP_1)
	v_subrev_nc_u32_e32 v9, 28, v8
	v_dual_lshlrev_b32 v6, v9, v6 :: v_dual_sub_nc_u32 v8, 29, v8
	s_delay_alu instid0(VALU_DEP_1) | instskip(NEXT) | instid1(VALU_DEP_1)
	v_dual_lshlrev_b32 v1, 24, v1 :: v_dual_bitop2_b32 v6, 7, v6 bitop3:0x40
	v_dual_cndmask_b32 v8, v10, v8, vcc_lo :: v_dual_cndmask_b32 v6, v7, v6, vcc_lo
	s_delay_alu instid0(VALU_DEP_2) | instskip(NEXT) | instid1(VALU_DEP_2)
	v_and_b32_e32 v1, 0x80000000, v1
	v_lshl_add_u32 v7, v8, 23, 0x3b800000
	s_delay_alu instid0(VALU_DEP_3) | instskip(NEXT) | instid1(VALU_DEP_1)
	v_lshlrev_b32_e32 v6, 20, v6
	v_or3_b32 v1, v1, v7, v6
	s_delay_alu instid0(VALU_DEP_1)
	v_cvt_f16_f32_e32 v6, v1
.LBB24_1211:
	s_or_b32 exec_lo, exec_lo, s16
.LBB24_1212:
	s_mov_b32 s15, -1
.LBB24_1213:
	s_branch .LBB24_1246
.LBB24_1214:
	s_cmp_gt_i32 s0, 22
	s_cbranch_scc0 .LBB24_1224
; %bb.1215:
	s_cmp_lt_i32 s0, 24
	s_cbranch_scc1 .LBB24_1227
; %bb.1216:
	s_cmp_gt_i32 s0, 24
	s_cbranch_scc0 .LBB24_1228
; %bb.1217:
	global_load_u8 v1, v[2:3], off
	s_mov_b32 s15, exec_lo
	s_wait_loadcnt 0x0
	v_cmpx_lt_i16_e32 0x7f, v1
	s_xor_b32 s15, exec_lo, s15
	s_cbranch_execz .LBB24_1240
; %bb.1218:
	s_mov_b32 s14, -1
	s_mov_b32 s16, exec_lo
	v_cmpx_eq_u16_e32 0x80, v1
; %bb.1219:
	s_xor_b32 s14, exec_lo, -1
; %bb.1220:
	s_or_b32 exec_lo, exec_lo, s16
	s_delay_alu instid0(SALU_CYCLE_1)
	s_and_b32 s14, s14, exec_lo
	s_or_saveexec_b32 s15, s15
	v_mov_b32_e32 v6, 0x7e00
	s_xor_b32 exec_lo, exec_lo, s15
	s_cbranch_execnz .LBB24_1241
.LBB24_1221:
	s_or_b32 exec_lo, exec_lo, s15
	s_and_saveexec_b32 s15, s14
	s_cbranch_execz .LBB24_1223
.LBB24_1222:
	v_and_b32_e32 v6, 0xffff, v1
	s_delay_alu instid0(VALU_DEP_1) | instskip(SKIP_1) | instid1(VALU_DEP_2)
	v_and_b32_e32 v7, 3, v6
	v_bfe_u32 v10, v6, 2, 5
	v_clz_i32_u32_e32 v8, v7
	s_delay_alu instid0(VALU_DEP_2) | instskip(NEXT) | instid1(VALU_DEP_2)
	v_cmp_eq_u32_e32 vcc_lo, 0, v10
	v_min_u32_e32 v8, 32, v8
	s_delay_alu instid0(VALU_DEP_1) | instskip(NEXT) | instid1(VALU_DEP_1)
	v_subrev_nc_u32_e32 v9, 29, v8
	v_dual_lshlrev_b32 v6, v9, v6 :: v_dual_sub_nc_u32 v8, 30, v8
	s_delay_alu instid0(VALU_DEP_1) | instskip(NEXT) | instid1(VALU_DEP_1)
	v_dual_lshlrev_b32 v1, 24, v1 :: v_dual_bitop2_b32 v6, 3, v6 bitop3:0x40
	v_dual_cndmask_b32 v8, v10, v8, vcc_lo :: v_dual_cndmask_b32 v6, v7, v6, vcc_lo
	s_delay_alu instid0(VALU_DEP_2) | instskip(NEXT) | instid1(VALU_DEP_2)
	v_and_b32_e32 v1, 0x80000000, v1
	v_lshl_add_u32 v7, v8, 23, 0x37800000
	s_delay_alu instid0(VALU_DEP_3) | instskip(NEXT) | instid1(VALU_DEP_1)
	v_lshlrev_b32_e32 v6, 21, v6
	v_or3_b32 v1, v1, v7, v6
	s_delay_alu instid0(VALU_DEP_1)
	v_cvt_f16_f32_e32 v6, v1
.LBB24_1223:
	s_or_b32 exec_lo, exec_lo, s15
	s_mov_b32 s14, 0
	s_branch .LBB24_1229
.LBB24_1224:
	s_mov_b32 s14, -1
                                        ; implicit-def: $vgpr6
	s_branch .LBB24_1235
.LBB24_1225:
	s_or_saveexec_b32 s16, s16
	v_mov_b32_e32 v6, 0x7e00
	s_xor_b32 exec_lo, exec_lo, s16
	s_cbranch_execz .LBB24_1209
.LBB24_1226:
	v_cmp_ne_u16_e32 vcc_lo, 0, v1
	v_mov_b32_e32 v6, v1
	s_and_not1_b32 s15, s15, exec_lo
	s_and_b32 s17, vcc_lo, exec_lo
	s_delay_alu instid0(SALU_CYCLE_1)
	s_or_b32 s15, s15, s17
	s_or_b32 exec_lo, exec_lo, s16
	s_and_saveexec_b32 s16, s15
	s_cbranch_execnz .LBB24_1210
	s_branch .LBB24_1211
.LBB24_1227:
	s_mov_b32 s14, -1
                                        ; implicit-def: $vgpr6
	s_branch .LBB24_1232
.LBB24_1228:
	s_mov_b32 s14, -1
                                        ; implicit-def: $vgpr6
.LBB24_1229:
	s_delay_alu instid0(SALU_CYCLE_1)
	s_and_b32 vcc_lo, exec_lo, s14
	s_cbranch_vccz .LBB24_1231
; %bb.1230:
	global_load_u8 v1, v[2:3], off
	s_wait_loadcnt 0x0
	v_lshlrev_b32_e32 v1, 24, v1
	s_delay_alu instid0(VALU_DEP_1) | instskip(NEXT) | instid1(VALU_DEP_1)
	v_and_b32_e32 v6, 0x7f000000, v1
	v_clz_i32_u32_e32 v7, v6
	v_cmp_ne_u32_e32 vcc_lo, 0, v6
	v_add_nc_u32_e32 v9, 0x1000000, v6
	s_delay_alu instid0(VALU_DEP_3) | instskip(NEXT) | instid1(VALU_DEP_1)
	v_min_u32_e32 v7, 32, v7
	v_sub_nc_u32_e64 v7, v7, 4 clamp
	s_delay_alu instid0(VALU_DEP_1) | instskip(NEXT) | instid1(VALU_DEP_1)
	v_dual_lshlrev_b32 v8, v7, v6 :: v_dual_lshlrev_b32 v7, 23, v7
	v_lshrrev_b32_e32 v8, 4, v8
	s_delay_alu instid0(VALU_DEP_1) | instskip(NEXT) | instid1(VALU_DEP_1)
	v_dual_sub_nc_u32 v7, v8, v7 :: v_dual_ashrrev_i32 v8, 8, v9
	v_add_nc_u32_e32 v7, 0x3c000000, v7
	s_delay_alu instid0(VALU_DEP_1) | instskip(NEXT) | instid1(VALU_DEP_1)
	v_and_or_b32 v7, 0x7f800000, v8, v7
	v_cndmask_b32_e32 v6, 0, v7, vcc_lo
	s_delay_alu instid0(VALU_DEP_1) | instskip(NEXT) | instid1(VALU_DEP_1)
	v_and_or_b32 v1, 0x80000000, v1, v6
	v_cvt_f16_f32_e32 v6, v1
.LBB24_1231:
	s_mov_b32 s14, 0
.LBB24_1232:
	s_delay_alu instid0(SALU_CYCLE_1)
	s_and_not1_b32 vcc_lo, exec_lo, s14
	s_cbranch_vccnz .LBB24_1234
; %bb.1233:
	global_load_u8 v1, v[2:3], off
	s_wait_loadcnt 0x0
	v_lshlrev_b32_e32 v6, 25, v1
	v_lshlrev_b16 v1, 8, v1
	s_delay_alu instid0(VALU_DEP_1) | instskip(SKIP_1) | instid1(VALU_DEP_2)
	v_and_or_b32 v8, 0x7f00, v1, 0.5
	v_bfe_i32 v1, v1, 0, 16
	v_dual_add_f32 v8, -0.5, v8 :: v_dual_lshrrev_b32 v7, 4, v6
	v_cmp_gt_u32_e32 vcc_lo, 0x8000000, v6
	s_delay_alu instid0(VALU_DEP_2) | instskip(NEXT) | instid1(VALU_DEP_1)
	v_or_b32_e32 v7, 0x70000000, v7
	v_mul_f32_e32 v7, 0x7800000, v7
	s_delay_alu instid0(VALU_DEP_1) | instskip(NEXT) | instid1(VALU_DEP_1)
	v_cndmask_b32_e32 v6, v7, v8, vcc_lo
	v_and_or_b32 v1, 0x80000000, v1, v6
	s_delay_alu instid0(VALU_DEP_1)
	v_cvt_f16_f32_e32 v6, v1
.LBB24_1234:
	s_mov_b32 s14, 0
	s_mov_b32 s15, -1
.LBB24_1235:
	s_and_not1_b32 vcc_lo, exec_lo, s14
	s_mov_b32 s14, 0
	s_cbranch_vccnz .LBB24_1246
; %bb.1236:
	s_cmp_gt_i32 s0, 14
	s_cbranch_scc0 .LBB24_1239
; %bb.1237:
	s_cmp_eq_u32 s0, 15
	s_cbranch_scc0 .LBB24_1242
; %bb.1238:
	global_load_u16 v1, v[2:3], off
	s_mov_b32 s9, 0
	s_mov_b32 s15, -1
	s_wait_loadcnt 0x0
	v_lshlrev_b32_e32 v1, 16, v1
	s_delay_alu instid0(VALU_DEP_1)
	v_cvt_f16_f32_e32 v6, v1
	s_branch .LBB24_1244
.LBB24_1239:
	s_mov_b32 s14, -1
	s_branch .LBB24_1243
.LBB24_1240:
	s_or_saveexec_b32 s15, s15
	v_mov_b32_e32 v6, 0x7e00
	s_xor_b32 exec_lo, exec_lo, s15
	s_cbranch_execz .LBB24_1221
.LBB24_1241:
	v_cmp_ne_u16_e32 vcc_lo, 0, v1
	v_mov_b32_e32 v6, v1
	s_and_not1_b32 s14, s14, exec_lo
	s_and_b32 s16, vcc_lo, exec_lo
	s_delay_alu instid0(SALU_CYCLE_1)
	s_or_b32 s14, s14, s16
	s_or_b32 exec_lo, exec_lo, s15
	s_and_saveexec_b32 s15, s14
	s_cbranch_execnz .LBB24_1222
	s_branch .LBB24_1223
.LBB24_1242:
	s_mov_b32 s9, -1
.LBB24_1243:
                                        ; implicit-def: $vgpr6
.LBB24_1244:
	s_and_b32 vcc_lo, exec_lo, s14
	s_mov_b32 s14, 0
	s_cbranch_vccz .LBB24_1246
; %bb.1245:
	s_cmp_lg_u32 s0, 11
	s_mov_b32 s14, -1
	s_cselect_b32 s9, -1, 0
.LBB24_1246:
	s_delay_alu instid0(SALU_CYCLE_1)
	s_and_b32 vcc_lo, exec_lo, s9
	s_cbranch_vccnz .LBB24_1311
; %bb.1247:
	s_and_not1_b32 vcc_lo, exec_lo, s14
	s_cbranch_vccnz .LBB24_1249
.LBB24_1248:
	global_load_u8 v1, v[2:3], off
	s_mov_b32 s15, -1
	s_wait_loadcnt 0x0
	v_cmp_ne_u16_e32 vcc_lo, 0, v1
	v_cndmask_b32_e64 v6, 0, 0x3c00, vcc_lo
.LBB24_1249:
	s_branch .LBB24_1175
.LBB24_1250:
	s_cmp_lt_i32 s0, 5
	s_cbranch_scc1 .LBB24_1255
; %bb.1251:
	s_cmp_lt_i32 s0, 8
	s_cbranch_scc1 .LBB24_1256
; %bb.1252:
	;; [unrolled: 3-line block ×3, first 2 shown]
	s_cmp_gt_i32 s0, 9
	s_cbranch_scc0 .LBB24_1258
; %bb.1254:
	global_load_b64 v[6:7], v[2:3], off
	s_mov_b32 s9, 0
	s_wait_loadcnt 0x0
	v_and_or_b32 v1, 0x1ff, v7, v6
	v_lshrrev_b32_e32 v6, 8, v7
	v_bfe_u32 v8, v7, 20, 11
	s_delay_alu instid0(VALU_DEP_3) | instskip(NEXT) | instid1(VALU_DEP_2)
	v_cmp_ne_u32_e32 vcc_lo, 0, v1
	v_sub_nc_u32_e32 v9, 0x3f1, v8
	v_add_nc_u32_e32 v8, 0xfffffc10, v8
	v_cndmask_b32_e64 v1, 0, 1, vcc_lo
	s_delay_alu instid0(VALU_DEP_1) | instskip(NEXT) | instid1(VALU_DEP_4)
	v_and_or_b32 v1, 0xffe, v6, v1
	v_med3_i32 v6, v9, 0, 13
	s_delay_alu instid0(VALU_DEP_2) | instskip(NEXT) | instid1(VALU_DEP_1)
	v_or_b32_e32 v9, 0x1000, v1
	v_lshrrev_b32_e32 v10, v6, v9
	s_delay_alu instid0(VALU_DEP_1) | instskip(NEXT) | instid1(VALU_DEP_1)
	v_lshlrev_b32_e32 v6, v6, v10
	v_cmp_ne_u32_e32 vcc_lo, v6, v9
	v_lshl_or_b32 v9, v8, 12, v1
	v_cndmask_b32_e64 v6, 0, 1, vcc_lo
	v_cmp_gt_i32_e32 vcc_lo, 1, v8
	s_delay_alu instid0(VALU_DEP_2) | instskip(NEXT) | instid1(VALU_DEP_1)
	v_or_b32_e32 v6, v10, v6
	v_cndmask_b32_e32 v6, v9, v6, vcc_lo
	s_delay_alu instid0(VALU_DEP_1) | instskip(NEXT) | instid1(VALU_DEP_1)
	v_dual_lshrrev_b32 v6, 2, v6 :: v_dual_bitop2_b32 v9, 7, v6 bitop3:0x40
	v_cmp_lt_i32_e32 vcc_lo, 5, v9
	v_cndmask_b32_e64 v10, 0, 1, vcc_lo
	v_cmp_eq_u32_e32 vcc_lo, 3, v9
	v_cndmask_b32_e64 v9, 0, 1, vcc_lo
	v_cmp_ne_u32_e32 vcc_lo, 0, v1
	s_delay_alu instid0(VALU_DEP_2) | instskip(SKIP_1) | instid1(VALU_DEP_1)
	v_or_b32_e32 v9, v9, v10
	v_mov_b32_e32 v10, 0x7e00
	v_dual_cndmask_b32 v1, 0x7c00, v10 :: v_dual_add_nc_u32 v6, v6, v9
	v_cmp_gt_i32_e32 vcc_lo, 31, v8
	s_delay_alu instid0(VALU_DEP_2) | instskip(SKIP_1) | instid1(VALU_DEP_2)
	v_cndmask_b32_e32 v6, 0x7c00, v6, vcc_lo
	v_cmp_eq_u32_e32 vcc_lo, 0x40f, v8
	v_dual_cndmask_b32 v1, v6, v1 :: v_dual_lshrrev_b32 v6, 16, v7
	s_delay_alu instid0(VALU_DEP_1)
	v_and_or_b32 v6, 0x8000, v6, v1
	s_branch .LBB24_1259
.LBB24_1255:
                                        ; implicit-def: $vgpr6
	s_branch .LBB24_1277
.LBB24_1256:
	s_mov_b32 s9, -1
                                        ; implicit-def: $vgpr6
	s_branch .LBB24_1265
.LBB24_1257:
	s_mov_b32 s9, -1
                                        ; implicit-def: $vgpr6
	s_branch .LBB24_1262
.LBB24_1258:
	s_mov_b32 s9, -1
                                        ; implicit-def: $vgpr6
.LBB24_1259:
	s_delay_alu instid0(SALU_CYCLE_1)
	s_and_not1_b32 vcc_lo, exec_lo, s9
	s_cbranch_vccnz .LBB24_1261
; %bb.1260:
	global_load_b32 v1, v[2:3], off
	s_wait_loadcnt 0x0
	v_cvt_f16_f32_e32 v6, v1
.LBB24_1261:
	s_mov_b32 s9, 0
.LBB24_1262:
	s_delay_alu instid0(SALU_CYCLE_1)
	s_and_not1_b32 vcc_lo, exec_lo, s9
	s_cbranch_vccnz .LBB24_1264
; %bb.1263:
	global_load_b32 v6, v[2:3], off
.LBB24_1264:
	s_mov_b32 s9, 0
.LBB24_1265:
	s_delay_alu instid0(SALU_CYCLE_1)
	s_and_not1_b32 vcc_lo, exec_lo, s9
	s_cbranch_vccnz .LBB24_1276
; %bb.1266:
	s_cmp_lt_i32 s0, 6
	s_cbranch_scc1 .LBB24_1269
; %bb.1267:
	s_cmp_gt_i32 s0, 6
	s_cbranch_scc0 .LBB24_1270
; %bb.1268:
	s_wait_loadcnt 0x0
	global_load_b64 v[6:7], v[2:3], off
	s_mov_b32 s9, 0
	s_wait_loadcnt 0x0
	v_and_or_b32 v1, 0x1ff, v7, v6
	v_lshrrev_b32_e32 v6, 8, v7
	v_bfe_u32 v8, v7, 20, 11
	s_delay_alu instid0(VALU_DEP_3) | instskip(NEXT) | instid1(VALU_DEP_2)
	v_cmp_ne_u32_e32 vcc_lo, 0, v1
	v_sub_nc_u32_e32 v9, 0x3f1, v8
	v_add_nc_u32_e32 v8, 0xfffffc10, v8
	v_cndmask_b32_e64 v1, 0, 1, vcc_lo
	s_delay_alu instid0(VALU_DEP_1) | instskip(NEXT) | instid1(VALU_DEP_4)
	v_and_or_b32 v1, 0xffe, v6, v1
	v_med3_i32 v6, v9, 0, 13
	s_delay_alu instid0(VALU_DEP_2) | instskip(NEXT) | instid1(VALU_DEP_1)
	v_or_b32_e32 v9, 0x1000, v1
	v_lshrrev_b32_e32 v10, v6, v9
	s_delay_alu instid0(VALU_DEP_1) | instskip(NEXT) | instid1(VALU_DEP_1)
	v_lshlrev_b32_e32 v6, v6, v10
	v_cmp_ne_u32_e32 vcc_lo, v6, v9
	v_lshl_or_b32 v9, v8, 12, v1
	v_cndmask_b32_e64 v6, 0, 1, vcc_lo
	v_cmp_gt_i32_e32 vcc_lo, 1, v8
	s_delay_alu instid0(VALU_DEP_2) | instskip(NEXT) | instid1(VALU_DEP_1)
	v_or_b32_e32 v6, v10, v6
	v_cndmask_b32_e32 v6, v9, v6, vcc_lo
	s_delay_alu instid0(VALU_DEP_1) | instskip(NEXT) | instid1(VALU_DEP_1)
	v_dual_lshrrev_b32 v6, 2, v6 :: v_dual_bitop2_b32 v9, 7, v6 bitop3:0x40
	v_cmp_lt_i32_e32 vcc_lo, 5, v9
	v_cndmask_b32_e64 v10, 0, 1, vcc_lo
	v_cmp_eq_u32_e32 vcc_lo, 3, v9
	v_cndmask_b32_e64 v9, 0, 1, vcc_lo
	v_cmp_ne_u32_e32 vcc_lo, 0, v1
	s_delay_alu instid0(VALU_DEP_2) | instskip(SKIP_1) | instid1(VALU_DEP_1)
	v_or_b32_e32 v9, v9, v10
	v_mov_b32_e32 v10, 0x7e00
	v_dual_cndmask_b32 v1, 0x7c00, v10 :: v_dual_add_nc_u32 v6, v6, v9
	v_cmp_gt_i32_e32 vcc_lo, 31, v8
	s_delay_alu instid0(VALU_DEP_2) | instskip(SKIP_1) | instid1(VALU_DEP_2)
	v_cndmask_b32_e32 v6, 0x7c00, v6, vcc_lo
	v_cmp_eq_u32_e32 vcc_lo, 0x40f, v8
	v_dual_cndmask_b32 v1, v6, v1 :: v_dual_lshrrev_b32 v6, 16, v7
	s_delay_alu instid0(VALU_DEP_1)
	v_and_or_b32 v6, 0x8000, v6, v1
	s_branch .LBB24_1271
.LBB24_1269:
	s_mov_b32 s9, -1
                                        ; implicit-def: $vgpr6
	s_branch .LBB24_1274
.LBB24_1270:
	s_mov_b32 s9, -1
                                        ; implicit-def: $vgpr6
.LBB24_1271:
	s_delay_alu instid0(SALU_CYCLE_1)
	s_and_not1_b32 vcc_lo, exec_lo, s9
	s_cbranch_vccnz .LBB24_1273
; %bb.1272:
	global_load_b32 v1, v[2:3], off
	s_wait_loadcnt 0x0
	v_cvt_f16_f32_e32 v6, v1
.LBB24_1273:
	s_mov_b32 s9, 0
.LBB24_1274:
	s_delay_alu instid0(SALU_CYCLE_1)
	s_and_not1_b32 vcc_lo, exec_lo, s9
	s_cbranch_vccnz .LBB24_1276
; %bb.1275:
	s_wait_loadcnt 0x0
	global_load_u16 v6, v[2:3], off
.LBB24_1276:
	s_cbranch_execnz .LBB24_1296
.LBB24_1277:
	s_cmp_lt_i32 s0, 2
	s_cbranch_scc1 .LBB24_1281
; %bb.1278:
	s_cmp_lt_i32 s0, 3
	s_cbranch_scc1 .LBB24_1282
; %bb.1279:
	s_cmp_gt_i32 s0, 3
	s_cbranch_scc0 .LBB24_1283
; %bb.1280:
	s_wait_loadcnt 0x0
	global_load_b64 v[6:7], v[2:3], off
	s_mov_b32 s9, 0
	s_wait_loadcnt 0x0
	v_xor_b32_e32 v1, v6, v7
	v_cls_i32_e32 v8, v7
	s_delay_alu instid0(VALU_DEP_2) | instskip(NEXT) | instid1(VALU_DEP_1)
	v_ashrrev_i32_e32 v1, 31, v1
	v_add_nc_u32_e32 v1, 32, v1
	s_delay_alu instid0(VALU_DEP_1) | instskip(NEXT) | instid1(VALU_DEP_1)
	v_add_min_u32_e64 v1, v8, -1, v1
	v_lshlrev_b64_e32 v[6:7], v1, v[6:7]
	v_sub_nc_u32_e32 v1, 32, v1
	s_delay_alu instid0(VALU_DEP_2) | instskip(NEXT) | instid1(VALU_DEP_1)
	v_min_u32_e32 v6, 1, v6
	v_or_b32_e32 v6, v7, v6
	s_delay_alu instid0(VALU_DEP_1) | instskip(NEXT) | instid1(VALU_DEP_1)
	v_cvt_f32_i32_e32 v6, v6
	v_ldexp_f32 v1, v6, v1
	s_delay_alu instid0(VALU_DEP_1)
	v_cvt_f16_f32_e32 v6, v1
	s_branch .LBB24_1284
.LBB24_1281:
	s_mov_b32 s9, -1
                                        ; implicit-def: $vgpr6
	s_branch .LBB24_1290
.LBB24_1282:
	s_mov_b32 s9, -1
                                        ; implicit-def: $vgpr6
	s_branch .LBB24_1287
.LBB24_1283:
	s_mov_b32 s9, -1
                                        ; implicit-def: $vgpr6
.LBB24_1284:
	s_delay_alu instid0(SALU_CYCLE_1)
	s_and_not1_b32 vcc_lo, exec_lo, s9
	s_cbranch_vccnz .LBB24_1286
; %bb.1285:
	global_load_b32 v1, v[2:3], off
	s_wait_loadcnt 0x0
	v_cvt_f32_i32_e32 v1, v1
	s_delay_alu instid0(VALU_DEP_1)
	v_cvt_f16_f32_e32 v6, v1
.LBB24_1286:
	s_mov_b32 s9, 0
.LBB24_1287:
	s_delay_alu instid0(SALU_CYCLE_1)
	s_and_not1_b32 vcc_lo, exec_lo, s9
	s_cbranch_vccnz .LBB24_1289
; %bb.1288:
	global_load_u16 v1, v[2:3], off
	s_wait_loadcnt 0x0
	v_cvt_f16_i16_e32 v6, v1
.LBB24_1289:
	s_mov_b32 s9, 0
.LBB24_1290:
	s_delay_alu instid0(SALU_CYCLE_1)
	s_and_not1_b32 vcc_lo, exec_lo, s9
	s_cbranch_vccnz .LBB24_1296
; %bb.1291:
	s_cmp_gt_i32 s0, 0
	s_mov_b32 s9, 0
	s_cbranch_scc0 .LBB24_1293
; %bb.1292:
	global_load_i8 v1, v[2:3], off
	s_wait_loadcnt 0x0
	v_cvt_f16_i16_e32 v6, v1
	s_branch .LBB24_1294
.LBB24_1293:
	s_mov_b32 s9, -1
                                        ; implicit-def: $vgpr6
.LBB24_1294:
	s_delay_alu instid0(SALU_CYCLE_1)
	s_and_not1_b32 vcc_lo, exec_lo, s9
	s_cbranch_vccnz .LBB24_1296
; %bb.1295:
	global_load_u8 v1, v[2:3], off
	s_wait_loadcnt 0x0
	v_cvt_f16_u16_e32 v6, v1
.LBB24_1296:
.LBB24_1297:
	s_wait_loadcnt 0x0
	s_delay_alu instid0(VALU_DEP_1) | instskip(SKIP_1) | instid1(VALU_DEP_1)
	v_cvt_f32_f16_e32 v1, v6
	s_mov_b32 s9, exec_lo
	v_mul_f32_e32 v1, s10, v1
	s_wait_xcnt 0x0
	s_delay_alu instid0(VALU_DEP_1)
	v_cmpx_nlt_f32_e32 s11, v1
	s_cbranch_execz .LBB24_1299
; %bb.1298:
	v_mul_f32_e32 v2, 0x3fb8aa3b, v1
	v_cmp_ngt_f32_e32 vcc_lo, 0xc2ce8ed0, v1
	s_mov_b32 s14, 0x3e9b6dac
	s_delay_alu instid0(VALU_DEP_2) | instskip(SKIP_1) | instid1(VALU_DEP_2)
	v_rndne_f32_e32 v3, v2
	v_fma_f32 v6, 0x3fb8aa3b, v1, -v2
	v_sub_f32_e32 v2, v2, v3
	s_delay_alu instid0(VALU_DEP_2) | instskip(SKIP_1) | instid1(VALU_DEP_2)
	v_fmamk_f32 v6, v1, 0x32a5705f, v6
	v_cvt_i32_f32_e32 v3, v3
	v_add_f32_e32 v2, v2, v6
	s_delay_alu instid0(VALU_DEP_1) | instskip(SKIP_1) | instid1(TRANS32_DEP_1)
	v_exp_f32_e32 v2, v2
	v_nop
	v_ldexp_f32 v2, v2, v3
	s_delay_alu instid0(VALU_DEP_1) | instskip(SKIP_1) | instid1(VALU_DEP_2)
	v_cndmask_b32_e32 v2, 0, v2, vcc_lo
	v_cmp_nlt_f32_e32 vcc_lo, 0x42b17218, v1
	v_cndmask_b32_e32 v20, 0x7f800000, v2, vcc_lo
	s_delay_alu instid0(VALU_DEP_1) | instskip(NEXT) | instid1(VALU_DEP_1)
	v_add_f32_e32 v1, 1.0, v20
	v_cvt_f64_f32_e32 v[2:3], v1
	s_delay_alu instid0(VALU_DEP_1) | instskip(SKIP_1) | instid1(VALU_DEP_1)
	v_frexp_exp_i32_f64_e32 v2, v[2:3]
	v_frexp_mant_f32_e32 v3, v1
	v_cmp_gt_f32_e32 vcc_lo, 0x3f2aaaab, v3
	s_delay_alu instid0(VALU_DEP_3) | instskip(NEXT) | instid1(VALU_DEP_1)
	v_subrev_co_ci_u32_e64 v10, null, 0, v2, vcc_lo
	v_dual_add_f32 v2, -1.0, v1 :: v_dual_sub_nc_u32 v3, 0, v10
	s_delay_alu instid0(VALU_DEP_1) | instskip(NEXT) | instid1(VALU_DEP_2)
	v_sub_f32_e32 v6, v2, v1
	v_ldexp_f32 v1, v1, v3
	s_delay_alu instid0(VALU_DEP_1) | instskip(SKIP_1) | instid1(VALU_DEP_4)
	v_dual_add_f32 v7, 1.0, v1 :: v_dual_add_f32 v9, -1.0, v1
	v_sub_f32_e32 v2, v20, v2
	v_add_f32_e32 v6, 1.0, v6
	v_cmp_neq_f32_e32 vcc_lo, 0x7f800000, v20
	s_delay_alu instid0(VALU_DEP_2) | instskip(NEXT) | instid1(VALU_DEP_1)
	v_dual_add_f32 v2, v2, v6 :: v_dual_add_f32 v6, -1.0, v7
	v_ldexp_f32 v2, v2, v3
	s_delay_alu instid0(VALU_DEP_2) | instskip(NEXT) | instid1(VALU_DEP_1)
	v_dual_sub_f32 v3, v1, v6 :: v_dual_add_f32 v6, 1.0, v9
	v_dual_add_f32 v8, v2, v3 :: v_dual_sub_f32 v1, v1, v6
	s_delay_alu instid0(VALU_DEP_1) | instskip(NEXT) | instid1(VALU_DEP_1)
	v_dual_add_f32 v11, v7, v8 :: v_dual_add_f32 v1, v2, v1
	v_rcp_f32_e32 v12, v11
	s_delay_alu instid0(VALU_DEP_1)
	v_dual_add_f32 v3, v9, v1 :: v_dual_sub_f32 v2, v7, v11
	s_delay_alu instid0(TRANS32_DEP_1) | instid1(VALU_DEP_1)
	v_dual_sub_f32 v15, v9, v3 :: v_dual_mul_f32 v13, v3, v12
	s_delay_alu instid0(VALU_DEP_1) | instskip(NEXT) | instid1(VALU_DEP_2)
	v_dual_add_f32 v14, v8, v2 :: v_dual_add_f32 v1, v1, v15
	v_mul_f32_e32 v6, v11, v13
	s_delay_alu instid0(VALU_DEP_1) | instskip(NEXT) | instid1(VALU_DEP_1)
	v_fma_f32 v8, v13, v11, -v6
	v_fmac_f32_e32 v8, v13, v14
	s_delay_alu instid0(VALU_DEP_1) | instskip(NEXT) | instid1(VALU_DEP_1)
	v_add_f32_e32 v2, v6, v8
	v_dual_sub_f32 v7, v3, v2 :: v_dual_mov_b32 v9, v2
	s_delay_alu instid0(VALU_DEP_1) | instskip(NEXT) | instid1(VALU_DEP_1)
	v_pk_add_f32 v[2:3], v[2:3], v[6:7] neg_lo:[0,1] neg_hi:[0,1]
	v_pk_add_f32 v[2:3], v[2:3], v[8:9] neg_lo:[0,1] neg_hi:[0,1]
	s_delay_alu instid0(VALU_DEP_1) | instskip(NEXT) | instid1(VALU_DEP_1)
	v_add_f32_e32 v1, v1, v3
	v_add_f32_e32 v1, v2, v1
	s_delay_alu instid0(VALU_DEP_1) | instskip(NEXT) | instid1(VALU_DEP_1)
	v_add_f32_e32 v3, v7, v1
	v_mul_f32_e32 v15, v12, v3
	s_delay_alu instid0(VALU_DEP_1) | instskip(NEXT) | instid1(VALU_DEP_1)
	v_mul_f32_e32 v8, v11, v15
	v_fma_f32 v6, v15, v11, -v8
	s_delay_alu instid0(VALU_DEP_1) | instskip(NEXT) | instid1(VALU_DEP_1)
	v_fmac_f32_e32 v6, v15, v14
	v_dual_add_f32 v2, v8, v6 :: v_dual_sub_f32 v11, v7, v3
	s_delay_alu instid0(VALU_DEP_1) | instskip(SKIP_1) | instid1(VALU_DEP_1)
	v_dual_mov_b32 v7, v2 :: v_dual_add_f32 v1, v1, v11
	v_sub_f32_e32 v9, v3, v2
	v_pk_add_f32 v[2:3], v[2:3], v[8:9] neg_lo:[0,1] neg_hi:[0,1]
	v_add_f32_e32 v8, v13, v15
	s_delay_alu instid0(VALU_DEP_2) | instskip(SKIP_1) | instid1(VALU_DEP_2)
	v_pk_add_f32 v[2:3], v[2:3], v[6:7] neg_lo:[0,1] neg_hi:[0,1]
	v_cvt_f32_i32_e32 v6, v10
	v_add_f32_e32 v1, v1, v3
	s_delay_alu instid0(VALU_DEP_1) | instskip(SKIP_1) | instid1(VALU_DEP_1)
	v_add_f32_e32 v1, v2, v1
	v_sub_f32_e32 v2, v8, v13
	v_dual_add_f32 v1, v9, v1 :: v_dual_sub_f32 v2, v15, v2
	s_delay_alu instid0(VALU_DEP_1) | instskip(NEXT) | instid1(VALU_DEP_1)
	v_mul_f32_e32 v1, v12, v1
	v_dual_add_f32 v1, v2, v1 :: v_dual_mov_b32 v2, 0x3f317218
	s_delay_alu instid0(VALU_DEP_1) | instskip(NEXT) | instid1(VALU_DEP_1)
	v_add_f32_e32 v9, v8, v1
	v_mul_f32_e32 v3, v9, v9
	s_delay_alu instid0(VALU_DEP_1) | instskip(SKIP_1) | instid1(VALU_DEP_2)
	v_fmaak_f32 v11, s14, v3, 0x3ecc95a3
	v_mul_f32_e32 v7, v9, v3
	v_fmaak_f32 v3, v3, v11, 0x3f2aaada
	s_delay_alu instid0(VALU_DEP_1) | instskip(NEXT) | instid1(VALU_DEP_1)
	v_pk_mul_f32 v[2:3], v[6:7], v[2:3]
	v_fma_f32 v10, 0x3f317218, v6, -v2
	s_delay_alu instid0(VALU_DEP_1) | instskip(SKIP_2) | instid1(VALU_DEP_2)
	v_fmamk_f32 v6, v6, 0xb102e308, v10
	v_ldexp_f32 v7, v9, 1
	v_sub_f32_e32 v10, v9, v8
	v_pk_add_f32 v[8:9], v[2:3], v[6:7]
	s_delay_alu instid0(VALU_DEP_1) | instskip(NEXT) | instid1(VALU_DEP_3)
	v_sub_f32_e32 v7, v9, v7
	v_dual_sub_f32 v1, v1, v10 :: v_dual_mov_b32 v10, v2
	s_delay_alu instid0(VALU_DEP_2) | instskip(NEXT) | instid1(VALU_DEP_2)
	v_sub_f32_e32 v7, v3, v7
	v_ldexp_f32 v1, v1, 1
	v_pk_add_f32 v[2:3], v[8:9], v[2:3] neg_lo:[0,1] neg_hi:[0,1]
	s_delay_alu instid0(VALU_DEP_2) | instskip(NEXT) | instid1(VALU_DEP_1)
	v_dual_add_f32 v11, v1, v7 :: v_dual_mov_b32 v7, v8
	v_pk_add_f32 v[12:13], v[8:9], v[10:11]
	s_delay_alu instid0(VALU_DEP_1) | instskip(NEXT) | instid1(VALU_DEP_1)
	v_dual_mov_b32 v18, v9 :: v_dual_mov_b32 v3, v13
	v_pk_add_f32 v[14:15], v[6:7], v[2:3]
	s_delay_alu instid0(VALU_DEP_1) | instskip(SKIP_2) | instid1(VALU_DEP_3)
	v_dual_mov_b32 v14, v13 :: v_dual_mov_b32 v10, v15
	v_pk_add_f32 v[2:3], v[6:7], v[2:3] neg_lo:[0,1] neg_hi:[0,1]
	v_mov_b32_e32 v3, v15
	v_pk_add_f32 v[16:17], v[10:11], v[8:9] neg_lo:[0,1] neg_hi:[0,1]
	v_dual_mov_b32 v9, v8 :: v_dual_mov_b32 v8, v11
	s_delay_alu instid0(VALU_DEP_2) | instskip(NEXT) | instid1(VALU_DEP_1)
	v_dual_mov_b32 v1, v16 :: v_dual_mov_b32 v19, v16
	v_pk_add_f32 v[12:13], v[12:13], v[0:1] neg_lo:[0,1] neg_hi:[0,1]
	s_delay_alu instid0(VALU_DEP_2) | instskip(SKIP_1) | instid1(VALU_DEP_2)
	v_pk_add_f32 v[6:7], v[14:15], v[18:19] neg_lo:[0,1] neg_hi:[0,1]
	v_mov_b32_e32 v12, v2
	v_pk_add_f32 v[6:7], v[8:9], v[6:7] neg_lo:[0,1] neg_hi:[0,1]
	s_delay_alu instid0(VALU_DEP_1) | instskip(NEXT) | instid1(VALU_DEP_1)
	v_pk_add_f32 v[8:9], v[12:13], v[6:7]
	v_mov_b32_e32 v12, v9
	s_delay_alu instid0(VALU_DEP_1) | instskip(NEXT) | instid1(VALU_DEP_1)
	v_pk_add_f32 v[12:13], v[8:9], v[12:13]
	v_pk_add_f32 v[10:11], v[10:11], v[12:13]
	s_delay_alu instid0(VALU_DEP_1) | instskip(NEXT) | instid1(VALU_DEP_1)
	v_mov_b32_e32 v9, v10
	v_pk_add_f32 v[14:15], v[8:9], v[2:3] neg_lo:[0,1] neg_hi:[0,1]
	s_delay_alu instid0(VALU_DEP_1) | instskip(NEXT) | instid1(VALU_DEP_1)
	v_sub_f32_e32 v1, v8, v14
	v_dual_mov_b32 v7, v12 :: v_dual_sub_f32 v1, v2, v1
	s_delay_alu instid0(VALU_DEP_1) | instskip(NEXT) | instid1(VALU_DEP_1)
	v_pk_add_f32 v[6:7], v[6:7], v[14:15] neg_lo:[0,1] neg_hi:[0,1]
	v_add_f32_e32 v1, v6, v1
	s_delay_alu instid0(VALU_DEP_1) | instskip(NEXT) | instid1(VALU_DEP_1)
	v_add_f32_e32 v1, v1, v7
	v_add_f32_e32 v1, v10, v1
	s_delay_alu instid0(VALU_DEP_1) | instskip(SKIP_1) | instid1(VALU_DEP_2)
	v_cndmask_b32_e32 v1, 0x7f800000, v1, vcc_lo
	v_cmp_gt_f32_e64 vcc_lo, 0x33800000, |v20|
	v_cndmask_b32_e32 v1, v1, v20, vcc_lo
	s_delay_alu instid0(VALU_DEP_1) | instskip(NEXT) | instid1(VALU_DEP_1)
	v_div_scale_f32 v2, null, s10, s10, v1
	v_rcp_f32_e32 v3, v2
	v_nop
	s_delay_alu instid0(TRANS32_DEP_1) | instskip(NEXT) | instid1(VALU_DEP_1)
	v_fma_f32 v6, -v2, v3, 1.0
	v_fmac_f32_e32 v3, v6, v3
	v_div_scale_f32 v6, vcc_lo, v1, s10, v1
	s_delay_alu instid0(VALU_DEP_1) | instskip(NEXT) | instid1(VALU_DEP_1)
	v_mul_f32_e32 v7, v6, v3
	v_fma_f32 v8, -v2, v7, v6
	s_delay_alu instid0(VALU_DEP_1) | instskip(NEXT) | instid1(VALU_DEP_1)
	v_fmac_f32_e32 v7, v8, v3
	v_fma_f32 v2, -v2, v7, v6
	s_delay_alu instid0(VALU_DEP_1) | instskip(NEXT) | instid1(VALU_DEP_1)
	v_div_fmas_f32 v2, v2, v3, v7
	v_div_fixup_f32 v1, v2, s10, v1
	s_delay_alu instid0(VALU_DEP_1)
	v_cvt_f16_f32_e32 v6, v1
.LBB24_1299:
	s_or_b32 exec_lo, exec_lo, s9
	v_add_nc_u32_e32 v0, s3, v0
	s_cmp_lt_i32 s0, 11
	s_delay_alu instid0(VALU_DEP_1) | instskip(NEXT) | instid1(VALU_DEP_1)
	v_ashrrev_i32_e32 v1, 31, v0
	v_add_nc_u64_e32 v[2:3], s[6:7], v[0:1]
	s_cbranch_scc1 .LBB24_1306
; %bb.1300:
	s_cmp_gt_i32 s0, 25
	s_mov_b32 s14, 0
	s_cbranch_scc0 .LBB24_1308
; %bb.1301:
	s_cmp_gt_i32 s0, 28
	s_cbranch_scc0 .LBB24_1309
; %bb.1302:
	s_cmp_gt_i32 s0, 43
	;; [unrolled: 3-line block ×3, first 2 shown]
	s_cbranch_scc0 .LBB24_1312
; %bb.1304:
	s_cmp_eq_u32 s0, 46
	s_mov_b32 s16, 0
	s_cbranch_scc0 .LBB24_1313
; %bb.1305:
	global_load_b32 v1, v[2:3], off
	s_mov_b32 s9, 0
	s_mov_b32 s15, -1
	s_wait_loadcnt 0x0
	v_lshlrev_b32_e32 v1, 16, v1
	s_delay_alu instid0(VALU_DEP_1)
	v_cvt_f16_f32_e32 v7, v1
	s_branch .LBB24_1315
.LBB24_1306:
	s_mov_b32 s15, 0
                                        ; implicit-def: $vgpr7
	s_cbranch_execnz .LBB24_1381
.LBB24_1307:
	s_and_not1_b32 vcc_lo, exec_lo, s15
	s_cbranch_vccnz .LBB24_1642
	s_branch .LBB24_1429
.LBB24_1308:
	s_mov_b32 s16, -1
	s_mov_b32 s15, 0
	s_mov_b32 s9, 0
                                        ; implicit-def: $vgpr7
	s_branch .LBB24_1344
.LBB24_1309:
	s_mov_b32 s16, -1
	s_mov_b32 s15, 0
	s_mov_b32 s9, 0
                                        ; implicit-def: $vgpr7
	s_branch .LBB24_1325
.LBB24_1310:
	s_mov_b32 s16, -1
	s_mov_b32 s15, 0
	s_mov_b32 s9, 0
                                        ; implicit-def: $vgpr7
	s_branch .LBB24_1320
.LBB24_1311:
	s_or_b32 s1, s1, exec_lo
	s_trap 2
	s_cbranch_execz .LBB24_1248
	s_branch .LBB24_1249
.LBB24_1312:
	s_mov_b32 s16, -1
	s_mov_b32 s15, 0
	s_mov_b32 s9, 0
	s_branch .LBB24_1314
.LBB24_1313:
	s_mov_b32 s9, -1
	s_mov_b32 s15, 0
.LBB24_1314:
                                        ; implicit-def: $vgpr7
.LBB24_1315:
	s_and_b32 vcc_lo, exec_lo, s16
	s_cbranch_vccz .LBB24_1319
; %bb.1316:
	s_cmp_eq_u32 s0, 44
	s_cbranch_scc0 .LBB24_1318
; %bb.1317:
	global_load_u8 v1, v[2:3], off
	s_mov_b32 s9, 0
	s_mov_b32 s15, -1
	s_wait_loadcnt 0x0
	v_lshlrev_b32_e32 v7, 23, v1
	v_cmp_ne_u32_e32 vcc_lo, 0xff, v1
	s_delay_alu instid0(VALU_DEP_2) | instskip(NEXT) | instid1(VALU_DEP_1)
	v_cvt_f16_f32_e32 v7, v7
	v_cndmask_b32_e32 v7, 0x7e00, v7, vcc_lo
	v_cmp_ne_u32_e32 vcc_lo, 0, v1
	s_delay_alu instid0(VALU_DEP_2)
	v_cndmask_b32_e32 v7, 0, v7, vcc_lo
	s_branch .LBB24_1319
.LBB24_1318:
	s_mov_b32 s9, -1
                                        ; implicit-def: $vgpr7
.LBB24_1319:
	s_mov_b32 s16, 0
.LBB24_1320:
	s_delay_alu instid0(SALU_CYCLE_1)
	s_and_b32 vcc_lo, exec_lo, s16
	s_cbranch_vccz .LBB24_1324
; %bb.1321:
	s_cmp_eq_u32 s0, 29
	s_cbranch_scc0 .LBB24_1323
; %bb.1322:
	global_load_b64 v[8:9], v[2:3], off
	s_mov_b32 s9, 0
	s_mov_b32 s15, -1
	s_mov_b32 s16, 0
	s_wait_loadcnt 0x0
	v_clz_i32_u32_e32 v1, v9
	s_delay_alu instid0(VALU_DEP_1) | instskip(NEXT) | instid1(VALU_DEP_1)
	v_min_u32_e32 v1, 32, v1
	v_lshlrev_b64_e32 v[8:9], v1, v[8:9]
	v_sub_nc_u32_e32 v1, 32, v1
	s_delay_alu instid0(VALU_DEP_2) | instskip(NEXT) | instid1(VALU_DEP_1)
	v_min_u32_e32 v7, 1, v8
	v_or_b32_e32 v7, v9, v7
	s_delay_alu instid0(VALU_DEP_1) | instskip(NEXT) | instid1(VALU_DEP_1)
	v_cvt_f32_u32_e32 v7, v7
	v_ldexp_f32 v1, v7, v1
	s_delay_alu instid0(VALU_DEP_1)
	v_cvt_f16_f32_e32 v7, v1
	s_branch .LBB24_1325
.LBB24_1323:
	s_mov_b32 s9, -1
                                        ; implicit-def: $vgpr7
.LBB24_1324:
	s_mov_b32 s16, 0
.LBB24_1325:
	s_delay_alu instid0(SALU_CYCLE_1)
	s_and_b32 vcc_lo, exec_lo, s16
	s_cbranch_vccz .LBB24_1343
; %bb.1326:
	s_cmp_lt_i32 s0, 27
	s_cbranch_scc1 .LBB24_1329
; %bb.1327:
	s_cmp_gt_i32 s0, 27
	s_cbranch_scc0 .LBB24_1330
; %bb.1328:
	global_load_b32 v1, v[2:3], off
	s_mov_b32 s15, 0
	s_wait_loadcnt 0x0
	v_cvt_f32_u32_e32 v1, v1
	s_delay_alu instid0(VALU_DEP_1)
	v_cvt_f16_f32_e32 v7, v1
	s_branch .LBB24_1331
.LBB24_1329:
	s_mov_b32 s15, -1
                                        ; implicit-def: $vgpr7
	s_branch .LBB24_1334
.LBB24_1330:
	s_mov_b32 s15, -1
                                        ; implicit-def: $vgpr7
.LBB24_1331:
	s_delay_alu instid0(SALU_CYCLE_1)
	s_and_not1_b32 vcc_lo, exec_lo, s15
	s_cbranch_vccnz .LBB24_1333
; %bb.1332:
	global_load_u16 v1, v[2:3], off
	s_wait_loadcnt 0x0
	v_cvt_f16_u16_e32 v7, v1
.LBB24_1333:
	s_mov_b32 s15, 0
.LBB24_1334:
	s_delay_alu instid0(SALU_CYCLE_1)
	s_and_not1_b32 vcc_lo, exec_lo, s15
	s_cbranch_vccnz .LBB24_1342
; %bb.1335:
	global_load_u8 v1, v[2:3], off
	s_mov_b32 s15, 0
	s_mov_b32 s16, exec_lo
	s_wait_loadcnt 0x0
	v_cmpx_lt_i16_e32 0x7f, v1
	s_xor_b32 s16, exec_lo, s16
	s_cbranch_execz .LBB24_1356
; %bb.1336:
	s_mov_b32 s15, -1
	s_mov_b32 s17, exec_lo
	v_cmpx_eq_u16_e32 0x80, v1
; %bb.1337:
	s_xor_b32 s15, exec_lo, -1
; %bb.1338:
	s_or_b32 exec_lo, exec_lo, s17
	s_delay_alu instid0(SALU_CYCLE_1)
	s_and_b32 s15, s15, exec_lo
	s_or_saveexec_b32 s16, s16
	v_mov_b32_e32 v7, 0x7e00
	s_xor_b32 exec_lo, exec_lo, s16
	s_cbranch_execnz .LBB24_1357
.LBB24_1339:
	s_or_b32 exec_lo, exec_lo, s16
	s_and_saveexec_b32 s16, s15
	s_cbranch_execz .LBB24_1341
.LBB24_1340:
	v_and_b32_e32 v7, 0xffff, v1
	s_delay_alu instid0(VALU_DEP_1) | instskip(SKIP_1) | instid1(VALU_DEP_2)
	v_and_b32_e32 v8, 7, v7
	v_bfe_u32 v11, v7, 3, 4
	v_clz_i32_u32_e32 v9, v8
	s_delay_alu instid0(VALU_DEP_2) | instskip(NEXT) | instid1(VALU_DEP_2)
	v_cmp_eq_u32_e32 vcc_lo, 0, v11
	v_min_u32_e32 v9, 32, v9
	s_delay_alu instid0(VALU_DEP_1) | instskip(NEXT) | instid1(VALU_DEP_1)
	v_subrev_nc_u32_e32 v10, 28, v9
	v_dual_lshlrev_b32 v7, v10, v7 :: v_dual_sub_nc_u32 v9, 29, v9
	s_delay_alu instid0(VALU_DEP_1) | instskip(NEXT) | instid1(VALU_DEP_1)
	v_dual_lshlrev_b32 v1, 24, v1 :: v_dual_bitop2_b32 v7, 7, v7 bitop3:0x40
	v_dual_cndmask_b32 v7, v8, v7, vcc_lo :: v_dual_cndmask_b32 v9, v11, v9, vcc_lo
	s_delay_alu instid0(VALU_DEP_2) | instskip(NEXT) | instid1(VALU_DEP_2)
	v_and_b32_e32 v1, 0x80000000, v1
	v_lshlrev_b32_e32 v7, 20, v7
	s_delay_alu instid0(VALU_DEP_3) | instskip(NEXT) | instid1(VALU_DEP_1)
	v_lshl_add_u32 v8, v9, 23, 0x3b800000
	v_or3_b32 v1, v1, v8, v7
	s_delay_alu instid0(VALU_DEP_1)
	v_cvt_f16_f32_e32 v7, v1
.LBB24_1341:
	s_or_b32 exec_lo, exec_lo, s16
.LBB24_1342:
	s_mov_b32 s15, -1
.LBB24_1343:
	s_mov_b32 s16, 0
.LBB24_1344:
	s_delay_alu instid0(SALU_CYCLE_1)
	s_and_b32 vcc_lo, exec_lo, s16
	s_cbranch_vccz .LBB24_1377
; %bb.1345:
	s_cmp_gt_i32 s0, 22
	s_cbranch_scc0 .LBB24_1355
; %bb.1346:
	s_cmp_lt_i32 s0, 24
	s_cbranch_scc1 .LBB24_1358
; %bb.1347:
	s_cmp_gt_i32 s0, 24
	s_cbranch_scc0 .LBB24_1359
; %bb.1348:
	global_load_u8 v1, v[2:3], off
	s_mov_b32 s15, exec_lo
	s_wait_loadcnt 0x0
	v_cmpx_lt_i16_e32 0x7f, v1
	s_xor_b32 s15, exec_lo, s15
	s_cbranch_execz .LBB24_1371
; %bb.1349:
	s_mov_b32 s14, -1
	s_mov_b32 s16, exec_lo
	v_cmpx_eq_u16_e32 0x80, v1
; %bb.1350:
	s_xor_b32 s14, exec_lo, -1
; %bb.1351:
	s_or_b32 exec_lo, exec_lo, s16
	s_delay_alu instid0(SALU_CYCLE_1)
	s_and_b32 s14, s14, exec_lo
	s_or_saveexec_b32 s15, s15
	v_mov_b32_e32 v7, 0x7e00
	s_xor_b32 exec_lo, exec_lo, s15
	s_cbranch_execnz .LBB24_1372
.LBB24_1352:
	s_or_b32 exec_lo, exec_lo, s15
	s_and_saveexec_b32 s15, s14
	s_cbranch_execz .LBB24_1354
.LBB24_1353:
	v_and_b32_e32 v7, 0xffff, v1
	s_delay_alu instid0(VALU_DEP_1) | instskip(SKIP_1) | instid1(VALU_DEP_2)
	v_and_b32_e32 v8, 3, v7
	v_bfe_u32 v11, v7, 2, 5
	v_clz_i32_u32_e32 v9, v8
	s_delay_alu instid0(VALU_DEP_2) | instskip(NEXT) | instid1(VALU_DEP_2)
	v_cmp_eq_u32_e32 vcc_lo, 0, v11
	v_min_u32_e32 v9, 32, v9
	s_delay_alu instid0(VALU_DEP_1) | instskip(NEXT) | instid1(VALU_DEP_1)
	v_subrev_nc_u32_e32 v10, 29, v9
	v_dual_lshlrev_b32 v7, v10, v7 :: v_dual_sub_nc_u32 v9, 30, v9
	s_delay_alu instid0(VALU_DEP_1) | instskip(NEXT) | instid1(VALU_DEP_1)
	v_dual_lshlrev_b32 v1, 24, v1 :: v_dual_bitop2_b32 v7, 3, v7 bitop3:0x40
	v_dual_cndmask_b32 v7, v8, v7, vcc_lo :: v_dual_cndmask_b32 v9, v11, v9, vcc_lo
	s_delay_alu instid0(VALU_DEP_2) | instskip(NEXT) | instid1(VALU_DEP_2)
	v_and_b32_e32 v1, 0x80000000, v1
	v_lshlrev_b32_e32 v7, 21, v7
	s_delay_alu instid0(VALU_DEP_3) | instskip(NEXT) | instid1(VALU_DEP_1)
	v_lshl_add_u32 v8, v9, 23, 0x37800000
	v_or3_b32 v1, v1, v8, v7
	s_delay_alu instid0(VALU_DEP_1)
	v_cvt_f16_f32_e32 v7, v1
.LBB24_1354:
	s_or_b32 exec_lo, exec_lo, s15
	s_mov_b32 s14, 0
	s_branch .LBB24_1360
.LBB24_1355:
	s_mov_b32 s14, -1
                                        ; implicit-def: $vgpr7
	s_branch .LBB24_1366
.LBB24_1356:
	s_or_saveexec_b32 s16, s16
	v_mov_b32_e32 v7, 0x7e00
	s_xor_b32 exec_lo, exec_lo, s16
	s_cbranch_execz .LBB24_1339
.LBB24_1357:
	v_cmp_ne_u16_e32 vcc_lo, 0, v1
	v_mov_b32_e32 v7, v1
	s_and_not1_b32 s15, s15, exec_lo
	s_and_b32 s17, vcc_lo, exec_lo
	s_delay_alu instid0(SALU_CYCLE_1)
	s_or_b32 s15, s15, s17
	s_or_b32 exec_lo, exec_lo, s16
	s_and_saveexec_b32 s16, s15
	s_cbranch_execnz .LBB24_1340
	s_branch .LBB24_1341
.LBB24_1358:
	s_mov_b32 s14, -1
                                        ; implicit-def: $vgpr7
	s_branch .LBB24_1363
.LBB24_1359:
	s_mov_b32 s14, -1
                                        ; implicit-def: $vgpr7
.LBB24_1360:
	s_delay_alu instid0(SALU_CYCLE_1)
	s_and_b32 vcc_lo, exec_lo, s14
	s_cbranch_vccz .LBB24_1362
; %bb.1361:
	global_load_u8 v1, v[2:3], off
	s_wait_loadcnt 0x0
	v_lshlrev_b32_e32 v1, 24, v1
	s_delay_alu instid0(VALU_DEP_1) | instskip(NEXT) | instid1(VALU_DEP_1)
	v_and_b32_e32 v7, 0x7f000000, v1
	v_clz_i32_u32_e32 v8, v7
	v_cmp_ne_u32_e32 vcc_lo, 0, v7
	v_add_nc_u32_e32 v10, 0x1000000, v7
	s_delay_alu instid0(VALU_DEP_3) | instskip(NEXT) | instid1(VALU_DEP_1)
	v_min_u32_e32 v8, 32, v8
	v_sub_nc_u32_e64 v8, v8, 4 clamp
	s_delay_alu instid0(VALU_DEP_1) | instskip(NEXT) | instid1(VALU_DEP_1)
	v_dual_lshlrev_b32 v9, v8, v7 :: v_dual_lshlrev_b32 v8, 23, v8
	v_lshrrev_b32_e32 v9, 4, v9
	s_delay_alu instid0(VALU_DEP_1) | instskip(NEXT) | instid1(VALU_DEP_1)
	v_dual_sub_nc_u32 v8, v9, v8 :: v_dual_ashrrev_i32 v9, 8, v10
	v_add_nc_u32_e32 v8, 0x3c000000, v8
	s_delay_alu instid0(VALU_DEP_1) | instskip(NEXT) | instid1(VALU_DEP_1)
	v_and_or_b32 v8, 0x7f800000, v9, v8
	v_cndmask_b32_e32 v7, 0, v8, vcc_lo
	s_delay_alu instid0(VALU_DEP_1) | instskip(NEXT) | instid1(VALU_DEP_1)
	v_and_or_b32 v1, 0x80000000, v1, v7
	v_cvt_f16_f32_e32 v7, v1
.LBB24_1362:
	s_mov_b32 s14, 0
.LBB24_1363:
	s_delay_alu instid0(SALU_CYCLE_1)
	s_and_not1_b32 vcc_lo, exec_lo, s14
	s_cbranch_vccnz .LBB24_1365
; %bb.1364:
	global_load_u8 v1, v[2:3], off
	s_wait_loadcnt 0x0
	v_lshlrev_b32_e32 v7, 25, v1
	v_lshlrev_b16 v1, 8, v1
	s_delay_alu instid0(VALU_DEP_1) | instskip(NEXT) | instid1(VALU_DEP_3)
	v_and_or_b32 v9, 0x7f00, v1, 0.5
	v_lshrrev_b32_e32 v8, 4, v7
	v_bfe_i32 v1, v1, 0, 16
	s_delay_alu instid0(VALU_DEP_3) | instskip(NEXT) | instid1(VALU_DEP_3)
	v_add_f32_e32 v9, -0.5, v9
	v_or_b32_e32 v8, 0x70000000, v8
	s_delay_alu instid0(VALU_DEP_1) | instskip(SKIP_1) | instid1(VALU_DEP_2)
	v_mul_f32_e32 v8, 0x7800000, v8
	v_cmp_gt_u32_e32 vcc_lo, 0x8000000, v7
	v_cndmask_b32_e32 v7, v8, v9, vcc_lo
	s_delay_alu instid0(VALU_DEP_1) | instskip(NEXT) | instid1(VALU_DEP_1)
	v_and_or_b32 v1, 0x80000000, v1, v7
	v_cvt_f16_f32_e32 v7, v1
.LBB24_1365:
	s_mov_b32 s14, 0
	s_mov_b32 s15, -1
.LBB24_1366:
	s_and_not1_b32 vcc_lo, exec_lo, s14
	s_mov_b32 s14, 0
	s_cbranch_vccnz .LBB24_1377
; %bb.1367:
	s_cmp_gt_i32 s0, 14
	s_cbranch_scc0 .LBB24_1370
; %bb.1368:
	s_cmp_eq_u32 s0, 15
	s_cbranch_scc0 .LBB24_1373
; %bb.1369:
	global_load_u16 v1, v[2:3], off
	s_mov_b32 s9, 0
	s_mov_b32 s15, -1
	s_wait_loadcnt 0x0
	v_lshlrev_b32_e32 v1, 16, v1
	s_delay_alu instid0(VALU_DEP_1)
	v_cvt_f16_f32_e32 v7, v1
	s_branch .LBB24_1375
.LBB24_1370:
	s_mov_b32 s14, -1
	s_branch .LBB24_1374
.LBB24_1371:
	s_or_saveexec_b32 s15, s15
	v_mov_b32_e32 v7, 0x7e00
	s_xor_b32 exec_lo, exec_lo, s15
	s_cbranch_execz .LBB24_1352
.LBB24_1372:
	v_cmp_ne_u16_e32 vcc_lo, 0, v1
	v_mov_b32_e32 v7, v1
	s_and_not1_b32 s14, s14, exec_lo
	s_and_b32 s16, vcc_lo, exec_lo
	s_delay_alu instid0(SALU_CYCLE_1)
	s_or_b32 s14, s14, s16
	s_or_b32 exec_lo, exec_lo, s15
	s_and_saveexec_b32 s15, s14
	s_cbranch_execnz .LBB24_1353
	s_branch .LBB24_1354
.LBB24_1373:
	s_mov_b32 s9, -1
.LBB24_1374:
                                        ; implicit-def: $vgpr7
.LBB24_1375:
	s_and_b32 vcc_lo, exec_lo, s14
	s_mov_b32 s14, 0
	s_cbranch_vccz .LBB24_1377
; %bb.1376:
	s_cmp_lg_u32 s0, 11
	s_mov_b32 s14, -1
	s_cselect_b32 s9, -1, 0
.LBB24_1377:
	s_delay_alu instid0(SALU_CYCLE_1)
	s_and_b32 vcc_lo, exec_lo, s9
	s_cbranch_vccnz .LBB24_1442
; %bb.1378:
	s_and_not1_b32 vcc_lo, exec_lo, s14
	s_cbranch_vccnz .LBB24_1380
.LBB24_1379:
	global_load_u8 v1, v[2:3], off
	s_mov_b32 s15, -1
	s_wait_loadcnt 0x0
	v_cmp_ne_u16_e32 vcc_lo, 0, v1
	v_cndmask_b32_e64 v7, 0, 0x3c00, vcc_lo
.LBB24_1380:
	s_branch .LBB24_1307
.LBB24_1381:
	s_cmp_lt_i32 s0, 5
	s_cbranch_scc1 .LBB24_1386
; %bb.1382:
	s_cmp_lt_i32 s0, 8
	s_cbranch_scc1 .LBB24_1387
; %bb.1383:
	s_cmp_lt_i32 s0, 9
	s_cbranch_scc1 .LBB24_1388
; %bb.1384:
	s_cmp_gt_i32 s0, 9
	s_cbranch_scc0 .LBB24_1389
; %bb.1385:
	global_load_b64 v[8:9], v[2:3], off
	s_mov_b32 s9, 0
	s_wait_loadcnt 0x0
	v_and_or_b32 v1, 0x1ff, v9, v8
	v_lshrrev_b32_e32 v7, 8, v9
	v_bfe_u32 v8, v9, 20, 11
	s_delay_alu instid0(VALU_DEP_3) | instskip(NEXT) | instid1(VALU_DEP_2)
	v_cmp_ne_u32_e32 vcc_lo, 0, v1
	v_sub_nc_u32_e32 v10, 0x3f1, v8
	v_add_nc_u32_e32 v8, 0xfffffc10, v8
	v_cndmask_b32_e64 v1, 0, 1, vcc_lo
	s_delay_alu instid0(VALU_DEP_1) | instskip(NEXT) | instid1(VALU_DEP_4)
	v_and_or_b32 v1, 0xffe, v7, v1
	v_med3_i32 v7, v10, 0, 13
	s_delay_alu instid0(VALU_DEP_2) | instskip(NEXT) | instid1(VALU_DEP_1)
	v_or_b32_e32 v10, 0x1000, v1
	v_lshrrev_b32_e32 v11, v7, v10
	s_delay_alu instid0(VALU_DEP_1) | instskip(NEXT) | instid1(VALU_DEP_1)
	v_lshlrev_b32_e32 v7, v7, v11
	v_cmp_ne_u32_e32 vcc_lo, v7, v10
	v_lshl_or_b32 v10, v8, 12, v1
	v_cndmask_b32_e64 v7, 0, 1, vcc_lo
	v_cmp_gt_i32_e32 vcc_lo, 1, v8
	s_delay_alu instid0(VALU_DEP_2) | instskip(NEXT) | instid1(VALU_DEP_1)
	v_or_b32_e32 v7, v11, v7
	v_cndmask_b32_e32 v7, v10, v7, vcc_lo
	s_delay_alu instid0(VALU_DEP_1) | instskip(NEXT) | instid1(VALU_DEP_1)
	v_dual_lshrrev_b32 v7, 2, v7 :: v_dual_bitop2_b32 v10, 7, v7 bitop3:0x40
	v_cmp_lt_i32_e32 vcc_lo, 5, v10
	v_cndmask_b32_e64 v11, 0, 1, vcc_lo
	v_cmp_eq_u32_e32 vcc_lo, 3, v10
	v_cndmask_b32_e64 v10, 0, 1, vcc_lo
	v_cmp_ne_u32_e32 vcc_lo, 0, v1
	s_delay_alu instid0(VALU_DEP_2) | instskip(SKIP_1) | instid1(VALU_DEP_2)
	v_or_b32_e32 v10, v10, v11
	v_mov_b32_e32 v11, 0x7e00
	v_add_nc_u32_e32 v7, v7, v10
	s_delay_alu instid0(VALU_DEP_2) | instskip(SKIP_1) | instid1(VALU_DEP_3)
	v_cndmask_b32_e32 v1, 0x7c00, v11, vcc_lo
	v_cmp_gt_i32_e32 vcc_lo, 31, v8
	v_cndmask_b32_e32 v7, 0x7c00, v7, vcc_lo
	v_cmp_eq_u32_e32 vcc_lo, 0x40f, v8
	s_delay_alu instid0(VALU_DEP_2) | instskip(SKIP_1) | instid1(VALU_DEP_1)
	v_cndmask_b32_e32 v1, v7, v1, vcc_lo
	v_lshrrev_b32_e32 v7, 16, v9
	v_and_or_b32 v7, 0x8000, v7, v1
	s_branch .LBB24_1390
.LBB24_1386:
	s_mov_b32 s9, -1
                                        ; implicit-def: $vgpr7
	s_branch .LBB24_1408
.LBB24_1387:
	s_mov_b32 s9, -1
                                        ; implicit-def: $vgpr7
	s_branch .LBB24_1396
.LBB24_1388:
	s_mov_b32 s9, -1
                                        ; implicit-def: $vgpr7
	s_branch .LBB24_1393
.LBB24_1389:
	s_mov_b32 s9, -1
                                        ; implicit-def: $vgpr7
.LBB24_1390:
	s_delay_alu instid0(SALU_CYCLE_1)
	s_and_not1_b32 vcc_lo, exec_lo, s9
	s_cbranch_vccnz .LBB24_1392
; %bb.1391:
	global_load_b32 v1, v[2:3], off
	s_wait_loadcnt 0x0
	v_cvt_f16_f32_e32 v7, v1
.LBB24_1392:
	s_mov_b32 s9, 0
.LBB24_1393:
	s_delay_alu instid0(SALU_CYCLE_1)
	s_and_not1_b32 vcc_lo, exec_lo, s9
	s_cbranch_vccnz .LBB24_1395
; %bb.1394:
	global_load_b32 v7, v[2:3], off
.LBB24_1395:
	s_mov_b32 s9, 0
.LBB24_1396:
	s_delay_alu instid0(SALU_CYCLE_1)
	s_and_not1_b32 vcc_lo, exec_lo, s9
	s_cbranch_vccnz .LBB24_1407
; %bb.1397:
	s_cmp_lt_i32 s0, 6
	s_cbranch_scc1 .LBB24_1400
; %bb.1398:
	s_cmp_gt_i32 s0, 6
	s_cbranch_scc0 .LBB24_1401
; %bb.1399:
	global_load_b64 v[8:9], v[2:3], off
	s_mov_b32 s9, 0
	s_wait_loadcnt 0x0
	v_and_or_b32 v1, 0x1ff, v9, v8
	v_lshrrev_b32_e32 v7, 8, v9
	v_bfe_u32 v8, v9, 20, 11
	s_delay_alu instid0(VALU_DEP_3) | instskip(NEXT) | instid1(VALU_DEP_2)
	v_cmp_ne_u32_e32 vcc_lo, 0, v1
	v_sub_nc_u32_e32 v10, 0x3f1, v8
	v_add_nc_u32_e32 v8, 0xfffffc10, v8
	v_cndmask_b32_e64 v1, 0, 1, vcc_lo
	s_delay_alu instid0(VALU_DEP_1) | instskip(NEXT) | instid1(VALU_DEP_4)
	v_and_or_b32 v1, 0xffe, v7, v1
	v_med3_i32 v7, v10, 0, 13
	s_delay_alu instid0(VALU_DEP_2) | instskip(NEXT) | instid1(VALU_DEP_1)
	v_or_b32_e32 v10, 0x1000, v1
	v_lshrrev_b32_e32 v11, v7, v10
	s_delay_alu instid0(VALU_DEP_1) | instskip(NEXT) | instid1(VALU_DEP_1)
	v_lshlrev_b32_e32 v7, v7, v11
	v_cmp_ne_u32_e32 vcc_lo, v7, v10
	v_lshl_or_b32 v10, v8, 12, v1
	v_cndmask_b32_e64 v7, 0, 1, vcc_lo
	v_cmp_gt_i32_e32 vcc_lo, 1, v8
	s_delay_alu instid0(VALU_DEP_2) | instskip(NEXT) | instid1(VALU_DEP_1)
	v_or_b32_e32 v7, v11, v7
	v_cndmask_b32_e32 v7, v10, v7, vcc_lo
	s_delay_alu instid0(VALU_DEP_1) | instskip(NEXT) | instid1(VALU_DEP_1)
	v_dual_lshrrev_b32 v7, 2, v7 :: v_dual_bitop2_b32 v10, 7, v7 bitop3:0x40
	v_cmp_lt_i32_e32 vcc_lo, 5, v10
	v_cndmask_b32_e64 v11, 0, 1, vcc_lo
	v_cmp_eq_u32_e32 vcc_lo, 3, v10
	v_cndmask_b32_e64 v10, 0, 1, vcc_lo
	v_cmp_ne_u32_e32 vcc_lo, 0, v1
	s_delay_alu instid0(VALU_DEP_2) | instskip(SKIP_1) | instid1(VALU_DEP_2)
	v_or_b32_e32 v10, v10, v11
	v_mov_b32_e32 v11, 0x7e00
	v_add_nc_u32_e32 v7, v7, v10
	s_delay_alu instid0(VALU_DEP_2) | instskip(SKIP_1) | instid1(VALU_DEP_3)
	v_cndmask_b32_e32 v1, 0x7c00, v11, vcc_lo
	v_cmp_gt_i32_e32 vcc_lo, 31, v8
	v_cndmask_b32_e32 v7, 0x7c00, v7, vcc_lo
	v_cmp_eq_u32_e32 vcc_lo, 0x40f, v8
	s_delay_alu instid0(VALU_DEP_2) | instskip(SKIP_1) | instid1(VALU_DEP_1)
	v_cndmask_b32_e32 v1, v7, v1, vcc_lo
	v_lshrrev_b32_e32 v7, 16, v9
	v_and_or_b32 v7, 0x8000, v7, v1
	s_branch .LBB24_1402
.LBB24_1400:
	s_mov_b32 s9, -1
                                        ; implicit-def: $vgpr7
	s_branch .LBB24_1405
.LBB24_1401:
	s_mov_b32 s9, -1
                                        ; implicit-def: $vgpr7
.LBB24_1402:
	s_delay_alu instid0(SALU_CYCLE_1)
	s_and_not1_b32 vcc_lo, exec_lo, s9
	s_cbranch_vccnz .LBB24_1404
; %bb.1403:
	global_load_b32 v1, v[2:3], off
	s_wait_loadcnt 0x0
	v_cvt_f16_f32_e32 v7, v1
.LBB24_1404:
	s_mov_b32 s9, 0
.LBB24_1405:
	s_delay_alu instid0(SALU_CYCLE_1)
	s_and_not1_b32 vcc_lo, exec_lo, s9
	s_cbranch_vccnz .LBB24_1407
; %bb.1406:
	s_wait_loadcnt 0x0
	global_load_u16 v7, v[2:3], off
.LBB24_1407:
	s_mov_b32 s9, 0
.LBB24_1408:
	s_delay_alu instid0(SALU_CYCLE_1)
	s_and_not1_b32 vcc_lo, exec_lo, s9
	s_cbranch_vccnz .LBB24_1428
; %bb.1409:
	s_cmp_lt_i32 s0, 2
	s_cbranch_scc1 .LBB24_1413
; %bb.1410:
	s_cmp_lt_i32 s0, 3
	s_cbranch_scc1 .LBB24_1414
; %bb.1411:
	s_cmp_gt_i32 s0, 3
	s_cbranch_scc0 .LBB24_1415
; %bb.1412:
	global_load_b64 v[8:9], v[2:3], off
	s_mov_b32 s9, 0
	s_wait_loadcnt 0x0
	v_xor_b32_e32 v1, v8, v9
	v_cls_i32_e32 v7, v9
	s_delay_alu instid0(VALU_DEP_2) | instskip(NEXT) | instid1(VALU_DEP_1)
	v_ashrrev_i32_e32 v1, 31, v1
	v_add_nc_u32_e32 v1, 32, v1
	s_delay_alu instid0(VALU_DEP_1) | instskip(NEXT) | instid1(VALU_DEP_1)
	v_add_min_u32_e64 v1, v7, -1, v1
	v_lshlrev_b64_e32 v[8:9], v1, v[8:9]
	v_sub_nc_u32_e32 v1, 32, v1
	s_delay_alu instid0(VALU_DEP_2) | instskip(NEXT) | instid1(VALU_DEP_1)
	v_min_u32_e32 v7, 1, v8
	v_or_b32_e32 v7, v9, v7
	s_delay_alu instid0(VALU_DEP_1) | instskip(NEXT) | instid1(VALU_DEP_1)
	v_cvt_f32_i32_e32 v7, v7
	v_ldexp_f32 v1, v7, v1
	s_delay_alu instid0(VALU_DEP_1)
	v_cvt_f16_f32_e32 v7, v1
	s_branch .LBB24_1416
.LBB24_1413:
	s_mov_b32 s9, -1
                                        ; implicit-def: $vgpr7
	s_branch .LBB24_1422
.LBB24_1414:
	s_mov_b32 s9, -1
                                        ; implicit-def: $vgpr7
	s_branch .LBB24_1419
.LBB24_1415:
	s_mov_b32 s9, -1
                                        ; implicit-def: $vgpr7
.LBB24_1416:
	s_delay_alu instid0(SALU_CYCLE_1)
	s_and_not1_b32 vcc_lo, exec_lo, s9
	s_cbranch_vccnz .LBB24_1418
; %bb.1417:
	global_load_b32 v1, v[2:3], off
	s_wait_loadcnt 0x0
	v_cvt_f32_i32_e32 v1, v1
	s_delay_alu instid0(VALU_DEP_1)
	v_cvt_f16_f32_e32 v7, v1
.LBB24_1418:
	s_mov_b32 s9, 0
.LBB24_1419:
	s_delay_alu instid0(SALU_CYCLE_1)
	s_and_not1_b32 vcc_lo, exec_lo, s9
	s_cbranch_vccnz .LBB24_1421
; %bb.1420:
	global_load_u16 v1, v[2:3], off
	s_wait_loadcnt 0x0
	v_cvt_f16_i16_e32 v7, v1
.LBB24_1421:
	s_mov_b32 s9, 0
.LBB24_1422:
	s_delay_alu instid0(SALU_CYCLE_1)
	s_and_not1_b32 vcc_lo, exec_lo, s9
	s_cbranch_vccnz .LBB24_1428
; %bb.1423:
	s_cmp_gt_i32 s0, 0
	s_mov_b32 s9, 0
	s_cbranch_scc0 .LBB24_1425
; %bb.1424:
	global_load_i8 v1, v[2:3], off
	s_wait_loadcnt 0x0
	v_cvt_f16_i16_e32 v7, v1
	s_branch .LBB24_1426
.LBB24_1425:
	s_mov_b32 s9, -1
                                        ; implicit-def: $vgpr7
.LBB24_1426:
	s_delay_alu instid0(SALU_CYCLE_1)
	s_and_not1_b32 vcc_lo, exec_lo, s9
	s_cbranch_vccnz .LBB24_1428
; %bb.1427:
	global_load_u8 v1, v[2:3], off
	s_wait_loadcnt 0x0
	v_cvt_f16_u16_e32 v7, v1
.LBB24_1428:
.LBB24_1429:
	s_wait_loadcnt 0x0
	s_delay_alu instid0(VALU_DEP_1) | instskip(SKIP_1) | instid1(VALU_DEP_1)
	v_cvt_f32_f16_e32 v1, v7
	s_mov_b32 s9, exec_lo
	v_mul_f32_e32 v1, s10, v1
	s_wait_xcnt 0x0
	s_delay_alu instid0(VALU_DEP_1)
	v_cmpx_nlt_f32_e32 s11, v1
	s_cbranch_execz .LBB24_1431
; %bb.1430:
	v_mul_f32_e32 v2, 0x3fb8aa3b, v1
	v_cmp_ngt_f32_e32 vcc_lo, 0xc2ce8ed0, v1
	s_mov_b32 s14, 0x3e9b6dac
	s_delay_alu instid0(VALU_DEP_2) | instskip(SKIP_1) | instid1(VALU_DEP_1)
	v_rndne_f32_e32 v3, v2
	v_fma_f32 v7, 0x3fb8aa3b, v1, -v2
	v_dual_sub_f32 v2, v2, v3 :: v_dual_fmamk_f32 v7, v1, 0x32a5705f, v7
	v_cvt_i32_f32_e32 v3, v3
	s_delay_alu instid0(VALU_DEP_2) | instskip(NEXT) | instid1(VALU_DEP_1)
	v_add_f32_e32 v2, v2, v7
	v_exp_f32_e32 v2, v2
	v_nop
	s_delay_alu instid0(TRANS32_DEP_1) | instskip(NEXT) | instid1(VALU_DEP_1)
	v_ldexp_f32 v2, v2, v3
	v_cndmask_b32_e32 v2, 0, v2, vcc_lo
	v_cmp_nlt_f32_e32 vcc_lo, 0x42b17218, v1
	s_delay_alu instid0(VALU_DEP_2) | instskip(NEXT) | instid1(VALU_DEP_1)
	v_cndmask_b32_e32 v7, 0x7f800000, v2, vcc_lo
	v_add_f32_e32 v1, 1.0, v7
	s_delay_alu instid0(VALU_DEP_1) | instskip(NEXT) | instid1(VALU_DEP_1)
	v_cvt_f64_f32_e32 v[2:3], v1
	v_frexp_exp_i32_f64_e32 v2, v[2:3]
	v_frexp_mant_f32_e32 v3, v1
	s_delay_alu instid0(VALU_DEP_1) | instskip(NEXT) | instid1(VALU_DEP_3)
	v_cmp_gt_f32_e32 vcc_lo, 0x3f2aaaab, v3
	v_subrev_co_ci_u32_e64 v12, null, 0, v2, vcc_lo
	v_add_f32_e32 v2, -1.0, v1
	v_cmp_neq_f32_e32 vcc_lo, 0x7f800000, v7
	s_delay_alu instid0(VALU_DEP_2) | instskip(SKIP_1) | instid1(VALU_DEP_2)
	v_dual_sub_f32 v8, v2, v1 :: v_dual_sub_nc_u32 v3, 0, v12
	v_sub_f32_e32 v2, v7, v2
	v_ldexp_f32 v1, v1, v3
	s_delay_alu instid0(VALU_DEP_1) | instskip(NEXT) | instid1(VALU_DEP_1)
	v_dual_add_f32 v8, 1.0, v8 :: v_dual_add_f32 v9, 1.0, v1
	v_add_f32_e32 v2, v2, v8
	s_delay_alu instid0(VALU_DEP_1) | instskip(NEXT) | instid1(VALU_DEP_3)
	v_ldexp_f32 v2, v2, v3
	v_add_f32_e32 v8, -1.0, v9
	s_delay_alu instid0(VALU_DEP_1) | instskip(NEXT) | instid1(VALU_DEP_1)
	v_dual_add_f32 v11, -1.0, v1 :: v_dual_sub_f32 v3, v1, v8
	v_add_f32_e32 v10, v2, v3
	s_delay_alu instid0(VALU_DEP_1) | instskip(NEXT) | instid1(VALU_DEP_1)
	v_dual_add_f32 v8, 1.0, v11 :: v_dual_add_f32 v13, v9, v10
	v_rcp_f32_e32 v14, v13
	s_delay_alu instid0(VALU_DEP_1) | instskip(NEXT) | instid1(VALU_DEP_1)
	v_sub_f32_e32 v1, v1, v8
	v_add_f32_e32 v1, v2, v1
	v_sub_f32_e32 v2, v9, v13
	s_delay_alu instid0(VALU_DEP_1)
	v_dual_add_f32 v3, v11, v1 :: v_dual_add_f32 v16, v10, v2
	s_delay_alu instid0(TRANS32_DEP_1) | instid1(VALU_DEP_1)
	v_mul_f32_e32 v15, v3, v14
	v_sub_f32_e32 v17, v11, v3
	s_delay_alu instid0(VALU_DEP_2) | instskip(NEXT) | instid1(VALU_DEP_2)
	v_mul_f32_e32 v8, v13, v15
	v_add_f32_e32 v1, v1, v17
	s_delay_alu instid0(VALU_DEP_2) | instskip(NEXT) | instid1(VALU_DEP_1)
	v_fma_f32 v10, v15, v13, -v8
	v_fmac_f32_e32 v10, v15, v16
	s_delay_alu instid0(VALU_DEP_1) | instskip(NEXT) | instid1(VALU_DEP_1)
	v_add_f32_e32 v2, v8, v10
	v_dual_sub_f32 v9, v3, v2 :: v_dual_mov_b32 v11, v2
	s_delay_alu instid0(VALU_DEP_1) | instskip(NEXT) | instid1(VALU_DEP_1)
	v_pk_add_f32 v[2:3], v[2:3], v[8:9] neg_lo:[0,1] neg_hi:[0,1]
	v_pk_add_f32 v[2:3], v[2:3], v[10:11] neg_lo:[0,1] neg_hi:[0,1]
	s_delay_alu instid0(VALU_DEP_1) | instskip(NEXT) | instid1(VALU_DEP_1)
	v_add_f32_e32 v1, v1, v3
	v_add_f32_e32 v1, v2, v1
	s_delay_alu instid0(VALU_DEP_1) | instskip(NEXT) | instid1(VALU_DEP_1)
	v_add_f32_e32 v3, v9, v1
	v_mul_f32_e32 v17, v14, v3
	s_delay_alu instid0(VALU_DEP_1) | instskip(NEXT) | instid1(VALU_DEP_1)
	v_mul_f32_e32 v10, v13, v17
	v_fma_f32 v8, v17, v13, -v10
	s_delay_alu instid0(VALU_DEP_1) | instskip(NEXT) | instid1(VALU_DEP_1)
	v_fmac_f32_e32 v8, v17, v16
	v_dual_add_f32 v2, v10, v8 :: v_dual_sub_f32 v13, v9, v3
	s_delay_alu instid0(VALU_DEP_1) | instskip(NEXT) | instid1(VALU_DEP_1)
	v_dual_sub_f32 v11, v3, v2 :: v_dual_mov_b32 v9, v2
	v_pk_add_f32 v[2:3], v[2:3], v[10:11] neg_lo:[0,1] neg_hi:[0,1]
	v_add_f32_e32 v10, v15, v17
	s_delay_alu instid0(VALU_DEP_4) | instskip(NEXT) | instid1(VALU_DEP_3)
	v_add_f32_e32 v1, v1, v13
	v_pk_add_f32 v[2:3], v[2:3], v[8:9] neg_lo:[0,1] neg_hi:[0,1]
	v_cvt_f32_i32_e32 v8, v12
	s_delay_alu instid0(VALU_DEP_2) | instskip(NEXT) | instid1(VALU_DEP_1)
	v_add_f32_e32 v1, v1, v3
	v_add_f32_e32 v1, v2, v1
	v_sub_f32_e32 v2, v10, v15
	s_delay_alu instid0(VALU_DEP_1) | instskip(NEXT) | instid1(VALU_DEP_1)
	v_dual_sub_f32 v2, v17, v2 :: v_dual_add_f32 v1, v11, v1
	v_mul_f32_e32 v1, v14, v1
	s_delay_alu instid0(VALU_DEP_1) | instskip(NEXT) | instid1(VALU_DEP_1)
	v_dual_add_f32 v1, v2, v1 :: v_dual_mov_b32 v2, 0x3f317218
	v_add_f32_e32 v11, v10, v1
	s_delay_alu instid0(VALU_DEP_1) | instskip(NEXT) | instid1(VALU_DEP_1)
	v_mul_f32_e32 v3, v11, v11
	v_fmaak_f32 v13, s14, v3, 0x3ecc95a3
	v_mul_f32_e32 v9, v11, v3
	s_delay_alu instid0(VALU_DEP_2) | instskip(NEXT) | instid1(VALU_DEP_1)
	v_fmaak_f32 v3, v3, v13, 0x3f2aaada
	v_pk_mul_f32 v[2:3], v[8:9], v[2:3]
	s_delay_alu instid0(VALU_DEP_1) | instskip(NEXT) | instid1(VALU_DEP_1)
	v_fma_f32 v12, 0x3f317218, v8, -v2
	v_fmamk_f32 v8, v8, 0xb102e308, v12
	v_sub_f32_e32 v12, v11, v10
	s_delay_alu instid0(VALU_DEP_1) | instskip(SKIP_2) | instid1(VALU_DEP_3)
	v_sub_f32_e32 v1, v1, v12
	v_ldexp_f32 v9, v11, 1
	v_mov_b32_e32 v12, v2
	v_ldexp_f32 v1, v1, 1
	s_delay_alu instid0(VALU_DEP_3) | instskip(NEXT) | instid1(VALU_DEP_1)
	v_pk_add_f32 v[10:11], v[2:3], v[8:9]
	v_dual_sub_f32 v9, v11, v9 :: v_dual_mov_b32 v20, v11
	s_delay_alu instid0(VALU_DEP_1) | instskip(NEXT) | instid1(VALU_DEP_3)
	v_sub_f32_e32 v9, v3, v9
	v_pk_add_f32 v[2:3], v[10:11], v[2:3] neg_lo:[0,1] neg_hi:[0,1]
	s_delay_alu instid0(VALU_DEP_2) | instskip(NEXT) | instid1(VALU_DEP_1)
	v_dual_add_f32 v13, v1, v9 :: v_dual_mov_b32 v9, v10
	v_pk_add_f32 v[14:15], v[10:11], v[12:13]
	s_delay_alu instid0(VALU_DEP_1) | instskip(NEXT) | instid1(VALU_DEP_1)
	v_mov_b32_e32 v3, v15
	v_pk_add_f32 v[16:17], v[8:9], v[2:3]
	v_mov_b32_e32 v16, v15
	v_pk_add_f32 v[2:3], v[8:9], v[2:3] neg_lo:[0,1] neg_hi:[0,1]
	s_delay_alu instid0(VALU_DEP_3) | instskip(NEXT) | instid1(VALU_DEP_1)
	v_dual_mov_b32 v12, v17 :: v_dual_mov_b32 v3, v17
	v_pk_add_f32 v[18:19], v[12:13], v[10:11] neg_lo:[0,1] neg_hi:[0,1]
	v_dual_mov_b32 v11, v10 :: v_dual_mov_b32 v10, v13
	s_delay_alu instid0(VALU_DEP_2) | instskip(NEXT) | instid1(VALU_DEP_1)
	v_dual_mov_b32 v1, v18 :: v_dual_mov_b32 v21, v18
	v_pk_add_f32 v[14:15], v[14:15], v[0:1] neg_lo:[0,1] neg_hi:[0,1]
	s_delay_alu instid0(VALU_DEP_2) | instskip(SKIP_1) | instid1(VALU_DEP_2)
	v_pk_add_f32 v[8:9], v[16:17], v[20:21] neg_lo:[0,1] neg_hi:[0,1]
	v_mov_b32_e32 v14, v2
	v_pk_add_f32 v[8:9], v[10:11], v[8:9] neg_lo:[0,1] neg_hi:[0,1]
	s_delay_alu instid0(VALU_DEP_1) | instskip(NEXT) | instid1(VALU_DEP_1)
	v_pk_add_f32 v[10:11], v[14:15], v[8:9]
	v_mov_b32_e32 v14, v11
	s_delay_alu instid0(VALU_DEP_1) | instskip(NEXT) | instid1(VALU_DEP_1)
	v_pk_add_f32 v[14:15], v[10:11], v[14:15]
	v_pk_add_f32 v[12:13], v[12:13], v[14:15]
	s_delay_alu instid0(VALU_DEP_1) | instskip(NEXT) | instid1(VALU_DEP_1)
	v_mov_b32_e32 v11, v12
	v_pk_add_f32 v[16:17], v[10:11], v[2:3] neg_lo:[0,1] neg_hi:[0,1]
	s_delay_alu instid0(VALU_DEP_1) | instskip(NEXT) | instid1(VALU_DEP_1)
	v_sub_f32_e32 v1, v10, v16
	v_sub_f32_e32 v1, v2, v1
	v_mov_b32_e32 v9, v14
	s_delay_alu instid0(VALU_DEP_1) | instskip(NEXT) | instid1(VALU_DEP_1)
	v_pk_add_f32 v[8:9], v[8:9], v[16:17] neg_lo:[0,1] neg_hi:[0,1]
	v_add_f32_e32 v1, v8, v1
	s_delay_alu instid0(VALU_DEP_1) | instskip(NEXT) | instid1(VALU_DEP_1)
	v_add_f32_e32 v1, v1, v9
	v_add_f32_e32 v1, v12, v1
	s_delay_alu instid0(VALU_DEP_1) | instskip(SKIP_1) | instid1(VALU_DEP_2)
	v_cndmask_b32_e32 v1, 0x7f800000, v1, vcc_lo
	v_cmp_gt_f32_e64 vcc_lo, 0x33800000, |v7|
	v_cndmask_b32_e32 v1, v1, v7, vcc_lo
	s_delay_alu instid0(VALU_DEP_1) | instskip(NEXT) | instid1(VALU_DEP_1)
	v_div_scale_f32 v2, null, s10, s10, v1
	v_rcp_f32_e32 v3, v2
	v_nop
	s_delay_alu instid0(TRANS32_DEP_1) | instskip(NEXT) | instid1(VALU_DEP_1)
	v_fma_f32 v7, -v2, v3, 1.0
	v_fmac_f32_e32 v3, v7, v3
	v_div_scale_f32 v7, vcc_lo, v1, s10, v1
	s_delay_alu instid0(VALU_DEP_1) | instskip(NEXT) | instid1(VALU_DEP_1)
	v_mul_f32_e32 v8, v7, v3
	v_fma_f32 v9, -v2, v8, v7
	s_delay_alu instid0(VALU_DEP_1) | instskip(NEXT) | instid1(VALU_DEP_1)
	v_fmac_f32_e32 v8, v9, v3
	v_fma_f32 v2, -v2, v8, v7
	s_delay_alu instid0(VALU_DEP_1) | instskip(NEXT) | instid1(VALU_DEP_1)
	v_div_fmas_f32 v2, v2, v3, v8
	v_div_fixup_f32 v1, v2, s10, v1
	s_delay_alu instid0(VALU_DEP_1)
	v_cvt_f16_f32_e32 v7, v1
.LBB24_1431:
	s_or_b32 exec_lo, exec_lo, s9
	v_add_nc_u32_e32 v0, s3, v0
	s_cmp_lt_i32 s0, 11
	s_delay_alu instid0(VALU_DEP_1) | instskip(NEXT) | instid1(VALU_DEP_1)
	v_ashrrev_i32_e32 v1, 31, v0
	v_add_nc_u64_e32 v[0:1], s[6:7], v[0:1]
	s_cbranch_scc1 .LBB24_1438
; %bb.1432:
	s_cmp_gt_i32 s0, 25
	s_mov_b32 s6, 0
	s_cbranch_scc0 .LBB24_1439
; %bb.1433:
	s_cmp_gt_i32 s0, 28
	s_cbranch_scc0 .LBB24_1440
; %bb.1434:
	s_cmp_gt_i32 s0, 43
	s_cbranch_scc0 .LBB24_1441
; %bb.1435:
	s_cmp_gt_i32 s0, 45
	s_cbranch_scc0 .LBB24_1443
; %bb.1436:
	s_cmp_eq_u32 s0, 46
	s_mov_b32 s9, 0
	s_cbranch_scc0 .LBB24_1444
; %bb.1437:
	global_load_b32 v2, v[0:1], off
	s_mov_b32 s3, 0
	s_mov_b32 s7, -1
	s_wait_loadcnt 0x0
	v_lshlrev_b32_e32 v2, 16, v2
	s_delay_alu instid0(VALU_DEP_1)
	v_cvt_f16_f32_e32 v8, v2
	s_branch .LBB24_1446
.LBB24_1438:
	s_mov_b32 s3, -1
	s_mov_b32 s7, 0
                                        ; implicit-def: $vgpr8
	s_branch .LBB24_1512
.LBB24_1439:
	s_mov_b32 s9, -1
	s_mov_b32 s7, 0
	s_mov_b32 s3, 0
                                        ; implicit-def: $vgpr8
	s_branch .LBB24_1475
.LBB24_1440:
	s_mov_b32 s9, -1
	s_mov_b32 s7, 0
	s_mov_b32 s3, 0
                                        ; implicit-def: $vgpr8
	s_branch .LBB24_1456
.LBB24_1441:
	s_mov_b32 s9, -1
	s_mov_b32 s7, 0
	s_mov_b32 s3, 0
                                        ; implicit-def: $vgpr8
	s_branch .LBB24_1451
.LBB24_1442:
	s_or_b32 s1, s1, exec_lo
	s_trap 2
	s_cbranch_execz .LBB24_1379
	s_branch .LBB24_1380
.LBB24_1443:
	s_mov_b32 s9, -1
	s_mov_b32 s7, 0
	s_mov_b32 s3, 0
	s_branch .LBB24_1445
.LBB24_1444:
	s_mov_b32 s3, -1
	s_mov_b32 s7, 0
.LBB24_1445:
                                        ; implicit-def: $vgpr8
.LBB24_1446:
	s_and_b32 vcc_lo, exec_lo, s9
	s_cbranch_vccz .LBB24_1450
; %bb.1447:
	s_cmp_eq_u32 s0, 44
	s_cbranch_scc0 .LBB24_1449
; %bb.1448:
	global_load_u8 v2, v[0:1], off
	s_mov_b32 s3, 0
	s_mov_b32 s7, -1
	s_wait_loadcnt 0x0
	v_lshlrev_b32_e32 v3, 23, v2
	v_cmp_ne_u32_e32 vcc_lo, 0xff, v2
	s_delay_alu instid0(VALU_DEP_2) | instskip(NEXT) | instid1(VALU_DEP_1)
	v_cvt_f16_f32_e32 v3, v3
	v_cndmask_b32_e32 v3, 0x7e00, v3, vcc_lo
	v_cmp_ne_u32_e32 vcc_lo, 0, v2
	s_delay_alu instid0(VALU_DEP_2)
	v_cndmask_b32_e32 v8, 0, v3, vcc_lo
	s_branch .LBB24_1450
.LBB24_1449:
	s_mov_b32 s3, -1
                                        ; implicit-def: $vgpr8
.LBB24_1450:
	s_mov_b32 s9, 0
.LBB24_1451:
	s_delay_alu instid0(SALU_CYCLE_1)
	s_and_b32 vcc_lo, exec_lo, s9
	s_cbranch_vccz .LBB24_1455
; %bb.1452:
	s_cmp_eq_u32 s0, 29
	s_cbranch_scc0 .LBB24_1454
; %bb.1453:
	global_load_b64 v[2:3], v[0:1], off
	s_mov_b32 s3, 0
	s_mov_b32 s7, -1
	s_mov_b32 s9, 0
	s_wait_loadcnt 0x0
	v_clz_i32_u32_e32 v8, v3
	s_delay_alu instid0(VALU_DEP_1) | instskip(NEXT) | instid1(VALU_DEP_1)
	v_min_u32_e32 v8, 32, v8
	v_lshlrev_b64_e32 v[2:3], v8, v[2:3]
	s_delay_alu instid0(VALU_DEP_1) | instskip(NEXT) | instid1(VALU_DEP_1)
	v_min_u32_e32 v2, 1, v2
	v_dual_sub_nc_u32 v3, 32, v8 :: v_dual_bitop2_b32 v2, v3, v2 bitop3:0x54
	s_delay_alu instid0(VALU_DEP_1) | instskip(NEXT) | instid1(VALU_DEP_1)
	v_cvt_f32_u32_e32 v2, v2
	v_ldexp_f32 v2, v2, v3
	s_delay_alu instid0(VALU_DEP_1)
	v_cvt_f16_f32_e32 v8, v2
	s_branch .LBB24_1456
.LBB24_1454:
	s_mov_b32 s3, -1
                                        ; implicit-def: $vgpr8
.LBB24_1455:
	s_mov_b32 s9, 0
.LBB24_1456:
	s_delay_alu instid0(SALU_CYCLE_1)
	s_and_b32 vcc_lo, exec_lo, s9
	s_cbranch_vccz .LBB24_1474
; %bb.1457:
	s_cmp_lt_i32 s0, 27
	s_cbranch_scc1 .LBB24_1460
; %bb.1458:
	s_cmp_gt_i32 s0, 27
	s_cbranch_scc0 .LBB24_1461
; %bb.1459:
	global_load_b32 v2, v[0:1], off
	s_mov_b32 s7, 0
	s_wait_loadcnt 0x0
	v_cvt_f32_u32_e32 v2, v2
	s_delay_alu instid0(VALU_DEP_1)
	v_cvt_f16_f32_e32 v8, v2
	s_branch .LBB24_1462
.LBB24_1460:
	s_mov_b32 s7, -1
                                        ; implicit-def: $vgpr8
	s_branch .LBB24_1465
.LBB24_1461:
	s_mov_b32 s7, -1
                                        ; implicit-def: $vgpr8
.LBB24_1462:
	s_delay_alu instid0(SALU_CYCLE_1)
	s_and_not1_b32 vcc_lo, exec_lo, s7
	s_cbranch_vccnz .LBB24_1464
; %bb.1463:
	global_load_u16 v2, v[0:1], off
	s_wait_loadcnt 0x0
	v_cvt_f16_u16_e32 v8, v2
.LBB24_1464:
	s_mov_b32 s7, 0
.LBB24_1465:
	s_delay_alu instid0(SALU_CYCLE_1)
	s_and_not1_b32 vcc_lo, exec_lo, s7
	s_cbranch_vccnz .LBB24_1473
; %bb.1466:
	global_load_u8 v2, v[0:1], off
	s_mov_b32 s7, 0
	s_mov_b32 s9, exec_lo
	s_wait_loadcnt 0x0
	v_cmpx_lt_i16_e32 0x7f, v2
	s_xor_b32 s9, exec_lo, s9
	s_cbranch_execz .LBB24_1487
; %bb.1467:
	s_mov_b32 s7, -1
	s_mov_b32 s14, exec_lo
	v_cmpx_eq_u16_e32 0x80, v2
; %bb.1468:
	s_xor_b32 s7, exec_lo, -1
; %bb.1469:
	s_or_b32 exec_lo, exec_lo, s14
	s_delay_alu instid0(SALU_CYCLE_1)
	s_and_b32 s7, s7, exec_lo
	s_or_saveexec_b32 s9, s9
	v_mov_b32_e32 v8, 0x7e00
	s_xor_b32 exec_lo, exec_lo, s9
	s_cbranch_execnz .LBB24_1488
.LBB24_1470:
	s_or_b32 exec_lo, exec_lo, s9
	s_and_saveexec_b32 s9, s7
	s_cbranch_execz .LBB24_1472
.LBB24_1471:
	v_and_b32_e32 v3, 0xffff, v2
	s_delay_alu instid0(VALU_DEP_1) | instskip(SKIP_1) | instid1(VALU_DEP_2)
	v_and_b32_e32 v8, 7, v3
	v_bfe_u32 v11, v3, 3, 4
	v_clz_i32_u32_e32 v9, v8
	s_delay_alu instid0(VALU_DEP_2) | instskip(NEXT) | instid1(VALU_DEP_2)
	v_cmp_eq_u32_e32 vcc_lo, 0, v11
	v_min_u32_e32 v9, 32, v9
	s_delay_alu instid0(VALU_DEP_1) | instskip(NEXT) | instid1(VALU_DEP_1)
	v_subrev_nc_u32_e32 v10, 28, v9
	v_dual_lshlrev_b32 v3, v10, v3 :: v_dual_sub_nc_u32 v9, 29, v9
	s_delay_alu instid0(VALU_DEP_1) | instskip(NEXT) | instid1(VALU_DEP_1)
	v_dual_lshlrev_b32 v2, 24, v2 :: v_dual_bitop2_b32 v3, 7, v3 bitop3:0x40
	v_dual_cndmask_b32 v9, v11, v9, vcc_lo :: v_dual_cndmask_b32 v3, v8, v3, vcc_lo
	s_delay_alu instid0(VALU_DEP_2) | instskip(NEXT) | instid1(VALU_DEP_2)
	v_and_b32_e32 v2, 0x80000000, v2
	v_lshl_add_u32 v8, v9, 23, 0x3b800000
	s_delay_alu instid0(VALU_DEP_3) | instskip(NEXT) | instid1(VALU_DEP_1)
	v_lshlrev_b32_e32 v3, 20, v3
	v_or3_b32 v2, v2, v8, v3
	s_delay_alu instid0(VALU_DEP_1)
	v_cvt_f16_f32_e32 v8, v2
.LBB24_1472:
	s_or_b32 exec_lo, exec_lo, s9
.LBB24_1473:
	s_mov_b32 s7, -1
.LBB24_1474:
	s_mov_b32 s9, 0
.LBB24_1475:
	s_delay_alu instid0(SALU_CYCLE_1)
	s_and_b32 vcc_lo, exec_lo, s9
	s_cbranch_vccz .LBB24_1508
; %bb.1476:
	s_cmp_gt_i32 s0, 22
	s_cbranch_scc0 .LBB24_1486
; %bb.1477:
	s_cmp_lt_i32 s0, 24
	s_cbranch_scc1 .LBB24_1489
; %bb.1478:
	s_cmp_gt_i32 s0, 24
	s_cbranch_scc0 .LBB24_1490
; %bb.1479:
	global_load_u8 v2, v[0:1], off
	s_mov_b32 s7, exec_lo
	s_wait_loadcnt 0x0
	v_cmpx_lt_i16_e32 0x7f, v2
	s_xor_b32 s7, exec_lo, s7
	s_cbranch_execz .LBB24_1502
; %bb.1480:
	s_mov_b32 s6, -1
	s_mov_b32 s9, exec_lo
	v_cmpx_eq_u16_e32 0x80, v2
; %bb.1481:
	s_xor_b32 s6, exec_lo, -1
; %bb.1482:
	s_or_b32 exec_lo, exec_lo, s9
	s_delay_alu instid0(SALU_CYCLE_1)
	s_and_b32 s6, s6, exec_lo
	s_or_saveexec_b32 s7, s7
	v_mov_b32_e32 v8, 0x7e00
	s_xor_b32 exec_lo, exec_lo, s7
	s_cbranch_execnz .LBB24_1503
.LBB24_1483:
	s_or_b32 exec_lo, exec_lo, s7
	s_and_saveexec_b32 s7, s6
	s_cbranch_execz .LBB24_1485
.LBB24_1484:
	v_and_b32_e32 v3, 0xffff, v2
	s_delay_alu instid0(VALU_DEP_1) | instskip(SKIP_1) | instid1(VALU_DEP_2)
	v_and_b32_e32 v8, 3, v3
	v_bfe_u32 v11, v3, 2, 5
	v_clz_i32_u32_e32 v9, v8
	s_delay_alu instid0(VALU_DEP_2) | instskip(NEXT) | instid1(VALU_DEP_2)
	v_cmp_eq_u32_e32 vcc_lo, 0, v11
	v_min_u32_e32 v9, 32, v9
	s_delay_alu instid0(VALU_DEP_1) | instskip(NEXT) | instid1(VALU_DEP_1)
	v_subrev_nc_u32_e32 v10, 29, v9
	v_dual_lshlrev_b32 v3, v10, v3 :: v_dual_sub_nc_u32 v9, 30, v9
	s_delay_alu instid0(VALU_DEP_1) | instskip(NEXT) | instid1(VALU_DEP_1)
	v_dual_lshlrev_b32 v2, 24, v2 :: v_dual_bitop2_b32 v3, 3, v3 bitop3:0x40
	v_dual_cndmask_b32 v9, v11, v9, vcc_lo :: v_dual_cndmask_b32 v3, v8, v3, vcc_lo
	s_delay_alu instid0(VALU_DEP_2) | instskip(NEXT) | instid1(VALU_DEP_2)
	v_and_b32_e32 v2, 0x80000000, v2
	v_lshl_add_u32 v8, v9, 23, 0x37800000
	s_delay_alu instid0(VALU_DEP_3) | instskip(NEXT) | instid1(VALU_DEP_1)
	v_lshlrev_b32_e32 v3, 21, v3
	v_or3_b32 v2, v2, v8, v3
	s_delay_alu instid0(VALU_DEP_1)
	v_cvt_f16_f32_e32 v8, v2
.LBB24_1485:
	s_or_b32 exec_lo, exec_lo, s7
	s_mov_b32 s6, 0
	s_branch .LBB24_1491
.LBB24_1486:
	s_mov_b32 s6, -1
                                        ; implicit-def: $vgpr8
	s_branch .LBB24_1497
.LBB24_1487:
	s_or_saveexec_b32 s9, s9
	v_mov_b32_e32 v8, 0x7e00
	s_xor_b32 exec_lo, exec_lo, s9
	s_cbranch_execz .LBB24_1470
.LBB24_1488:
	v_cmp_ne_u16_e32 vcc_lo, 0, v2
	v_mov_b32_e32 v8, v2
	s_and_not1_b32 s7, s7, exec_lo
	s_and_b32 s14, vcc_lo, exec_lo
	s_delay_alu instid0(SALU_CYCLE_1)
	s_or_b32 s7, s7, s14
	s_or_b32 exec_lo, exec_lo, s9
	s_and_saveexec_b32 s9, s7
	s_cbranch_execnz .LBB24_1471
	s_branch .LBB24_1472
.LBB24_1489:
	s_mov_b32 s6, -1
                                        ; implicit-def: $vgpr8
	s_branch .LBB24_1494
.LBB24_1490:
	s_mov_b32 s6, -1
                                        ; implicit-def: $vgpr8
.LBB24_1491:
	s_delay_alu instid0(SALU_CYCLE_1)
	s_and_b32 vcc_lo, exec_lo, s6
	s_cbranch_vccz .LBB24_1493
; %bb.1492:
	global_load_u8 v2, v[0:1], off
	s_wait_loadcnt 0x0
	v_lshlrev_b32_e32 v2, 24, v2
	s_delay_alu instid0(VALU_DEP_1) | instskip(NEXT) | instid1(VALU_DEP_1)
	v_and_b32_e32 v3, 0x7f000000, v2
	v_clz_i32_u32_e32 v8, v3
	v_cmp_ne_u32_e32 vcc_lo, 0, v3
	v_add_nc_u32_e32 v10, 0x1000000, v3
	s_delay_alu instid0(VALU_DEP_3) | instskip(NEXT) | instid1(VALU_DEP_1)
	v_min_u32_e32 v8, 32, v8
	v_sub_nc_u32_e64 v8, v8, 4 clamp
	s_delay_alu instid0(VALU_DEP_1) | instskip(NEXT) | instid1(VALU_DEP_1)
	v_dual_lshlrev_b32 v9, v8, v3 :: v_dual_lshlrev_b32 v8, 23, v8
	v_lshrrev_b32_e32 v9, 4, v9
	s_delay_alu instid0(VALU_DEP_1) | instskip(NEXT) | instid1(VALU_DEP_1)
	v_dual_sub_nc_u32 v8, v9, v8 :: v_dual_ashrrev_i32 v9, 8, v10
	v_add_nc_u32_e32 v8, 0x3c000000, v8
	s_delay_alu instid0(VALU_DEP_1) | instskip(NEXT) | instid1(VALU_DEP_1)
	v_and_or_b32 v8, 0x7f800000, v9, v8
	v_cndmask_b32_e32 v3, 0, v8, vcc_lo
	s_delay_alu instid0(VALU_DEP_1) | instskip(NEXT) | instid1(VALU_DEP_1)
	v_and_or_b32 v2, 0x80000000, v2, v3
	v_cvt_f16_f32_e32 v8, v2
.LBB24_1493:
	s_mov_b32 s6, 0
.LBB24_1494:
	s_delay_alu instid0(SALU_CYCLE_1)
	s_and_not1_b32 vcc_lo, exec_lo, s6
	s_cbranch_vccnz .LBB24_1496
; %bb.1495:
	global_load_u8 v2, v[0:1], off
	s_wait_loadcnt 0x0
	v_lshlrev_b32_e32 v3, 25, v2
	v_lshlrev_b16 v2, 8, v2
	s_delay_alu instid0(VALU_DEP_1) | instskip(SKIP_1) | instid1(VALU_DEP_2)
	v_and_or_b32 v9, 0x7f00, v2, 0.5
	v_bfe_i32 v2, v2, 0, 16
	v_dual_add_f32 v9, -0.5, v9 :: v_dual_lshrrev_b32 v8, 4, v3
	v_cmp_gt_u32_e32 vcc_lo, 0x8000000, v3
	s_delay_alu instid0(VALU_DEP_2) | instskip(NEXT) | instid1(VALU_DEP_1)
	v_or_b32_e32 v8, 0x70000000, v8
	v_mul_f32_e32 v8, 0x7800000, v8
	s_delay_alu instid0(VALU_DEP_1) | instskip(NEXT) | instid1(VALU_DEP_1)
	v_cndmask_b32_e32 v3, v8, v9, vcc_lo
	v_and_or_b32 v2, 0x80000000, v2, v3
	s_delay_alu instid0(VALU_DEP_1)
	v_cvt_f16_f32_e32 v8, v2
.LBB24_1496:
	s_mov_b32 s6, 0
	s_mov_b32 s7, -1
.LBB24_1497:
	s_and_not1_b32 vcc_lo, exec_lo, s6
	s_mov_b32 s6, 0
	s_cbranch_vccnz .LBB24_1508
; %bb.1498:
	s_cmp_gt_i32 s0, 14
	s_cbranch_scc0 .LBB24_1501
; %bb.1499:
	s_cmp_eq_u32 s0, 15
	s_cbranch_scc0 .LBB24_1504
; %bb.1500:
	global_load_u16 v2, v[0:1], off
	s_mov_b32 s3, 0
	s_mov_b32 s7, -1
	s_wait_loadcnt 0x0
	v_lshlrev_b32_e32 v2, 16, v2
	s_delay_alu instid0(VALU_DEP_1)
	v_cvt_f16_f32_e32 v8, v2
	s_branch .LBB24_1506
.LBB24_1501:
	s_mov_b32 s6, -1
	s_branch .LBB24_1505
.LBB24_1502:
	s_or_saveexec_b32 s7, s7
	v_mov_b32_e32 v8, 0x7e00
	s_xor_b32 exec_lo, exec_lo, s7
	s_cbranch_execz .LBB24_1483
.LBB24_1503:
	v_cmp_ne_u16_e32 vcc_lo, 0, v2
	v_mov_b32_e32 v8, v2
	s_and_not1_b32 s6, s6, exec_lo
	s_and_b32 s9, vcc_lo, exec_lo
	s_delay_alu instid0(SALU_CYCLE_1)
	s_or_b32 s6, s6, s9
	s_or_b32 exec_lo, exec_lo, s7
	s_and_saveexec_b32 s7, s6
	s_cbranch_execnz .LBB24_1484
	s_branch .LBB24_1485
.LBB24_1504:
	s_mov_b32 s3, -1
.LBB24_1505:
                                        ; implicit-def: $vgpr8
.LBB24_1506:
	s_and_b32 vcc_lo, exec_lo, s6
	s_mov_b32 s6, 0
	s_cbranch_vccz .LBB24_1508
; %bb.1507:
	s_cmp_lg_u32 s0, 11
	s_mov_b32 s6, -1
	s_cselect_b32 s3, -1, 0
.LBB24_1508:
	s_delay_alu instid0(SALU_CYCLE_1)
	s_and_b32 vcc_lo, exec_lo, s3
	s_cbranch_vccnz .LBB24_2044
; %bb.1509:
	s_and_not1_b32 vcc_lo, exec_lo, s6
	s_cbranch_vccnz .LBB24_1511
.LBB24_1510:
	global_load_u8 v2, v[0:1], off
	s_mov_b32 s7, -1
	s_wait_loadcnt 0x0
	v_cmp_ne_u16_e32 vcc_lo, 0, v2
	v_cndmask_b32_e64 v8, 0, 0x3c00, vcc_lo
.LBB24_1511:
	s_mov_b32 s3, 0
.LBB24_1512:
	s_delay_alu instid0(SALU_CYCLE_1)
	s_and_b32 vcc_lo, exec_lo, s3
	s_cbranch_vccz .LBB24_1561
; %bb.1513:
	s_cmp_lt_i32 s0, 5
	s_cbranch_scc1 .LBB24_1518
; %bb.1514:
	s_cmp_lt_i32 s0, 8
	s_cbranch_scc1 .LBB24_1519
	;; [unrolled: 3-line block ×3, first 2 shown]
; %bb.1516:
	s_cmp_gt_i32 s0, 9
	s_cbranch_scc0 .LBB24_1521
; %bb.1517:
	global_load_b64 v[2:3], v[0:1], off
	s_mov_b32 s3, 0
	s_wait_loadcnt 0x0
	v_and_or_b32 v2, 0x1ff, v3, v2
	v_lshrrev_b32_e32 v8, 8, v3
	v_bfe_u32 v9, v3, 20, 11
	v_lshrrev_b32_e32 v3, 16, v3
	s_delay_alu instid0(VALU_DEP_4) | instskip(NEXT) | instid1(VALU_DEP_3)
	v_cmp_ne_u32_e32 vcc_lo, 0, v2
	v_sub_nc_u32_e32 v10, 0x3f1, v9
	v_add_nc_u32_e32 v9, 0xfffffc10, v9
	v_cndmask_b32_e64 v2, 0, 1, vcc_lo
	s_delay_alu instid0(VALU_DEP_1) | instskip(NEXT) | instid1(VALU_DEP_4)
	v_and_or_b32 v2, 0xffe, v8, v2
	v_med3_i32 v8, v10, 0, 13
	s_delay_alu instid0(VALU_DEP_2) | instskip(NEXT) | instid1(VALU_DEP_1)
	v_or_b32_e32 v10, 0x1000, v2
	v_lshrrev_b32_e32 v11, v8, v10
	s_delay_alu instid0(VALU_DEP_1) | instskip(NEXT) | instid1(VALU_DEP_1)
	v_lshlrev_b32_e32 v8, v8, v11
	v_cmp_ne_u32_e32 vcc_lo, v8, v10
	v_lshl_or_b32 v10, v9, 12, v2
	v_cndmask_b32_e64 v8, 0, 1, vcc_lo
	v_cmp_gt_i32_e32 vcc_lo, 1, v9
	s_delay_alu instid0(VALU_DEP_2) | instskip(NEXT) | instid1(VALU_DEP_1)
	v_or_b32_e32 v8, v11, v8
	v_cndmask_b32_e32 v8, v10, v8, vcc_lo
	s_delay_alu instid0(VALU_DEP_1) | instskip(NEXT) | instid1(VALU_DEP_1)
	v_dual_lshrrev_b32 v8, 2, v8 :: v_dual_bitop2_b32 v10, 7, v8 bitop3:0x40
	v_cmp_lt_i32_e32 vcc_lo, 5, v10
	v_cndmask_b32_e64 v11, 0, 1, vcc_lo
	v_cmp_eq_u32_e32 vcc_lo, 3, v10
	v_cndmask_b32_e64 v10, 0, 1, vcc_lo
	v_cmp_ne_u32_e32 vcc_lo, 0, v2
	s_delay_alu instid0(VALU_DEP_2) | instskip(NEXT) | instid1(VALU_DEP_1)
	v_or_b32_e32 v10, v10, v11
	v_dual_mov_b32 v11, 0x7e00 :: v_dual_add_nc_u32 v8, v8, v10
	s_delay_alu instid0(VALU_DEP_1) | instskip(SKIP_1) | instid1(VALU_DEP_3)
	v_cndmask_b32_e32 v2, 0x7c00, v11, vcc_lo
	v_cmp_gt_i32_e32 vcc_lo, 31, v9
	v_cndmask_b32_e32 v8, 0x7c00, v8, vcc_lo
	v_cmp_eq_u32_e32 vcc_lo, 0x40f, v9
	s_delay_alu instid0(VALU_DEP_2) | instskip(NEXT) | instid1(VALU_DEP_1)
	v_cndmask_b32_e32 v2, v8, v2, vcc_lo
	v_and_or_b32 v8, 0x8000, v3, v2
	s_branch .LBB24_1522
.LBB24_1518:
	s_mov_b32 s3, -1
                                        ; implicit-def: $vgpr8
	s_branch .LBB24_1540
.LBB24_1519:
	s_mov_b32 s3, -1
                                        ; implicit-def: $vgpr8
	s_branch .LBB24_1528
.LBB24_1520:
	s_mov_b32 s3, -1
                                        ; implicit-def: $vgpr8
	s_branch .LBB24_1525
.LBB24_1521:
	s_mov_b32 s3, -1
                                        ; implicit-def: $vgpr8
.LBB24_1522:
	s_delay_alu instid0(SALU_CYCLE_1)
	s_and_not1_b32 vcc_lo, exec_lo, s3
	s_cbranch_vccnz .LBB24_1524
; %bb.1523:
	global_load_b32 v2, v[0:1], off
	s_wait_loadcnt 0x0
	v_cvt_f16_f32_e32 v8, v2
.LBB24_1524:
	s_mov_b32 s3, 0
.LBB24_1525:
	s_delay_alu instid0(SALU_CYCLE_1)
	s_and_not1_b32 vcc_lo, exec_lo, s3
	s_cbranch_vccnz .LBB24_1527
; %bb.1526:
	global_load_b32 v8, v[0:1], off
.LBB24_1527:
	s_mov_b32 s3, 0
.LBB24_1528:
	s_delay_alu instid0(SALU_CYCLE_1)
	s_and_not1_b32 vcc_lo, exec_lo, s3
	s_cbranch_vccnz .LBB24_1539
; %bb.1529:
	s_cmp_lt_i32 s0, 6
	s_cbranch_scc1 .LBB24_1532
; %bb.1530:
	s_cmp_gt_i32 s0, 6
	s_cbranch_scc0 .LBB24_1533
; %bb.1531:
	global_load_b64 v[2:3], v[0:1], off
	s_mov_b32 s3, 0
	s_wait_loadcnt 0x0
	v_and_or_b32 v2, 0x1ff, v3, v2
	v_lshrrev_b32_e32 v8, 8, v3
	v_bfe_u32 v9, v3, 20, 11
	v_lshrrev_b32_e32 v3, 16, v3
	s_delay_alu instid0(VALU_DEP_4) | instskip(NEXT) | instid1(VALU_DEP_3)
	v_cmp_ne_u32_e32 vcc_lo, 0, v2
	v_sub_nc_u32_e32 v10, 0x3f1, v9
	v_add_nc_u32_e32 v9, 0xfffffc10, v9
	v_cndmask_b32_e64 v2, 0, 1, vcc_lo
	s_delay_alu instid0(VALU_DEP_1) | instskip(NEXT) | instid1(VALU_DEP_4)
	v_and_or_b32 v2, 0xffe, v8, v2
	v_med3_i32 v8, v10, 0, 13
	s_delay_alu instid0(VALU_DEP_2) | instskip(NEXT) | instid1(VALU_DEP_1)
	v_or_b32_e32 v10, 0x1000, v2
	v_lshrrev_b32_e32 v11, v8, v10
	s_delay_alu instid0(VALU_DEP_1) | instskip(NEXT) | instid1(VALU_DEP_1)
	v_lshlrev_b32_e32 v8, v8, v11
	v_cmp_ne_u32_e32 vcc_lo, v8, v10
	v_lshl_or_b32 v10, v9, 12, v2
	v_cndmask_b32_e64 v8, 0, 1, vcc_lo
	v_cmp_gt_i32_e32 vcc_lo, 1, v9
	s_delay_alu instid0(VALU_DEP_2) | instskip(NEXT) | instid1(VALU_DEP_1)
	v_or_b32_e32 v8, v11, v8
	v_cndmask_b32_e32 v8, v10, v8, vcc_lo
	s_delay_alu instid0(VALU_DEP_1) | instskip(NEXT) | instid1(VALU_DEP_1)
	v_dual_lshrrev_b32 v8, 2, v8 :: v_dual_bitop2_b32 v10, 7, v8 bitop3:0x40
	v_cmp_lt_i32_e32 vcc_lo, 5, v10
	v_cndmask_b32_e64 v11, 0, 1, vcc_lo
	v_cmp_eq_u32_e32 vcc_lo, 3, v10
	v_cndmask_b32_e64 v10, 0, 1, vcc_lo
	v_cmp_ne_u32_e32 vcc_lo, 0, v2
	s_delay_alu instid0(VALU_DEP_2) | instskip(NEXT) | instid1(VALU_DEP_1)
	v_or_b32_e32 v10, v10, v11
	v_dual_mov_b32 v11, 0x7e00 :: v_dual_add_nc_u32 v8, v8, v10
	s_delay_alu instid0(VALU_DEP_1) | instskip(SKIP_1) | instid1(VALU_DEP_3)
	v_cndmask_b32_e32 v2, 0x7c00, v11, vcc_lo
	v_cmp_gt_i32_e32 vcc_lo, 31, v9
	v_cndmask_b32_e32 v8, 0x7c00, v8, vcc_lo
	v_cmp_eq_u32_e32 vcc_lo, 0x40f, v9
	s_delay_alu instid0(VALU_DEP_2) | instskip(NEXT) | instid1(VALU_DEP_1)
	v_cndmask_b32_e32 v2, v8, v2, vcc_lo
	v_and_or_b32 v8, 0x8000, v3, v2
	s_branch .LBB24_1534
.LBB24_1532:
	s_mov_b32 s3, -1
                                        ; implicit-def: $vgpr8
	s_branch .LBB24_1537
.LBB24_1533:
	s_mov_b32 s3, -1
                                        ; implicit-def: $vgpr8
.LBB24_1534:
	s_delay_alu instid0(SALU_CYCLE_1)
	s_and_not1_b32 vcc_lo, exec_lo, s3
	s_cbranch_vccnz .LBB24_1536
; %bb.1535:
	global_load_b32 v2, v[0:1], off
	s_wait_loadcnt 0x0
	v_cvt_f16_f32_e32 v8, v2
.LBB24_1536:
	s_mov_b32 s3, 0
.LBB24_1537:
	s_delay_alu instid0(SALU_CYCLE_1)
	s_and_not1_b32 vcc_lo, exec_lo, s3
	s_cbranch_vccnz .LBB24_1539
; %bb.1538:
	s_wait_loadcnt 0x0
	global_load_u16 v8, v[0:1], off
.LBB24_1539:
	s_mov_b32 s3, 0
.LBB24_1540:
	s_delay_alu instid0(SALU_CYCLE_1)
	s_and_not1_b32 vcc_lo, exec_lo, s3
	s_cbranch_vccnz .LBB24_1560
; %bb.1541:
	s_cmp_lt_i32 s0, 2
	s_cbranch_scc1 .LBB24_1545
; %bb.1542:
	s_cmp_lt_i32 s0, 3
	s_cbranch_scc1 .LBB24_1546
; %bb.1543:
	s_cmp_gt_i32 s0, 3
	s_cbranch_scc0 .LBB24_1547
; %bb.1544:
	global_load_b64 v[2:3], v[0:1], off
	s_mov_b32 s3, 0
	s_wait_loadcnt 0x0
	v_xor_b32_e32 v8, v2, v3
	v_cls_i32_e32 v9, v3
	s_delay_alu instid0(VALU_DEP_2) | instskip(NEXT) | instid1(VALU_DEP_1)
	v_ashrrev_i32_e32 v8, 31, v8
	v_add_nc_u32_e32 v8, 32, v8
	s_delay_alu instid0(VALU_DEP_1) | instskip(NEXT) | instid1(VALU_DEP_1)
	v_add_min_u32_e64 v8, v9, -1, v8
	v_lshlrev_b64_e32 v[2:3], v8, v[2:3]
	s_delay_alu instid0(VALU_DEP_1) | instskip(NEXT) | instid1(VALU_DEP_1)
	v_min_u32_e32 v2, 1, v2
	v_dual_sub_nc_u32 v3, 32, v8 :: v_dual_bitop2_b32 v2, v3, v2 bitop3:0x54
	s_delay_alu instid0(VALU_DEP_1) | instskip(NEXT) | instid1(VALU_DEP_1)
	v_cvt_f32_i32_e32 v2, v2
	v_ldexp_f32 v2, v2, v3
	s_delay_alu instid0(VALU_DEP_1)
	v_cvt_f16_f32_e32 v8, v2
	s_branch .LBB24_1548
.LBB24_1545:
	s_mov_b32 s3, -1
                                        ; implicit-def: $vgpr8
	s_branch .LBB24_1554
.LBB24_1546:
	s_mov_b32 s3, -1
                                        ; implicit-def: $vgpr8
	s_branch .LBB24_1551
.LBB24_1547:
	s_mov_b32 s3, -1
                                        ; implicit-def: $vgpr8
.LBB24_1548:
	s_delay_alu instid0(SALU_CYCLE_1)
	s_and_not1_b32 vcc_lo, exec_lo, s3
	s_cbranch_vccnz .LBB24_1550
; %bb.1549:
	global_load_b32 v2, v[0:1], off
	s_wait_loadcnt 0x0
	v_cvt_f32_i32_e32 v2, v2
	s_delay_alu instid0(VALU_DEP_1)
	v_cvt_f16_f32_e32 v8, v2
.LBB24_1550:
	s_mov_b32 s3, 0
.LBB24_1551:
	s_delay_alu instid0(SALU_CYCLE_1)
	s_and_not1_b32 vcc_lo, exec_lo, s3
	s_cbranch_vccnz .LBB24_1553
; %bb.1552:
	global_load_u16 v2, v[0:1], off
	s_wait_loadcnt 0x0
	v_cvt_f16_i16_e32 v8, v2
.LBB24_1553:
	s_mov_b32 s3, 0
.LBB24_1554:
	s_delay_alu instid0(SALU_CYCLE_1)
	s_and_not1_b32 vcc_lo, exec_lo, s3
	s_cbranch_vccnz .LBB24_1560
; %bb.1555:
	s_cmp_gt_i32 s0, 0
	s_mov_b32 s0, 0
	s_cbranch_scc0 .LBB24_1557
; %bb.1556:
	global_load_i8 v2, v[0:1], off
	s_wait_loadcnt 0x0
	v_cvt_f16_i16_e32 v8, v2
	s_branch .LBB24_1558
.LBB24_1557:
	s_mov_b32 s0, -1
                                        ; implicit-def: $vgpr8
.LBB24_1558:
	s_delay_alu instid0(SALU_CYCLE_1)
	s_and_not1_b32 vcc_lo, exec_lo, s0
	s_cbranch_vccnz .LBB24_1560
; %bb.1559:
	global_load_u8 v0, v[0:1], off
	s_wait_loadcnt 0x0
	v_cvt_f16_u16_e32 v8, v0
.LBB24_1560:
	s_mov_b32 s7, -1
.LBB24_1561:
	s_delay_alu instid0(SALU_CYCLE_1)
	s_and_not1_b32 vcc_lo, exec_lo, s7
	s_cbranch_vccnz .LBB24_1642
; %bb.1562:
	s_wait_loadcnt 0x0
	v_cvt_f32_f16_e32 v0, v8
	s_mov_b32 s0, exec_lo
	s_delay_alu instid0(VALU_DEP_1) | instskip(NEXT) | instid1(VALU_DEP_1)
	v_mul_f32_e32 v0, s10, v0
	v_cmpx_nlt_f32_e32 s11, v0
	s_cbranch_execz .LBB24_1564
; %bb.1563:
	v_mul_f32_e32 v1, 0x3fb8aa3b, v0
	v_cmp_ngt_f32_e32 vcc_lo, 0xc2ce8ed0, v0
	s_mov_b32 s3, 0x3e9b6dac
	s_delay_alu instid0(VALU_DEP_2) | instskip(SKIP_1) | instid1(VALU_DEP_2)
	v_rndne_f32_e32 v2, v1
	v_fma_f32 v3, 0x3fb8aa3b, v0, -v1
	v_sub_f32_e32 v1, v1, v2
	s_delay_alu instid0(VALU_DEP_2) | instskip(SKIP_1) | instid1(VALU_DEP_2)
	v_fmamk_f32 v3, v0, 0x32a5705f, v3
	v_cvt_i32_f32_e32 v2, v2
	v_add_f32_e32 v1, v1, v3
	s_delay_alu instid0(VALU_DEP_1) | instskip(SKIP_1) | instid1(TRANS32_DEP_1)
	v_exp_f32_e32 v1, v1
	v_nop
	v_ldexp_f32 v1, v1, v2
	s_delay_alu instid0(VALU_DEP_1) | instskip(SKIP_1) | instid1(VALU_DEP_2)
	v_cndmask_b32_e32 v1, 0, v1, vcc_lo
	v_cmp_nlt_f32_e32 vcc_lo, 0x42b17218, v0
	v_cndmask_b32_e32 v20, 0x7f800000, v1, vcc_lo
	s_delay_alu instid0(VALU_DEP_1) | instskip(NEXT) | instid1(VALU_DEP_1)
	v_add_f32_e32 v2, 1.0, v20
	v_cvt_f64_f32_e32 v[0:1], v2
	s_delay_alu instid0(VALU_DEP_1) | instskip(SKIP_1) | instid1(VALU_DEP_1)
	v_frexp_exp_i32_f64_e32 v0, v[0:1]
	v_frexp_mant_f32_e32 v1, v2
	v_cmp_gt_f32_e32 vcc_lo, 0x3f2aaaab, v1
	s_delay_alu instid0(VALU_DEP_3) | instskip(SKIP_1) | instid1(VALU_DEP_2)
	v_subrev_co_ci_u32_e64 v10, null, 0, v0, vcc_lo
	v_add_f32_e32 v0, -1.0, v2
	v_sub_nc_u32_e32 v1, 0, v10
	v_cmp_neq_f32_e32 vcc_lo, 0x7f800000, v20
	s_delay_alu instid0(VALU_DEP_3) | instskip(SKIP_1) | instid1(VALU_DEP_4)
	v_sub_f32_e32 v3, v0, v2
	v_sub_f32_e32 v0, v20, v0
	v_ldexp_f32 v2, v2, v1
	s_delay_alu instid0(VALU_DEP_1) | instskip(NEXT) | instid1(VALU_DEP_1)
	v_dual_add_f32 v3, 1.0, v3 :: v_dual_add_f32 v9, -1.0, v2
	v_dual_add_f32 v8, 1.0, v2 :: v_dual_add_f32 v0, v0, v3
	s_delay_alu instid0(VALU_DEP_1) | instskip(NEXT) | instid1(VALU_DEP_2)
	v_add_f32_e32 v3, -1.0, v8
	v_ldexp_f32 v0, v0, v1
	s_delay_alu instid0(VALU_DEP_2) | instskip(NEXT) | instid1(VALU_DEP_1)
	v_dual_sub_f32 v1, v2, v3 :: v_dual_add_f32 v3, 1.0, v9
	v_dual_add_f32 v11, v0, v1 :: v_dual_sub_f32 v1, v2, v3
	s_delay_alu instid0(VALU_DEP_1) | instskip(NEXT) | instid1(VALU_DEP_1)
	v_add_f32_e32 v13, v0, v1
	v_dual_add_f32 v12, v8, v11 :: v_dual_add_f32 v1, v9, v13
	s_delay_alu instid0(VALU_DEP_1) | instskip(NEXT) | instid1(VALU_DEP_1)
	v_rcp_f32_e32 v14, v12
	v_sub_f32_e32 v16, v9, v1
	s_delay_alu instid0(TRANS32_DEP_1) | instskip(NEXT) | instid1(VALU_DEP_1)
	v_mul_f32_e32 v15, v1, v14
	v_mul_f32_e32 v2, v12, v15
	s_delay_alu instid0(VALU_DEP_1) | instskip(NEXT) | instid1(VALU_DEP_1)
	v_dual_sub_f32 v0, v8, v12 :: v_dual_fma_f32 v8, v15, v12, -v2
	v_add_f32_e32 v11, v11, v0
	s_delay_alu instid0(VALU_DEP_1) | instskip(NEXT) | instid1(VALU_DEP_1)
	v_fmac_f32_e32 v8, v15, v11
	v_add_f32_e32 v0, v2, v8
	s_delay_alu instid0(VALU_DEP_1) | instskip(NEXT) | instid1(VALU_DEP_1)
	v_dual_sub_f32 v3, v1, v0 :: v_dual_mov_b32 v9, v0
	v_pk_add_f32 v[0:1], v[0:1], v[2:3] neg_lo:[0,1] neg_hi:[0,1]
	v_add_f32_e32 v2, v13, v16
	s_delay_alu instid0(VALU_DEP_2) | instskip(NEXT) | instid1(VALU_DEP_1)
	v_pk_add_f32 v[0:1], v[0:1], v[8:9] neg_lo:[0,1] neg_hi:[0,1]
	v_add_f32_e32 v1, v2, v1
	s_delay_alu instid0(VALU_DEP_1) | instskip(NEXT) | instid1(VALU_DEP_1)
	v_add_f32_e32 v13, v0, v1
	v_add_f32_e32 v1, v3, v13
	s_delay_alu instid0(VALU_DEP_1) | instskip(NEXT) | instid1(VALU_DEP_1)
	v_mul_f32_e32 v16, v14, v1
	v_mul_f32_e32 v8, v12, v16
	s_delay_alu instid0(VALU_DEP_1) | instskip(NEXT) | instid1(VALU_DEP_1)
	v_fma_f32 v2, v16, v12, -v8
	v_dual_fmac_f32 v2, v16, v11 :: v_dual_sub_f32 v11, v3, v1
	s_delay_alu instid0(VALU_DEP_1) | instskip(NEXT) | instid1(VALU_DEP_1)
	v_add_f32_e32 v0, v8, v2
	v_dual_sub_f32 v9, v1, v0 :: v_dual_mov_b32 v3, v0
	s_delay_alu instid0(VALU_DEP_1) | instskip(NEXT) | instid1(VALU_DEP_4)
	v_pk_add_f32 v[0:1], v[0:1], v[8:9] neg_lo:[0,1] neg_hi:[0,1]
	v_add_f32_e32 v8, v13, v11
	s_delay_alu instid0(VALU_DEP_2) | instskip(SKIP_1) | instid1(VALU_DEP_2)
	v_pk_add_f32 v[0:1], v[0:1], v[2:3] neg_lo:[0,1] neg_hi:[0,1]
	v_cvt_f32_i32_e32 v2, v10
	v_dual_add_f32 v1, v8, v1 :: v_dual_add_f32 v8, v15, v16
	s_delay_alu instid0(VALU_DEP_1) | instskip(NEXT) | instid1(VALU_DEP_1)
	v_add_f32_e32 v0, v0, v1
	v_dual_sub_f32 v1, v8, v15 :: v_dual_add_f32 v0, v9, v0
	s_delay_alu instid0(VALU_DEP_1) | instskip(NEXT) | instid1(VALU_DEP_1)
	v_dual_sub_f32 v1, v16, v1 :: v_dual_mul_f32 v0, v14, v0
	v_dual_add_f32 v11, v1, v0 :: v_dual_mov_b32 v0, 0x3f317218
	s_delay_alu instid0(VALU_DEP_1) | instskip(NEXT) | instid1(VALU_DEP_1)
	v_add_f32_e32 v9, v8, v11
	v_mul_f32_e32 v1, v9, v9
	s_delay_alu instid0(VALU_DEP_1) | instskip(NEXT) | instid1(VALU_DEP_1)
	v_dual_fmaak_f32 v12, s3, v1, 0x3ecc95a3 :: v_dual_mul_f32 v3, v9, v1
	v_fmaak_f32 v1, v1, v12, 0x3f2aaada
	s_delay_alu instid0(VALU_DEP_1) | instskip(SKIP_1) | instid1(VALU_DEP_2)
	v_pk_mul_f32 v[0:1], v[2:3], v[0:1]
	v_ldexp_f32 v3, v9, 1
	v_fma_f32 v10, 0x3f317218, v2, -v0
	s_delay_alu instid0(VALU_DEP_1) | instskip(SKIP_1) | instid1(VALU_DEP_2)
	v_fmamk_f32 v2, v2, 0xb102e308, v10
	v_sub_f32_e32 v10, v9, v8
	v_pk_add_f32 v[8:9], v[0:1], v[2:3]
	s_delay_alu instid0(VALU_DEP_1) | instskip(NEXT) | instid1(VALU_DEP_1)
	v_dual_sub_f32 v3, v9, v3 :: v_dual_sub_f32 v10, v11, v10
	v_sub_f32_e32 v3, v1, v3
	s_delay_alu instid0(VALU_DEP_2) | instskip(SKIP_2) | instid1(VALU_DEP_3)
	v_ldexp_f32 v11, v10, 1
	v_mov_b32_e32 v10, v0
	v_pk_add_f32 v[0:1], v[8:9], v[0:1] neg_lo:[0,1] neg_hi:[0,1]
	v_dual_add_f32 v11, v11, v3 :: v_dual_mov_b32 v3, v8
	s_delay_alu instid0(VALU_DEP_1) | instskip(NEXT) | instid1(VALU_DEP_1)
	v_pk_add_f32 v[12:13], v[8:9], v[10:11]
	v_dual_mov_b32 v18, v9 :: v_dual_mov_b32 v1, v13
	s_delay_alu instid0(VALU_DEP_1) | instskip(NEXT) | instid1(VALU_DEP_1)
	v_pk_add_f32 v[14:15], v[2:3], v[0:1]
	v_dual_mov_b32 v14, v13 :: v_dual_mov_b32 v10, v15
	v_pk_add_f32 v[0:1], v[2:3], v[0:1] neg_lo:[0,1] neg_hi:[0,1]
	v_mov_b32_e32 v1, v15
	s_delay_alu instid0(VALU_DEP_3) | instskip(SKIP_1) | instid1(VALU_DEP_2)
	v_pk_add_f32 v[16:17], v[10:11], v[8:9] neg_lo:[0,1] neg_hi:[0,1]
	v_dual_mov_b32 v9, v8 :: v_dual_mov_b32 v8, v11
	v_dual_mov_b32 v11, v16 :: v_dual_mov_b32 v19, v16
	s_delay_alu instid0(VALU_DEP_1) | instskip(NEXT) | instid1(VALU_DEP_2)
	v_pk_add_f32 v[12:13], v[12:13], v[10:11] neg_lo:[0,1] neg_hi:[0,1]
	v_pk_add_f32 v[2:3], v[14:15], v[18:19] neg_lo:[0,1] neg_hi:[0,1]
	v_mov_b32_e32 v12, v0
	s_delay_alu instid0(VALU_DEP_2) | instskip(NEXT) | instid1(VALU_DEP_1)
	v_pk_add_f32 v[2:3], v[8:9], v[2:3] neg_lo:[0,1] neg_hi:[0,1]
	v_pk_add_f32 v[8:9], v[12:13], v[2:3]
	s_delay_alu instid0(VALU_DEP_1) | instskip(NEXT) | instid1(VALU_DEP_1)
	v_mov_b32_e32 v12, v9
	v_pk_add_f32 v[12:13], v[8:9], v[12:13]
	s_delay_alu instid0(VALU_DEP_1) | instskip(NEXT) | instid1(VALU_DEP_1)
	v_pk_add_f32 v[10:11], v[10:11], v[12:13]
	v_mov_b32_e32 v9, v10
	s_delay_alu instid0(VALU_DEP_1) | instskip(NEXT) | instid1(VALU_DEP_1)
	v_pk_add_f32 v[14:15], v[8:9], v[0:1] neg_lo:[0,1] neg_hi:[0,1]
	v_sub_f32_e32 v1, v8, v14
	s_delay_alu instid0(VALU_DEP_1) | instskip(SKIP_1) | instid1(VALU_DEP_1)
	v_sub_f32_e32 v0, v0, v1
	v_mov_b32_e32 v3, v12
	v_pk_add_f32 v[2:3], v[2:3], v[14:15] neg_lo:[0,1] neg_hi:[0,1]
	s_delay_alu instid0(VALU_DEP_1) | instskip(NEXT) | instid1(VALU_DEP_1)
	v_add_f32_e32 v0, v2, v0
	v_add_f32_e32 v0, v0, v3
	s_delay_alu instid0(VALU_DEP_1) | instskip(NEXT) | instid1(VALU_DEP_1)
	v_add_f32_e32 v0, v10, v0
	v_cndmask_b32_e32 v0, 0x7f800000, v0, vcc_lo
	v_cmp_gt_f32_e64 vcc_lo, 0x33800000, |v20|
	s_delay_alu instid0(VALU_DEP_2) | instskip(NEXT) | instid1(VALU_DEP_1)
	v_cndmask_b32_e32 v0, v0, v20, vcc_lo
	v_div_scale_f32 v1, null, s10, s10, v0
	s_delay_alu instid0(VALU_DEP_1) | instskip(SKIP_1) | instid1(TRANS32_DEP_1)
	v_rcp_f32_e32 v2, v1
	v_nop
	v_fma_f32 v3, -v1, v2, 1.0
	s_delay_alu instid0(VALU_DEP_1) | instskip(SKIP_1) | instid1(VALU_DEP_1)
	v_fmac_f32_e32 v2, v3, v2
	v_div_scale_f32 v3, vcc_lo, v0, s10, v0
	v_mul_f32_e32 v8, v3, v2
	s_delay_alu instid0(VALU_DEP_1) | instskip(NEXT) | instid1(VALU_DEP_1)
	v_fma_f32 v9, -v1, v8, v3
	v_fmac_f32_e32 v8, v9, v2
	s_delay_alu instid0(VALU_DEP_1) | instskip(NEXT) | instid1(VALU_DEP_1)
	v_fma_f32 v1, -v1, v8, v3
	v_div_fmas_f32 v1, v1, v2, v8
	s_delay_alu instid0(VALU_DEP_1) | instskip(NEXT) | instid1(VALU_DEP_1)
	v_div_fixup_f32 v0, v1, s10, v0
	v_cvt_f16_f32_e32 v8, v0
.LBB24_1564:
	s_or_b32 exec_lo, exec_lo, s0
	v_mul_lo_u32 v0, s8, v4
	s_and_b32 s14, s2, 0xff
	s_delay_alu instid0(SALU_CYCLE_1) | instskip(NEXT) | instid1(VALU_DEP_1)
	s_cmp_lt_i32 s14, 11
	v_ashrrev_i32_e32 v1, 31, v0
	s_delay_alu instid0(VALU_DEP_1)
	v_add_nc_u64_e32 v[2:3], s[4:5], v[0:1]
	s_cbranch_scc1 .LBB24_1687
; %bb.1565:
	s_and_b32 s2, 0xffff, s14
	s_mov_b32 s7, -1
	s_mov_b32 s3, 0
	s_cmp_gt_i32 s2, 25
	s_mov_b32 s6, 0
	s_mov_b32 s0, 0
	s_cbranch_scc0 .LBB24_1598
; %bb.1566:
	s_cmp_gt_i32 s2, 28
	s_cbranch_scc0 .LBB24_1581
; %bb.1567:
	s_cmp_gt_i32 s2, 43
	;; [unrolled: 3-line block ×3, first 2 shown]
	s_cbranch_scc0 .LBB24_1571
; %bb.1569:
	s_mov_b32 s0, -1
	s_mov_b32 s7, 0
	s_cmp_eq_u32 s2, 46
	s_cbranch_scc0 .LBB24_1571
; %bb.1570:
	v_cvt_f32_f16_e32 v1, v5
	v_cmp_o_f16_e32 vcc_lo, v5, v5
	s_mov_b32 s0, 0
	s_mov_b32 s6, -1
	s_delay_alu instid0(VALU_DEP_2) | instskip(NEXT) | instid1(VALU_DEP_1)
	v_bfe_u32 v4, v1, 16, 1
	v_add3_u32 v1, v1, v4, 0x7fff
	s_delay_alu instid0(VALU_DEP_1) | instskip(NEXT) | instid1(VALU_DEP_1)
	v_lshrrev_b32_e32 v1, 16, v1
	v_cndmask_b32_e32 v1, 0x7fc0, v1, vcc_lo
	global_store_b32 v[2:3], v1, off
.LBB24_1571:
	s_and_b32 vcc_lo, exec_lo, s7
	s_cbranch_vccz .LBB24_1576
; %bb.1572:
	s_cmp_eq_u32 s2, 44
	s_mov_b32 s0, -1
	s_cbranch_scc0 .LBB24_1576
; %bb.1573:
	s_wait_xcnt 0x0
	v_cvt_f32_f16_e32 v1, v5
	v_mov_b32_e32 v4, 0xff
	s_mov_b32 s6, exec_lo
	s_delay_alu instid0(VALU_DEP_2) | instskip(NEXT) | instid1(VALU_DEP_1)
	v_bfe_u32 v9, v1, 23, 8
	v_cmpx_ne_u32_e32 0xff, v9
	s_cbranch_execz .LBB24_1575
; %bb.1574:
	v_and_b32_e32 v4, 0x400000, v1
	v_and_or_b32 v9, 0x3fffff, v1, v9
	v_lshrrev_b32_e32 v1, 23, v1
	s_delay_alu instid0(VALU_DEP_3) | instskip(NEXT) | instid1(VALU_DEP_3)
	v_cmp_ne_u32_e32 vcc_lo, 0, v4
	v_cmp_ne_u32_e64 s0, 0, v9
	s_and_b32 s0, vcc_lo, s0
	s_delay_alu instid0(SALU_CYCLE_1) | instskip(NEXT) | instid1(VALU_DEP_1)
	v_cndmask_b32_e64 v4, 0, 1, s0
	v_add_nc_u32_e32 v4, v1, v4
.LBB24_1575:
	s_or_b32 exec_lo, exec_lo, s6
	s_mov_b32 s0, 0
	s_mov_b32 s6, -1
	global_store_b8 v[2:3], v4, off
.LBB24_1576:
	s_mov_b32 s7, 0
.LBB24_1577:
	s_delay_alu instid0(SALU_CYCLE_1)
	s_and_b32 vcc_lo, exec_lo, s7
	s_cbranch_vccz .LBB24_1580
; %bb.1578:
	s_cmp_eq_u32 s2, 29
	s_mov_b32 s0, -1
	s_cbranch_scc0 .LBB24_1580
; %bb.1579:
	s_wait_xcnt 0x0
	v_cvt_f32_f16_e32 v1, v5
	v_mov_b32_e32 v11, 0
	s_mov_b32 s0, 0
	s_mov_b32 s6, -1
	s_delay_alu instid0(VALU_DEP_2)
	v_cvt_u32_f32_e32 v10, v1
	global_store_b64 v[2:3], v[10:11], off
.LBB24_1580:
	s_mov_b32 s7, 0
.LBB24_1581:
	s_delay_alu instid0(SALU_CYCLE_1)
	s_and_b32 vcc_lo, exec_lo, s7
	s_cbranch_vccz .LBB24_1597
; %bb.1582:
	s_cmp_lt_i32 s2, 27
	s_mov_b32 s6, -1
	s_cbranch_scc1 .LBB24_1588
; %bb.1583:
	s_cmp_gt_i32 s2, 27
	s_cbranch_scc0 .LBB24_1585
; %bb.1584:
	s_wait_xcnt 0x0
	v_cvt_f32_f16_e32 v1, v5
	s_mov_b32 s6, 0
	s_delay_alu instid0(VALU_DEP_1)
	v_cvt_u32_f32_e32 v1, v1
	global_store_b32 v[2:3], v1, off
.LBB24_1585:
	s_and_not1_b32 vcc_lo, exec_lo, s6
	s_cbranch_vccnz .LBB24_1587
; %bb.1586:
	s_wait_xcnt 0x0
	v_cvt_u16_f16_e32 v1, v5
	global_store_b16 v[2:3], v1, off
.LBB24_1587:
	s_mov_b32 s6, 0
.LBB24_1588:
	s_delay_alu instid0(SALU_CYCLE_1)
	s_and_not1_b32 vcc_lo, exec_lo, s6
	s_cbranch_vccnz .LBB24_1596
; %bb.1589:
	s_wait_xcnt 0x0
	v_cvt_f32_f16_e32 v1, v5
	v_mov_b32_e32 v9, 0x80
	s_mov_b32 s6, exec_lo
	s_delay_alu instid0(VALU_DEP_2) | instskip(NEXT) | instid1(VALU_DEP_1)
	v_and_b32_e32 v4, 0x7fffffff, v1
	v_cmpx_gt_u32_e32 0x43800000, v4
	s_cbranch_execz .LBB24_1595
; %bb.1590:
	v_cmp_lt_u32_e32 vcc_lo, 0x3bffffff, v4
	s_mov_b32 s7, 0
                                        ; implicit-def: $vgpr4
	s_and_saveexec_b32 s9, vcc_lo
	s_delay_alu instid0(SALU_CYCLE_1)
	s_xor_b32 s9, exec_lo, s9
	s_cbranch_execz .LBB24_2045
; %bb.1591:
	v_bfe_u32 v4, v1, 20, 1
	s_mov_b32 s7, exec_lo
	s_delay_alu instid0(VALU_DEP_1) | instskip(NEXT) | instid1(VALU_DEP_1)
	v_add3_u32 v4, v1, v4, 0x487ffff
	v_lshrrev_b32_e32 v4, 20, v4
	s_and_not1_saveexec_b32 s9, s9
	s_cbranch_execnz .LBB24_2046
.LBB24_1592:
	s_or_b32 exec_lo, exec_lo, s9
	v_mov_b32_e32 v9, 0
	s_and_saveexec_b32 s9, s7
.LBB24_1593:
	v_lshrrev_b32_e32 v1, 24, v1
	s_delay_alu instid0(VALU_DEP_1)
	v_and_or_b32 v9, 0x80, v1, v4
.LBB24_1594:
	s_or_b32 exec_lo, exec_lo, s9
.LBB24_1595:
	s_delay_alu instid0(SALU_CYCLE_1)
	s_or_b32 exec_lo, exec_lo, s6
	global_store_b8 v[2:3], v9, off
.LBB24_1596:
	s_mov_b32 s6, -1
.LBB24_1597:
	s_mov_b32 s7, 0
.LBB24_1598:
	s_delay_alu instid0(SALU_CYCLE_1)
	s_and_b32 vcc_lo, exec_lo, s7
	s_cbranch_vccz .LBB24_1638
; %bb.1599:
	s_cmp_gt_i32 s2, 22
	s_mov_b32 s3, -1
	s_cbranch_scc0 .LBB24_1631
; %bb.1600:
	s_cmp_lt_i32 s2, 24
	s_cbranch_scc1 .LBB24_1620
; %bb.1601:
	s_cmp_gt_i32 s2, 24
	s_cbranch_scc0 .LBB24_1609
; %bb.1602:
	s_wait_xcnt 0x0
	v_cvt_f32_f16_e32 v1, v5
	v_mov_b32_e32 v9, 0x80
	s_mov_b32 s3, exec_lo
	s_delay_alu instid0(VALU_DEP_2) | instskip(NEXT) | instid1(VALU_DEP_1)
	v_and_b32_e32 v4, 0x7fffffff, v1
	v_cmpx_gt_u32_e32 0x47800000, v4
	s_cbranch_execz .LBB24_1608
; %bb.1603:
	v_cmp_lt_u32_e32 vcc_lo, 0x37ffffff, v4
	s_mov_b32 s6, 0
                                        ; implicit-def: $vgpr4
	s_and_saveexec_b32 s7, vcc_lo
	s_delay_alu instid0(SALU_CYCLE_1)
	s_xor_b32 s7, exec_lo, s7
	s_cbranch_execz .LBB24_2048
; %bb.1604:
	v_bfe_u32 v4, v1, 21, 1
	s_mov_b32 s6, exec_lo
	s_delay_alu instid0(VALU_DEP_1) | instskip(NEXT) | instid1(VALU_DEP_1)
	v_add3_u32 v4, v1, v4, 0x88fffff
	v_lshrrev_b32_e32 v4, 21, v4
	s_and_not1_saveexec_b32 s7, s7
	s_cbranch_execnz .LBB24_2049
.LBB24_1605:
	s_or_b32 exec_lo, exec_lo, s7
	v_mov_b32_e32 v9, 0
	s_and_saveexec_b32 s7, s6
.LBB24_1606:
	v_lshrrev_b32_e32 v1, 24, v1
	s_delay_alu instid0(VALU_DEP_1)
	v_and_or_b32 v9, 0x80, v1, v4
.LBB24_1607:
	s_or_b32 exec_lo, exec_lo, s7
.LBB24_1608:
	s_delay_alu instid0(SALU_CYCLE_1)
	s_or_b32 exec_lo, exec_lo, s3
	s_mov_b32 s3, 0
	global_store_b8 v[2:3], v9, off
.LBB24_1609:
	s_and_b32 vcc_lo, exec_lo, s3
	s_cbranch_vccz .LBB24_1619
; %bb.1610:
	s_wait_xcnt 0x0
	v_cvt_f32_f16_e32 v1, v5
	s_mov_b32 s3, exec_lo
                                        ; implicit-def: $vgpr4
	s_delay_alu instid0(VALU_DEP_1) | instskip(NEXT) | instid1(VALU_DEP_1)
	v_and_b32_e32 v9, 0x7fffffff, v1
	v_cmpx_gt_u32_e32 0x43f00000, v9
	s_xor_b32 s3, exec_lo, s3
	s_cbranch_execz .LBB24_1616
; %bb.1611:
	s_mov_b32 s6, exec_lo
                                        ; implicit-def: $vgpr4
	v_cmpx_lt_u32_e32 0x3c7fffff, v9
	s_xor_b32 s6, exec_lo, s6
; %bb.1612:
	v_bfe_u32 v4, v1, 20, 1
	s_delay_alu instid0(VALU_DEP_1) | instskip(NEXT) | instid1(VALU_DEP_1)
	v_add3_u32 v4, v1, v4, 0x407ffff
	v_and_b32_e32 v9, 0xff00000, v4
	v_lshrrev_b32_e32 v4, 20, v4
	s_delay_alu instid0(VALU_DEP_2) | instskip(NEXT) | instid1(VALU_DEP_2)
	v_cmp_ne_u32_e32 vcc_lo, 0x7f00000, v9
	v_cndmask_b32_e32 v4, 0x7e, v4, vcc_lo
; %bb.1613:
	s_and_not1_saveexec_b32 s6, s6
; %bb.1614:
	v_add_f32_e64 v4, 0x46800000, |v1|
; %bb.1615:
	s_or_b32 exec_lo, exec_lo, s6
                                        ; implicit-def: $vgpr9
.LBB24_1616:
	s_and_not1_saveexec_b32 s3, s3
; %bb.1617:
	v_mov_b32_e32 v4, 0x7f
	v_cmp_lt_u32_e32 vcc_lo, 0x7f800000, v9
	s_delay_alu instid0(VALU_DEP_2)
	v_cndmask_b32_e32 v4, 0x7e, v4, vcc_lo
; %bb.1618:
	s_or_b32 exec_lo, exec_lo, s3
	v_lshrrev_b32_e32 v1, 24, v1
	s_delay_alu instid0(VALU_DEP_1)
	v_and_or_b32 v1, 0x80, v1, v4
	global_store_b8 v[2:3], v1, off
.LBB24_1619:
	s_mov_b32 s3, 0
.LBB24_1620:
	s_delay_alu instid0(SALU_CYCLE_1)
	s_and_not1_b32 vcc_lo, exec_lo, s3
	s_cbranch_vccnz .LBB24_1630
; %bb.1621:
	s_wait_xcnt 0x0
	v_cvt_f32_f16_e32 v1, v5
	s_mov_b32 s3, exec_lo
                                        ; implicit-def: $vgpr4
	s_delay_alu instid0(VALU_DEP_1) | instskip(NEXT) | instid1(VALU_DEP_1)
	v_and_b32_e32 v9, 0x7fffffff, v1
	v_cmpx_gt_u32_e32 0x47800000, v9
	s_xor_b32 s3, exec_lo, s3
	s_cbranch_execz .LBB24_1627
; %bb.1622:
	s_mov_b32 s6, exec_lo
                                        ; implicit-def: $vgpr4
	v_cmpx_lt_u32_e32 0x387fffff, v9
	s_xor_b32 s6, exec_lo, s6
; %bb.1623:
	v_bfe_u32 v4, v1, 21, 1
	s_delay_alu instid0(VALU_DEP_1) | instskip(NEXT) | instid1(VALU_DEP_1)
	v_add3_u32 v4, v1, v4, 0x80fffff
	v_lshrrev_b32_e32 v4, 21, v4
; %bb.1624:
	s_and_not1_saveexec_b32 s6, s6
; %bb.1625:
	v_add_f32_e64 v4, 0x43000000, |v1|
; %bb.1626:
	s_or_b32 exec_lo, exec_lo, s6
                                        ; implicit-def: $vgpr9
.LBB24_1627:
	s_and_not1_saveexec_b32 s3, s3
; %bb.1628:
	v_mov_b32_e32 v4, 0x7f
	v_cmp_lt_u32_e32 vcc_lo, 0x7f800000, v9
	s_delay_alu instid0(VALU_DEP_2)
	v_cndmask_b32_e32 v4, 0x7c, v4, vcc_lo
; %bb.1629:
	s_or_b32 exec_lo, exec_lo, s3
	v_lshrrev_b32_e32 v1, 24, v1
	s_delay_alu instid0(VALU_DEP_1)
	v_and_or_b32 v1, 0x80, v1, v4
	global_store_b8 v[2:3], v1, off
.LBB24_1630:
	s_mov_b32 s3, 0
	s_mov_b32 s6, -1
.LBB24_1631:
	s_and_not1_b32 vcc_lo, exec_lo, s3
	s_mov_b32 s3, 0
	s_cbranch_vccnz .LBB24_1638
; %bb.1632:
	s_cmp_gt_i32 s2, 14
	s_mov_b32 s3, -1
	s_cbranch_scc0 .LBB24_1636
; %bb.1633:
	s_cmp_eq_u32 s2, 15
	s_mov_b32 s0, -1
	s_cbranch_scc0 .LBB24_1635
; %bb.1634:
	s_wait_xcnt 0x0
	v_cvt_f32_f16_e32 v1, v5
	v_cmp_o_f16_e32 vcc_lo, v5, v5
	s_mov_b32 s0, 0
	s_mov_b32 s6, -1
	s_delay_alu instid0(VALU_DEP_2) | instskip(NEXT) | instid1(VALU_DEP_1)
	v_bfe_u32 v4, v1, 16, 1
	v_add3_u32 v1, v1, v4, 0x7fff
	s_delay_alu instid0(VALU_DEP_1) | instskip(NEXT) | instid1(VALU_DEP_1)
	v_lshrrev_b32_e32 v1, 16, v1
	v_cndmask_b32_e32 v1, 0x7fc0, v1, vcc_lo
	global_store_b16 v[2:3], v1, off
.LBB24_1635:
	s_mov_b32 s3, 0
.LBB24_1636:
	s_delay_alu instid0(SALU_CYCLE_1)
	s_and_b32 vcc_lo, exec_lo, s3
	s_mov_b32 s3, 0
	s_cbranch_vccz .LBB24_1638
; %bb.1637:
	s_cmp_lg_u32 s2, 11
	s_mov_b32 s3, -1
	s_cselect_b32 s0, -1, 0
.LBB24_1638:
	s_delay_alu instid0(SALU_CYCLE_1)
	s_and_b32 vcc_lo, exec_lo, s0
	s_cbranch_vccnz .LBB24_2047
; %bb.1639:
	s_and_not1_b32 vcc_lo, exec_lo, s3
	s_cbranch_vccnz .LBB24_1641
.LBB24_1640:
	s_wait_xcnt 0x0
	v_and_b32_e32 v1, 0x7fff, v5
	s_mov_b32 s6, -1
	s_delay_alu instid0(VALU_DEP_1)
	v_cmp_ne_u16_e32 vcc_lo, 0, v1
	v_cndmask_b32_e64 v1, 0, 1, vcc_lo
	global_store_b8 v[2:3], v1, off
.LBB24_1641:
	s_mov_b32 s0, 0
	s_branch .LBB24_1688
.LBB24_1642:
	s_mov_b32 s0, 0
	s_mov_b32 s3, 0
                                        ; implicit-def: $sgpr14
                                        ; implicit-def: $vgpr0_vgpr1
                                        ; implicit-def: $vgpr8
.LBB24_1643:
	s_and_not1_b32 s2, s13, exec_lo
	s_and_b32 s4, s1, exec_lo
	s_and_b32 s0, s0, exec_lo
	;; [unrolled: 1-line block ×3, first 2 shown]
	s_or_b32 s13, s2, s4
.LBB24_1644:
	s_wait_xcnt 0x0
	s_or_b32 exec_lo, exec_lo, s12
	s_and_saveexec_b32 s2, s13
	s_cbranch_execz .LBB24_1647
; %bb.1645:
	; divergent unreachable
	s_or_b32 exec_lo, exec_lo, s2
	s_and_saveexec_b32 s2, s1
	s_delay_alu instid0(SALU_CYCLE_1)
	s_xor_b32 s1, exec_lo, s2
	s_cbranch_execnz .LBB24_1648
.LBB24_1646:
	s_or_b32 exec_lo, exec_lo, s1
	s_and_saveexec_b32 s1, s0
	s_cbranch_execnz .LBB24_1649
	s_branch .LBB24_1686
.LBB24_1647:
	s_or_b32 exec_lo, exec_lo, s2
	s_and_saveexec_b32 s2, s1
	s_delay_alu instid0(SALU_CYCLE_1)
	s_xor_b32 s1, exec_lo, s2
	s_cbranch_execz .LBB24_1646
.LBB24_1648:
	s_wait_loadcnt 0x0
	v_and_b32_e32 v2, 0x7fff, v8
	s_delay_alu instid0(VALU_DEP_1)
	v_cmp_ne_u16_e32 vcc_lo, 0, v2
	v_cndmask_b32_e64 v2, 0, 1, vcc_lo
	global_store_b8 v[0:1], v2, off
	s_wait_xcnt 0x0
	s_or_b32 exec_lo, exec_lo, s1
	s_and_saveexec_b32 s1, s0
	s_cbranch_execz .LBB24_1686
.LBB24_1649:
	s_sext_i32_i16 s1, s14
	s_mov_b32 s0, -1
	s_cmp_lt_i32 s1, 5
	s_cbranch_scc1 .LBB24_1670
; %bb.1650:
	s_cmp_lt_i32 s1, 8
	s_cbranch_scc1 .LBB24_1660
; %bb.1651:
	;; [unrolled: 3-line block ×3, first 2 shown]
	s_cmp_gt_i32 s1, 9
	s_cbranch_scc0 .LBB24_1654
; %bb.1653:
	s_wait_loadcnt 0x0
	v_cvt_f32_f16_e32 v2, v8
	v_mov_b32_e32 v4, 0
	s_mov_b32 s0, 0
	s_delay_alu instid0(VALU_DEP_2) | instskip(NEXT) | instid1(VALU_DEP_2)
	v_cvt_f64_f32_e32 v[2:3], v2
	v_mov_b32_e32 v5, v4
	global_store_b128 v[0:1], v[2:5], off
.LBB24_1654:
	s_and_not1_b32 vcc_lo, exec_lo, s0
	s_cbranch_vccnz .LBB24_1656
; %bb.1655:
	s_wait_loadcnt 0x0
	v_cvt_f32_f16_e32 v2, v8
	v_mov_b32_e32 v3, 0
	global_store_b64 v[0:1], v[2:3], off
.LBB24_1656:
	s_mov_b32 s0, 0
.LBB24_1657:
	s_delay_alu instid0(SALU_CYCLE_1)
	s_and_not1_b32 vcc_lo, exec_lo, s0
	s_cbranch_vccnz .LBB24_1659
; %bb.1658:
	s_wait_loadcnt 0x0
	v_and_b32_e32 v2, 0xffff, v8
	global_store_b32 v[0:1], v2, off
.LBB24_1659:
	s_mov_b32 s0, 0
.LBB24_1660:
	s_delay_alu instid0(SALU_CYCLE_1)
	s_and_not1_b32 vcc_lo, exec_lo, s0
	s_cbranch_vccnz .LBB24_1669
; %bb.1661:
	s_sext_i32_i16 s1, s14
	s_mov_b32 s0, -1
	s_cmp_lt_i32 s1, 6
	s_cbranch_scc1 .LBB24_1667
; %bb.1662:
	s_cmp_gt_i32 s1, 6
	s_cbranch_scc0 .LBB24_1664
; %bb.1663:
	s_wait_loadcnt 0x0
	v_cvt_f32_f16_e32 v2, v8
	s_mov_b32 s0, 0
	s_delay_alu instid0(VALU_DEP_1)
	v_cvt_f64_f32_e32 v[2:3], v2
	global_store_b64 v[0:1], v[2:3], off
.LBB24_1664:
	s_and_not1_b32 vcc_lo, exec_lo, s0
	s_cbranch_vccnz .LBB24_1666
; %bb.1665:
	s_wait_loadcnt 0x0
	v_cvt_f32_f16_e32 v2, v8
	global_store_b32 v[0:1], v2, off
.LBB24_1666:
	s_mov_b32 s0, 0
.LBB24_1667:
	s_delay_alu instid0(SALU_CYCLE_1)
	s_and_not1_b32 vcc_lo, exec_lo, s0
	s_cbranch_vccnz .LBB24_1669
; %bb.1668:
	s_wait_loadcnt 0x0
	global_store_b16 v[0:1], v8, off
.LBB24_1669:
	s_mov_b32 s0, 0
.LBB24_1670:
	s_delay_alu instid0(SALU_CYCLE_1)
	s_and_not1_b32 vcc_lo, exec_lo, s0
	s_cbranch_vccnz .LBB24_1686
; %bb.1671:
	s_sext_i32_i16 s1, s14
	s_mov_b32 s0, -1
	s_cmp_lt_i32 s1, 2
	s_cbranch_scc1 .LBB24_1681
; %bb.1672:
	s_cmp_lt_i32 s1, 3
	s_cbranch_scc1 .LBB24_1678
; %bb.1673:
	s_cmp_gt_i32 s1, 3
	s_cbranch_scc0 .LBB24_1675
; %bb.1674:
	s_wait_loadcnt 0x0
	v_cvt_f32_f16_e32 v2, v8
	s_mov_b32 s0, 0
	s_delay_alu instid0(VALU_DEP_1) | instskip(NEXT) | instid1(VALU_DEP_1)
	v_cvt_i32_f32_e32 v2, v2
	v_ashrrev_i32_e32 v3, 31, v2
	global_store_b64 v[0:1], v[2:3], off
.LBB24_1675:
	s_and_not1_b32 vcc_lo, exec_lo, s0
	s_cbranch_vccnz .LBB24_1677
; %bb.1676:
	s_wait_loadcnt 0x0
	v_cvt_f32_f16_e32 v2, v8
	s_delay_alu instid0(VALU_DEP_1)
	v_cvt_i32_f32_e32 v2, v2
	global_store_b32 v[0:1], v2, off
.LBB24_1677:
	s_mov_b32 s0, 0
.LBB24_1678:
	s_delay_alu instid0(SALU_CYCLE_1)
	s_and_not1_b32 vcc_lo, exec_lo, s0
	s_cbranch_vccnz .LBB24_1680
; %bb.1679:
	s_wait_loadcnt 0x0
	v_cvt_i16_f16_e32 v2, v8
	global_store_b16 v[0:1], v2, off
.LBB24_1680:
	s_mov_b32 s0, 0
.LBB24_1681:
	s_delay_alu instid0(SALU_CYCLE_1)
	s_and_not1_b32 vcc_lo, exec_lo, s0
	s_cbranch_vccnz .LBB24_1686
; %bb.1682:
	s_sext_i32_i16 s0, s14
	s_delay_alu instid0(SALU_CYCLE_1)
	s_cmp_gt_i32 s0, 0
	s_mov_b32 s0, -1
	s_cbranch_scc0 .LBB24_1684
; %bb.1683:
	s_wait_loadcnt 0x0
	v_cvt_i16_f16_e32 v2, v8
	s_mov_b32 s0, 0
	global_store_b8 v[0:1], v2, off
.LBB24_1684:
	s_and_not1_b32 vcc_lo, exec_lo, s0
	s_cbranch_vccnz .LBB24_1686
; %bb.1685:
	s_wait_loadcnt 0x0
	v_cvt_f32_f16_e32 v2, v8
	s_delay_alu instid0(VALU_DEP_1)
	v_cvt_i32_f32_e32 v2, v2
	global_store_b8 v[0:1], v2, off
	s_endpgm
.LBB24_1686:
	s_endpgm
.LBB24_1687:
	s_mov_b32 s0, -1
	s_mov_b32 s6, 0
.LBB24_1688:
	s_and_b32 vcc_lo, exec_lo, s0
	s_cbranch_vccz .LBB24_1727
; %bb.1689:
	s_and_b32 s0, 0xffff, s14
	s_mov_b32 s2, -1
	s_cmp_lt_i32 s0, 5
	s_cbranch_scc1 .LBB24_1710
; %bb.1690:
	s_cmp_lt_i32 s0, 8
	s_cbranch_scc1 .LBB24_1700
; %bb.1691:
	s_cmp_lt_i32 s0, 9
	s_cbranch_scc1 .LBB24_1697
; %bb.1692:
	s_cmp_gt_i32 s0, 9
	s_cbranch_scc0 .LBB24_1694
; %bb.1693:
	s_wait_xcnt 0x0
	v_cvt_f32_f16_e32 v1, v5
	v_mov_b32_e32 v12, 0
	s_mov_b32 s2, 0
	s_delay_alu instid0(VALU_DEP_2) | instskip(NEXT) | instid1(VALU_DEP_2)
	v_cvt_f64_f32_e32 v[10:11], v1
	v_mov_b32_e32 v13, v12
	global_store_b128 v[2:3], v[10:13], off
.LBB24_1694:
	s_and_not1_b32 vcc_lo, exec_lo, s2
	s_cbranch_vccnz .LBB24_1696
; %bb.1695:
	s_wait_xcnt 0x0
	v_cvt_f32_f16_e32 v10, v5
	v_mov_b32_e32 v11, 0
	global_store_b64 v[2:3], v[10:11], off
.LBB24_1696:
	s_mov_b32 s2, 0
.LBB24_1697:
	s_delay_alu instid0(SALU_CYCLE_1)
	s_and_not1_b32 vcc_lo, exec_lo, s2
	s_cbranch_vccnz .LBB24_1699
; %bb.1698:
	s_wait_xcnt 0x0
	v_and_b32_e32 v1, 0xffff, v5
	global_store_b32 v[2:3], v1, off
.LBB24_1699:
	s_mov_b32 s2, 0
.LBB24_1700:
	s_delay_alu instid0(SALU_CYCLE_1)
	s_and_not1_b32 vcc_lo, exec_lo, s2
	s_cbranch_vccnz .LBB24_1709
; %bb.1701:
	s_cmp_lt_i32 s0, 6
	s_mov_b32 s2, -1
	s_cbranch_scc1 .LBB24_1707
; %bb.1702:
	s_cmp_gt_i32 s0, 6
	s_cbranch_scc0 .LBB24_1704
; %bb.1703:
	s_wait_xcnt 0x0
	v_cvt_f32_f16_e32 v1, v5
	s_mov_b32 s2, 0
	s_delay_alu instid0(VALU_DEP_1)
	v_cvt_f64_f32_e32 v[10:11], v1
	global_store_b64 v[2:3], v[10:11], off
.LBB24_1704:
	s_and_not1_b32 vcc_lo, exec_lo, s2
	s_cbranch_vccnz .LBB24_1706
; %bb.1705:
	s_wait_xcnt 0x0
	v_cvt_f32_f16_e32 v1, v5
	global_store_b32 v[2:3], v1, off
.LBB24_1706:
	s_mov_b32 s2, 0
.LBB24_1707:
	s_delay_alu instid0(SALU_CYCLE_1)
	s_and_not1_b32 vcc_lo, exec_lo, s2
	s_cbranch_vccnz .LBB24_1709
; %bb.1708:
	global_store_b16 v[2:3], v5, off
.LBB24_1709:
	s_mov_b32 s2, 0
.LBB24_1710:
	s_delay_alu instid0(SALU_CYCLE_1)
	s_and_not1_b32 vcc_lo, exec_lo, s2
	s_cbranch_vccnz .LBB24_1726
; %bb.1711:
	s_cmp_lt_i32 s0, 2
	s_mov_b32 s2, -1
	s_cbranch_scc1 .LBB24_1721
; %bb.1712:
	s_cmp_lt_i32 s0, 3
	s_cbranch_scc1 .LBB24_1718
; %bb.1713:
	s_cmp_gt_i32 s0, 3
	s_cbranch_scc0 .LBB24_1715
; %bb.1714:
	s_wait_xcnt 0x0
	v_cvt_f32_f16_e32 v1, v5
	s_mov_b32 s2, 0
	s_delay_alu instid0(VALU_DEP_1) | instskip(NEXT) | instid1(VALU_DEP_1)
	v_cvt_i32_f32_e32 v10, v1
	v_ashrrev_i32_e32 v11, 31, v10
	global_store_b64 v[2:3], v[10:11], off
.LBB24_1715:
	s_and_not1_b32 vcc_lo, exec_lo, s2
	s_cbranch_vccnz .LBB24_1717
; %bb.1716:
	s_wait_xcnt 0x0
	v_cvt_f32_f16_e32 v1, v5
	s_delay_alu instid0(VALU_DEP_1)
	v_cvt_i32_f32_e32 v1, v1
	global_store_b32 v[2:3], v1, off
.LBB24_1717:
	s_mov_b32 s2, 0
.LBB24_1718:
	s_delay_alu instid0(SALU_CYCLE_1)
	s_and_not1_b32 vcc_lo, exec_lo, s2
	s_cbranch_vccnz .LBB24_1720
; %bb.1719:
	s_wait_xcnt 0x0
	v_cvt_i16_f16_e32 v1, v5
	global_store_b16 v[2:3], v1, off
.LBB24_1720:
	s_mov_b32 s2, 0
.LBB24_1721:
	s_delay_alu instid0(SALU_CYCLE_1)
	s_and_not1_b32 vcc_lo, exec_lo, s2
	s_cbranch_vccnz .LBB24_1726
; %bb.1722:
	s_cmp_gt_i32 s0, 0
	s_mov_b32 s0, -1
	s_cbranch_scc0 .LBB24_1724
; %bb.1723:
	s_wait_xcnt 0x0
	v_cvt_i16_f16_e32 v1, v5
	s_mov_b32 s0, 0
	global_store_b8 v[2:3], v1, off
.LBB24_1724:
	s_and_not1_b32 vcc_lo, exec_lo, s0
	s_cbranch_vccnz .LBB24_1726
; %bb.1725:
	s_wait_xcnt 0x0
	v_cvt_f32_f16_e32 v1, v5
	s_delay_alu instid0(VALU_DEP_1)
	v_cvt_i32_f32_e32 v1, v1
	global_store_b8 v[2:3], v1, off
.LBB24_1726:
	s_mov_b32 s6, -1
.LBB24_1727:
	s_delay_alu instid0(SALU_CYCLE_1)
	s_and_not1_b32 vcc_lo, exec_lo, s6
	s_cbranch_vccnz .LBB24_2042
; %bb.1728:
	s_lshl_b32 s2, s8, 7
	s_cmp_lt_i32 s14, 11
	v_add_nc_u32_e32 v0, s2, v0
	s_wait_xcnt 0x0
	s_delay_alu instid0(VALU_DEP_1) | instskip(NEXT) | instid1(VALU_DEP_1)
	v_ashrrev_i32_e32 v1, 31, v0
	v_add_nc_u64_e32 v[2:3], s[4:5], v[0:1]
	s_cbranch_scc1 .LBB24_1806
; %bb.1729:
	s_and_b32 s3, 0xffff, s14
	s_mov_b32 s8, -1
	s_mov_b32 s6, 0
	s_cmp_gt_i32 s3, 25
	s_mov_b32 s7, 0
	s_mov_b32 s0, 0
	s_cbranch_scc0 .LBB24_1762
; %bb.1730:
	s_cmp_gt_i32 s3, 28
	s_cbranch_scc0 .LBB24_1745
; %bb.1731:
	s_cmp_gt_i32 s3, 43
	;; [unrolled: 3-line block ×3, first 2 shown]
	s_cbranch_scc0 .LBB24_1735
; %bb.1733:
	s_mov_b32 s0, -1
	s_mov_b32 s8, 0
	s_cmp_eq_u32 s3, 46
	s_cbranch_scc0 .LBB24_1735
; %bb.1734:
	v_cvt_f32_f16_e32 v1, v6
	v_cmp_o_f16_e32 vcc_lo, v6, v6
	s_mov_b32 s0, 0
	s_mov_b32 s7, -1
	s_delay_alu instid0(VALU_DEP_2) | instskip(NEXT) | instid1(VALU_DEP_1)
	v_bfe_u32 v4, v1, 16, 1
	v_add3_u32 v1, v1, v4, 0x7fff
	s_delay_alu instid0(VALU_DEP_1) | instskip(NEXT) | instid1(VALU_DEP_1)
	v_lshrrev_b32_e32 v1, 16, v1
	v_cndmask_b32_e32 v1, 0x7fc0, v1, vcc_lo
	global_store_b32 v[2:3], v1, off
.LBB24_1735:
	s_and_b32 vcc_lo, exec_lo, s8
	s_cbranch_vccz .LBB24_1740
; %bb.1736:
	s_cmp_eq_u32 s3, 44
	s_mov_b32 s0, -1
	s_cbranch_scc0 .LBB24_1740
; %bb.1737:
	s_wait_xcnt 0x0
	v_cvt_f32_f16_e32 v1, v6
	v_mov_b32_e32 v4, 0xff
	s_mov_b32 s7, exec_lo
	s_delay_alu instid0(VALU_DEP_2) | instskip(NEXT) | instid1(VALU_DEP_1)
	v_bfe_u32 v5, v1, 23, 8
	v_cmpx_ne_u32_e32 0xff, v5
	s_cbranch_execz .LBB24_1739
; %bb.1738:
	v_and_b32_e32 v4, 0x400000, v1
	v_and_or_b32 v5, 0x3fffff, v1, v5
	v_lshrrev_b32_e32 v1, 23, v1
	s_delay_alu instid0(VALU_DEP_3) | instskip(NEXT) | instid1(VALU_DEP_3)
	v_cmp_ne_u32_e32 vcc_lo, 0, v4
	v_cmp_ne_u32_e64 s0, 0, v5
	s_and_b32 s0, vcc_lo, s0
	s_delay_alu instid0(SALU_CYCLE_1) | instskip(NEXT) | instid1(VALU_DEP_1)
	v_cndmask_b32_e64 v4, 0, 1, s0
	v_add_nc_u32_e32 v4, v1, v4
.LBB24_1739:
	s_or_b32 exec_lo, exec_lo, s7
	s_mov_b32 s0, 0
	s_mov_b32 s7, -1
	global_store_b8 v[2:3], v4, off
.LBB24_1740:
	s_mov_b32 s8, 0
.LBB24_1741:
	s_delay_alu instid0(SALU_CYCLE_1)
	s_and_b32 vcc_lo, exec_lo, s8
	s_cbranch_vccz .LBB24_1744
; %bb.1742:
	s_cmp_eq_u32 s3, 29
	s_mov_b32 s0, -1
	s_cbranch_scc0 .LBB24_1744
; %bb.1743:
	s_wait_xcnt 0x0
	v_cvt_f32_f16_e32 v1, v6
	v_mov_b32_e32 v5, 0
	s_mov_b32 s0, 0
	s_mov_b32 s7, -1
	s_delay_alu instid0(VALU_DEP_2)
	v_cvt_u32_f32_e32 v4, v1
	global_store_b64 v[2:3], v[4:5], off
.LBB24_1744:
	s_mov_b32 s8, 0
.LBB24_1745:
	s_delay_alu instid0(SALU_CYCLE_1)
	s_and_b32 vcc_lo, exec_lo, s8
	s_cbranch_vccz .LBB24_1761
; %bb.1746:
	s_cmp_lt_i32 s3, 27
	s_mov_b32 s7, -1
	s_cbranch_scc1 .LBB24_1752
; %bb.1747:
	s_cmp_gt_i32 s3, 27
	s_cbranch_scc0 .LBB24_1749
; %bb.1748:
	s_wait_xcnt 0x0
	v_cvt_f32_f16_e32 v1, v6
	s_mov_b32 s7, 0
	s_delay_alu instid0(VALU_DEP_1)
	v_cvt_u32_f32_e32 v1, v1
	global_store_b32 v[2:3], v1, off
.LBB24_1749:
	s_and_not1_b32 vcc_lo, exec_lo, s7
	s_cbranch_vccnz .LBB24_1751
; %bb.1750:
	s_wait_xcnt 0x0
	v_cvt_u16_f16_e32 v1, v6
	global_store_b16 v[2:3], v1, off
.LBB24_1751:
	s_mov_b32 s7, 0
.LBB24_1752:
	s_delay_alu instid0(SALU_CYCLE_1)
	s_and_not1_b32 vcc_lo, exec_lo, s7
	s_cbranch_vccnz .LBB24_1760
; %bb.1753:
	s_wait_xcnt 0x0
	v_cvt_f32_f16_e32 v1, v6
	v_mov_b32_e32 v5, 0x80
	s_mov_b32 s7, exec_lo
	s_delay_alu instid0(VALU_DEP_2) | instskip(NEXT) | instid1(VALU_DEP_1)
	v_and_b32_e32 v4, 0x7fffffff, v1
	v_cmpx_gt_u32_e32 0x43800000, v4
	s_cbranch_execz .LBB24_1759
; %bb.1754:
	v_cmp_lt_u32_e32 vcc_lo, 0x3bffffff, v4
	s_mov_b32 s8, 0
                                        ; implicit-def: $vgpr4
	s_and_saveexec_b32 s9, vcc_lo
	s_delay_alu instid0(SALU_CYCLE_1)
	s_xor_b32 s9, exec_lo, s9
	s_cbranch_execz .LBB24_2050
; %bb.1755:
	v_bfe_u32 v4, v1, 20, 1
	s_mov_b32 s8, exec_lo
	s_delay_alu instid0(VALU_DEP_1) | instskip(NEXT) | instid1(VALU_DEP_1)
	v_add3_u32 v4, v1, v4, 0x487ffff
	v_lshrrev_b32_e32 v4, 20, v4
	s_and_not1_saveexec_b32 s9, s9
	s_cbranch_execnz .LBB24_2051
.LBB24_1756:
	s_or_b32 exec_lo, exec_lo, s9
	v_mov_b32_e32 v5, 0
	s_and_saveexec_b32 s9, s8
.LBB24_1757:
	v_lshrrev_b32_e32 v1, 24, v1
	s_delay_alu instid0(VALU_DEP_1)
	v_and_or_b32 v5, 0x80, v1, v4
.LBB24_1758:
	s_or_b32 exec_lo, exec_lo, s9
.LBB24_1759:
	s_delay_alu instid0(SALU_CYCLE_1)
	s_or_b32 exec_lo, exec_lo, s7
	global_store_b8 v[2:3], v5, off
.LBB24_1760:
	s_mov_b32 s7, -1
.LBB24_1761:
	s_mov_b32 s8, 0
.LBB24_1762:
	s_delay_alu instid0(SALU_CYCLE_1)
	s_and_b32 vcc_lo, exec_lo, s8
	s_cbranch_vccz .LBB24_1802
; %bb.1763:
	s_cmp_gt_i32 s3, 22
	s_mov_b32 s6, -1
	s_cbranch_scc0 .LBB24_1795
; %bb.1764:
	s_cmp_lt_i32 s3, 24
	s_cbranch_scc1 .LBB24_1784
; %bb.1765:
	s_cmp_gt_i32 s3, 24
	s_cbranch_scc0 .LBB24_1773
; %bb.1766:
	s_wait_xcnt 0x0
	v_cvt_f32_f16_e32 v1, v6
	v_mov_b32_e32 v5, 0x80
	s_mov_b32 s6, exec_lo
	s_delay_alu instid0(VALU_DEP_2) | instskip(NEXT) | instid1(VALU_DEP_1)
	v_and_b32_e32 v4, 0x7fffffff, v1
	v_cmpx_gt_u32_e32 0x47800000, v4
	s_cbranch_execz .LBB24_1772
; %bb.1767:
	v_cmp_lt_u32_e32 vcc_lo, 0x37ffffff, v4
	s_mov_b32 s7, 0
                                        ; implicit-def: $vgpr4
	s_and_saveexec_b32 s8, vcc_lo
	s_delay_alu instid0(SALU_CYCLE_1)
	s_xor_b32 s8, exec_lo, s8
	s_cbranch_execz .LBB24_2053
; %bb.1768:
	v_bfe_u32 v4, v1, 21, 1
	s_mov_b32 s7, exec_lo
	s_delay_alu instid0(VALU_DEP_1) | instskip(NEXT) | instid1(VALU_DEP_1)
	v_add3_u32 v4, v1, v4, 0x88fffff
	v_lshrrev_b32_e32 v4, 21, v4
	s_and_not1_saveexec_b32 s8, s8
	s_cbranch_execnz .LBB24_2054
.LBB24_1769:
	s_or_b32 exec_lo, exec_lo, s8
	v_mov_b32_e32 v5, 0
	s_and_saveexec_b32 s8, s7
.LBB24_1770:
	v_lshrrev_b32_e32 v1, 24, v1
	s_delay_alu instid0(VALU_DEP_1)
	v_and_or_b32 v5, 0x80, v1, v4
.LBB24_1771:
	s_or_b32 exec_lo, exec_lo, s8
.LBB24_1772:
	s_delay_alu instid0(SALU_CYCLE_1)
	s_or_b32 exec_lo, exec_lo, s6
	s_mov_b32 s6, 0
	global_store_b8 v[2:3], v5, off
.LBB24_1773:
	s_and_b32 vcc_lo, exec_lo, s6
	s_cbranch_vccz .LBB24_1783
; %bb.1774:
	s_wait_xcnt 0x0
	v_cvt_f32_f16_e32 v1, v6
	s_mov_b32 s6, exec_lo
                                        ; implicit-def: $vgpr4
	s_delay_alu instid0(VALU_DEP_1) | instskip(NEXT) | instid1(VALU_DEP_1)
	v_and_b32_e32 v5, 0x7fffffff, v1
	v_cmpx_gt_u32_e32 0x43f00000, v5
	s_xor_b32 s6, exec_lo, s6
	s_cbranch_execz .LBB24_1780
; %bb.1775:
	s_mov_b32 s7, exec_lo
                                        ; implicit-def: $vgpr4
	v_cmpx_lt_u32_e32 0x3c7fffff, v5
	s_xor_b32 s7, exec_lo, s7
; %bb.1776:
	v_bfe_u32 v4, v1, 20, 1
	s_delay_alu instid0(VALU_DEP_1) | instskip(NEXT) | instid1(VALU_DEP_1)
	v_add3_u32 v4, v1, v4, 0x407ffff
	v_and_b32_e32 v5, 0xff00000, v4
	v_lshrrev_b32_e32 v4, 20, v4
	s_delay_alu instid0(VALU_DEP_2) | instskip(NEXT) | instid1(VALU_DEP_2)
	v_cmp_ne_u32_e32 vcc_lo, 0x7f00000, v5
	v_cndmask_b32_e32 v4, 0x7e, v4, vcc_lo
; %bb.1777:
	s_and_not1_saveexec_b32 s7, s7
; %bb.1778:
	v_add_f32_e64 v4, 0x46800000, |v1|
; %bb.1779:
	s_or_b32 exec_lo, exec_lo, s7
                                        ; implicit-def: $vgpr5
.LBB24_1780:
	s_and_not1_saveexec_b32 s6, s6
; %bb.1781:
	v_mov_b32_e32 v4, 0x7f
	v_cmp_lt_u32_e32 vcc_lo, 0x7f800000, v5
	s_delay_alu instid0(VALU_DEP_2)
	v_cndmask_b32_e32 v4, 0x7e, v4, vcc_lo
; %bb.1782:
	s_or_b32 exec_lo, exec_lo, s6
	v_lshrrev_b32_e32 v1, 24, v1
	s_delay_alu instid0(VALU_DEP_1)
	v_and_or_b32 v1, 0x80, v1, v4
	global_store_b8 v[2:3], v1, off
.LBB24_1783:
	s_mov_b32 s6, 0
.LBB24_1784:
	s_delay_alu instid0(SALU_CYCLE_1)
	s_and_not1_b32 vcc_lo, exec_lo, s6
	s_cbranch_vccnz .LBB24_1794
; %bb.1785:
	s_wait_xcnt 0x0
	v_cvt_f32_f16_e32 v1, v6
	s_mov_b32 s6, exec_lo
                                        ; implicit-def: $vgpr4
	s_delay_alu instid0(VALU_DEP_1) | instskip(NEXT) | instid1(VALU_DEP_1)
	v_and_b32_e32 v5, 0x7fffffff, v1
	v_cmpx_gt_u32_e32 0x47800000, v5
	s_xor_b32 s6, exec_lo, s6
	s_cbranch_execz .LBB24_1791
; %bb.1786:
	s_mov_b32 s7, exec_lo
                                        ; implicit-def: $vgpr4
	v_cmpx_lt_u32_e32 0x387fffff, v5
	s_xor_b32 s7, exec_lo, s7
; %bb.1787:
	v_bfe_u32 v4, v1, 21, 1
	s_delay_alu instid0(VALU_DEP_1) | instskip(NEXT) | instid1(VALU_DEP_1)
	v_add3_u32 v4, v1, v4, 0x80fffff
	v_lshrrev_b32_e32 v4, 21, v4
; %bb.1788:
	s_and_not1_saveexec_b32 s7, s7
; %bb.1789:
	v_add_f32_e64 v4, 0x43000000, |v1|
; %bb.1790:
	s_or_b32 exec_lo, exec_lo, s7
                                        ; implicit-def: $vgpr5
.LBB24_1791:
	s_and_not1_saveexec_b32 s6, s6
; %bb.1792:
	v_mov_b32_e32 v4, 0x7f
	v_cmp_lt_u32_e32 vcc_lo, 0x7f800000, v5
	s_delay_alu instid0(VALU_DEP_2)
	v_cndmask_b32_e32 v4, 0x7c, v4, vcc_lo
; %bb.1793:
	s_or_b32 exec_lo, exec_lo, s6
	v_lshrrev_b32_e32 v1, 24, v1
	s_delay_alu instid0(VALU_DEP_1)
	v_and_or_b32 v1, 0x80, v1, v4
	global_store_b8 v[2:3], v1, off
.LBB24_1794:
	s_mov_b32 s6, 0
	s_mov_b32 s7, -1
.LBB24_1795:
	s_and_not1_b32 vcc_lo, exec_lo, s6
	s_mov_b32 s6, 0
	s_cbranch_vccnz .LBB24_1802
; %bb.1796:
	s_cmp_gt_i32 s3, 14
	s_mov_b32 s6, -1
	s_cbranch_scc0 .LBB24_1800
; %bb.1797:
	s_cmp_eq_u32 s3, 15
	s_mov_b32 s0, -1
	s_cbranch_scc0 .LBB24_1799
; %bb.1798:
	s_wait_xcnt 0x0
	v_cvt_f32_f16_e32 v1, v6
	v_cmp_o_f16_e32 vcc_lo, v6, v6
	s_mov_b32 s0, 0
	s_mov_b32 s7, -1
	s_delay_alu instid0(VALU_DEP_2) | instskip(NEXT) | instid1(VALU_DEP_1)
	v_bfe_u32 v4, v1, 16, 1
	v_add3_u32 v1, v1, v4, 0x7fff
	s_delay_alu instid0(VALU_DEP_1) | instskip(NEXT) | instid1(VALU_DEP_1)
	v_lshrrev_b32_e32 v1, 16, v1
	v_cndmask_b32_e32 v1, 0x7fc0, v1, vcc_lo
	global_store_b16 v[2:3], v1, off
.LBB24_1799:
	s_mov_b32 s6, 0
.LBB24_1800:
	s_delay_alu instid0(SALU_CYCLE_1)
	s_and_b32 vcc_lo, exec_lo, s6
	s_mov_b32 s6, 0
	s_cbranch_vccz .LBB24_1802
; %bb.1801:
	s_cmp_lg_u32 s3, 11
	s_mov_b32 s6, -1
	s_cselect_b32 s0, -1, 0
.LBB24_1802:
	s_delay_alu instid0(SALU_CYCLE_1)
	s_and_b32 vcc_lo, exec_lo, s0
	s_cbranch_vccnz .LBB24_2052
; %bb.1803:
	s_and_not1_b32 vcc_lo, exec_lo, s6
	s_cbranch_vccnz .LBB24_1805
.LBB24_1804:
	s_wait_xcnt 0x0
	v_and_b32_e32 v1, 0x7fff, v6
	s_mov_b32 s7, -1
	s_delay_alu instid0(VALU_DEP_1)
	v_cmp_ne_u16_e32 vcc_lo, 0, v1
	v_cndmask_b32_e64 v1, 0, 1, vcc_lo
	global_store_b8 v[2:3], v1, off
.LBB24_1805:
	s_mov_b32 s0, 0
	s_branch .LBB24_1807
.LBB24_1806:
	s_mov_b32 s0, -1
	s_mov_b32 s7, 0
.LBB24_1807:
	s_and_b32 vcc_lo, exec_lo, s0
	s_cbranch_vccz .LBB24_1846
; %bb.1808:
	s_and_b32 s0, 0xffff, s14
	s_mov_b32 s3, -1
	s_cmp_lt_i32 s0, 5
	s_cbranch_scc1 .LBB24_1829
; %bb.1809:
	s_cmp_lt_i32 s0, 8
	s_cbranch_scc1 .LBB24_1819
; %bb.1810:
	;; [unrolled: 3-line block ×3, first 2 shown]
	s_cmp_gt_i32 s0, 9
	s_cbranch_scc0 .LBB24_1813
; %bb.1812:
	s_wait_xcnt 0x0
	v_cvt_f32_f16_e32 v1, v6
	v_mov_b32_e32 v12, 0
	s_mov_b32 s3, 0
	s_delay_alu instid0(VALU_DEP_2) | instskip(NEXT) | instid1(VALU_DEP_2)
	v_cvt_f64_f32_e32 v[10:11], v1
	v_mov_b32_e32 v13, v12
	global_store_b128 v[2:3], v[10:13], off
.LBB24_1813:
	s_and_not1_b32 vcc_lo, exec_lo, s3
	s_cbranch_vccnz .LBB24_1815
; %bb.1814:
	s_wait_xcnt 0x0
	v_cvt_f32_f16_e32 v4, v6
	v_mov_b32_e32 v5, 0
	global_store_b64 v[2:3], v[4:5], off
.LBB24_1815:
	s_mov_b32 s3, 0
.LBB24_1816:
	s_delay_alu instid0(SALU_CYCLE_1)
	s_and_not1_b32 vcc_lo, exec_lo, s3
	s_cbranch_vccnz .LBB24_1818
; %bb.1817:
	s_wait_xcnt 0x0
	v_and_b32_e32 v1, 0xffff, v6
	global_store_b32 v[2:3], v1, off
.LBB24_1818:
	s_mov_b32 s3, 0
.LBB24_1819:
	s_delay_alu instid0(SALU_CYCLE_1)
	s_and_not1_b32 vcc_lo, exec_lo, s3
	s_cbranch_vccnz .LBB24_1828
; %bb.1820:
	s_cmp_lt_i32 s0, 6
	s_mov_b32 s3, -1
	s_cbranch_scc1 .LBB24_1826
; %bb.1821:
	s_cmp_gt_i32 s0, 6
	s_cbranch_scc0 .LBB24_1823
; %bb.1822:
	s_wait_xcnt 0x0
	v_cvt_f32_f16_e32 v1, v6
	s_mov_b32 s3, 0
	s_delay_alu instid0(VALU_DEP_1)
	v_cvt_f64_f32_e32 v[4:5], v1
	global_store_b64 v[2:3], v[4:5], off
.LBB24_1823:
	s_and_not1_b32 vcc_lo, exec_lo, s3
	s_cbranch_vccnz .LBB24_1825
; %bb.1824:
	s_wait_xcnt 0x0
	v_cvt_f32_f16_e32 v1, v6
	global_store_b32 v[2:3], v1, off
.LBB24_1825:
	s_mov_b32 s3, 0
.LBB24_1826:
	s_delay_alu instid0(SALU_CYCLE_1)
	s_and_not1_b32 vcc_lo, exec_lo, s3
	s_cbranch_vccnz .LBB24_1828
; %bb.1827:
	global_store_b16 v[2:3], v6, off
.LBB24_1828:
	s_mov_b32 s3, 0
.LBB24_1829:
	s_delay_alu instid0(SALU_CYCLE_1)
	s_and_not1_b32 vcc_lo, exec_lo, s3
	s_cbranch_vccnz .LBB24_1845
; %bb.1830:
	s_cmp_lt_i32 s0, 2
	s_mov_b32 s3, -1
	s_cbranch_scc1 .LBB24_1840
; %bb.1831:
	s_cmp_lt_i32 s0, 3
	s_cbranch_scc1 .LBB24_1837
; %bb.1832:
	s_cmp_gt_i32 s0, 3
	s_cbranch_scc0 .LBB24_1834
; %bb.1833:
	s_wait_xcnt 0x0
	v_cvt_f32_f16_e32 v1, v6
	s_mov_b32 s3, 0
	s_delay_alu instid0(VALU_DEP_1) | instskip(NEXT) | instid1(VALU_DEP_1)
	v_cvt_i32_f32_e32 v4, v1
	v_ashrrev_i32_e32 v5, 31, v4
	global_store_b64 v[2:3], v[4:5], off
.LBB24_1834:
	s_and_not1_b32 vcc_lo, exec_lo, s3
	s_cbranch_vccnz .LBB24_1836
; %bb.1835:
	s_wait_xcnt 0x0
	v_cvt_f32_f16_e32 v1, v6
	s_delay_alu instid0(VALU_DEP_1)
	v_cvt_i32_f32_e32 v1, v1
	global_store_b32 v[2:3], v1, off
.LBB24_1836:
	s_mov_b32 s3, 0
.LBB24_1837:
	s_delay_alu instid0(SALU_CYCLE_1)
	s_and_not1_b32 vcc_lo, exec_lo, s3
	s_cbranch_vccnz .LBB24_1839
; %bb.1838:
	s_wait_xcnt 0x0
	v_cvt_i16_f16_e32 v1, v6
	global_store_b16 v[2:3], v1, off
.LBB24_1839:
	s_mov_b32 s3, 0
.LBB24_1840:
	s_delay_alu instid0(SALU_CYCLE_1)
	s_and_not1_b32 vcc_lo, exec_lo, s3
	s_cbranch_vccnz .LBB24_1845
; %bb.1841:
	s_cmp_gt_i32 s0, 0
	s_mov_b32 s0, -1
	s_cbranch_scc0 .LBB24_1843
; %bb.1842:
	s_wait_xcnt 0x0
	v_cvt_i16_f16_e32 v1, v6
	s_mov_b32 s0, 0
	global_store_b8 v[2:3], v1, off
.LBB24_1843:
	s_and_not1_b32 vcc_lo, exec_lo, s0
	s_cbranch_vccnz .LBB24_1845
; %bb.1844:
	s_wait_xcnt 0x0
	v_cvt_f32_f16_e32 v1, v6
	s_delay_alu instid0(VALU_DEP_1)
	v_cvt_i32_f32_e32 v1, v1
	global_store_b8 v[2:3], v1, off
.LBB24_1845:
	s_mov_b32 s7, -1
.LBB24_1846:
	s_delay_alu instid0(SALU_CYCLE_1)
	s_and_not1_b32 vcc_lo, exec_lo, s7
	s_cbranch_vccnz .LBB24_2042
; %bb.1847:
	v_add_nc_u32_e32 v0, s2, v0
	s_cmp_lt_i32 s14, 11
	s_wait_xcnt 0x0
	s_delay_alu instid0(VALU_DEP_1) | instskip(NEXT) | instid1(VALU_DEP_1)
	v_ashrrev_i32_e32 v1, 31, v0
	v_add_nc_u64_e32 v[2:3], s[4:5], v[0:1]
	s_cbranch_scc1 .LBB24_1925
; %bb.1848:
	s_and_b32 s3, 0xffff, s14
	s_mov_b32 s8, -1
	s_mov_b32 s6, 0
	s_cmp_gt_i32 s3, 25
	s_mov_b32 s7, 0
	s_mov_b32 s0, 0
	s_cbranch_scc0 .LBB24_1881
; %bb.1849:
	s_cmp_gt_i32 s3, 28
	s_cbranch_scc0 .LBB24_1864
; %bb.1850:
	s_cmp_gt_i32 s3, 43
	;; [unrolled: 3-line block ×3, first 2 shown]
	s_cbranch_scc0 .LBB24_1854
; %bb.1852:
	s_mov_b32 s0, -1
	s_mov_b32 s8, 0
	s_cmp_eq_u32 s3, 46
	s_cbranch_scc0 .LBB24_1854
; %bb.1853:
	v_cvt_f32_f16_e32 v1, v7
	v_cmp_o_f16_e32 vcc_lo, v7, v7
	s_mov_b32 s0, 0
	s_mov_b32 s7, -1
	s_delay_alu instid0(VALU_DEP_2) | instskip(NEXT) | instid1(VALU_DEP_1)
	v_bfe_u32 v4, v1, 16, 1
	v_add3_u32 v1, v1, v4, 0x7fff
	s_delay_alu instid0(VALU_DEP_1) | instskip(NEXT) | instid1(VALU_DEP_1)
	v_lshrrev_b32_e32 v1, 16, v1
	v_cndmask_b32_e32 v1, 0x7fc0, v1, vcc_lo
	global_store_b32 v[2:3], v1, off
.LBB24_1854:
	s_and_b32 vcc_lo, exec_lo, s8
	s_cbranch_vccz .LBB24_1859
; %bb.1855:
	s_cmp_eq_u32 s3, 44
	s_mov_b32 s0, -1
	s_cbranch_scc0 .LBB24_1859
; %bb.1856:
	s_wait_xcnt 0x0
	v_cvt_f32_f16_e32 v1, v7
	v_mov_b32_e32 v4, 0xff
	s_mov_b32 s7, exec_lo
	s_delay_alu instid0(VALU_DEP_2) | instskip(NEXT) | instid1(VALU_DEP_1)
	v_bfe_u32 v5, v1, 23, 8
	v_cmpx_ne_u32_e32 0xff, v5
	s_cbranch_execz .LBB24_1858
; %bb.1857:
	v_and_b32_e32 v4, 0x400000, v1
	v_and_or_b32 v5, 0x3fffff, v1, v5
	v_lshrrev_b32_e32 v1, 23, v1
	s_delay_alu instid0(VALU_DEP_3) | instskip(NEXT) | instid1(VALU_DEP_3)
	v_cmp_ne_u32_e32 vcc_lo, 0, v4
	v_cmp_ne_u32_e64 s0, 0, v5
	s_and_b32 s0, vcc_lo, s0
	s_delay_alu instid0(SALU_CYCLE_1) | instskip(NEXT) | instid1(VALU_DEP_1)
	v_cndmask_b32_e64 v4, 0, 1, s0
	v_add_nc_u32_e32 v4, v1, v4
.LBB24_1858:
	s_or_b32 exec_lo, exec_lo, s7
	s_mov_b32 s0, 0
	s_mov_b32 s7, -1
	global_store_b8 v[2:3], v4, off
.LBB24_1859:
	s_mov_b32 s8, 0
.LBB24_1860:
	s_delay_alu instid0(SALU_CYCLE_1)
	s_and_b32 vcc_lo, exec_lo, s8
	s_cbranch_vccz .LBB24_1863
; %bb.1861:
	s_cmp_eq_u32 s3, 29
	s_mov_b32 s0, -1
	s_cbranch_scc0 .LBB24_1863
; %bb.1862:
	s_wait_xcnt 0x0
	v_cvt_f32_f16_e32 v1, v7
	v_mov_b32_e32 v5, 0
	s_mov_b32 s0, 0
	s_mov_b32 s7, -1
	s_delay_alu instid0(VALU_DEP_2)
	v_cvt_u32_f32_e32 v4, v1
	global_store_b64 v[2:3], v[4:5], off
.LBB24_1863:
	s_mov_b32 s8, 0
.LBB24_1864:
	s_delay_alu instid0(SALU_CYCLE_1)
	s_and_b32 vcc_lo, exec_lo, s8
	s_cbranch_vccz .LBB24_1880
; %bb.1865:
	s_cmp_lt_i32 s3, 27
	s_mov_b32 s7, -1
	s_cbranch_scc1 .LBB24_1871
; %bb.1866:
	s_cmp_gt_i32 s3, 27
	s_cbranch_scc0 .LBB24_1868
; %bb.1867:
	s_wait_xcnt 0x0
	v_cvt_f32_f16_e32 v1, v7
	s_mov_b32 s7, 0
	s_delay_alu instid0(VALU_DEP_1)
	v_cvt_u32_f32_e32 v1, v1
	global_store_b32 v[2:3], v1, off
.LBB24_1868:
	s_and_not1_b32 vcc_lo, exec_lo, s7
	s_cbranch_vccnz .LBB24_1870
; %bb.1869:
	s_wait_xcnt 0x0
	v_cvt_u16_f16_e32 v1, v7
	global_store_b16 v[2:3], v1, off
.LBB24_1870:
	s_mov_b32 s7, 0
.LBB24_1871:
	s_delay_alu instid0(SALU_CYCLE_1)
	s_and_not1_b32 vcc_lo, exec_lo, s7
	s_cbranch_vccnz .LBB24_1879
; %bb.1872:
	s_wait_xcnt 0x0
	v_cvt_f32_f16_e32 v1, v7
	v_mov_b32_e32 v5, 0x80
	s_mov_b32 s7, exec_lo
	s_delay_alu instid0(VALU_DEP_2) | instskip(NEXT) | instid1(VALU_DEP_1)
	v_and_b32_e32 v4, 0x7fffffff, v1
	v_cmpx_gt_u32_e32 0x43800000, v4
	s_cbranch_execz .LBB24_1878
; %bb.1873:
	v_cmp_lt_u32_e32 vcc_lo, 0x3bffffff, v4
	s_mov_b32 s8, 0
                                        ; implicit-def: $vgpr4
	s_and_saveexec_b32 s9, vcc_lo
	s_delay_alu instid0(SALU_CYCLE_1)
	s_xor_b32 s9, exec_lo, s9
	s_cbranch_execz .LBB24_2055
; %bb.1874:
	v_bfe_u32 v4, v1, 20, 1
	s_mov_b32 s8, exec_lo
	s_delay_alu instid0(VALU_DEP_1) | instskip(NEXT) | instid1(VALU_DEP_1)
	v_add3_u32 v4, v1, v4, 0x487ffff
	v_lshrrev_b32_e32 v4, 20, v4
	s_and_not1_saveexec_b32 s9, s9
	s_cbranch_execnz .LBB24_2056
.LBB24_1875:
	s_or_b32 exec_lo, exec_lo, s9
	v_mov_b32_e32 v5, 0
	s_and_saveexec_b32 s9, s8
.LBB24_1876:
	v_lshrrev_b32_e32 v1, 24, v1
	s_delay_alu instid0(VALU_DEP_1)
	v_and_or_b32 v5, 0x80, v1, v4
.LBB24_1877:
	s_or_b32 exec_lo, exec_lo, s9
.LBB24_1878:
	s_delay_alu instid0(SALU_CYCLE_1)
	s_or_b32 exec_lo, exec_lo, s7
	global_store_b8 v[2:3], v5, off
.LBB24_1879:
	s_mov_b32 s7, -1
.LBB24_1880:
	s_mov_b32 s8, 0
.LBB24_1881:
	s_delay_alu instid0(SALU_CYCLE_1)
	s_and_b32 vcc_lo, exec_lo, s8
	s_cbranch_vccz .LBB24_1921
; %bb.1882:
	s_cmp_gt_i32 s3, 22
	s_mov_b32 s6, -1
	s_cbranch_scc0 .LBB24_1914
; %bb.1883:
	s_cmp_lt_i32 s3, 24
	s_cbranch_scc1 .LBB24_1903
; %bb.1884:
	s_cmp_gt_i32 s3, 24
	s_cbranch_scc0 .LBB24_1892
; %bb.1885:
	s_wait_xcnt 0x0
	v_cvt_f32_f16_e32 v1, v7
	v_mov_b32_e32 v5, 0x80
	s_mov_b32 s6, exec_lo
	s_delay_alu instid0(VALU_DEP_2) | instskip(NEXT) | instid1(VALU_DEP_1)
	v_and_b32_e32 v4, 0x7fffffff, v1
	v_cmpx_gt_u32_e32 0x47800000, v4
	s_cbranch_execz .LBB24_1891
; %bb.1886:
	v_cmp_lt_u32_e32 vcc_lo, 0x37ffffff, v4
	s_mov_b32 s7, 0
                                        ; implicit-def: $vgpr4
	s_and_saveexec_b32 s8, vcc_lo
	s_delay_alu instid0(SALU_CYCLE_1)
	s_xor_b32 s8, exec_lo, s8
	s_cbranch_execz .LBB24_2058
; %bb.1887:
	v_bfe_u32 v4, v1, 21, 1
	s_mov_b32 s7, exec_lo
	s_delay_alu instid0(VALU_DEP_1) | instskip(NEXT) | instid1(VALU_DEP_1)
	v_add3_u32 v4, v1, v4, 0x88fffff
	v_lshrrev_b32_e32 v4, 21, v4
	s_and_not1_saveexec_b32 s8, s8
	s_cbranch_execnz .LBB24_2059
.LBB24_1888:
	s_or_b32 exec_lo, exec_lo, s8
	v_mov_b32_e32 v5, 0
	s_and_saveexec_b32 s8, s7
.LBB24_1889:
	v_lshrrev_b32_e32 v1, 24, v1
	s_delay_alu instid0(VALU_DEP_1)
	v_and_or_b32 v5, 0x80, v1, v4
.LBB24_1890:
	s_or_b32 exec_lo, exec_lo, s8
.LBB24_1891:
	s_delay_alu instid0(SALU_CYCLE_1)
	s_or_b32 exec_lo, exec_lo, s6
	s_mov_b32 s6, 0
	global_store_b8 v[2:3], v5, off
.LBB24_1892:
	s_and_b32 vcc_lo, exec_lo, s6
	s_cbranch_vccz .LBB24_1902
; %bb.1893:
	s_wait_xcnt 0x0
	v_cvt_f32_f16_e32 v1, v7
	s_mov_b32 s6, exec_lo
                                        ; implicit-def: $vgpr4
	s_delay_alu instid0(VALU_DEP_1) | instskip(NEXT) | instid1(VALU_DEP_1)
	v_and_b32_e32 v5, 0x7fffffff, v1
	v_cmpx_gt_u32_e32 0x43f00000, v5
	s_xor_b32 s6, exec_lo, s6
	s_cbranch_execz .LBB24_1899
; %bb.1894:
	s_mov_b32 s7, exec_lo
                                        ; implicit-def: $vgpr4
	v_cmpx_lt_u32_e32 0x3c7fffff, v5
	s_xor_b32 s7, exec_lo, s7
; %bb.1895:
	v_bfe_u32 v4, v1, 20, 1
	s_delay_alu instid0(VALU_DEP_1) | instskip(NEXT) | instid1(VALU_DEP_1)
	v_add3_u32 v4, v1, v4, 0x407ffff
	v_and_b32_e32 v5, 0xff00000, v4
	v_lshrrev_b32_e32 v4, 20, v4
	s_delay_alu instid0(VALU_DEP_2) | instskip(NEXT) | instid1(VALU_DEP_2)
	v_cmp_ne_u32_e32 vcc_lo, 0x7f00000, v5
	v_cndmask_b32_e32 v4, 0x7e, v4, vcc_lo
; %bb.1896:
	s_and_not1_saveexec_b32 s7, s7
; %bb.1897:
	v_add_f32_e64 v4, 0x46800000, |v1|
; %bb.1898:
	s_or_b32 exec_lo, exec_lo, s7
                                        ; implicit-def: $vgpr5
.LBB24_1899:
	s_and_not1_saveexec_b32 s6, s6
; %bb.1900:
	v_mov_b32_e32 v4, 0x7f
	v_cmp_lt_u32_e32 vcc_lo, 0x7f800000, v5
	s_delay_alu instid0(VALU_DEP_2)
	v_cndmask_b32_e32 v4, 0x7e, v4, vcc_lo
; %bb.1901:
	s_or_b32 exec_lo, exec_lo, s6
	v_lshrrev_b32_e32 v1, 24, v1
	s_delay_alu instid0(VALU_DEP_1)
	v_and_or_b32 v1, 0x80, v1, v4
	global_store_b8 v[2:3], v1, off
.LBB24_1902:
	s_mov_b32 s6, 0
.LBB24_1903:
	s_delay_alu instid0(SALU_CYCLE_1)
	s_and_not1_b32 vcc_lo, exec_lo, s6
	s_cbranch_vccnz .LBB24_1913
; %bb.1904:
	s_wait_xcnt 0x0
	v_cvt_f32_f16_e32 v1, v7
	s_mov_b32 s6, exec_lo
                                        ; implicit-def: $vgpr4
	s_delay_alu instid0(VALU_DEP_1) | instskip(NEXT) | instid1(VALU_DEP_1)
	v_and_b32_e32 v5, 0x7fffffff, v1
	v_cmpx_gt_u32_e32 0x47800000, v5
	s_xor_b32 s6, exec_lo, s6
	s_cbranch_execz .LBB24_1910
; %bb.1905:
	s_mov_b32 s7, exec_lo
                                        ; implicit-def: $vgpr4
	v_cmpx_lt_u32_e32 0x387fffff, v5
	s_xor_b32 s7, exec_lo, s7
; %bb.1906:
	v_bfe_u32 v4, v1, 21, 1
	s_delay_alu instid0(VALU_DEP_1) | instskip(NEXT) | instid1(VALU_DEP_1)
	v_add3_u32 v4, v1, v4, 0x80fffff
	v_lshrrev_b32_e32 v4, 21, v4
; %bb.1907:
	s_and_not1_saveexec_b32 s7, s7
; %bb.1908:
	v_add_f32_e64 v4, 0x43000000, |v1|
; %bb.1909:
	s_or_b32 exec_lo, exec_lo, s7
                                        ; implicit-def: $vgpr5
.LBB24_1910:
	s_and_not1_saveexec_b32 s6, s6
; %bb.1911:
	v_mov_b32_e32 v4, 0x7f
	v_cmp_lt_u32_e32 vcc_lo, 0x7f800000, v5
	s_delay_alu instid0(VALU_DEP_2)
	v_cndmask_b32_e32 v4, 0x7c, v4, vcc_lo
; %bb.1912:
	s_or_b32 exec_lo, exec_lo, s6
	v_lshrrev_b32_e32 v1, 24, v1
	s_delay_alu instid0(VALU_DEP_1)
	v_and_or_b32 v1, 0x80, v1, v4
	global_store_b8 v[2:3], v1, off
.LBB24_1913:
	s_mov_b32 s6, 0
	s_mov_b32 s7, -1
.LBB24_1914:
	s_and_not1_b32 vcc_lo, exec_lo, s6
	s_mov_b32 s6, 0
	s_cbranch_vccnz .LBB24_1921
; %bb.1915:
	s_cmp_gt_i32 s3, 14
	s_mov_b32 s6, -1
	s_cbranch_scc0 .LBB24_1919
; %bb.1916:
	s_cmp_eq_u32 s3, 15
	s_mov_b32 s0, -1
	s_cbranch_scc0 .LBB24_1918
; %bb.1917:
	s_wait_xcnt 0x0
	v_cvt_f32_f16_e32 v1, v7
	v_cmp_o_f16_e32 vcc_lo, v7, v7
	s_mov_b32 s0, 0
	s_mov_b32 s7, -1
	s_delay_alu instid0(VALU_DEP_2) | instskip(NEXT) | instid1(VALU_DEP_1)
	v_bfe_u32 v4, v1, 16, 1
	v_add3_u32 v1, v1, v4, 0x7fff
	s_delay_alu instid0(VALU_DEP_1) | instskip(NEXT) | instid1(VALU_DEP_1)
	v_lshrrev_b32_e32 v1, 16, v1
	v_cndmask_b32_e32 v1, 0x7fc0, v1, vcc_lo
	global_store_b16 v[2:3], v1, off
.LBB24_1918:
	s_mov_b32 s6, 0
.LBB24_1919:
	s_delay_alu instid0(SALU_CYCLE_1)
	s_and_b32 vcc_lo, exec_lo, s6
	s_mov_b32 s6, 0
	s_cbranch_vccz .LBB24_1921
; %bb.1920:
	s_cmp_lg_u32 s3, 11
	s_mov_b32 s6, -1
	s_cselect_b32 s0, -1, 0
.LBB24_1921:
	s_delay_alu instid0(SALU_CYCLE_1)
	s_and_b32 vcc_lo, exec_lo, s0
	s_cbranch_vccnz .LBB24_2057
; %bb.1922:
	s_and_not1_b32 vcc_lo, exec_lo, s6
	s_cbranch_vccnz .LBB24_1924
.LBB24_1923:
	s_wait_xcnt 0x0
	v_and_b32_e32 v1, 0x7fff, v7
	s_mov_b32 s7, -1
	s_delay_alu instid0(VALU_DEP_1)
	v_cmp_ne_u16_e32 vcc_lo, 0, v1
	v_cndmask_b32_e64 v1, 0, 1, vcc_lo
	global_store_b8 v[2:3], v1, off
.LBB24_1924:
	s_mov_b32 s0, 0
	s_branch .LBB24_1926
.LBB24_1925:
	s_mov_b32 s0, -1
	s_mov_b32 s7, 0
.LBB24_1926:
	s_and_b32 vcc_lo, exec_lo, s0
	s_cbranch_vccz .LBB24_1965
; %bb.1927:
	s_and_b32 s0, 0xffff, s14
	s_mov_b32 s3, -1
	s_cmp_lt_i32 s0, 5
	s_cbranch_scc1 .LBB24_1948
; %bb.1928:
	s_cmp_lt_i32 s0, 8
	s_cbranch_scc1 .LBB24_1938
; %bb.1929:
	;; [unrolled: 3-line block ×3, first 2 shown]
	s_cmp_gt_i32 s0, 9
	s_cbranch_scc0 .LBB24_1932
; %bb.1931:
	s_wait_xcnt 0x0
	v_cvt_f32_f16_e32 v1, v7
	v_mov_b32_e32 v12, 0
	s_mov_b32 s3, 0
	s_delay_alu instid0(VALU_DEP_2) | instskip(NEXT) | instid1(VALU_DEP_2)
	v_cvt_f64_f32_e32 v[10:11], v1
	v_mov_b32_e32 v13, v12
	global_store_b128 v[2:3], v[10:13], off
.LBB24_1932:
	s_and_not1_b32 vcc_lo, exec_lo, s3
	s_cbranch_vccnz .LBB24_1934
; %bb.1933:
	s_wait_xcnt 0x0
	v_cvt_f32_f16_e32 v4, v7
	v_mov_b32_e32 v5, 0
	global_store_b64 v[2:3], v[4:5], off
.LBB24_1934:
	s_mov_b32 s3, 0
.LBB24_1935:
	s_delay_alu instid0(SALU_CYCLE_1)
	s_and_not1_b32 vcc_lo, exec_lo, s3
	s_cbranch_vccnz .LBB24_1937
; %bb.1936:
	s_wait_xcnt 0x0
	v_and_b32_e32 v1, 0xffff, v7
	global_store_b32 v[2:3], v1, off
.LBB24_1937:
	s_mov_b32 s3, 0
.LBB24_1938:
	s_delay_alu instid0(SALU_CYCLE_1)
	s_and_not1_b32 vcc_lo, exec_lo, s3
	s_cbranch_vccnz .LBB24_1947
; %bb.1939:
	s_cmp_lt_i32 s0, 6
	s_mov_b32 s3, -1
	s_cbranch_scc1 .LBB24_1945
; %bb.1940:
	s_cmp_gt_i32 s0, 6
	s_cbranch_scc0 .LBB24_1942
; %bb.1941:
	s_wait_xcnt 0x0
	v_cvt_f32_f16_e32 v1, v7
	s_mov_b32 s3, 0
	s_delay_alu instid0(VALU_DEP_1)
	v_cvt_f64_f32_e32 v[4:5], v1
	global_store_b64 v[2:3], v[4:5], off
.LBB24_1942:
	s_and_not1_b32 vcc_lo, exec_lo, s3
	s_cbranch_vccnz .LBB24_1944
; %bb.1943:
	s_wait_xcnt 0x0
	v_cvt_f32_f16_e32 v1, v7
	global_store_b32 v[2:3], v1, off
.LBB24_1944:
	s_mov_b32 s3, 0
.LBB24_1945:
	s_delay_alu instid0(SALU_CYCLE_1)
	s_and_not1_b32 vcc_lo, exec_lo, s3
	s_cbranch_vccnz .LBB24_1947
; %bb.1946:
	global_store_b16 v[2:3], v7, off
.LBB24_1947:
	s_mov_b32 s3, 0
.LBB24_1948:
	s_delay_alu instid0(SALU_CYCLE_1)
	s_and_not1_b32 vcc_lo, exec_lo, s3
	s_cbranch_vccnz .LBB24_1964
; %bb.1949:
	s_cmp_lt_i32 s0, 2
	s_mov_b32 s3, -1
	s_cbranch_scc1 .LBB24_1959
; %bb.1950:
	s_cmp_lt_i32 s0, 3
	s_cbranch_scc1 .LBB24_1956
; %bb.1951:
	s_cmp_gt_i32 s0, 3
	s_cbranch_scc0 .LBB24_1953
; %bb.1952:
	s_wait_xcnt 0x0
	v_cvt_f32_f16_e32 v1, v7
	s_mov_b32 s3, 0
	s_delay_alu instid0(VALU_DEP_1) | instskip(NEXT) | instid1(VALU_DEP_1)
	v_cvt_i32_f32_e32 v4, v1
	v_ashrrev_i32_e32 v5, 31, v4
	global_store_b64 v[2:3], v[4:5], off
.LBB24_1953:
	s_and_not1_b32 vcc_lo, exec_lo, s3
	s_cbranch_vccnz .LBB24_1955
; %bb.1954:
	s_wait_xcnt 0x0
	v_cvt_f32_f16_e32 v1, v7
	s_delay_alu instid0(VALU_DEP_1)
	v_cvt_i32_f32_e32 v1, v1
	global_store_b32 v[2:3], v1, off
.LBB24_1955:
	s_mov_b32 s3, 0
.LBB24_1956:
	s_delay_alu instid0(SALU_CYCLE_1)
	s_and_not1_b32 vcc_lo, exec_lo, s3
	s_cbranch_vccnz .LBB24_1958
; %bb.1957:
	s_wait_xcnt 0x0
	v_cvt_i16_f16_e32 v1, v7
	global_store_b16 v[2:3], v1, off
.LBB24_1958:
	s_mov_b32 s3, 0
.LBB24_1959:
	s_delay_alu instid0(SALU_CYCLE_1)
	s_and_not1_b32 vcc_lo, exec_lo, s3
	s_cbranch_vccnz .LBB24_1964
; %bb.1960:
	s_cmp_gt_i32 s0, 0
	s_mov_b32 s0, -1
	s_cbranch_scc0 .LBB24_1962
; %bb.1961:
	s_wait_xcnt 0x0
	v_cvt_i16_f16_e32 v1, v7
	s_mov_b32 s0, 0
	global_store_b8 v[2:3], v1, off
.LBB24_1962:
	s_and_not1_b32 vcc_lo, exec_lo, s0
	s_cbranch_vccnz .LBB24_1964
; %bb.1963:
	s_wait_xcnt 0x0
	v_cvt_f32_f16_e32 v1, v7
	s_delay_alu instid0(VALU_DEP_1)
	v_cvt_i32_f32_e32 v1, v1
	global_store_b8 v[2:3], v1, off
.LBB24_1964:
	s_mov_b32 s7, -1
.LBB24_1965:
	s_delay_alu instid0(SALU_CYCLE_1)
	s_and_not1_b32 vcc_lo, exec_lo, s7
	s_cbranch_vccnz .LBB24_2042
; %bb.1966:
	v_add_nc_u32_e32 v0, s2, v0
	s_cmp_lt_i32 s14, 11
	s_wait_xcnt 0x0
	s_delay_alu instid0(VALU_DEP_1) | instskip(NEXT) | instid1(VALU_DEP_1)
	v_ashrrev_i32_e32 v1, 31, v0
	v_add_nc_u64_e32 v[0:1], s[4:5], v[0:1]
	s_cbranch_scc1 .LBB24_2043
; %bb.1967:
	s_and_b32 s2, 0xffff, s14
	s_mov_b32 s4, -1
	s_mov_b32 s3, 0
	s_cmp_gt_i32 s2, 25
	s_mov_b32 s0, 0
	s_cbranch_scc0 .LBB24_2000
; %bb.1968:
	s_cmp_gt_i32 s2, 28
	s_cbranch_scc0 .LBB24_1984
; %bb.1969:
	s_cmp_gt_i32 s2, 43
	;; [unrolled: 3-line block ×3, first 2 shown]
	s_cbranch_scc0 .LBB24_1974
; %bb.1971:
	s_cmp_eq_u32 s2, 46
	s_mov_b32 s0, -1
	s_cbranch_scc0 .LBB24_1973
; %bb.1972:
	v_cvt_f32_f16_e32 v2, v8
	v_cmp_o_f16_e32 vcc_lo, v8, v8
	s_mov_b32 s0, 0
	s_delay_alu instid0(VALU_DEP_2) | instskip(NEXT) | instid1(VALU_DEP_1)
	v_bfe_u32 v3, v2, 16, 1
	v_add3_u32 v2, v2, v3, 0x7fff
	s_delay_alu instid0(VALU_DEP_1) | instskip(NEXT) | instid1(VALU_DEP_1)
	v_lshrrev_b32_e32 v2, 16, v2
	v_cndmask_b32_e32 v2, 0x7fc0, v2, vcc_lo
	global_store_b32 v[0:1], v2, off
.LBB24_1973:
	s_mov_b32 s4, 0
.LBB24_1974:
	s_delay_alu instid0(SALU_CYCLE_1)
	s_and_b32 vcc_lo, exec_lo, s4
	s_cbranch_vccz .LBB24_1979
; %bb.1975:
	s_cmp_eq_u32 s2, 44
	s_mov_b32 s0, -1
	s_cbranch_scc0 .LBB24_1979
; %bb.1976:
	s_wait_xcnt 0x0
	v_cvt_f32_f16_e32 v2, v8
	v_mov_b32_e32 v3, 0xff
	s_mov_b32 s4, exec_lo
	s_delay_alu instid0(VALU_DEP_2) | instskip(NEXT) | instid1(VALU_DEP_1)
	v_bfe_u32 v4, v2, 23, 8
	v_cmpx_ne_u32_e32 0xff, v4
	s_cbranch_execz .LBB24_1978
; %bb.1977:
	v_and_b32_e32 v3, 0x400000, v2
	v_and_or_b32 v4, 0x3fffff, v2, v4
	v_lshrrev_b32_e32 v2, 23, v2
	s_delay_alu instid0(VALU_DEP_3) | instskip(NEXT) | instid1(VALU_DEP_3)
	v_cmp_ne_u32_e32 vcc_lo, 0, v3
	v_cmp_ne_u32_e64 s0, 0, v4
	s_and_b32 s0, vcc_lo, s0
	s_delay_alu instid0(SALU_CYCLE_1) | instskip(NEXT) | instid1(VALU_DEP_1)
	v_cndmask_b32_e64 v3, 0, 1, s0
	v_add_nc_u32_e32 v3, v2, v3
.LBB24_1978:
	s_or_b32 exec_lo, exec_lo, s4
	s_mov_b32 s0, 0
	global_store_b8 v[0:1], v3, off
.LBB24_1979:
	s_mov_b32 s4, 0
.LBB24_1980:
	s_delay_alu instid0(SALU_CYCLE_1)
	s_and_b32 vcc_lo, exec_lo, s4
	s_cbranch_vccz .LBB24_1983
; %bb.1981:
	s_cmp_eq_u32 s2, 29
	s_mov_b32 s0, -1
	s_cbranch_scc0 .LBB24_1983
; %bb.1982:
	s_wait_xcnt 0x0
	v_cvt_f32_f16_e32 v2, v8
	v_mov_b32_e32 v3, 0
	s_mov_b32 s0, 0
	s_delay_alu instid0(VALU_DEP_2)
	v_cvt_u32_f32_e32 v2, v2
	global_store_b64 v[0:1], v[2:3], off
.LBB24_1983:
	s_mov_b32 s4, 0
.LBB24_1984:
	s_delay_alu instid0(SALU_CYCLE_1)
	s_and_b32 vcc_lo, exec_lo, s4
	s_cbranch_vccz .LBB24_1999
; %bb.1985:
	s_cmp_lt_i32 s2, 27
	s_mov_b32 s4, -1
	s_cbranch_scc1 .LBB24_1991
; %bb.1986:
	s_cmp_gt_i32 s2, 27
	s_cbranch_scc0 .LBB24_1988
; %bb.1987:
	s_wait_xcnt 0x0
	v_cvt_f32_f16_e32 v2, v8
	s_mov_b32 s4, 0
	s_delay_alu instid0(VALU_DEP_1)
	v_cvt_u32_f32_e32 v2, v2
	global_store_b32 v[0:1], v2, off
.LBB24_1988:
	s_and_not1_b32 vcc_lo, exec_lo, s4
	s_cbranch_vccnz .LBB24_1990
; %bb.1989:
	s_wait_xcnt 0x0
	v_cvt_u16_f16_e32 v2, v8
	global_store_b16 v[0:1], v2, off
.LBB24_1990:
	s_mov_b32 s4, 0
.LBB24_1991:
	s_delay_alu instid0(SALU_CYCLE_1)
	s_and_not1_b32 vcc_lo, exec_lo, s4
	s_cbranch_vccnz .LBB24_1999
; %bb.1992:
	s_wait_xcnt 0x0
	v_cvt_f32_f16_e32 v2, v8
	v_mov_b32_e32 v4, 0x80
	s_mov_b32 s4, exec_lo
	s_delay_alu instid0(VALU_DEP_2) | instskip(NEXT) | instid1(VALU_DEP_1)
	v_and_b32_e32 v3, 0x7fffffff, v2
	v_cmpx_gt_u32_e32 0x43800000, v3
	s_cbranch_execz .LBB24_1998
; %bb.1993:
	v_cmp_lt_u32_e32 vcc_lo, 0x3bffffff, v3
	s_mov_b32 s5, 0
                                        ; implicit-def: $vgpr3
	s_and_saveexec_b32 s6, vcc_lo
	s_delay_alu instid0(SALU_CYCLE_1)
	s_xor_b32 s6, exec_lo, s6
	s_cbranch_execz .LBB24_2060
; %bb.1994:
	v_bfe_u32 v3, v2, 20, 1
	s_mov_b32 s5, exec_lo
	s_delay_alu instid0(VALU_DEP_1) | instskip(NEXT) | instid1(VALU_DEP_1)
	v_add3_u32 v3, v2, v3, 0x487ffff
	v_lshrrev_b32_e32 v3, 20, v3
	s_and_not1_saveexec_b32 s6, s6
	s_cbranch_execnz .LBB24_2061
.LBB24_1995:
	s_or_b32 exec_lo, exec_lo, s6
	v_mov_b32_e32 v4, 0
	s_and_saveexec_b32 s6, s5
.LBB24_1996:
	v_lshrrev_b32_e32 v2, 24, v2
	s_delay_alu instid0(VALU_DEP_1)
	v_and_or_b32 v4, 0x80, v2, v3
.LBB24_1997:
	s_or_b32 exec_lo, exec_lo, s6
.LBB24_1998:
	s_delay_alu instid0(SALU_CYCLE_1)
	s_or_b32 exec_lo, exec_lo, s4
	global_store_b8 v[0:1], v4, off
.LBB24_1999:
	s_mov_b32 s4, 0
.LBB24_2000:
	s_delay_alu instid0(SALU_CYCLE_1)
	s_and_b32 vcc_lo, exec_lo, s4
	s_cbranch_vccz .LBB24_2040
; %bb.2001:
	s_cmp_gt_i32 s2, 22
	s_mov_b32 s3, -1
	s_cbranch_scc0 .LBB24_2033
; %bb.2002:
	s_cmp_lt_i32 s2, 24
	s_cbranch_scc1 .LBB24_2022
; %bb.2003:
	s_cmp_gt_i32 s2, 24
	s_cbranch_scc0 .LBB24_2011
; %bb.2004:
	s_wait_xcnt 0x0
	v_cvt_f32_f16_e32 v2, v8
	v_mov_b32_e32 v4, 0x80
	s_mov_b32 s3, exec_lo
	s_delay_alu instid0(VALU_DEP_2) | instskip(NEXT) | instid1(VALU_DEP_1)
	v_and_b32_e32 v3, 0x7fffffff, v2
	v_cmpx_gt_u32_e32 0x47800000, v3
	s_cbranch_execz .LBB24_2010
; %bb.2005:
	v_cmp_lt_u32_e32 vcc_lo, 0x37ffffff, v3
	s_mov_b32 s4, 0
                                        ; implicit-def: $vgpr3
	s_and_saveexec_b32 s5, vcc_lo
	s_delay_alu instid0(SALU_CYCLE_1)
	s_xor_b32 s5, exec_lo, s5
	s_cbranch_execz .LBB24_2063
; %bb.2006:
	v_bfe_u32 v3, v2, 21, 1
	s_mov_b32 s4, exec_lo
	s_delay_alu instid0(VALU_DEP_1) | instskip(NEXT) | instid1(VALU_DEP_1)
	v_add3_u32 v3, v2, v3, 0x88fffff
	v_lshrrev_b32_e32 v3, 21, v3
	s_and_not1_saveexec_b32 s5, s5
	s_cbranch_execnz .LBB24_2064
.LBB24_2007:
	s_or_b32 exec_lo, exec_lo, s5
	v_mov_b32_e32 v4, 0
	s_and_saveexec_b32 s5, s4
.LBB24_2008:
	v_lshrrev_b32_e32 v2, 24, v2
	s_delay_alu instid0(VALU_DEP_1)
	v_and_or_b32 v4, 0x80, v2, v3
.LBB24_2009:
	s_or_b32 exec_lo, exec_lo, s5
.LBB24_2010:
	s_delay_alu instid0(SALU_CYCLE_1)
	s_or_b32 exec_lo, exec_lo, s3
	s_mov_b32 s3, 0
	global_store_b8 v[0:1], v4, off
.LBB24_2011:
	s_and_b32 vcc_lo, exec_lo, s3
	s_cbranch_vccz .LBB24_2021
; %bb.2012:
	s_wait_xcnt 0x0
	v_cvt_f32_f16_e32 v2, v8
	s_mov_b32 s3, exec_lo
                                        ; implicit-def: $vgpr3
	s_delay_alu instid0(VALU_DEP_1) | instskip(NEXT) | instid1(VALU_DEP_1)
	v_and_b32_e32 v4, 0x7fffffff, v2
	v_cmpx_gt_u32_e32 0x43f00000, v4
	s_xor_b32 s3, exec_lo, s3
	s_cbranch_execz .LBB24_2018
; %bb.2013:
	s_mov_b32 s4, exec_lo
                                        ; implicit-def: $vgpr3
	v_cmpx_lt_u32_e32 0x3c7fffff, v4
	s_xor_b32 s4, exec_lo, s4
; %bb.2014:
	v_bfe_u32 v3, v2, 20, 1
	s_delay_alu instid0(VALU_DEP_1) | instskip(NEXT) | instid1(VALU_DEP_1)
	v_add3_u32 v3, v2, v3, 0x407ffff
	v_and_b32_e32 v4, 0xff00000, v3
	v_lshrrev_b32_e32 v3, 20, v3
	s_delay_alu instid0(VALU_DEP_2) | instskip(NEXT) | instid1(VALU_DEP_2)
	v_cmp_ne_u32_e32 vcc_lo, 0x7f00000, v4
	v_cndmask_b32_e32 v3, 0x7e, v3, vcc_lo
; %bb.2015:
	s_and_not1_saveexec_b32 s4, s4
; %bb.2016:
	v_add_f32_e64 v3, 0x46800000, |v2|
; %bb.2017:
	s_or_b32 exec_lo, exec_lo, s4
                                        ; implicit-def: $vgpr4
.LBB24_2018:
	s_and_not1_saveexec_b32 s3, s3
; %bb.2019:
	v_mov_b32_e32 v3, 0x7f
	v_cmp_lt_u32_e32 vcc_lo, 0x7f800000, v4
	s_delay_alu instid0(VALU_DEP_2)
	v_cndmask_b32_e32 v3, 0x7e, v3, vcc_lo
; %bb.2020:
	s_or_b32 exec_lo, exec_lo, s3
	v_lshrrev_b32_e32 v2, 24, v2
	s_delay_alu instid0(VALU_DEP_1)
	v_and_or_b32 v2, 0x80, v2, v3
	global_store_b8 v[0:1], v2, off
.LBB24_2021:
	s_mov_b32 s3, 0
.LBB24_2022:
	s_delay_alu instid0(SALU_CYCLE_1)
	s_and_not1_b32 vcc_lo, exec_lo, s3
	s_cbranch_vccnz .LBB24_2032
; %bb.2023:
	s_wait_xcnt 0x0
	v_cvt_f32_f16_e32 v2, v8
	s_mov_b32 s3, exec_lo
                                        ; implicit-def: $vgpr3
	s_delay_alu instid0(VALU_DEP_1) | instskip(NEXT) | instid1(VALU_DEP_1)
	v_and_b32_e32 v4, 0x7fffffff, v2
	v_cmpx_gt_u32_e32 0x47800000, v4
	s_xor_b32 s3, exec_lo, s3
	s_cbranch_execz .LBB24_2029
; %bb.2024:
	s_mov_b32 s4, exec_lo
                                        ; implicit-def: $vgpr3
	v_cmpx_lt_u32_e32 0x387fffff, v4
	s_xor_b32 s4, exec_lo, s4
; %bb.2025:
	v_bfe_u32 v3, v2, 21, 1
	s_delay_alu instid0(VALU_DEP_1) | instskip(NEXT) | instid1(VALU_DEP_1)
	v_add3_u32 v3, v2, v3, 0x80fffff
	v_lshrrev_b32_e32 v3, 21, v3
; %bb.2026:
	s_and_not1_saveexec_b32 s4, s4
; %bb.2027:
	v_add_f32_e64 v3, 0x43000000, |v2|
; %bb.2028:
	s_or_b32 exec_lo, exec_lo, s4
                                        ; implicit-def: $vgpr4
.LBB24_2029:
	s_and_not1_saveexec_b32 s3, s3
; %bb.2030:
	v_mov_b32_e32 v3, 0x7f
	v_cmp_lt_u32_e32 vcc_lo, 0x7f800000, v4
	s_delay_alu instid0(VALU_DEP_2)
	v_cndmask_b32_e32 v3, 0x7c, v3, vcc_lo
; %bb.2031:
	s_or_b32 exec_lo, exec_lo, s3
	v_lshrrev_b32_e32 v2, 24, v2
	s_delay_alu instid0(VALU_DEP_1)
	v_and_or_b32 v2, 0x80, v2, v3
	global_store_b8 v[0:1], v2, off
.LBB24_2032:
	s_mov_b32 s3, 0
.LBB24_2033:
	s_delay_alu instid0(SALU_CYCLE_1)
	s_and_not1_b32 vcc_lo, exec_lo, s3
	s_mov_b32 s3, 0
	s_cbranch_vccnz .LBB24_2040
; %bb.2034:
	s_cmp_gt_i32 s2, 14
	s_mov_b32 s3, -1
	s_cbranch_scc0 .LBB24_2038
; %bb.2035:
	s_cmp_eq_u32 s2, 15
	s_mov_b32 s0, -1
	s_cbranch_scc0 .LBB24_2037
; %bb.2036:
	s_wait_xcnt 0x0
	v_cvt_f32_f16_e32 v2, v8
	v_cmp_o_f16_e32 vcc_lo, v8, v8
	s_mov_b32 s0, 0
	s_delay_alu instid0(VALU_DEP_2) | instskip(NEXT) | instid1(VALU_DEP_1)
	v_bfe_u32 v3, v2, 16, 1
	v_add3_u32 v2, v2, v3, 0x7fff
	s_delay_alu instid0(VALU_DEP_1) | instskip(NEXT) | instid1(VALU_DEP_1)
	v_lshrrev_b32_e32 v2, 16, v2
	v_cndmask_b32_e32 v2, 0x7fc0, v2, vcc_lo
	global_store_b16 v[0:1], v2, off
.LBB24_2037:
	s_mov_b32 s3, 0
.LBB24_2038:
	s_delay_alu instid0(SALU_CYCLE_1)
	s_and_b32 vcc_lo, exec_lo, s3
	s_mov_b32 s3, 0
	s_cbranch_vccz .LBB24_2040
; %bb.2039:
	s_cmp_lg_u32 s2, 11
	s_mov_b32 s3, -1
	s_cselect_b32 s0, -1, 0
.LBB24_2040:
	s_delay_alu instid0(SALU_CYCLE_1)
	s_and_b32 vcc_lo, exec_lo, s0
	s_cbranch_vccnz .LBB24_2062
.LBB24_2041:
	s_mov_b32 s0, 0
	s_branch .LBB24_1643
.LBB24_2042:
	s_mov_b32 s0, 0
	s_mov_b32 s3, 0
                                        ; implicit-def: $sgpr14
                                        ; implicit-def: $vgpr0_vgpr1
	s_branch .LBB24_1643
.LBB24_2043:
	s_mov_b32 s3, 0
	s_mov_b32 s0, -1
	s_branch .LBB24_1643
.LBB24_2044:
	s_or_b32 s1, s1, exec_lo
	s_trap 2
	s_cbranch_execz .LBB24_1510
	s_branch .LBB24_1511
.LBB24_2045:
	s_and_not1_saveexec_b32 s9, s9
	s_cbranch_execz .LBB24_1592
.LBB24_2046:
	v_add_f32_e64 v4, 0x46000000, |v1|
	s_and_not1_b32 s7, s7, exec_lo
	s_delay_alu instid0(VALU_DEP_1) | instskip(NEXT) | instid1(VALU_DEP_1)
	v_and_b32_e32 v4, 0xff, v4
	v_cmp_ne_u32_e32 vcc_lo, 0, v4
	s_and_b32 s10, vcc_lo, exec_lo
	s_delay_alu instid0(SALU_CYCLE_1)
	s_or_b32 s7, s7, s10
	s_or_b32 exec_lo, exec_lo, s9
	v_mov_b32_e32 v9, 0
	s_and_saveexec_b32 s9, s7
	s_cbranch_execnz .LBB24_1593
	s_branch .LBB24_1594
.LBB24_2047:
	s_or_b32 s1, s1, exec_lo
	s_trap 2
	s_cbranch_execz .LBB24_1640
	s_branch .LBB24_1641
.LBB24_2048:
	s_and_not1_saveexec_b32 s7, s7
	s_cbranch_execz .LBB24_1605
.LBB24_2049:
	v_add_f32_e64 v4, 0x42800000, |v1|
	s_and_not1_b32 s6, s6, exec_lo
	s_delay_alu instid0(VALU_DEP_1) | instskip(NEXT) | instid1(VALU_DEP_1)
	v_and_b32_e32 v4, 0xff, v4
	v_cmp_ne_u32_e32 vcc_lo, 0, v4
	s_and_b32 s9, vcc_lo, exec_lo
	s_delay_alu instid0(SALU_CYCLE_1)
	s_or_b32 s6, s6, s9
	s_or_b32 exec_lo, exec_lo, s7
	v_mov_b32_e32 v9, 0
	s_and_saveexec_b32 s7, s6
	s_cbranch_execnz .LBB24_1606
	s_branch .LBB24_1607
.LBB24_2050:
	s_and_not1_saveexec_b32 s9, s9
	s_cbranch_execz .LBB24_1756
.LBB24_2051:
	v_add_f32_e64 v4, 0x46000000, |v1|
	s_and_not1_b32 s8, s8, exec_lo
	s_delay_alu instid0(VALU_DEP_1) | instskip(NEXT) | instid1(VALU_DEP_1)
	v_and_b32_e32 v4, 0xff, v4
	v_cmp_ne_u32_e32 vcc_lo, 0, v4
	s_and_b32 s10, vcc_lo, exec_lo
	s_delay_alu instid0(SALU_CYCLE_1)
	s_or_b32 s8, s8, s10
	s_or_b32 exec_lo, exec_lo, s9
	v_mov_b32_e32 v5, 0
	s_and_saveexec_b32 s9, s8
	s_cbranch_execnz .LBB24_1757
	s_branch .LBB24_1758
.LBB24_2052:
	s_or_b32 s1, s1, exec_lo
	s_trap 2
	s_cbranch_execz .LBB24_1804
	s_branch .LBB24_1805
.LBB24_2053:
	s_and_not1_saveexec_b32 s8, s8
	s_cbranch_execz .LBB24_1769
.LBB24_2054:
	v_add_f32_e64 v4, 0x42800000, |v1|
	s_and_not1_b32 s7, s7, exec_lo
	s_delay_alu instid0(VALU_DEP_1) | instskip(NEXT) | instid1(VALU_DEP_1)
	v_and_b32_e32 v4, 0xff, v4
	v_cmp_ne_u32_e32 vcc_lo, 0, v4
	s_and_b32 s9, vcc_lo, exec_lo
	s_delay_alu instid0(SALU_CYCLE_1)
	s_or_b32 s7, s7, s9
	s_or_b32 exec_lo, exec_lo, s8
	v_mov_b32_e32 v5, 0
	s_and_saveexec_b32 s8, s7
	s_cbranch_execnz .LBB24_1770
	s_branch .LBB24_1771
.LBB24_2055:
	s_and_not1_saveexec_b32 s9, s9
	s_cbranch_execz .LBB24_1875
.LBB24_2056:
	v_add_f32_e64 v4, 0x46000000, |v1|
	s_and_not1_b32 s8, s8, exec_lo
	s_delay_alu instid0(VALU_DEP_1) | instskip(NEXT) | instid1(VALU_DEP_1)
	v_and_b32_e32 v4, 0xff, v4
	v_cmp_ne_u32_e32 vcc_lo, 0, v4
	s_and_b32 s10, vcc_lo, exec_lo
	s_delay_alu instid0(SALU_CYCLE_1)
	s_or_b32 s8, s8, s10
	s_or_b32 exec_lo, exec_lo, s9
	v_mov_b32_e32 v5, 0
	s_and_saveexec_b32 s9, s8
	s_cbranch_execnz .LBB24_1876
	s_branch .LBB24_1877
.LBB24_2057:
	s_or_b32 s1, s1, exec_lo
	s_trap 2
	s_cbranch_execz .LBB24_1923
	s_branch .LBB24_1924
.LBB24_2058:
	s_and_not1_saveexec_b32 s8, s8
	s_cbranch_execz .LBB24_1888
.LBB24_2059:
	v_add_f32_e64 v4, 0x42800000, |v1|
	s_and_not1_b32 s7, s7, exec_lo
	s_delay_alu instid0(VALU_DEP_1) | instskip(NEXT) | instid1(VALU_DEP_1)
	v_and_b32_e32 v4, 0xff, v4
	v_cmp_ne_u32_e32 vcc_lo, 0, v4
	s_and_b32 s9, vcc_lo, exec_lo
	s_delay_alu instid0(SALU_CYCLE_1)
	s_or_b32 s7, s7, s9
	s_or_b32 exec_lo, exec_lo, s8
	v_mov_b32_e32 v5, 0
	s_and_saveexec_b32 s8, s7
	s_cbranch_execnz .LBB24_1889
	s_branch .LBB24_1890
.LBB24_2060:
	s_and_not1_saveexec_b32 s6, s6
	s_cbranch_execz .LBB24_1995
.LBB24_2061:
	v_add_f32_e64 v3, 0x46000000, |v2|
	s_and_not1_b32 s5, s5, exec_lo
	s_delay_alu instid0(VALU_DEP_1) | instskip(NEXT) | instid1(VALU_DEP_1)
	v_and_b32_e32 v3, 0xff, v3
	v_cmp_ne_u32_e32 vcc_lo, 0, v3
	s_and_b32 s7, vcc_lo, exec_lo
	s_delay_alu instid0(SALU_CYCLE_1)
	s_or_b32 s5, s5, s7
	s_or_b32 exec_lo, exec_lo, s6
	v_mov_b32_e32 v4, 0
	s_and_saveexec_b32 s6, s5
	s_cbranch_execnz .LBB24_1996
	s_branch .LBB24_1997
.LBB24_2062:
	s_mov_b32 s3, 0
	s_or_b32 s1, s1, exec_lo
	s_trap 2
	s_branch .LBB24_2041
.LBB24_2063:
	s_and_not1_saveexec_b32 s5, s5
	s_cbranch_execz .LBB24_2007
.LBB24_2064:
	v_add_f32_e64 v3, 0x42800000, |v2|
	s_and_not1_b32 s4, s4, exec_lo
	s_delay_alu instid0(VALU_DEP_1) | instskip(NEXT) | instid1(VALU_DEP_1)
	v_and_b32_e32 v3, 0xff, v3
	v_cmp_ne_u32_e32 vcc_lo, 0, v3
	s_and_b32 s6, vcc_lo, exec_lo
	s_delay_alu instid0(SALU_CYCLE_1)
	s_or_b32 s4, s4, s6
	s_or_b32 exec_lo, exec_lo, s5
	v_mov_b32_e32 v4, 0
	s_and_saveexec_b32 s5, s4
	s_cbranch_execnz .LBB24_2008
	s_branch .LBB24_2009
	.section	.rodata,"a",@progbits
	.p2align	6, 0x0
	.amdhsa_kernel _ZN2at6native32elementwise_kernel_manual_unrollILi128ELi4EZNS0_15gpu_kernel_implIZZZNS0_12_GLOBAL__N_115softplus_kernelERNS_18TensorIteratorBaseERKN3c106ScalarES9_ENKUlvE_clEvENKUlvE1_clEvEUlNS6_4HalfEE_EEvS5_RKT_EUlibE_EEviT1_
		.amdhsa_group_segment_fixed_size 0
		.amdhsa_private_segment_fixed_size 0
		.amdhsa_kernarg_size 48
		.amdhsa_user_sgpr_count 2
		.amdhsa_user_sgpr_dispatch_ptr 0
		.amdhsa_user_sgpr_queue_ptr 0
		.amdhsa_user_sgpr_kernarg_segment_ptr 1
		.amdhsa_user_sgpr_dispatch_id 0
		.amdhsa_user_sgpr_kernarg_preload_length 0
		.amdhsa_user_sgpr_kernarg_preload_offset 0
		.amdhsa_user_sgpr_private_segment_size 0
		.amdhsa_wavefront_size32 1
		.amdhsa_uses_dynamic_stack 0
		.amdhsa_enable_private_segment 0
		.amdhsa_system_sgpr_workgroup_id_x 1
		.amdhsa_system_sgpr_workgroup_id_y 0
		.amdhsa_system_sgpr_workgroup_id_z 0
		.amdhsa_system_sgpr_workgroup_info 0
		.amdhsa_system_vgpr_workitem_id 0
		.amdhsa_next_free_vgpr 22
		.amdhsa_next_free_sgpr 28
		.amdhsa_named_barrier_count 0
		.amdhsa_reserve_vcc 1
		.amdhsa_float_round_mode_32 0
		.amdhsa_float_round_mode_16_64 0
		.amdhsa_float_denorm_mode_32 3
		.amdhsa_float_denorm_mode_16_64 3
		.amdhsa_fp16_overflow 0
		.amdhsa_memory_ordered 1
		.amdhsa_forward_progress 1
		.amdhsa_inst_pref_size 255
		.amdhsa_round_robin_scheduling 0
		.amdhsa_exception_fp_ieee_invalid_op 0
		.amdhsa_exception_fp_denorm_src 0
		.amdhsa_exception_fp_ieee_div_zero 0
		.amdhsa_exception_fp_ieee_overflow 0
		.amdhsa_exception_fp_ieee_underflow 0
		.amdhsa_exception_fp_ieee_inexact 0
		.amdhsa_exception_int_div_zero 0
	.end_amdhsa_kernel
	.section	.text._ZN2at6native32elementwise_kernel_manual_unrollILi128ELi4EZNS0_15gpu_kernel_implIZZZNS0_12_GLOBAL__N_115softplus_kernelERNS_18TensorIteratorBaseERKN3c106ScalarES9_ENKUlvE_clEvENKUlvE1_clEvEUlNS6_4HalfEE_EEvS5_RKT_EUlibE_EEviT1_,"axG",@progbits,_ZN2at6native32elementwise_kernel_manual_unrollILi128ELi4EZNS0_15gpu_kernel_implIZZZNS0_12_GLOBAL__N_115softplus_kernelERNS_18TensorIteratorBaseERKN3c106ScalarES9_ENKUlvE_clEvENKUlvE1_clEvEUlNS6_4HalfEE_EEvS5_RKT_EUlibE_EEviT1_,comdat
.Lfunc_end24:
	.size	_ZN2at6native32elementwise_kernel_manual_unrollILi128ELi4EZNS0_15gpu_kernel_implIZZZNS0_12_GLOBAL__N_115softplus_kernelERNS_18TensorIteratorBaseERKN3c106ScalarES9_ENKUlvE_clEvENKUlvE1_clEvEUlNS6_4HalfEE_EEvS5_RKT_EUlibE_EEviT1_, .Lfunc_end24-_ZN2at6native32elementwise_kernel_manual_unrollILi128ELi4EZNS0_15gpu_kernel_implIZZZNS0_12_GLOBAL__N_115softplus_kernelERNS_18TensorIteratorBaseERKN3c106ScalarES9_ENKUlvE_clEvENKUlvE1_clEvEUlNS6_4HalfEE_EEvS5_RKT_EUlibE_EEviT1_
                                        ; -- End function
	.set _ZN2at6native32elementwise_kernel_manual_unrollILi128ELi4EZNS0_15gpu_kernel_implIZZZNS0_12_GLOBAL__N_115softplus_kernelERNS_18TensorIteratorBaseERKN3c106ScalarES9_ENKUlvE_clEvENKUlvE1_clEvEUlNS6_4HalfEE_EEvS5_RKT_EUlibE_EEviT1_.num_vgpr, 22
	.set _ZN2at6native32elementwise_kernel_manual_unrollILi128ELi4EZNS0_15gpu_kernel_implIZZZNS0_12_GLOBAL__N_115softplus_kernelERNS_18TensorIteratorBaseERKN3c106ScalarES9_ENKUlvE_clEvENKUlvE1_clEvEUlNS6_4HalfEE_EEvS5_RKT_EUlibE_EEviT1_.num_agpr, 0
	.set _ZN2at6native32elementwise_kernel_manual_unrollILi128ELi4EZNS0_15gpu_kernel_implIZZZNS0_12_GLOBAL__N_115softplus_kernelERNS_18TensorIteratorBaseERKN3c106ScalarES9_ENKUlvE_clEvENKUlvE1_clEvEUlNS6_4HalfEE_EEvS5_RKT_EUlibE_EEviT1_.numbered_sgpr, 28
	.set _ZN2at6native32elementwise_kernel_manual_unrollILi128ELi4EZNS0_15gpu_kernel_implIZZZNS0_12_GLOBAL__N_115softplus_kernelERNS_18TensorIteratorBaseERKN3c106ScalarES9_ENKUlvE_clEvENKUlvE1_clEvEUlNS6_4HalfEE_EEvS5_RKT_EUlibE_EEviT1_.num_named_barrier, 0
	.set _ZN2at6native32elementwise_kernel_manual_unrollILi128ELi4EZNS0_15gpu_kernel_implIZZZNS0_12_GLOBAL__N_115softplus_kernelERNS_18TensorIteratorBaseERKN3c106ScalarES9_ENKUlvE_clEvENKUlvE1_clEvEUlNS6_4HalfEE_EEvS5_RKT_EUlibE_EEviT1_.private_seg_size, 0
	.set _ZN2at6native32elementwise_kernel_manual_unrollILi128ELi4EZNS0_15gpu_kernel_implIZZZNS0_12_GLOBAL__N_115softplus_kernelERNS_18TensorIteratorBaseERKN3c106ScalarES9_ENKUlvE_clEvENKUlvE1_clEvEUlNS6_4HalfEE_EEvS5_RKT_EUlibE_EEviT1_.uses_vcc, 1
	.set _ZN2at6native32elementwise_kernel_manual_unrollILi128ELi4EZNS0_15gpu_kernel_implIZZZNS0_12_GLOBAL__N_115softplus_kernelERNS_18TensorIteratorBaseERKN3c106ScalarES9_ENKUlvE_clEvENKUlvE1_clEvEUlNS6_4HalfEE_EEvS5_RKT_EUlibE_EEviT1_.uses_flat_scratch, 0
	.set _ZN2at6native32elementwise_kernel_manual_unrollILi128ELi4EZNS0_15gpu_kernel_implIZZZNS0_12_GLOBAL__N_115softplus_kernelERNS_18TensorIteratorBaseERKN3c106ScalarES9_ENKUlvE_clEvENKUlvE1_clEvEUlNS6_4HalfEE_EEvS5_RKT_EUlibE_EEviT1_.has_dyn_sized_stack, 0
	.set _ZN2at6native32elementwise_kernel_manual_unrollILi128ELi4EZNS0_15gpu_kernel_implIZZZNS0_12_GLOBAL__N_115softplus_kernelERNS_18TensorIteratorBaseERKN3c106ScalarES9_ENKUlvE_clEvENKUlvE1_clEvEUlNS6_4HalfEE_EEvS5_RKT_EUlibE_EEviT1_.has_recursion, 0
	.set _ZN2at6native32elementwise_kernel_manual_unrollILi128ELi4EZNS0_15gpu_kernel_implIZZZNS0_12_GLOBAL__N_115softplus_kernelERNS_18TensorIteratorBaseERKN3c106ScalarES9_ENKUlvE_clEvENKUlvE1_clEvEUlNS6_4HalfEE_EEvS5_RKT_EUlibE_EEviT1_.has_indirect_call, 0
	.section	.AMDGPU.csdata,"",@progbits
; Kernel info:
; codeLenInByte = 49764
; TotalNumSgprs: 30
; NumVgprs: 22
; ScratchSize: 0
; MemoryBound: 0
; FloatMode: 240
; IeeeMode: 1
; LDSByteSize: 0 bytes/workgroup (compile time only)
; SGPRBlocks: 0
; VGPRBlocks: 1
; NumSGPRsForWavesPerEU: 30
; NumVGPRsForWavesPerEU: 22
; NamedBarCnt: 0
; Occupancy: 16
; WaveLimiterHint : 0
; COMPUTE_PGM_RSRC2:SCRATCH_EN: 0
; COMPUTE_PGM_RSRC2:USER_SGPR: 2
; COMPUTE_PGM_RSRC2:TRAP_HANDLER: 0
; COMPUTE_PGM_RSRC2:TGID_X_EN: 1
; COMPUTE_PGM_RSRC2:TGID_Y_EN: 0
; COMPUTE_PGM_RSRC2:TGID_Z_EN: 0
; COMPUTE_PGM_RSRC2:TIDIG_COMP_CNT: 0
	.section	.text._ZN2at6native32elementwise_kernel_manual_unrollILi128ELi4EZNS0_15gpu_kernel_implIZZZNS0_12_GLOBAL__N_115softplus_kernelERNS_18TensorIteratorBaseERKN3c106ScalarES9_ENKUlvE_clEvENKUlvE1_clEvEUlNS6_4HalfEE_EEvS5_RKT_EUlibE0_EEviT1_,"axG",@progbits,_ZN2at6native32elementwise_kernel_manual_unrollILi128ELi4EZNS0_15gpu_kernel_implIZZZNS0_12_GLOBAL__N_115softplus_kernelERNS_18TensorIteratorBaseERKN3c106ScalarES9_ENKUlvE_clEvENKUlvE1_clEvEUlNS6_4HalfEE_EEvS5_RKT_EUlibE0_EEviT1_,comdat
	.globl	_ZN2at6native32elementwise_kernel_manual_unrollILi128ELi4EZNS0_15gpu_kernel_implIZZZNS0_12_GLOBAL__N_115softplus_kernelERNS_18TensorIteratorBaseERKN3c106ScalarES9_ENKUlvE_clEvENKUlvE1_clEvEUlNS6_4HalfEE_EEvS5_RKT_EUlibE0_EEviT1_ ; -- Begin function _ZN2at6native32elementwise_kernel_manual_unrollILi128ELi4EZNS0_15gpu_kernel_implIZZZNS0_12_GLOBAL__N_115softplus_kernelERNS_18TensorIteratorBaseERKN3c106ScalarES9_ENKUlvE_clEvENKUlvE1_clEvEUlNS6_4HalfEE_EEvS5_RKT_EUlibE0_EEviT1_
	.p2align	8
	.type	_ZN2at6native32elementwise_kernel_manual_unrollILi128ELi4EZNS0_15gpu_kernel_implIZZZNS0_12_GLOBAL__N_115softplus_kernelERNS_18TensorIteratorBaseERKN3c106ScalarES9_ENKUlvE_clEvENKUlvE1_clEvEUlNS6_4HalfEE_EEvS5_RKT_EUlibE0_EEviT1_,@function
_ZN2at6native32elementwise_kernel_manual_unrollILi128ELi4EZNS0_15gpu_kernel_implIZZZNS0_12_GLOBAL__N_115softplus_kernelERNS_18TensorIteratorBaseERKN3c106ScalarES9_ENKUlvE_clEvENKUlvE1_clEvEUlNS6_4HalfEE_EEvS5_RKT_EUlibE0_EEviT1_: ; @_ZN2at6native32elementwise_kernel_manual_unrollILi128ELi4EZNS0_15gpu_kernel_implIZZZNS0_12_GLOBAL__N_115softplus_kernelERNS_18TensorIteratorBaseERKN3c106ScalarES9_ENKUlvE_clEvENKUlvE1_clEvEUlNS6_4HalfEE_EEvS5_RKT_EUlibE0_EEviT1_
; %bb.0:
	s_clause 0x1
	s_load_b32 s19, s[0:1], 0x8
	s_load_b32 s38, s[0:1], 0x0
	s_bfe_u32 s2, ttmp6, 0x4000c
	s_and_b32 s3, ttmp6, 15
	s_add_co_i32 s2, s2, 1
	s_getreg_b32 s4, hwreg(HW_REG_IB_STS2, 6, 4)
	s_mul_i32 s2, ttmp9, s2
	s_mov_b32 s34, 0
	s_add_co_i32 s3, s3, s2
	s_cmp_eq_u32 s4, 0
	s_mov_b32 s27, -1
	s_cselect_b32 s2, ttmp9, s3
	s_mov_b32 s8, 0
	v_lshl_or_b32 v0, s2, 9, v0
	s_add_nc_u64 s[2:3], s[0:1], 8
	s_wait_xcnt 0x0
	s_mov_b32 s0, exec_lo
	s_delay_alu instid0(VALU_DEP_1) | instskip(SKIP_2) | instid1(SALU_CYCLE_1)
	v_or_b32_e32 v9, 0x180, v0
	s_wait_kmcnt 0x0
	s_add_co_i32 s33, s19, -1
	s_cmp_gt_u32 s33, 1
	s_cselect_b32 s35, -1, 0
	v_cmpx_le_i32_e64 s38, v9
	s_xor_b32 s36, exec_lo, s0
	s_cbranch_execz .LBB25_1104
; %bb.1:
	s_clause 0x4
	s_load_b128 s[8:11], s[2:3], 0x4
	s_load_b64 s[0:1], s[2:3], 0x14
	s_load_b96 s[16:18], s[2:3], 0x158
	s_load_b128 s[12:15], s[2:3], 0xc4
	s_load_b128 s[4:7], s[2:3], 0x148
	s_cmp_lg_u32 s19, 0
	s_mov_b32 s21, 0
	s_cselect_b32 s40, -1, 0
	s_min_u32 s39, s33, 15
	s_cmp_gt_u32 s19, 1
	s_add_nc_u64 s[24:25], s[2:3], 0xc4
	s_mov_b32 s23, s21
	s_mov_b32 s42, s21
	s_cselect_b32 s37, -1, 0
	s_mov_b32 s41, s21
	s_mov_b32 s43, exec_lo
	s_wait_kmcnt 0x0
	s_mov_b32 s20, s9
	s_mov_b32 s22, s0
	s_bfe_u32 s9, s18, 0x80008
	v_cmpx_gt_i32_e64 s38, v0
	s_cbranch_execz .LBB25_269
; %bb.2:
	s_and_not1_b32 vcc_lo, exec_lo, s35
	s_cbranch_vccnz .LBB25_8
; %bb.3:
	s_and_not1_b32 vcc_lo, exec_lo, s40
	s_cbranch_vccnz .LBB25_9
; %bb.4:
	s_add_co_i32 s0, s39, 1
	s_cmp_eq_u32 s33, 2
	s_cbranch_scc1 .LBB25_10
; %bb.5:
	v_dual_mov_b32 v2, 0 :: v_dual_mov_b32 v4, 0
	v_mov_b32_e32 v1, v0
	s_and_b32 s26, s0, 28
	s_mov_b32 s27, 0
	s_mov_b64 s[28:29], s[2:3]
	s_mov_b64 s[30:31], s[24:25]
.LBB25_6:                               ; =>This Inner Loop Header: Depth=1
	s_clause 0x1
	s_load_b256 s[44:51], s[28:29], 0x4
	s_load_b128 s[60:63], s[28:29], 0x24
	s_load_b256 s[52:59], s[30:31], 0x0
	s_add_co_i32 s27, s27, 4
	s_wait_xcnt 0x0
	s_add_nc_u64 s[28:29], s[28:29], 48
	s_cmp_lg_u32 s26, s27
	s_add_nc_u64 s[30:31], s[30:31], 32
	s_wait_kmcnt 0x0
	v_mul_hi_u32 v3, s45, v1
	s_delay_alu instid0(VALU_DEP_1) | instskip(NEXT) | instid1(VALU_DEP_1)
	v_add_nc_u32_e32 v3, v1, v3
	v_lshrrev_b32_e32 v3, s46, v3
	s_delay_alu instid0(VALU_DEP_1) | instskip(NEXT) | instid1(VALU_DEP_1)
	v_mul_hi_u32 v5, s48, v3
	v_add_nc_u32_e32 v5, v3, v5
	s_delay_alu instid0(VALU_DEP_1) | instskip(NEXT) | instid1(VALU_DEP_1)
	v_lshrrev_b32_e32 v5, s49, v5
	v_mul_hi_u32 v6, s51, v5
	s_delay_alu instid0(VALU_DEP_1) | instskip(SKIP_1) | instid1(VALU_DEP_1)
	v_add_nc_u32_e32 v6, v5, v6
	v_mul_lo_u32 v7, v3, s44
	v_sub_nc_u32_e32 v1, v1, v7
	v_mul_lo_u32 v7, v5, s47
	s_delay_alu instid0(VALU_DEP_4) | instskip(NEXT) | instid1(VALU_DEP_3)
	v_lshrrev_b32_e32 v6, s60, v6
	v_mad_u32 v4, v1, s53, v4
	v_mad_u32 v1, v1, s52, v2
	s_delay_alu instid0(VALU_DEP_4) | instskip(NEXT) | instid1(VALU_DEP_4)
	v_sub_nc_u32_e32 v2, v3, v7
	v_mul_hi_u32 v8, s62, v6
	v_mul_lo_u32 v3, v6, s50
	s_delay_alu instid0(VALU_DEP_3) | instskip(SKIP_1) | instid1(VALU_DEP_3)
	v_mad_u32 v4, v2, s55, v4
	v_mad_u32 v2, v2, s54, v1
	v_dual_add_nc_u32 v7, v6, v8 :: v_dual_sub_nc_u32 v3, v5, v3
	s_delay_alu instid0(VALU_DEP_1) | instskip(NEXT) | instid1(VALU_DEP_2)
	v_lshrrev_b32_e32 v1, s63, v7
	v_mad_u32 v4, v3, s57, v4
	s_delay_alu instid0(VALU_DEP_4) | instskip(NEXT) | instid1(VALU_DEP_3)
	v_mad_u32 v2, v3, s56, v2
	v_mul_lo_u32 v5, v1, s61
	s_delay_alu instid0(VALU_DEP_1) | instskip(NEXT) | instid1(VALU_DEP_1)
	v_sub_nc_u32_e32 v3, v6, v5
	v_mad_u32 v4, v3, s59, v4
	s_delay_alu instid0(VALU_DEP_4)
	v_mad_u32 v2, v3, s58, v2
	s_cbranch_scc1 .LBB25_6
; %bb.7:
	s_delay_alu instid0(VALU_DEP_2)
	v_mov_b32_e32 v3, v4
	s_and_b32 s0, s0, 3
	s_mov_b32 s27, 0
	s_cmp_eq_u32 s0, 0
	s_cbranch_scc0 .LBB25_11
	s_branch .LBB25_14
.LBB25_8:
                                        ; implicit-def: $vgpr4
                                        ; implicit-def: $vgpr2
	s_branch .LBB25_15
.LBB25_9:
	v_dual_mov_b32 v4, 0 :: v_dual_mov_b32 v2, 0
	s_branch .LBB25_14
.LBB25_10:
	v_mov_b64_e32 v[2:3], 0
	v_mov_b32_e32 v1, v0
	s_mov_b32 s26, 0
                                        ; implicit-def: $vgpr4
	s_and_b32 s0, s0, 3
	s_mov_b32 s27, 0
	s_cmp_eq_u32 s0, 0
	s_cbranch_scc1 .LBB25_14
.LBB25_11:
	s_lshl_b32 s28, s26, 3
	s_mov_b32 s29, s27
	s_mul_u64 s[30:31], s[26:27], 12
	s_add_nc_u64 s[28:29], s[2:3], s[28:29]
	s_delay_alu instid0(SALU_CYCLE_1)
	s_add_nc_u64 s[26:27], s[28:29], 0xc4
	s_add_nc_u64 s[28:29], s[2:3], s[30:31]
.LBB25_12:                              ; =>This Inner Loop Header: Depth=1
	s_load_b96 s[44:46], s[28:29], 0x4
	s_load_b64 s[30:31], s[26:27], 0x0
	s_add_co_i32 s0, s0, -1
	s_wait_xcnt 0x0
	s_add_nc_u64 s[28:29], s[28:29], 12
	s_cmp_lg_u32 s0, 0
	s_add_nc_u64 s[26:27], s[26:27], 8
	s_wait_kmcnt 0x0
	v_mul_hi_u32 v4, s45, v1
	s_delay_alu instid0(VALU_DEP_1) | instskip(NEXT) | instid1(VALU_DEP_1)
	v_add_nc_u32_e32 v4, v1, v4
	v_lshrrev_b32_e32 v4, s46, v4
	s_delay_alu instid0(VALU_DEP_1) | instskip(NEXT) | instid1(VALU_DEP_1)
	v_mul_lo_u32 v5, v4, s44
	v_sub_nc_u32_e32 v1, v1, v5
	s_delay_alu instid0(VALU_DEP_1)
	v_mad_u32 v3, v1, s31, v3
	v_mad_u32 v2, v1, s30, v2
	v_mov_b32_e32 v1, v4
	s_cbranch_scc1 .LBB25_12
; %bb.13:
	s_delay_alu instid0(VALU_DEP_3)
	v_mov_b32_e32 v4, v3
.LBB25_14:
	s_cbranch_execnz .LBB25_17
.LBB25_15:
	v_mov_b32_e32 v1, 0
	s_and_not1_b32 vcc_lo, exec_lo, s37
	s_delay_alu instid0(VALU_DEP_1) | instskip(NEXT) | instid1(VALU_DEP_1)
	v_mul_u64_e32 v[2:3], s[20:21], v[0:1]
	v_add_nc_u32_e32 v2, v0, v3
	s_delay_alu instid0(VALU_DEP_1) | instskip(NEXT) | instid1(VALU_DEP_1)
	v_lshrrev_b32_e32 v6, s10, v2
	v_mul_lo_u32 v2, v6, s8
	s_delay_alu instid0(VALU_DEP_1) | instskip(NEXT) | instid1(VALU_DEP_1)
	v_sub_nc_u32_e32 v2, v0, v2
	v_mul_lo_u32 v4, v2, s13
	v_mul_lo_u32 v2, v2, s12
	s_cbranch_vccnz .LBB25_17
; %bb.16:
	v_mov_b32_e32 v7, v1
	s_delay_alu instid0(VALU_DEP_1) | instskip(NEXT) | instid1(VALU_DEP_1)
	v_mul_u64_e32 v[8:9], s[22:23], v[6:7]
	v_add_nc_u32_e32 v1, v6, v9
	s_delay_alu instid0(VALU_DEP_1) | instskip(NEXT) | instid1(VALU_DEP_1)
	v_lshrrev_b32_e32 v1, s1, v1
	v_mul_lo_u32 v1, v1, s11
	s_delay_alu instid0(VALU_DEP_1) | instskip(NEXT) | instid1(VALU_DEP_1)
	v_sub_nc_u32_e32 v1, v6, v1
	v_mad_u32 v2, v1, s14, v2
	v_mad_u32 v4, v1, s15, v4
.LBB25_17:
	v_mov_b32_e32 v5, 0
	s_and_b32 s0, 0xffff, s9
	s_delay_alu instid0(SALU_CYCLE_1) | instskip(NEXT) | instid1(VALU_DEP_1)
	s_cmp_lt_i32 s0, 11
	v_add_nc_u64_e32 v[4:5], s[6:7], v[4:5]
	s_cbranch_scc1 .LBB25_24
; %bb.18:
	s_cmp_gt_i32 s0, 25
	s_cbranch_scc0 .LBB25_35
; %bb.19:
	s_cmp_gt_i32 s0, 28
	s_cbranch_scc0 .LBB25_38
	;; [unrolled: 3-line block ×4, first 2 shown]
; %bb.22:
	s_cmp_eq_u32 s0, 46
	s_mov_b32 s28, 0
	s_cbranch_scc0 .LBB25_44
; %bb.23:
	global_load_b32 v1, v[4:5], off
	s_mov_b32 s27, -1
	s_mov_b32 s26, 0
	s_wait_loadcnt 0x0
	v_lshlrev_b32_e32 v1, 16, v1
	s_delay_alu instid0(VALU_DEP_1)
	v_cvt_f16_f32_e32 v1, v1
	s_branch .LBB25_46
.LBB25_24:
	s_mov_b32 s26, 0
	s_mov_b32 s27, 0
                                        ; implicit-def: $vgpr1
	s_cbranch_execnz .LBB25_219
.LBB25_25:
	s_and_not1_b32 vcc_lo, exec_lo, s27
	s_cbranch_vccnz .LBB25_266
.LBB25_26:
	s_wait_loadcnt 0x0
	s_delay_alu instid0(VALU_DEP_1) | instskip(SKIP_1) | instid1(VALU_DEP_1)
	v_cvt_f32_f16_e32 v3, v1
	s_mov_b32 s0, exec_lo
	v_mul_f32_e32 v3, s16, v3
	s_delay_alu instid0(VALU_DEP_1)
	v_cmpx_nlt_f32_e32 s17, v3
	s_cbranch_execz .LBB25_28
; %bb.27:
	v_mul_f32_e32 v1, 0x3fb8aa3b, v3
	v_cmp_ngt_f32_e32 vcc_lo, 0xc2ce8ed0, v3
	s_mov_b32 s27, 0x3e9b6dac
	s_delay_alu instid0(VALU_DEP_2) | instskip(SKIP_1) | instid1(VALU_DEP_2)
	v_rndne_f32_e32 v4, v1
	v_fma_f32 v5, 0x3fb8aa3b, v3, -v1
	v_sub_f32_e32 v1, v1, v4
	s_delay_alu instid0(VALU_DEP_2) | instskip(SKIP_1) | instid1(VALU_DEP_2)
	v_fmamk_f32 v5, v3, 0x32a5705f, v5
	v_cvt_i32_f32_e32 v4, v4
	v_add_f32_e32 v1, v1, v5
	s_delay_alu instid0(VALU_DEP_1) | instskip(SKIP_1) | instid1(TRANS32_DEP_1)
	v_exp_f32_e32 v1, v1
	v_nop
	v_ldexp_f32 v1, v1, v4
	s_delay_alu instid0(VALU_DEP_1) | instskip(SKIP_1) | instid1(VALU_DEP_2)
	v_cndmask_b32_e32 v1, 0, v1, vcc_lo
	v_cmp_nlt_f32_e32 vcc_lo, 0x42b17218, v3
	v_cndmask_b32_e32 v3, 0x7f800000, v1, vcc_lo
	s_delay_alu instid0(VALU_DEP_1) | instskip(NEXT) | instid1(VALU_DEP_1)
	v_add_f32_e32 v1, 1.0, v3
	v_cvt_f64_f32_e32 v[4:5], v1
	s_delay_alu instid0(VALU_DEP_1) | instskip(SKIP_1) | instid1(VALU_DEP_1)
	v_frexp_exp_i32_f64_e32 v4, v[4:5]
	v_frexp_mant_f32_e32 v5, v1
	v_cmp_gt_f32_e32 vcc_lo, 0x3f2aaaab, v5
	s_delay_alu instid0(VALU_DEP_3) | instskip(NEXT) | instid1(VALU_DEP_1)
	v_subrev_co_ci_u32_e64 v10, null, 0, v4, vcc_lo
	v_dual_add_f32 v4, -1.0, v1 :: v_dual_sub_nc_u32 v5, 0, v10
	s_delay_alu instid0(VALU_DEP_1) | instskip(SKIP_1) | instid1(VALU_DEP_3)
	v_dual_sub_f32 v6, v4, v1 :: v_dual_sub_f32 v4, v3, v4
	v_cmp_neq_f32_e32 vcc_lo, 0x7f800000, v3
	v_ldexp_f32 v1, v1, v5
	s_delay_alu instid0(VALU_DEP_1) | instskip(NEXT) | instid1(VALU_DEP_1)
	v_dual_add_f32 v6, 1.0, v6 :: v_dual_add_f32 v7, 1.0, v1
	v_dual_add_f32 v9, -1.0, v1 :: v_dual_add_f32 v4, v4, v6
	s_delay_alu instid0(VALU_DEP_1) | instskip(NEXT) | instid1(VALU_DEP_3)
	v_ldexp_f32 v4, v4, v5
	v_add_f32_e32 v6, -1.0, v7
	s_delay_alu instid0(VALU_DEP_1) | instskip(NEXT) | instid1(VALU_DEP_1)
	v_dual_sub_f32 v5, v1, v6 :: v_dual_add_f32 v6, 1.0, v9
	v_dual_sub_f32 v1, v1, v6 :: v_dual_add_f32 v8, v4, v5
	s_delay_alu instid0(VALU_DEP_1) | instskip(NEXT) | instid1(VALU_DEP_1)
	v_dual_add_f32 v1, v4, v1 :: v_dual_add_f32 v11, v7, v8
	v_dual_add_f32 v5, v9, v1 :: v_dual_sub_f32 v4, v7, v11
	v_rcp_f32_e32 v12, v11
	s_delay_alu instid0(VALU_DEP_1) | instskip(NEXT) | instid1(TRANS32_DEP_1)
	v_dual_sub_f32 v15, v9, v5 :: v_dual_add_f32 v14, v8, v4
	v_mul_f32_e32 v13, v5, v12
	s_delay_alu instid0(VALU_DEP_1) | instskip(NEXT) | instid1(VALU_DEP_1)
	v_dual_add_f32 v1, v1, v15 :: v_dual_mul_f32 v6, v11, v13
	v_fma_f32 v8, v13, v11, -v6
	s_delay_alu instid0(VALU_DEP_1) | instskip(NEXT) | instid1(VALU_DEP_1)
	v_fmac_f32_e32 v8, v13, v14
	v_add_f32_e32 v4, v6, v8
	s_delay_alu instid0(VALU_DEP_1) | instskip(NEXT) | instid1(VALU_DEP_1)
	v_dual_sub_f32 v7, v5, v4 :: v_dual_mov_b32 v9, v4
	v_pk_add_f32 v[4:5], v[4:5], v[6:7] neg_lo:[0,1] neg_hi:[0,1]
	s_delay_alu instid0(VALU_DEP_1) | instskip(NEXT) | instid1(VALU_DEP_1)
	v_pk_add_f32 v[4:5], v[4:5], v[8:9] neg_lo:[0,1] neg_hi:[0,1]
	v_add_f32_e32 v1, v1, v5
	s_delay_alu instid0(VALU_DEP_1) | instskip(NEXT) | instid1(VALU_DEP_1)
	v_add_f32_e32 v1, v4, v1
	v_add_f32_e32 v5, v7, v1
	s_delay_alu instid0(VALU_DEP_1) | instskip(NEXT) | instid1(VALU_DEP_1)
	v_mul_f32_e32 v15, v12, v5
	v_mul_f32_e32 v8, v11, v15
	s_delay_alu instid0(VALU_DEP_1) | instskip(SKIP_1) | instid1(VALU_DEP_1)
	v_fma_f32 v6, v15, v11, -v8
	v_sub_f32_e32 v11, v7, v5
	v_dual_fmac_f32 v6, v15, v14 :: v_dual_add_f32 v1, v1, v11
	s_delay_alu instid0(VALU_DEP_1) | instskip(NEXT) | instid1(VALU_DEP_1)
	v_add_f32_e32 v4, v8, v6
	v_dual_sub_f32 v9, v5, v4 :: v_dual_mov_b32 v7, v4
	s_delay_alu instid0(VALU_DEP_1) | instskip(NEXT) | instid1(VALU_DEP_1)
	v_pk_add_f32 v[4:5], v[4:5], v[8:9] neg_lo:[0,1] neg_hi:[0,1]
	v_pk_add_f32 v[4:5], v[4:5], v[6:7] neg_lo:[0,1] neg_hi:[0,1]
	v_cvt_f32_i32_e32 v6, v10
	s_delay_alu instid0(VALU_DEP_2) | instskip(NEXT) | instid1(VALU_DEP_1)
	v_add_f32_e32 v1, v1, v5
	v_dual_add_f32 v8, v13, v15 :: v_dual_add_f32 v1, v4, v1
	s_delay_alu instid0(VALU_DEP_1) | instskip(NEXT) | instid1(VALU_DEP_1)
	v_sub_f32_e32 v4, v8, v13
	v_dual_add_f32 v1, v9, v1 :: v_dual_sub_f32 v4, v15, v4
	s_delay_alu instid0(VALU_DEP_1) | instskip(NEXT) | instid1(VALU_DEP_1)
	v_mul_f32_e32 v1, v12, v1
	v_dual_add_f32 v1, v4, v1 :: v_dual_mov_b32 v4, 0x3f317218
	s_delay_alu instid0(VALU_DEP_1) | instskip(NEXT) | instid1(VALU_DEP_1)
	v_add_f32_e32 v9, v8, v1
	v_mul_f32_e32 v5, v9, v9
	s_delay_alu instid0(VALU_DEP_1) | instskip(SKIP_1) | instid1(VALU_DEP_2)
	v_fmaak_f32 v11, s27, v5, 0x3ecc95a3
	v_mul_f32_e32 v7, v9, v5
	v_fmaak_f32 v5, v5, v11, 0x3f2aaada
	s_delay_alu instid0(VALU_DEP_1) | instskip(NEXT) | instid1(VALU_DEP_1)
	v_pk_mul_f32 v[4:5], v[6:7], v[4:5]
	v_fma_f32 v10, 0x3f317218, v6, -v4
	s_delay_alu instid0(VALU_DEP_1) | instskip(SKIP_1) | instid1(VALU_DEP_1)
	v_fmamk_f32 v6, v6, 0xb102e308, v10
	v_sub_f32_e32 v10, v9, v8
	v_sub_f32_e32 v1, v1, v10
	v_ldexp_f32 v7, v9, 1
	v_mov_b32_e32 v10, v4
	s_delay_alu instid0(VALU_DEP_3) | instskip(NEXT) | instid1(VALU_DEP_3)
	v_ldexp_f32 v1, v1, 1
	v_pk_add_f32 v[8:9], v[4:5], v[6:7]
	s_delay_alu instid0(VALU_DEP_1) | instskip(NEXT) | instid1(VALU_DEP_1)
	v_dual_sub_f32 v7, v9, v7 :: v_dual_mov_b32 v18, v9
	v_sub_f32_e32 v7, v5, v7
	s_delay_alu instid0(VALU_DEP_3) | instskip(NEXT) | instid1(VALU_DEP_2)
	v_pk_add_f32 v[4:5], v[8:9], v[4:5] neg_lo:[0,1] neg_hi:[0,1]
	v_dual_add_f32 v11, v1, v7 :: v_dual_mov_b32 v7, v8
	s_delay_alu instid0(VALU_DEP_1) | instskip(NEXT) | instid1(VALU_DEP_1)
	v_pk_add_f32 v[12:13], v[8:9], v[10:11]
	v_mov_b32_e32 v5, v13
	s_delay_alu instid0(VALU_DEP_1) | instskip(SKIP_2) | instid1(VALU_DEP_3)
	v_pk_add_f32 v[14:15], v[6:7], v[4:5]
	v_mov_b32_e32 v14, v13
	v_pk_add_f32 v[4:5], v[6:7], v[4:5] neg_lo:[0,1] neg_hi:[0,1]
	v_dual_mov_b32 v10, v15 :: v_dual_mov_b32 v5, v15
	s_delay_alu instid0(VALU_DEP_1) | instskip(SKIP_1) | instid1(VALU_DEP_2)
	v_pk_add_f32 v[16:17], v[10:11], v[8:9] neg_lo:[0,1] neg_hi:[0,1]
	v_dual_mov_b32 v9, v8 :: v_dual_mov_b32 v8, v11
	v_dual_mov_b32 v1, v16 :: v_dual_mov_b32 v19, v16
	s_delay_alu instid0(VALU_DEP_1) | instskip(NEXT) | instid1(VALU_DEP_2)
	v_pk_add_f32 v[12:13], v[12:13], v[0:1] neg_lo:[0,1] neg_hi:[0,1]
	v_pk_add_f32 v[6:7], v[14:15], v[18:19] neg_lo:[0,1] neg_hi:[0,1]
	v_mov_b32_e32 v12, v4
	s_delay_alu instid0(VALU_DEP_2) | instskip(NEXT) | instid1(VALU_DEP_1)
	v_pk_add_f32 v[6:7], v[8:9], v[6:7] neg_lo:[0,1] neg_hi:[0,1]
	v_pk_add_f32 v[8:9], v[12:13], v[6:7]
	s_delay_alu instid0(VALU_DEP_1) | instskip(NEXT) | instid1(VALU_DEP_1)
	v_mov_b32_e32 v12, v9
	v_pk_add_f32 v[12:13], v[8:9], v[12:13]
	s_delay_alu instid0(VALU_DEP_1) | instskip(NEXT) | instid1(VALU_DEP_1)
	v_pk_add_f32 v[10:11], v[10:11], v[12:13]
	v_mov_b32_e32 v9, v10
	s_delay_alu instid0(VALU_DEP_1) | instskip(NEXT) | instid1(VALU_DEP_1)
	v_pk_add_f32 v[14:15], v[8:9], v[4:5] neg_lo:[0,1] neg_hi:[0,1]
	v_sub_f32_e32 v1, v8, v14
	s_delay_alu instid0(VALU_DEP_1) | instskip(SKIP_1) | instid1(VALU_DEP_1)
	v_sub_f32_e32 v1, v4, v1
	v_mov_b32_e32 v7, v12
	v_pk_add_f32 v[6:7], v[6:7], v[14:15] neg_lo:[0,1] neg_hi:[0,1]
	s_delay_alu instid0(VALU_DEP_1) | instskip(NEXT) | instid1(VALU_DEP_1)
	v_add_f32_e32 v1, v6, v1
	v_add_f32_e32 v1, v1, v7
	s_delay_alu instid0(VALU_DEP_1) | instskip(NEXT) | instid1(VALU_DEP_1)
	v_add_f32_e32 v1, v10, v1
	v_cndmask_b32_e32 v1, 0x7f800000, v1, vcc_lo
	v_cmp_gt_f32_e64 vcc_lo, 0x33800000, |v3|
	s_delay_alu instid0(VALU_DEP_2) | instskip(NEXT) | instid1(VALU_DEP_1)
	v_cndmask_b32_e32 v1, v1, v3, vcc_lo
	v_div_scale_f32 v3, null, s16, s16, v1
	s_delay_alu instid0(VALU_DEP_1) | instskip(SKIP_1) | instid1(TRANS32_DEP_1)
	v_rcp_f32_e32 v4, v3
	v_nop
	v_fma_f32 v5, -v3, v4, 1.0
	s_delay_alu instid0(VALU_DEP_1) | instskip(SKIP_1) | instid1(VALU_DEP_1)
	v_fmac_f32_e32 v4, v5, v4
	v_div_scale_f32 v5, vcc_lo, v1, s16, v1
	v_mul_f32_e32 v6, v5, v4
	s_delay_alu instid0(VALU_DEP_1) | instskip(NEXT) | instid1(VALU_DEP_1)
	v_fma_f32 v7, -v3, v6, v5
	v_fmac_f32_e32 v6, v7, v4
	s_delay_alu instid0(VALU_DEP_1) | instskip(NEXT) | instid1(VALU_DEP_1)
	v_fma_f32 v3, -v3, v6, v5
	v_div_fmas_f32 v3, v3, v4, v6
	s_delay_alu instid0(VALU_DEP_1) | instskip(NEXT) | instid1(VALU_DEP_1)
	v_div_fixup_f32 v1, v3, s16, v1
	v_cvt_f16_f32_e32 v1, v1
.LBB25_28:
	s_or_b32 exec_lo, exec_lo, s0
	v_mov_b32_e32 v3, 0
	s_and_b32 s27, s18, 0xff
	s_delay_alu instid0(SALU_CYCLE_1) | instskip(NEXT) | instid1(VALU_DEP_1)
	s_cmp_lt_i32 s27, 11
	v_add_nc_u64_e32 v[2:3], s[4:5], v[2:3]
	s_cbranch_scc1 .LBB25_36
; %bb.29:
	s_and_b32 s28, 0xffff, s27
	s_delay_alu instid0(SALU_CYCLE_1)
	s_cmp_gt_i32 s28, 25
	s_cbranch_scc0 .LBB25_39
; %bb.30:
	s_cmp_gt_i32 s28, 28
	s_cbranch_scc0 .LBB25_41
; %bb.31:
	;; [unrolled: 3-line block ×4, first 2 shown]
	s_mov_b32 s30, 0
	s_mov_b32 s0, -1
	s_cmp_eq_u32 s28, 46
	s_mov_b32 s29, 0
	s_cbranch_scc0 .LBB25_50
; %bb.34:
	v_cvt_f32_f16_e32 v4, v1
	v_cmp_o_f16_e32 vcc_lo, v1, v1
	s_mov_b32 s29, -1
	s_mov_b32 s0, 0
	s_delay_alu instid0(VALU_DEP_2) | instskip(NEXT) | instid1(VALU_DEP_1)
	v_bfe_u32 v5, v4, 16, 1
	v_add3_u32 v4, v4, v5, 0x7fff
	s_delay_alu instid0(VALU_DEP_1) | instskip(NEXT) | instid1(VALU_DEP_1)
	v_lshrrev_b32_e32 v4, 16, v4
	v_cndmask_b32_e32 v4, 0x7fc0, v4, vcc_lo
	global_store_b32 v[2:3], v4, off
	s_branch .LBB25_50
.LBB25_35:
	s_mov_b32 s26, 0
	s_mov_b32 s27, 0
                                        ; implicit-def: $vgpr1
	s_cbranch_execnz .LBB25_184
	s_branch .LBB25_218
.LBB25_36:
	s_mov_b32 s0, 0
	s_mov_b32 s29, 0
	s_cbranch_execnz .LBB25_119
.LBB25_37:
	s_and_not1_b32 vcc_lo, exec_lo, s29
	s_cbranch_vccz .LBB25_157
	s_branch .LBB25_267
.LBB25_38:
	s_mov_b32 s28, -1
	s_mov_b32 s26, 0
	s_mov_b32 s27, 0
                                        ; implicit-def: $vgpr1
	s_branch .LBB25_165
.LBB25_39:
	s_mov_b32 s30, -1
	s_mov_b32 s0, 0
	s_mov_b32 s29, 0
	s_branch .LBB25_77
.LBB25_40:
	s_mov_b32 s28, -1
	s_mov_b32 s26, 0
	s_mov_b32 s27, 0
                                        ; implicit-def: $vgpr1
	s_branch .LBB25_160
.LBB25_41:
	s_mov_b32 s30, -1
	s_mov_b32 s0, 0
	s_mov_b32 s29, 0
	s_branch .LBB25_60
.LBB25_42:
	s_mov_b32 s28, -1
	s_mov_b32 s26, 0
	s_branch .LBB25_45
.LBB25_43:
	s_mov_b32 s30, -1
	s_mov_b32 s0, 0
	s_mov_b32 s29, 0
	s_branch .LBB25_56
.LBB25_44:
	s_mov_b32 s26, -1
.LBB25_45:
	s_mov_b32 s27, 0
                                        ; implicit-def: $vgpr1
.LBB25_46:
	s_and_b32 vcc_lo, exec_lo, s28
	s_cbranch_vccz .LBB25_159
; %bb.47:
	s_cmp_eq_u32 s0, 44
	s_cbranch_scc0 .LBB25_158
; %bb.48:
	global_load_u8 v1, v[4:5], off
	s_mov_b32 s26, 0
	s_mov_b32 s27, -1
	s_wait_loadcnt 0x0
	v_lshlrev_b32_e32 v3, 23, v1
	v_cmp_ne_u32_e32 vcc_lo, 0xff, v1
	s_delay_alu instid0(VALU_DEP_2) | instskip(NEXT) | instid1(VALU_DEP_1)
	v_cvt_f16_f32_e32 v3, v3
	v_cndmask_b32_e32 v3, 0x7e00, v3, vcc_lo
	v_cmp_ne_u32_e32 vcc_lo, 0, v1
	s_delay_alu instid0(VALU_DEP_2)
	v_cndmask_b32_e32 v1, 0, v3, vcc_lo
	s_branch .LBB25_159
.LBB25_49:
	s_mov_b32 s30, -1
	s_mov_b32 s0, 0
	s_mov_b32 s29, 0
.LBB25_50:
	s_and_b32 vcc_lo, exec_lo, s30
	s_cbranch_vccz .LBB25_55
; %bb.51:
	s_cmp_eq_u32 s28, 44
	s_mov_b32 s0, -1
	s_cbranch_scc0 .LBB25_55
; %bb.52:
	s_wait_xcnt 0x0
	v_cvt_f32_f16_e32 v4, v1
	v_mov_b32_e32 v5, 0xff
	s_mov_b32 s29, exec_lo
	s_delay_alu instid0(VALU_DEP_2) | instskip(NEXT) | instid1(VALU_DEP_1)
	v_bfe_u32 v6, v4, 23, 8
	v_cmpx_ne_u32_e32 0xff, v6
	s_cbranch_execz .LBB25_54
; %bb.53:
	v_and_b32_e32 v5, 0x400000, v4
	v_and_or_b32 v6, 0x3fffff, v4, v6
	v_lshrrev_b32_e32 v4, 23, v4
	s_delay_alu instid0(VALU_DEP_3) | instskip(NEXT) | instid1(VALU_DEP_3)
	v_cmp_ne_u32_e32 vcc_lo, 0, v5
	v_cmp_ne_u32_e64 s0, 0, v6
	s_and_b32 s0, vcc_lo, s0
	s_delay_alu instid0(SALU_CYCLE_1) | instskip(NEXT) | instid1(VALU_DEP_1)
	v_cndmask_b32_e64 v5, 0, 1, s0
	v_add_nc_u32_e32 v5, v4, v5
.LBB25_54:
	s_or_b32 exec_lo, exec_lo, s29
	s_mov_b32 s29, -1
	s_mov_b32 s0, 0
	global_store_b8 v[2:3], v5, off
.LBB25_55:
	s_mov_b32 s30, 0
.LBB25_56:
	s_delay_alu instid0(SALU_CYCLE_1)
	s_and_b32 vcc_lo, exec_lo, s30
	s_cbranch_vccz .LBB25_59
; %bb.57:
	s_cmp_eq_u32 s28, 29
	s_mov_b32 s0, -1
	s_cbranch_scc0 .LBB25_59
; %bb.58:
	s_wait_xcnt 0x0
	v_cvt_f32_f16_e32 v4, v1
	v_mov_b32_e32 v5, 0
	s_mov_b32 s29, -1
	s_mov_b32 s0, 0
	s_mov_b32 s30, 0
	v_cvt_u32_f32_e32 v4, v4
	global_store_b64 v[2:3], v[4:5], off
	s_branch .LBB25_60
.LBB25_59:
	s_mov_b32 s30, 0
.LBB25_60:
	s_delay_alu instid0(SALU_CYCLE_1)
	s_and_b32 vcc_lo, exec_lo, s30
	s_cbranch_vccz .LBB25_76
; %bb.61:
	s_cmp_lt_i32 s28, 27
	s_mov_b32 s29, -1
	s_cbranch_scc1 .LBB25_67
; %bb.62:
	s_cmp_gt_i32 s28, 27
	s_cbranch_scc0 .LBB25_64
; %bb.63:
	s_wait_xcnt 0x0
	v_cvt_f32_f16_e32 v4, v1
	s_mov_b32 s29, 0
	s_delay_alu instid0(VALU_DEP_1)
	v_cvt_u32_f32_e32 v4, v4
	global_store_b32 v[2:3], v4, off
.LBB25_64:
	s_and_not1_b32 vcc_lo, exec_lo, s29
	s_cbranch_vccnz .LBB25_66
; %bb.65:
	s_wait_xcnt 0x0
	v_cvt_u16_f16_e32 v4, v1
	global_store_b16 v[2:3], v4, off
.LBB25_66:
	s_mov_b32 s29, 0
.LBB25_67:
	s_delay_alu instid0(SALU_CYCLE_1)
	s_and_not1_b32 vcc_lo, exec_lo, s29
	s_cbranch_vccnz .LBB25_75
; %bb.68:
	s_wait_xcnt 0x0
	v_cvt_f32_f16_e32 v4, v1
	v_mov_b32_e32 v6, 0x80
	s_mov_b32 s29, exec_lo
	s_delay_alu instid0(VALU_DEP_2) | instskip(NEXT) | instid1(VALU_DEP_1)
	v_and_b32_e32 v5, 0x7fffffff, v4
	v_cmpx_gt_u32_e32 0x43800000, v5
	s_cbranch_execz .LBB25_74
; %bb.69:
	v_cmp_lt_u32_e32 vcc_lo, 0x3bffffff, v5
	s_mov_b32 s30, 0
                                        ; implicit-def: $vgpr5
	s_and_saveexec_b32 s31, vcc_lo
	s_delay_alu instid0(SALU_CYCLE_1)
	s_xor_b32 s31, exec_lo, s31
	s_cbranch_execz .LBB25_314
; %bb.70:
	v_bfe_u32 v5, v4, 20, 1
	s_mov_b32 s30, exec_lo
	s_delay_alu instid0(VALU_DEP_1) | instskip(NEXT) | instid1(VALU_DEP_1)
	v_add3_u32 v5, v4, v5, 0x487ffff
	v_lshrrev_b32_e32 v5, 20, v5
	s_and_not1_saveexec_b32 s31, s31
	s_cbranch_execnz .LBB25_315
.LBB25_71:
	s_or_b32 exec_lo, exec_lo, s31
	v_mov_b32_e32 v6, 0
	s_and_saveexec_b32 s31, s30
.LBB25_72:
	v_lshrrev_b32_e32 v4, 24, v4
	s_delay_alu instid0(VALU_DEP_1)
	v_and_or_b32 v6, 0x80, v4, v5
.LBB25_73:
	s_or_b32 exec_lo, exec_lo, s31
.LBB25_74:
	s_delay_alu instid0(SALU_CYCLE_1)
	s_or_b32 exec_lo, exec_lo, s29
	global_store_b8 v[2:3], v6, off
.LBB25_75:
	s_mov_b32 s29, -1
.LBB25_76:
	s_mov_b32 s30, 0
.LBB25_77:
	s_delay_alu instid0(SALU_CYCLE_1)
	s_and_b32 vcc_lo, exec_lo, s30
	s_cbranch_vccz .LBB25_118
; %bb.78:
	s_cmp_gt_i32 s28, 22
	s_mov_b32 s30, -1
	s_cbranch_scc0 .LBB25_110
; %bb.79:
	s_cmp_lt_i32 s28, 24
	s_mov_b32 s29, -1
	s_cbranch_scc1 .LBB25_99
; %bb.80:
	s_cmp_gt_i32 s28, 24
	s_cbranch_scc0 .LBB25_88
; %bb.81:
	s_wait_xcnt 0x0
	v_cvt_f32_f16_e32 v4, v1
	v_mov_b32_e32 v6, 0x80
	s_mov_b32 s29, exec_lo
	s_delay_alu instid0(VALU_DEP_2) | instskip(NEXT) | instid1(VALU_DEP_1)
	v_and_b32_e32 v5, 0x7fffffff, v4
	v_cmpx_gt_u32_e32 0x47800000, v5
	s_cbranch_execz .LBB25_87
; %bb.82:
	v_cmp_lt_u32_e32 vcc_lo, 0x37ffffff, v5
	s_mov_b32 s30, 0
                                        ; implicit-def: $vgpr5
	s_and_saveexec_b32 s31, vcc_lo
	s_delay_alu instid0(SALU_CYCLE_1)
	s_xor_b32 s31, exec_lo, s31
	s_cbranch_execz .LBB25_318
; %bb.83:
	v_bfe_u32 v5, v4, 21, 1
	s_mov_b32 s30, exec_lo
	s_delay_alu instid0(VALU_DEP_1) | instskip(NEXT) | instid1(VALU_DEP_1)
	v_add3_u32 v5, v4, v5, 0x88fffff
	v_lshrrev_b32_e32 v5, 21, v5
	s_and_not1_saveexec_b32 s31, s31
	s_cbranch_execnz .LBB25_319
.LBB25_84:
	s_or_b32 exec_lo, exec_lo, s31
	v_mov_b32_e32 v6, 0
	s_and_saveexec_b32 s31, s30
.LBB25_85:
	v_lshrrev_b32_e32 v4, 24, v4
	s_delay_alu instid0(VALU_DEP_1)
	v_and_or_b32 v6, 0x80, v4, v5
.LBB25_86:
	s_or_b32 exec_lo, exec_lo, s31
.LBB25_87:
	s_delay_alu instid0(SALU_CYCLE_1)
	s_or_b32 exec_lo, exec_lo, s29
	s_mov_b32 s29, 0
	global_store_b8 v[2:3], v6, off
.LBB25_88:
	s_and_b32 vcc_lo, exec_lo, s29
	s_cbranch_vccz .LBB25_98
; %bb.89:
	s_wait_xcnt 0x0
	v_cvt_f32_f16_e32 v4, v1
	s_mov_b32 s29, exec_lo
                                        ; implicit-def: $vgpr5
	s_delay_alu instid0(VALU_DEP_1) | instskip(NEXT) | instid1(VALU_DEP_1)
	v_and_b32_e32 v6, 0x7fffffff, v4
	v_cmpx_gt_u32_e32 0x43f00000, v6
	s_xor_b32 s29, exec_lo, s29
	s_cbranch_execz .LBB25_95
; %bb.90:
	s_mov_b32 s30, exec_lo
                                        ; implicit-def: $vgpr5
	v_cmpx_lt_u32_e32 0x3c7fffff, v6
	s_xor_b32 s30, exec_lo, s30
; %bb.91:
	v_bfe_u32 v5, v4, 20, 1
	s_delay_alu instid0(VALU_DEP_1) | instskip(NEXT) | instid1(VALU_DEP_1)
	v_add3_u32 v5, v4, v5, 0x407ffff
	v_and_b32_e32 v6, 0xff00000, v5
	v_lshrrev_b32_e32 v5, 20, v5
	s_delay_alu instid0(VALU_DEP_2) | instskip(NEXT) | instid1(VALU_DEP_2)
	v_cmp_ne_u32_e32 vcc_lo, 0x7f00000, v6
	v_cndmask_b32_e32 v5, 0x7e, v5, vcc_lo
; %bb.92:
	s_and_not1_saveexec_b32 s30, s30
; %bb.93:
	v_add_f32_e64 v5, 0x46800000, |v4|
; %bb.94:
	s_or_b32 exec_lo, exec_lo, s30
                                        ; implicit-def: $vgpr6
.LBB25_95:
	s_and_not1_saveexec_b32 s29, s29
; %bb.96:
	v_mov_b32_e32 v5, 0x7f
	v_cmp_lt_u32_e32 vcc_lo, 0x7f800000, v6
	s_delay_alu instid0(VALU_DEP_2)
	v_cndmask_b32_e32 v5, 0x7e, v5, vcc_lo
; %bb.97:
	s_or_b32 exec_lo, exec_lo, s29
	v_lshrrev_b32_e32 v4, 24, v4
	s_delay_alu instid0(VALU_DEP_1)
	v_and_or_b32 v4, 0x80, v4, v5
	global_store_b8 v[2:3], v4, off
.LBB25_98:
	s_mov_b32 s29, 0
.LBB25_99:
	s_delay_alu instid0(SALU_CYCLE_1)
	s_and_not1_b32 vcc_lo, exec_lo, s29
	s_cbranch_vccnz .LBB25_109
; %bb.100:
	s_wait_xcnt 0x0
	v_cvt_f32_f16_e32 v4, v1
	s_mov_b32 s29, exec_lo
                                        ; implicit-def: $vgpr5
	s_delay_alu instid0(VALU_DEP_1) | instskip(NEXT) | instid1(VALU_DEP_1)
	v_and_b32_e32 v6, 0x7fffffff, v4
	v_cmpx_gt_u32_e32 0x47800000, v6
	s_xor_b32 s29, exec_lo, s29
	s_cbranch_execz .LBB25_106
; %bb.101:
	s_mov_b32 s30, exec_lo
                                        ; implicit-def: $vgpr5
	v_cmpx_lt_u32_e32 0x387fffff, v6
	s_xor_b32 s30, exec_lo, s30
; %bb.102:
	v_bfe_u32 v5, v4, 21, 1
	s_delay_alu instid0(VALU_DEP_1) | instskip(NEXT) | instid1(VALU_DEP_1)
	v_add3_u32 v5, v4, v5, 0x80fffff
	v_lshrrev_b32_e32 v5, 21, v5
; %bb.103:
	s_and_not1_saveexec_b32 s30, s30
; %bb.104:
	v_add_f32_e64 v5, 0x43000000, |v4|
; %bb.105:
	s_or_b32 exec_lo, exec_lo, s30
                                        ; implicit-def: $vgpr6
.LBB25_106:
	s_and_not1_saveexec_b32 s29, s29
; %bb.107:
	v_mov_b32_e32 v5, 0x7f
	v_cmp_lt_u32_e32 vcc_lo, 0x7f800000, v6
	s_delay_alu instid0(VALU_DEP_2)
	v_cndmask_b32_e32 v5, 0x7c, v5, vcc_lo
; %bb.108:
	s_or_b32 exec_lo, exec_lo, s29
	v_lshrrev_b32_e32 v4, 24, v4
	s_delay_alu instid0(VALU_DEP_1)
	v_and_or_b32 v4, 0x80, v4, v5
	global_store_b8 v[2:3], v4, off
.LBB25_109:
	s_mov_b32 s30, 0
	s_mov_b32 s29, -1
.LBB25_110:
	s_and_not1_b32 vcc_lo, exec_lo, s30
	s_cbranch_vccnz .LBB25_118
; %bb.111:
	s_cmp_gt_i32 s28, 14
	s_mov_b32 s30, -1
	s_cbranch_scc0 .LBB25_115
; %bb.112:
	s_cmp_eq_u32 s28, 15
	s_mov_b32 s0, -1
	s_cbranch_scc0 .LBB25_114
; %bb.113:
	s_wait_xcnt 0x0
	v_cvt_f32_f16_e32 v4, v1
	v_cmp_o_f16_e32 vcc_lo, v1, v1
	s_mov_b32 s29, -1
	s_mov_b32 s0, 0
	s_delay_alu instid0(VALU_DEP_2) | instskip(NEXT) | instid1(VALU_DEP_1)
	v_bfe_u32 v5, v4, 16, 1
	v_add3_u32 v4, v4, v5, 0x7fff
	s_delay_alu instid0(VALU_DEP_1) | instskip(NEXT) | instid1(VALU_DEP_1)
	v_lshrrev_b32_e32 v4, 16, v4
	v_cndmask_b32_e32 v4, 0x7fc0, v4, vcc_lo
	global_store_b16 v[2:3], v4, off
.LBB25_114:
	s_mov_b32 s30, 0
.LBB25_115:
	s_delay_alu instid0(SALU_CYCLE_1)
	s_and_b32 vcc_lo, exec_lo, s30
	s_cbranch_vccz .LBB25_118
; %bb.116:
	s_cmp_eq_u32 s28, 11
	s_mov_b32 s0, -1
	s_cbranch_scc0 .LBB25_118
; %bb.117:
	s_wait_xcnt 0x0
	v_and_b32_e32 v4, 0x7fff, v1
	s_mov_b32 s0, 0
	s_mov_b32 s29, -1
	s_delay_alu instid0(VALU_DEP_1)
	v_cmp_ne_u16_e32 vcc_lo, 0, v4
	v_cndmask_b32_e64 v4, 0, 1, vcc_lo
	global_store_b8 v[2:3], v4, off
.LBB25_118:
	s_branch .LBB25_37
.LBB25_119:
	s_and_b32 s27, 0xffff, s27
	s_mov_b32 s28, -1
	s_cmp_lt_i32 s27, 5
	s_cbranch_scc1 .LBB25_140
; %bb.120:
	s_cmp_lt_i32 s27, 8
	s_cbranch_scc1 .LBB25_130
; %bb.121:
	;; [unrolled: 3-line block ×3, first 2 shown]
	s_cmp_gt_i32 s27, 9
	s_cbranch_scc0 .LBB25_124
; %bb.123:
	s_wait_xcnt 0x0
	v_cvt_f32_f16_e32 v4, v1
	v_mov_b32_e32 v6, 0
	s_mov_b32 s28, 0
	s_delay_alu instid0(VALU_DEP_2) | instskip(NEXT) | instid1(VALU_DEP_2)
	v_cvt_f64_f32_e32 v[4:5], v4
	v_mov_b32_e32 v7, v6
	global_store_b128 v[2:3], v[4:7], off
.LBB25_124:
	s_and_not1_b32 vcc_lo, exec_lo, s28
	s_cbranch_vccnz .LBB25_126
; %bb.125:
	s_wait_xcnt 0x0
	v_cvt_f32_f16_e32 v4, v1
	v_mov_b32_e32 v5, 0
	global_store_b64 v[2:3], v[4:5], off
.LBB25_126:
	s_mov_b32 s28, 0
.LBB25_127:
	s_delay_alu instid0(SALU_CYCLE_1)
	s_and_not1_b32 vcc_lo, exec_lo, s28
	s_cbranch_vccnz .LBB25_129
; %bb.128:
	s_wait_xcnt 0x0
	v_and_b32_e32 v4, 0xffff, v1
	global_store_b32 v[2:3], v4, off
.LBB25_129:
	s_mov_b32 s28, 0
.LBB25_130:
	s_delay_alu instid0(SALU_CYCLE_1)
	s_and_not1_b32 vcc_lo, exec_lo, s28
	s_cbranch_vccnz .LBB25_139
; %bb.131:
	s_cmp_lt_i32 s27, 6
	s_mov_b32 s28, -1
	s_cbranch_scc1 .LBB25_137
; %bb.132:
	s_cmp_gt_i32 s27, 6
	s_cbranch_scc0 .LBB25_134
; %bb.133:
	s_wait_xcnt 0x0
	v_cvt_f32_f16_e32 v4, v1
	s_mov_b32 s28, 0
	s_delay_alu instid0(VALU_DEP_1)
	v_cvt_f64_f32_e32 v[4:5], v4
	global_store_b64 v[2:3], v[4:5], off
.LBB25_134:
	s_and_not1_b32 vcc_lo, exec_lo, s28
	s_cbranch_vccnz .LBB25_136
; %bb.135:
	s_wait_xcnt 0x0
	v_cvt_f32_f16_e32 v4, v1
	global_store_b32 v[2:3], v4, off
.LBB25_136:
	s_mov_b32 s28, 0
.LBB25_137:
	s_delay_alu instid0(SALU_CYCLE_1)
	s_and_not1_b32 vcc_lo, exec_lo, s28
	s_cbranch_vccnz .LBB25_139
; %bb.138:
	global_store_b16 v[2:3], v1, off
.LBB25_139:
	s_mov_b32 s28, 0
.LBB25_140:
	s_delay_alu instid0(SALU_CYCLE_1)
	s_and_not1_b32 vcc_lo, exec_lo, s28
	s_cbranch_vccnz .LBB25_156
; %bb.141:
	s_cmp_lt_i32 s27, 2
	s_mov_b32 s28, -1
	s_cbranch_scc1 .LBB25_151
; %bb.142:
	s_cmp_lt_i32 s27, 3
	s_cbranch_scc1 .LBB25_148
; %bb.143:
	s_cmp_gt_i32 s27, 3
	s_cbranch_scc0 .LBB25_145
; %bb.144:
	s_wait_xcnt 0x0
	v_cvt_f32_f16_e32 v4, v1
	s_mov_b32 s28, 0
	s_delay_alu instid0(VALU_DEP_1) | instskip(NEXT) | instid1(VALU_DEP_1)
	v_cvt_i32_f32_e32 v4, v4
	v_ashrrev_i32_e32 v5, 31, v4
	global_store_b64 v[2:3], v[4:5], off
.LBB25_145:
	s_and_not1_b32 vcc_lo, exec_lo, s28
	s_cbranch_vccnz .LBB25_147
; %bb.146:
	s_wait_xcnt 0x0
	v_cvt_f32_f16_e32 v4, v1
	s_delay_alu instid0(VALU_DEP_1)
	v_cvt_i32_f32_e32 v4, v4
	global_store_b32 v[2:3], v4, off
.LBB25_147:
	s_mov_b32 s28, 0
.LBB25_148:
	s_delay_alu instid0(SALU_CYCLE_1)
	s_and_not1_b32 vcc_lo, exec_lo, s28
	s_cbranch_vccnz .LBB25_150
; %bb.149:
	s_wait_xcnt 0x0
	v_cvt_i16_f16_e32 v4, v1
	global_store_b16 v[2:3], v4, off
.LBB25_150:
	s_mov_b32 s28, 0
.LBB25_151:
	s_delay_alu instid0(SALU_CYCLE_1)
	s_and_not1_b32 vcc_lo, exec_lo, s28
	s_cbranch_vccnz .LBB25_156
; %bb.152:
	s_cmp_gt_i32 s27, 0
	s_mov_b32 s27, -1
	s_cbranch_scc0 .LBB25_154
; %bb.153:
	s_wait_xcnt 0x0
	v_cvt_i16_f16_e32 v4, v1
	s_mov_b32 s27, 0
	global_store_b8 v[2:3], v4, off
.LBB25_154:
	s_and_not1_b32 vcc_lo, exec_lo, s27
	s_cbranch_vccnz .LBB25_156
; %bb.155:
	s_wait_xcnt 0x0
	v_cvt_f32_f16_e32 v1, v1
	s_delay_alu instid0(VALU_DEP_1)
	v_cvt_i32_f32_e32 v1, v1
	global_store_b8 v[2:3], v1, off
.LBB25_156:
.LBB25_157:
	v_add_nc_u32_e32 v0, 0x80, v0
	s_mov_b32 s27, -1
	s_branch .LBB25_268
.LBB25_158:
	s_mov_b32 s26, -1
                                        ; implicit-def: $vgpr1
.LBB25_159:
	s_mov_b32 s28, 0
.LBB25_160:
	s_delay_alu instid0(SALU_CYCLE_1)
	s_and_b32 vcc_lo, exec_lo, s28
	s_cbranch_vccz .LBB25_164
; %bb.161:
	s_cmp_eq_u32 s0, 29
	s_cbranch_scc0 .LBB25_163
; %bb.162:
	global_load_b64 v[6:7], v[4:5], off
	s_mov_b32 s27, -1
	s_mov_b32 s26, 0
	s_mov_b32 s28, 0
	s_wait_loadcnt 0x0
	v_clz_i32_u32_e32 v1, v7
	s_delay_alu instid0(VALU_DEP_1) | instskip(NEXT) | instid1(VALU_DEP_1)
	v_min_u32_e32 v1, 32, v1
	v_lshlrev_b64_e32 v[6:7], v1, v[6:7]
	v_sub_nc_u32_e32 v1, 32, v1
	s_delay_alu instid0(VALU_DEP_2) | instskip(NEXT) | instid1(VALU_DEP_1)
	v_min_u32_e32 v3, 1, v6
	v_or_b32_e32 v3, v7, v3
	s_delay_alu instid0(VALU_DEP_1) | instskip(NEXT) | instid1(VALU_DEP_1)
	v_cvt_f32_u32_e32 v3, v3
	v_ldexp_f32 v1, v3, v1
	s_delay_alu instid0(VALU_DEP_1)
	v_cvt_f16_f32_e32 v1, v1
	s_branch .LBB25_165
.LBB25_163:
	s_mov_b32 s26, -1
                                        ; implicit-def: $vgpr1
.LBB25_164:
	s_mov_b32 s28, 0
.LBB25_165:
	s_delay_alu instid0(SALU_CYCLE_1)
	s_and_b32 vcc_lo, exec_lo, s28
	s_cbranch_vccz .LBB25_183
; %bb.166:
	s_cmp_lt_i32 s0, 27
	s_cbranch_scc1 .LBB25_169
; %bb.167:
	s_cmp_gt_i32 s0, 27
	s_cbranch_scc0 .LBB25_170
; %bb.168:
	global_load_b32 v1, v[4:5], off
	s_mov_b32 s27, 0
	s_wait_loadcnt 0x0
	v_cvt_f32_u32_e32 v1, v1
	s_delay_alu instid0(VALU_DEP_1)
	v_cvt_f16_f32_e32 v1, v1
	s_branch .LBB25_171
.LBB25_169:
	s_mov_b32 s27, -1
                                        ; implicit-def: $vgpr1
	s_branch .LBB25_174
.LBB25_170:
	s_mov_b32 s27, -1
                                        ; implicit-def: $vgpr1
.LBB25_171:
	s_delay_alu instid0(SALU_CYCLE_1)
	s_and_not1_b32 vcc_lo, exec_lo, s27
	s_cbranch_vccnz .LBB25_173
; %bb.172:
	global_load_u16 v1, v[4:5], off
	s_wait_loadcnt 0x0
	v_cvt_f16_u16_e32 v1, v1
.LBB25_173:
	s_mov_b32 s27, 0
.LBB25_174:
	s_delay_alu instid0(SALU_CYCLE_1)
	s_and_not1_b32 vcc_lo, exec_lo, s27
	s_cbranch_vccnz .LBB25_182
; %bb.175:
	global_load_u8 v3, v[4:5], off
	s_mov_b32 s27, 0
	s_mov_b32 s28, exec_lo
	s_wait_loadcnt 0x0
	v_cmpx_lt_i16_e32 0x7f, v3
	s_xor_b32 s28, exec_lo, s28
	s_cbranch_execz .LBB25_195
; %bb.176:
	s_mov_b32 s27, -1
	s_mov_b32 s29, exec_lo
	v_cmpx_eq_u16_e32 0x80, v3
; %bb.177:
	s_xor_b32 s27, exec_lo, -1
; %bb.178:
	s_or_b32 exec_lo, exec_lo, s29
	s_delay_alu instid0(SALU_CYCLE_1)
	s_and_b32 s27, s27, exec_lo
	s_or_saveexec_b32 s28, s28
	v_mov_b32_e32 v1, 0x7e00
	s_xor_b32 exec_lo, exec_lo, s28
	s_cbranch_execnz .LBB25_196
.LBB25_179:
	s_or_b32 exec_lo, exec_lo, s28
	s_and_saveexec_b32 s28, s27
	s_cbranch_execz .LBB25_181
.LBB25_180:
	v_and_b32_e32 v1, 0xffff, v3
	s_delay_alu instid0(VALU_DEP_1) | instskip(SKIP_1) | instid1(VALU_DEP_2)
	v_and_b32_e32 v6, 7, v1
	v_bfe_u32 v9, v1, 3, 4
	v_clz_i32_u32_e32 v7, v6
	s_delay_alu instid0(VALU_DEP_2) | instskip(NEXT) | instid1(VALU_DEP_2)
	v_cmp_eq_u32_e32 vcc_lo, 0, v9
	v_min_u32_e32 v7, 32, v7
	s_delay_alu instid0(VALU_DEP_1) | instskip(NEXT) | instid1(VALU_DEP_1)
	v_subrev_nc_u32_e32 v8, 28, v7
	v_dual_lshlrev_b32 v1, v8, v1 :: v_dual_sub_nc_u32 v7, 29, v7
	s_delay_alu instid0(VALU_DEP_1) | instskip(NEXT) | instid1(VALU_DEP_1)
	v_dual_lshlrev_b32 v3, 24, v3 :: v_dual_bitop2_b32 v1, 7, v1 bitop3:0x40
	v_dual_cndmask_b32 v1, v6, v1, vcc_lo :: v_dual_cndmask_b32 v7, v9, v7, vcc_lo
	s_delay_alu instid0(VALU_DEP_2) | instskip(NEXT) | instid1(VALU_DEP_2)
	v_and_b32_e32 v3, 0x80000000, v3
	v_lshlrev_b32_e32 v1, 20, v1
	s_delay_alu instid0(VALU_DEP_3) | instskip(NEXT) | instid1(VALU_DEP_1)
	v_lshl_add_u32 v6, v7, 23, 0x3b800000
	v_or3_b32 v1, v3, v6, v1
	s_delay_alu instid0(VALU_DEP_1)
	v_cvt_f16_f32_e32 v1, v1
.LBB25_181:
	s_or_b32 exec_lo, exec_lo, s28
.LBB25_182:
	s_mov_b32 s27, -1
.LBB25_183:
	s_branch .LBB25_218
.LBB25_184:
	s_cmp_gt_i32 s0, 22
	s_cbranch_scc0 .LBB25_194
; %bb.185:
	s_cmp_lt_i32 s0, 24
	s_cbranch_scc1 .LBB25_197
; %bb.186:
	s_cmp_gt_i32 s0, 24
	s_cbranch_scc0 .LBB25_198
; %bb.187:
	global_load_u8 v3, v[4:5], off
	s_mov_b32 s27, 0
	s_mov_b32 s28, exec_lo
	s_wait_loadcnt 0x0
	v_cmpx_lt_i16_e32 0x7f, v3
	s_xor_b32 s28, exec_lo, s28
	s_cbranch_execz .LBB25_210
; %bb.188:
	s_mov_b32 s27, -1
	s_mov_b32 s29, exec_lo
	v_cmpx_eq_u16_e32 0x80, v3
; %bb.189:
	s_xor_b32 s27, exec_lo, -1
; %bb.190:
	s_or_b32 exec_lo, exec_lo, s29
	s_delay_alu instid0(SALU_CYCLE_1)
	s_and_b32 s27, s27, exec_lo
	s_or_saveexec_b32 s28, s28
	v_mov_b32_e32 v1, 0x7e00
	s_xor_b32 exec_lo, exec_lo, s28
	s_cbranch_execnz .LBB25_211
.LBB25_191:
	s_or_b32 exec_lo, exec_lo, s28
	s_and_saveexec_b32 s28, s27
	s_cbranch_execz .LBB25_193
.LBB25_192:
	v_and_b32_e32 v1, 0xffff, v3
	s_delay_alu instid0(VALU_DEP_1) | instskip(SKIP_1) | instid1(VALU_DEP_2)
	v_and_b32_e32 v6, 3, v1
	v_bfe_u32 v9, v1, 2, 5
	v_clz_i32_u32_e32 v7, v6
	s_delay_alu instid0(VALU_DEP_2) | instskip(NEXT) | instid1(VALU_DEP_2)
	v_cmp_eq_u32_e32 vcc_lo, 0, v9
	v_min_u32_e32 v7, 32, v7
	s_delay_alu instid0(VALU_DEP_1) | instskip(NEXT) | instid1(VALU_DEP_1)
	v_subrev_nc_u32_e32 v8, 29, v7
	v_dual_lshlrev_b32 v1, v8, v1 :: v_dual_sub_nc_u32 v7, 30, v7
	s_delay_alu instid0(VALU_DEP_1) | instskip(NEXT) | instid1(VALU_DEP_1)
	v_dual_lshlrev_b32 v3, 24, v3 :: v_dual_bitop2_b32 v1, 3, v1 bitop3:0x40
	v_dual_cndmask_b32 v1, v6, v1, vcc_lo :: v_dual_cndmask_b32 v7, v9, v7, vcc_lo
	s_delay_alu instid0(VALU_DEP_2) | instskip(NEXT) | instid1(VALU_DEP_2)
	v_and_b32_e32 v3, 0x80000000, v3
	v_lshlrev_b32_e32 v1, 21, v1
	s_delay_alu instid0(VALU_DEP_3) | instskip(NEXT) | instid1(VALU_DEP_1)
	v_lshl_add_u32 v6, v7, 23, 0x37800000
	v_or3_b32 v1, v3, v6, v1
	s_delay_alu instid0(VALU_DEP_1)
	v_cvt_f16_f32_e32 v1, v1
.LBB25_193:
	s_or_b32 exec_lo, exec_lo, s28
	s_mov_b32 s27, 0
	s_branch .LBB25_199
.LBB25_194:
	s_mov_b32 s28, -1
                                        ; implicit-def: $vgpr1
	s_branch .LBB25_205
.LBB25_195:
	s_or_saveexec_b32 s28, s28
	v_mov_b32_e32 v1, 0x7e00
	s_xor_b32 exec_lo, exec_lo, s28
	s_cbranch_execz .LBB25_179
.LBB25_196:
	v_cmp_ne_u16_e32 vcc_lo, 0, v3
	v_mov_b32_e32 v1, v3
	s_and_not1_b32 s27, s27, exec_lo
	s_and_b32 s29, vcc_lo, exec_lo
	s_delay_alu instid0(SALU_CYCLE_1)
	s_or_b32 s27, s27, s29
	s_or_b32 exec_lo, exec_lo, s28
	s_and_saveexec_b32 s28, s27
	s_cbranch_execnz .LBB25_180
	s_branch .LBB25_181
.LBB25_197:
	s_mov_b32 s27, -1
                                        ; implicit-def: $vgpr1
	s_branch .LBB25_202
.LBB25_198:
	s_mov_b32 s27, -1
                                        ; implicit-def: $vgpr1
.LBB25_199:
	s_delay_alu instid0(SALU_CYCLE_1)
	s_and_b32 vcc_lo, exec_lo, s27
	s_cbranch_vccz .LBB25_201
; %bb.200:
	global_load_u8 v1, v[4:5], off
	s_wait_loadcnt 0x0
	v_lshlrev_b32_e32 v1, 24, v1
	s_delay_alu instid0(VALU_DEP_1) | instskip(NEXT) | instid1(VALU_DEP_1)
	v_and_b32_e32 v3, 0x7f000000, v1
	v_clz_i32_u32_e32 v6, v3
	v_cmp_ne_u32_e32 vcc_lo, 0, v3
	v_add_nc_u32_e32 v8, 0x1000000, v3
	s_delay_alu instid0(VALU_DEP_3) | instskip(NEXT) | instid1(VALU_DEP_1)
	v_min_u32_e32 v6, 32, v6
	v_sub_nc_u32_e64 v6, v6, 4 clamp
	s_delay_alu instid0(VALU_DEP_1) | instskip(NEXT) | instid1(VALU_DEP_1)
	v_dual_lshlrev_b32 v7, v6, v3 :: v_dual_lshlrev_b32 v6, 23, v6
	v_lshrrev_b32_e32 v7, 4, v7
	s_delay_alu instid0(VALU_DEP_1) | instskip(NEXT) | instid1(VALU_DEP_1)
	v_dual_sub_nc_u32 v6, v7, v6 :: v_dual_ashrrev_i32 v7, 8, v8
	v_add_nc_u32_e32 v6, 0x3c000000, v6
	s_delay_alu instid0(VALU_DEP_1) | instskip(NEXT) | instid1(VALU_DEP_1)
	v_and_or_b32 v6, 0x7f800000, v7, v6
	v_cndmask_b32_e32 v3, 0, v6, vcc_lo
	s_delay_alu instid0(VALU_DEP_1) | instskip(NEXT) | instid1(VALU_DEP_1)
	v_and_or_b32 v1, 0x80000000, v1, v3
	v_cvt_f16_f32_e32 v1, v1
.LBB25_201:
	s_mov_b32 s27, 0
.LBB25_202:
	s_delay_alu instid0(SALU_CYCLE_1)
	s_and_not1_b32 vcc_lo, exec_lo, s27
	s_cbranch_vccnz .LBB25_204
; %bb.203:
	global_load_u8 v1, v[4:5], off
	s_wait_loadcnt 0x0
	v_lshlrev_b32_e32 v3, 25, v1
	v_lshlrev_b16 v1, 8, v1
	s_delay_alu instid0(VALU_DEP_1) | instskip(SKIP_1) | instid1(VALU_DEP_2)
	v_and_or_b32 v7, 0x7f00, v1, 0.5
	v_bfe_i32 v1, v1, 0, 16
	v_add_f32_e32 v7, -0.5, v7
	v_lshrrev_b32_e32 v6, 4, v3
	v_cmp_gt_u32_e32 vcc_lo, 0x8000000, v3
	s_delay_alu instid0(VALU_DEP_2) | instskip(NEXT) | instid1(VALU_DEP_1)
	v_or_b32_e32 v6, 0x70000000, v6
	v_mul_f32_e32 v6, 0x7800000, v6
	s_delay_alu instid0(VALU_DEP_1) | instskip(NEXT) | instid1(VALU_DEP_1)
	v_cndmask_b32_e32 v3, v6, v7, vcc_lo
	v_and_or_b32 v1, 0x80000000, v1, v3
	s_delay_alu instid0(VALU_DEP_1)
	v_cvt_f16_f32_e32 v1, v1
.LBB25_204:
	s_mov_b32 s28, 0
	s_mov_b32 s27, -1
.LBB25_205:
	s_and_not1_b32 vcc_lo, exec_lo, s28
	s_cbranch_vccnz .LBB25_218
; %bb.206:
	s_cmp_gt_i32 s0, 14
	s_cbranch_scc0 .LBB25_209
; %bb.207:
	s_cmp_eq_u32 s0, 15
	s_cbranch_scc0 .LBB25_212
; %bb.208:
	global_load_u16 v1, v[4:5], off
	s_mov_b32 s27, -1
	s_mov_b32 s26, 0
	s_wait_loadcnt 0x0
	v_lshlrev_b32_e32 v1, 16, v1
	s_delay_alu instid0(VALU_DEP_1)
	v_cvt_f16_f32_e32 v1, v1
	s_branch .LBB25_213
.LBB25_209:
	s_mov_b32 s28, -1
                                        ; implicit-def: $vgpr1
	s_branch .LBB25_214
.LBB25_210:
	s_or_saveexec_b32 s28, s28
	v_mov_b32_e32 v1, 0x7e00
	s_xor_b32 exec_lo, exec_lo, s28
	s_cbranch_execz .LBB25_191
.LBB25_211:
	v_cmp_ne_u16_e32 vcc_lo, 0, v3
	v_mov_b32_e32 v1, v3
	s_and_not1_b32 s27, s27, exec_lo
	s_and_b32 s29, vcc_lo, exec_lo
	s_delay_alu instid0(SALU_CYCLE_1)
	s_or_b32 s27, s27, s29
	s_or_b32 exec_lo, exec_lo, s28
	s_and_saveexec_b32 s28, s27
	s_cbranch_execnz .LBB25_192
	s_branch .LBB25_193
.LBB25_212:
	s_mov_b32 s26, -1
                                        ; implicit-def: $vgpr1
.LBB25_213:
	s_mov_b32 s28, 0
.LBB25_214:
	s_delay_alu instid0(SALU_CYCLE_1)
	s_and_b32 vcc_lo, exec_lo, s28
	s_cbranch_vccz .LBB25_218
; %bb.215:
	s_cmp_eq_u32 s0, 11
	s_cbranch_scc0 .LBB25_217
; %bb.216:
	global_load_u8 v1, v[4:5], off
	s_mov_b32 s26, 0
	s_mov_b32 s27, -1
	s_wait_loadcnt 0x0
	v_cmp_ne_u16_e32 vcc_lo, 0, v1
	v_cndmask_b32_e64 v1, 0, 0x3c00, vcc_lo
	s_branch .LBB25_218
.LBB25_217:
	s_mov_b32 s26, -1
                                        ; implicit-def: $vgpr1
.LBB25_218:
	s_branch .LBB25_25
.LBB25_219:
	s_cmp_lt_i32 s0, 5
	s_cbranch_scc1 .LBB25_224
; %bb.220:
	s_cmp_lt_i32 s0, 8
	s_cbranch_scc1 .LBB25_225
; %bb.221:
	;; [unrolled: 3-line block ×3, first 2 shown]
	s_cmp_gt_i32 s0, 9
	s_cbranch_scc0 .LBB25_227
; %bb.223:
	global_load_b64 v[6:7], v[4:5], off
	s_mov_b32 s27, 0
	s_wait_loadcnt 0x0
	v_and_or_b32 v1, 0x1ff, v7, v6
	v_lshrrev_b32_e32 v3, 8, v7
	v_bfe_u32 v6, v7, 20, 11
	s_delay_alu instid0(VALU_DEP_3) | instskip(NEXT) | instid1(VALU_DEP_2)
	v_cmp_ne_u32_e32 vcc_lo, 0, v1
	v_sub_nc_u32_e32 v8, 0x3f1, v6
	v_add_nc_u32_e32 v6, 0xfffffc10, v6
	v_cndmask_b32_e64 v1, 0, 1, vcc_lo
	s_delay_alu instid0(VALU_DEP_1) | instskip(NEXT) | instid1(VALU_DEP_4)
	v_and_or_b32 v1, 0xffe, v3, v1
	v_med3_i32 v3, v8, 0, 13
	s_delay_alu instid0(VALU_DEP_2) | instskip(NEXT) | instid1(VALU_DEP_1)
	v_or_b32_e32 v8, 0x1000, v1
	v_lshrrev_b32_e32 v9, v3, v8
	s_delay_alu instid0(VALU_DEP_1) | instskip(NEXT) | instid1(VALU_DEP_1)
	v_lshlrev_b32_e32 v3, v3, v9
	v_cmp_ne_u32_e32 vcc_lo, v3, v8
	v_lshl_or_b32 v8, v6, 12, v1
	v_cndmask_b32_e64 v3, 0, 1, vcc_lo
	v_cmp_gt_i32_e32 vcc_lo, 1, v6
	s_delay_alu instid0(VALU_DEP_2) | instskip(NEXT) | instid1(VALU_DEP_1)
	v_or_b32_e32 v3, v9, v3
	v_cndmask_b32_e32 v3, v8, v3, vcc_lo
	s_delay_alu instid0(VALU_DEP_1) | instskip(NEXT) | instid1(VALU_DEP_1)
	v_dual_lshrrev_b32 v3, 2, v3 :: v_dual_bitop2_b32 v8, 7, v3 bitop3:0x40
	v_cmp_lt_i32_e32 vcc_lo, 5, v8
	v_cndmask_b32_e64 v9, 0, 1, vcc_lo
	v_cmp_eq_u32_e32 vcc_lo, 3, v8
	v_cndmask_b32_e64 v8, 0, 1, vcc_lo
	v_cmp_ne_u32_e32 vcc_lo, 0, v1
	s_delay_alu instid0(VALU_DEP_2) | instskip(SKIP_1) | instid1(VALU_DEP_2)
	v_or_b32_e32 v8, v8, v9
	v_mov_b32_e32 v9, 0x7e00
	v_add_nc_u32_e32 v3, v3, v8
	s_delay_alu instid0(VALU_DEP_2) | instskip(SKIP_1) | instid1(VALU_DEP_3)
	v_cndmask_b32_e32 v1, 0x7c00, v9, vcc_lo
	v_cmp_gt_i32_e32 vcc_lo, 31, v6
	v_cndmask_b32_e32 v3, 0x7c00, v3, vcc_lo
	v_cmp_eq_u32_e32 vcc_lo, 0x40f, v6
	s_delay_alu instid0(VALU_DEP_2) | instskip(NEXT) | instid1(VALU_DEP_1)
	v_dual_cndmask_b32 v1, v3, v1, vcc_lo :: v_dual_lshrrev_b32 v3, 16, v7
	v_and_or_b32 v1, 0x8000, v3, v1
	s_branch .LBB25_228
.LBB25_224:
                                        ; implicit-def: $vgpr1
	s_branch .LBB25_246
.LBB25_225:
	s_mov_b32 s27, -1
                                        ; implicit-def: $vgpr1
	s_branch .LBB25_234
.LBB25_226:
	s_mov_b32 s27, -1
                                        ; implicit-def: $vgpr1
	s_branch .LBB25_231
.LBB25_227:
	s_mov_b32 s27, -1
                                        ; implicit-def: $vgpr1
.LBB25_228:
	s_delay_alu instid0(SALU_CYCLE_1)
	s_and_not1_b32 vcc_lo, exec_lo, s27
	s_cbranch_vccnz .LBB25_230
; %bb.229:
	global_load_b32 v1, v[4:5], off
	s_wait_loadcnt 0x0
	v_cvt_f16_f32_e32 v1, v1
.LBB25_230:
	s_mov_b32 s27, 0
.LBB25_231:
	s_delay_alu instid0(SALU_CYCLE_1)
	s_and_not1_b32 vcc_lo, exec_lo, s27
	s_cbranch_vccnz .LBB25_233
; %bb.232:
	global_load_b32 v1, v[4:5], off
.LBB25_233:
	s_mov_b32 s27, 0
.LBB25_234:
	s_delay_alu instid0(SALU_CYCLE_1)
	s_and_not1_b32 vcc_lo, exec_lo, s27
	s_cbranch_vccnz .LBB25_245
; %bb.235:
	s_cmp_lt_i32 s0, 6
	s_cbranch_scc1 .LBB25_238
; %bb.236:
	s_cmp_gt_i32 s0, 6
	s_cbranch_scc0 .LBB25_239
; %bb.237:
	global_load_b64 v[6:7], v[4:5], off
	s_mov_b32 s27, 0
	s_wait_loadcnt 0x0
	v_and_or_b32 v1, 0x1ff, v7, v6
	v_lshrrev_b32_e32 v3, 8, v7
	v_bfe_u32 v6, v7, 20, 11
	s_delay_alu instid0(VALU_DEP_3) | instskip(NEXT) | instid1(VALU_DEP_2)
	v_cmp_ne_u32_e32 vcc_lo, 0, v1
	v_sub_nc_u32_e32 v8, 0x3f1, v6
	v_add_nc_u32_e32 v6, 0xfffffc10, v6
	v_cndmask_b32_e64 v1, 0, 1, vcc_lo
	s_delay_alu instid0(VALU_DEP_1) | instskip(NEXT) | instid1(VALU_DEP_4)
	v_and_or_b32 v1, 0xffe, v3, v1
	v_med3_i32 v3, v8, 0, 13
	s_delay_alu instid0(VALU_DEP_2) | instskip(NEXT) | instid1(VALU_DEP_1)
	v_or_b32_e32 v8, 0x1000, v1
	v_lshrrev_b32_e32 v9, v3, v8
	s_delay_alu instid0(VALU_DEP_1) | instskip(NEXT) | instid1(VALU_DEP_1)
	v_lshlrev_b32_e32 v3, v3, v9
	v_cmp_ne_u32_e32 vcc_lo, v3, v8
	v_lshl_or_b32 v8, v6, 12, v1
	v_cndmask_b32_e64 v3, 0, 1, vcc_lo
	v_cmp_gt_i32_e32 vcc_lo, 1, v6
	s_delay_alu instid0(VALU_DEP_2) | instskip(NEXT) | instid1(VALU_DEP_1)
	v_or_b32_e32 v3, v9, v3
	v_cndmask_b32_e32 v3, v8, v3, vcc_lo
	s_delay_alu instid0(VALU_DEP_1) | instskip(NEXT) | instid1(VALU_DEP_1)
	v_dual_lshrrev_b32 v3, 2, v3 :: v_dual_bitop2_b32 v8, 7, v3 bitop3:0x40
	v_cmp_lt_i32_e32 vcc_lo, 5, v8
	v_cndmask_b32_e64 v9, 0, 1, vcc_lo
	v_cmp_eq_u32_e32 vcc_lo, 3, v8
	v_cndmask_b32_e64 v8, 0, 1, vcc_lo
	v_cmp_ne_u32_e32 vcc_lo, 0, v1
	s_delay_alu instid0(VALU_DEP_2) | instskip(SKIP_1) | instid1(VALU_DEP_2)
	v_or_b32_e32 v8, v8, v9
	v_mov_b32_e32 v9, 0x7e00
	v_add_nc_u32_e32 v3, v3, v8
	s_delay_alu instid0(VALU_DEP_2) | instskip(SKIP_1) | instid1(VALU_DEP_3)
	v_cndmask_b32_e32 v1, 0x7c00, v9, vcc_lo
	v_cmp_gt_i32_e32 vcc_lo, 31, v6
	v_cndmask_b32_e32 v3, 0x7c00, v3, vcc_lo
	v_cmp_eq_u32_e32 vcc_lo, 0x40f, v6
	s_delay_alu instid0(VALU_DEP_2) | instskip(NEXT) | instid1(VALU_DEP_1)
	v_dual_cndmask_b32 v1, v3, v1, vcc_lo :: v_dual_lshrrev_b32 v3, 16, v7
	v_and_or_b32 v1, 0x8000, v3, v1
	s_branch .LBB25_240
.LBB25_238:
	s_mov_b32 s27, -1
                                        ; implicit-def: $vgpr1
	s_branch .LBB25_243
.LBB25_239:
	s_mov_b32 s27, -1
                                        ; implicit-def: $vgpr1
.LBB25_240:
	s_delay_alu instid0(SALU_CYCLE_1)
	s_and_not1_b32 vcc_lo, exec_lo, s27
	s_cbranch_vccnz .LBB25_242
; %bb.241:
	s_wait_loadcnt 0x0
	global_load_b32 v1, v[4:5], off
	s_wait_loadcnt 0x0
	v_cvt_f16_f32_e32 v1, v1
.LBB25_242:
	s_mov_b32 s27, 0
.LBB25_243:
	s_delay_alu instid0(SALU_CYCLE_1)
	s_and_not1_b32 vcc_lo, exec_lo, s27
	s_cbranch_vccnz .LBB25_245
; %bb.244:
	s_wait_loadcnt 0x0
	global_load_u16 v1, v[4:5], off
.LBB25_245:
	s_cbranch_execnz .LBB25_265
.LBB25_246:
	s_cmp_lt_i32 s0, 2
	s_cbranch_scc1 .LBB25_250
; %bb.247:
	s_cmp_lt_i32 s0, 3
	s_cbranch_scc1 .LBB25_251
; %bb.248:
	s_cmp_gt_i32 s0, 3
	s_cbranch_scc0 .LBB25_252
; %bb.249:
	global_load_b64 v[6:7], v[4:5], off
	s_mov_b32 s27, 0
	s_wait_loadcnt 0x0
	v_xor_b32_e32 v1, v6, v7
	v_cls_i32_e32 v3, v7
	s_delay_alu instid0(VALU_DEP_2) | instskip(NEXT) | instid1(VALU_DEP_1)
	v_ashrrev_i32_e32 v1, 31, v1
	v_add_nc_u32_e32 v1, 32, v1
	s_delay_alu instid0(VALU_DEP_1) | instskip(NEXT) | instid1(VALU_DEP_1)
	v_add_min_u32_e64 v1, v3, -1, v1
	v_lshlrev_b64_e32 v[6:7], v1, v[6:7]
	v_sub_nc_u32_e32 v1, 32, v1
	s_delay_alu instid0(VALU_DEP_2) | instskip(NEXT) | instid1(VALU_DEP_1)
	v_min_u32_e32 v3, 1, v6
	v_or_b32_e32 v3, v7, v3
	s_delay_alu instid0(VALU_DEP_1) | instskip(NEXT) | instid1(VALU_DEP_1)
	v_cvt_f32_i32_e32 v3, v3
	v_ldexp_f32 v1, v3, v1
	s_delay_alu instid0(VALU_DEP_1)
	v_cvt_f16_f32_e32 v1, v1
	s_branch .LBB25_253
.LBB25_250:
	s_mov_b32 s27, -1
                                        ; implicit-def: $vgpr1
	s_branch .LBB25_259
.LBB25_251:
	s_mov_b32 s27, -1
                                        ; implicit-def: $vgpr1
	s_branch .LBB25_256
.LBB25_252:
	s_mov_b32 s27, -1
                                        ; implicit-def: $vgpr1
.LBB25_253:
	s_delay_alu instid0(SALU_CYCLE_1)
	s_and_not1_b32 vcc_lo, exec_lo, s27
	s_cbranch_vccnz .LBB25_255
; %bb.254:
	s_wait_loadcnt 0x0
	global_load_b32 v1, v[4:5], off
	s_wait_loadcnt 0x0
	v_cvt_f32_i32_e32 v1, v1
	s_delay_alu instid0(VALU_DEP_1)
	v_cvt_f16_f32_e32 v1, v1
.LBB25_255:
	s_mov_b32 s27, 0
.LBB25_256:
	s_delay_alu instid0(SALU_CYCLE_1)
	s_and_not1_b32 vcc_lo, exec_lo, s27
	s_cbranch_vccnz .LBB25_258
; %bb.257:
	s_wait_loadcnt 0x0
	global_load_u16 v1, v[4:5], off
	s_wait_loadcnt 0x0
	v_cvt_f16_i16_e32 v1, v1
.LBB25_258:
	s_mov_b32 s27, 0
.LBB25_259:
	s_delay_alu instid0(SALU_CYCLE_1)
	s_and_not1_b32 vcc_lo, exec_lo, s27
	s_cbranch_vccnz .LBB25_265
; %bb.260:
	s_cmp_gt_i32 s0, 0
	s_mov_b32 s0, 0
	s_cbranch_scc0 .LBB25_262
; %bb.261:
	s_wait_loadcnt 0x0
	global_load_i8 v1, v[4:5], off
	s_wait_loadcnt 0x0
	v_cvt_f16_i16_e32 v1, v1
	s_branch .LBB25_263
.LBB25_262:
	s_mov_b32 s0, -1
                                        ; implicit-def: $vgpr1
.LBB25_263:
	s_delay_alu instid0(SALU_CYCLE_1)
	s_and_not1_b32 vcc_lo, exec_lo, s0
	s_cbranch_vccnz .LBB25_265
; %bb.264:
	s_wait_loadcnt 0x0
	global_load_u8 v1, v[4:5], off
	s_wait_loadcnt 0x0
	v_cvt_f16_u16_e32 v1, v1
.LBB25_265:
	s_branch .LBB25_26
.LBB25_266:
	s_mov_b32 s0, 0
.LBB25_267:
	s_mov_b32 s27, 0
                                        ; implicit-def: $vgpr0
.LBB25_268:
	s_and_b32 s41, s0, exec_lo
	s_and_b32 s42, s26, exec_lo
	s_or_not1_b32 s27, s27, exec_lo
.LBB25_269:
	s_wait_xcnt 0x0
	s_or_b32 exec_lo, exec_lo, s43
	s_mov_b32 s26, 0
	s_mov_b32 s0, 0
                                        ; implicit-def: $vgpr4_vgpr5
                                        ; implicit-def: $vgpr2
                                        ; implicit-def: $vgpr6
	s_and_saveexec_b32 s43, s27
	s_cbranch_execz .LBB25_277
; %bb.270:
	s_mov_b32 s0, -1
	s_mov_b32 s44, s42
	s_mov_b32 s45, s41
	s_mov_b32 s46, exec_lo
	v_cmpx_gt_i32_e64 s38, v0
	s_cbranch_execz .LBB25_550
; %bb.271:
	s_and_not1_b32 vcc_lo, exec_lo, s35
	s_cbranch_vccnz .LBB25_280
; %bb.272:
	s_and_not1_b32 vcc_lo, exec_lo, s40
	s_cbranch_vccnz .LBB25_281
; %bb.273:
	s_add_co_i32 s0, s39, 1
	s_cmp_eq_u32 s33, 2
	s_cbranch_scc1 .LBB25_282
; %bb.274:
	v_dual_mov_b32 v2, 0 :: v_dual_mov_b32 v4, 0
	s_wait_loadcnt 0x0
	v_mov_b32_e32 v1, v0
	s_and_b32 s26, s0, 28
	s_mov_b32 s27, 0
	s_mov_b64 s[28:29], s[2:3]
	s_mov_b64 s[30:31], s[24:25]
.LBB25_275:                             ; =>This Inner Loop Header: Depth=1
	s_clause 0x1
	s_load_b256 s[48:55], s[28:29], 0x4
	s_load_b128 s[64:67], s[28:29], 0x24
	s_load_b256 s[56:63], s[30:31], 0x0
	s_add_co_i32 s27, s27, 4
	s_wait_xcnt 0x0
	s_add_nc_u64 s[28:29], s[28:29], 48
	s_cmp_eq_u32 s26, s27
	s_add_nc_u64 s[30:31], s[30:31], 32
	s_wait_kmcnt 0x0
	v_mul_hi_u32 v3, s49, v1
	s_delay_alu instid0(VALU_DEP_1) | instskip(NEXT) | instid1(VALU_DEP_1)
	v_add_nc_u32_e32 v3, v1, v3
	v_lshrrev_b32_e32 v3, s50, v3
	s_delay_alu instid0(VALU_DEP_1) | instskip(NEXT) | instid1(VALU_DEP_1)
	v_mul_hi_u32 v5, s52, v3
	v_add_nc_u32_e32 v5, v3, v5
	s_delay_alu instid0(VALU_DEP_1) | instskip(NEXT) | instid1(VALU_DEP_1)
	v_lshrrev_b32_e32 v5, s53, v5
	v_mul_hi_u32 v6, s55, v5
	s_delay_alu instid0(VALU_DEP_1) | instskip(SKIP_1) | instid1(VALU_DEP_1)
	v_add_nc_u32_e32 v6, v5, v6
	v_mul_lo_u32 v7, v3, s48
	v_sub_nc_u32_e32 v1, v1, v7
	v_mul_lo_u32 v7, v5, s51
	s_delay_alu instid0(VALU_DEP_4) | instskip(NEXT) | instid1(VALU_DEP_3)
	v_lshrrev_b32_e32 v6, s64, v6
	v_mad_u32 v4, v1, s57, v4
	v_mad_u32 v1, v1, s56, v2
	s_delay_alu instid0(VALU_DEP_4) | instskip(NEXT) | instid1(VALU_DEP_4)
	v_sub_nc_u32_e32 v2, v3, v7
	v_mul_hi_u32 v8, s66, v6
	v_mul_lo_u32 v3, v6, s54
	s_delay_alu instid0(VALU_DEP_3) | instskip(SKIP_1) | instid1(VALU_DEP_3)
	v_mad_u32 v4, v2, s59, v4
	v_mad_u32 v2, v2, s58, v1
	v_dual_add_nc_u32 v7, v6, v8 :: v_dual_sub_nc_u32 v3, v5, v3
	s_delay_alu instid0(VALU_DEP_1) | instskip(NEXT) | instid1(VALU_DEP_2)
	v_lshrrev_b32_e32 v1, s67, v7
	v_mad_u32 v4, v3, s61, v4
	s_delay_alu instid0(VALU_DEP_4) | instskip(NEXT) | instid1(VALU_DEP_3)
	v_mad_u32 v2, v3, s60, v2
	v_mul_lo_u32 v5, v1, s65
	s_delay_alu instid0(VALU_DEP_1) | instskip(NEXT) | instid1(VALU_DEP_1)
	v_sub_nc_u32_e32 v3, v6, v5
	v_mad_u32 v4, v3, s63, v4
	s_delay_alu instid0(VALU_DEP_4)
	v_mad_u32 v2, v3, s62, v2
	s_cbranch_scc0 .LBB25_275
; %bb.276:
	s_delay_alu instid0(VALU_DEP_2)
	v_mov_b32_e32 v3, v4
	s_branch .LBB25_283
.LBB25_277:
	s_or_b32 exec_lo, exec_lo, s43
	s_mov_b32 s1, 0
	s_and_saveexec_b32 s6, s42
	s_cbranch_execnz .LBB25_934
.LBB25_278:
	s_or_b32 exec_lo, exec_lo, s6
	s_and_saveexec_b32 s6, s21
	s_delay_alu instid0(SALU_CYCLE_1)
	s_xor_b32 s6, exec_lo, s6
	s_cbranch_execz .LBB25_935
.LBB25_279:
	global_load_u8 v0, v[4:5], off
	s_or_b32 s0, s0, exec_lo
	s_wait_loadcnt 0x0
	v_cmp_ne_u16_e32 vcc_lo, 0, v0
	v_cndmask_b32_e64 v6, 0, 0x3c00, vcc_lo
	s_wait_xcnt 0x0
	s_or_b32 exec_lo, exec_lo, s6
	s_and_saveexec_b32 s6, s26
	s_cbranch_execz .LBB25_981
	s_branch .LBB25_936
.LBB25_280:
                                        ; implicit-def: $vgpr4
                                        ; implicit-def: $vgpr2
	s_and_not1_b32 vcc_lo, exec_lo, s0
	s_cbranch_vccnz .LBB25_290
	s_branch .LBB25_288
.LBB25_281:
	v_dual_mov_b32 v4, 0 :: v_dual_mov_b32 v2, 0
	s_branch .LBB25_287
.LBB25_282:
	v_mov_b64_e32 v[2:3], 0
	s_wait_loadcnt 0x0
	v_mov_b32_e32 v1, v0
                                        ; implicit-def: $vgpr4
.LBB25_283:
	s_and_b32 s0, s0, 3
	s_mov_b32 s27, 0
	s_cmp_eq_u32 s0, 0
	s_cbranch_scc1 .LBB25_287
; %bb.284:
	s_lshl_b32 s28, s26, 3
	s_mov_b32 s29, s27
	s_mul_u64 s[30:31], s[26:27], 12
	s_add_nc_u64 s[28:29], s[2:3], s[28:29]
	s_delay_alu instid0(SALU_CYCLE_1)
	s_add_nc_u64 s[26:27], s[28:29], 0xc4
	s_add_nc_u64 s[28:29], s[2:3], s[30:31]
.LBB25_285:                             ; =>This Inner Loop Header: Depth=1
	s_load_b96 s[48:50], s[28:29], 0x4
	s_load_b64 s[30:31], s[26:27], 0x0
	s_add_co_i32 s0, s0, -1
	s_wait_xcnt 0x0
	s_add_nc_u64 s[28:29], s[28:29], 12
	s_cmp_lg_u32 s0, 0
	s_add_nc_u64 s[26:27], s[26:27], 8
	s_wait_kmcnt 0x0
	v_mul_hi_u32 v4, s49, v1
	s_delay_alu instid0(VALU_DEP_1) | instskip(NEXT) | instid1(VALU_DEP_1)
	v_add_nc_u32_e32 v4, v1, v4
	v_lshrrev_b32_e32 v4, s50, v4
	s_delay_alu instid0(VALU_DEP_1) | instskip(NEXT) | instid1(VALU_DEP_1)
	v_mul_lo_u32 v5, v4, s48
	v_sub_nc_u32_e32 v1, v1, v5
	s_delay_alu instid0(VALU_DEP_1)
	v_mad_u32 v3, v1, s31, v3
	v_mad_u32 v2, v1, s30, v2
	v_mov_b32_e32 v1, v4
	s_cbranch_scc1 .LBB25_285
; %bb.286:
	s_delay_alu instid0(VALU_DEP_3)
	v_mov_b32_e32 v4, v3
.LBB25_287:
	s_cbranch_execnz .LBB25_290
.LBB25_288:
	s_wait_loadcnt 0x0
	v_mov_b32_e32 v1, 0
	s_and_not1_b32 vcc_lo, exec_lo, s37
	s_delay_alu instid0(VALU_DEP_1) | instskip(NEXT) | instid1(VALU_DEP_1)
	v_mul_u64_e32 v[2:3], s[20:21], v[0:1]
	v_add_nc_u32_e32 v2, v0, v3
	s_delay_alu instid0(VALU_DEP_1) | instskip(NEXT) | instid1(VALU_DEP_1)
	v_lshrrev_b32_e32 v6, s10, v2
	v_mul_lo_u32 v2, v6, s8
	s_delay_alu instid0(VALU_DEP_1) | instskip(NEXT) | instid1(VALU_DEP_1)
	v_sub_nc_u32_e32 v2, v0, v2
	v_mul_lo_u32 v4, v2, s13
	v_mul_lo_u32 v2, v2, s12
	s_cbranch_vccnz .LBB25_290
; %bb.289:
	v_mov_b32_e32 v7, v1
	s_delay_alu instid0(VALU_DEP_1) | instskip(NEXT) | instid1(VALU_DEP_1)
	v_mul_u64_e32 v[8:9], s[22:23], v[6:7]
	v_add_nc_u32_e32 v1, v6, v9
	s_delay_alu instid0(VALU_DEP_1) | instskip(NEXT) | instid1(VALU_DEP_1)
	v_lshrrev_b32_e32 v1, s1, v1
	v_mul_lo_u32 v1, v1, s11
	s_delay_alu instid0(VALU_DEP_1) | instskip(NEXT) | instid1(VALU_DEP_1)
	v_sub_nc_u32_e32 v1, v6, v1
	v_mad_u32 v2, v1, s14, v2
	v_mad_u32 v4, v1, s15, v4
.LBB25_290:
	v_mov_b32_e32 v5, 0
	s_and_b32 s0, 0xffff, s9
	s_delay_alu instid0(SALU_CYCLE_1) | instskip(NEXT) | instid1(VALU_DEP_1)
	s_cmp_lt_i32 s0, 11
	v_add_nc_u64_e32 v[4:5], s[6:7], v[4:5]
	s_cbranch_scc1 .LBB25_297
; %bb.291:
	s_cmp_gt_i32 s0, 25
	s_cbranch_scc0 .LBB25_308
; %bb.292:
	s_cmp_gt_i32 s0, 28
	s_cbranch_scc0 .LBB25_310
	;; [unrolled: 3-line block ×4, first 2 shown]
; %bb.295:
	s_cmp_eq_u32 s0, 46
	s_mov_b32 s28, 0
	s_cbranch_scc0 .LBB25_320
; %bb.296:
	s_wait_loadcnt 0x0
	global_load_b32 v1, v[4:5], off
	s_mov_b32 s27, -1
	s_mov_b32 s26, 0
	s_wait_loadcnt 0x0
	v_lshlrev_b32_e32 v1, 16, v1
	s_delay_alu instid0(VALU_DEP_1)
	v_cvt_f16_f32_e32 v1, v1
	s_branch .LBB25_322
.LBB25_297:
	s_mov_b32 s27, 0
	s_mov_b32 s26, s42
                                        ; implicit-def: $vgpr1
	s_cbranch_execnz .LBB25_499
.LBB25_298:
	s_and_not1_b32 vcc_lo, exec_lo, s27
	s_cbranch_vccnz .LBB25_547
.LBB25_299:
	s_wait_loadcnt 0x0
	s_delay_alu instid0(VALU_DEP_1) | instskip(SKIP_1) | instid1(VALU_DEP_1)
	v_cvt_f32_f16_e32 v3, v1
	s_mov_b32 s0, exec_lo
	v_mul_f32_e32 v3, s16, v3
	s_wait_xcnt 0x0
	s_delay_alu instid0(VALU_DEP_1)
	v_cmpx_nlt_f32_e32 s17, v3
	s_cbranch_execz .LBB25_301
; %bb.300:
	v_mul_f32_e32 v1, 0x3fb8aa3b, v3
	v_cmp_ngt_f32_e32 vcc_lo, 0xc2ce8ed0, v3
	s_mov_b32 s27, 0x3e9b6dac
	s_delay_alu instid0(VALU_DEP_2) | instskip(SKIP_1) | instid1(VALU_DEP_2)
	v_rndne_f32_e32 v4, v1
	v_fma_f32 v5, 0x3fb8aa3b, v3, -v1
	v_sub_f32_e32 v1, v1, v4
	s_delay_alu instid0(VALU_DEP_2) | instskip(SKIP_1) | instid1(VALU_DEP_2)
	v_fmamk_f32 v5, v3, 0x32a5705f, v5
	v_cvt_i32_f32_e32 v4, v4
	v_add_f32_e32 v1, v1, v5
	s_delay_alu instid0(VALU_DEP_1) | instskip(SKIP_1) | instid1(TRANS32_DEP_1)
	v_exp_f32_e32 v1, v1
	v_nop
	v_ldexp_f32 v1, v1, v4
	s_delay_alu instid0(VALU_DEP_1) | instskip(SKIP_1) | instid1(VALU_DEP_2)
	v_cndmask_b32_e32 v1, 0, v1, vcc_lo
	v_cmp_nlt_f32_e32 vcc_lo, 0x42b17218, v3
	v_cndmask_b32_e32 v3, 0x7f800000, v1, vcc_lo
	s_delay_alu instid0(VALU_DEP_1) | instskip(NEXT) | instid1(VALU_DEP_1)
	v_add_f32_e32 v1, 1.0, v3
	v_cvt_f64_f32_e32 v[4:5], v1
	s_delay_alu instid0(VALU_DEP_1) | instskip(SKIP_1) | instid1(VALU_DEP_1)
	v_frexp_exp_i32_f64_e32 v4, v[4:5]
	v_frexp_mant_f32_e32 v5, v1
	v_cmp_gt_f32_e32 vcc_lo, 0x3f2aaaab, v5
	s_delay_alu instid0(VALU_DEP_3) | instskip(NEXT) | instid1(VALU_DEP_1)
	v_subrev_co_ci_u32_e64 v10, null, 0, v4, vcc_lo
	v_dual_add_f32 v4, -1.0, v1 :: v_dual_sub_nc_u32 v5, 0, v10
	s_delay_alu instid0(VALU_DEP_1) | instskip(SKIP_1) | instid1(VALU_DEP_3)
	v_dual_sub_f32 v6, v4, v1 :: v_dual_sub_f32 v4, v3, v4
	v_cmp_neq_f32_e32 vcc_lo, 0x7f800000, v3
	v_ldexp_f32 v1, v1, v5
	s_delay_alu instid0(VALU_DEP_1) | instskip(NEXT) | instid1(VALU_DEP_1)
	v_dual_add_f32 v6, 1.0, v6 :: v_dual_add_f32 v7, 1.0, v1
	v_dual_add_f32 v9, -1.0, v1 :: v_dual_add_f32 v4, v4, v6
	s_delay_alu instid0(VALU_DEP_1) | instskip(NEXT) | instid1(VALU_DEP_3)
	v_ldexp_f32 v4, v4, v5
	v_add_f32_e32 v6, -1.0, v7
	s_delay_alu instid0(VALU_DEP_1) | instskip(NEXT) | instid1(VALU_DEP_1)
	v_dual_sub_f32 v5, v1, v6 :: v_dual_add_f32 v6, 1.0, v9
	v_dual_sub_f32 v1, v1, v6 :: v_dual_add_f32 v8, v4, v5
	s_delay_alu instid0(VALU_DEP_1) | instskip(NEXT) | instid1(VALU_DEP_1)
	v_dual_add_f32 v1, v4, v1 :: v_dual_add_f32 v11, v7, v8
	v_dual_add_f32 v5, v9, v1 :: v_dual_sub_f32 v4, v7, v11
	v_rcp_f32_e32 v12, v11
	s_delay_alu instid0(VALU_DEP_1) | instskip(NEXT) | instid1(TRANS32_DEP_1)
	v_dual_sub_f32 v15, v9, v5 :: v_dual_add_f32 v14, v8, v4
	v_mul_f32_e32 v13, v5, v12
	s_delay_alu instid0(VALU_DEP_1) | instskip(NEXT) | instid1(VALU_DEP_1)
	v_dual_add_f32 v1, v1, v15 :: v_dual_mul_f32 v6, v11, v13
	v_fma_f32 v8, v13, v11, -v6
	s_delay_alu instid0(VALU_DEP_1) | instskip(NEXT) | instid1(VALU_DEP_1)
	v_fmac_f32_e32 v8, v13, v14
	v_add_f32_e32 v4, v6, v8
	s_delay_alu instid0(VALU_DEP_1) | instskip(NEXT) | instid1(VALU_DEP_1)
	v_dual_sub_f32 v7, v5, v4 :: v_dual_mov_b32 v9, v4
	v_pk_add_f32 v[4:5], v[4:5], v[6:7] neg_lo:[0,1] neg_hi:[0,1]
	s_delay_alu instid0(VALU_DEP_1) | instskip(NEXT) | instid1(VALU_DEP_1)
	v_pk_add_f32 v[4:5], v[4:5], v[8:9] neg_lo:[0,1] neg_hi:[0,1]
	v_add_f32_e32 v1, v1, v5
	s_delay_alu instid0(VALU_DEP_1) | instskip(NEXT) | instid1(VALU_DEP_1)
	v_add_f32_e32 v1, v4, v1
	v_add_f32_e32 v5, v7, v1
	s_delay_alu instid0(VALU_DEP_1) | instskip(NEXT) | instid1(VALU_DEP_1)
	v_mul_f32_e32 v15, v12, v5
	v_mul_f32_e32 v8, v11, v15
	s_delay_alu instid0(VALU_DEP_1) | instskip(SKIP_1) | instid1(VALU_DEP_1)
	v_fma_f32 v6, v15, v11, -v8
	v_sub_f32_e32 v11, v7, v5
	v_dual_fmac_f32 v6, v15, v14 :: v_dual_add_f32 v1, v1, v11
	s_delay_alu instid0(VALU_DEP_1) | instskip(NEXT) | instid1(VALU_DEP_1)
	v_add_f32_e32 v4, v8, v6
	v_dual_sub_f32 v9, v5, v4 :: v_dual_mov_b32 v7, v4
	s_delay_alu instid0(VALU_DEP_1) | instskip(NEXT) | instid1(VALU_DEP_1)
	v_pk_add_f32 v[4:5], v[4:5], v[8:9] neg_lo:[0,1] neg_hi:[0,1]
	v_pk_add_f32 v[4:5], v[4:5], v[6:7] neg_lo:[0,1] neg_hi:[0,1]
	v_cvt_f32_i32_e32 v6, v10
	s_delay_alu instid0(VALU_DEP_2) | instskip(NEXT) | instid1(VALU_DEP_1)
	v_add_f32_e32 v1, v1, v5
	v_dual_add_f32 v8, v13, v15 :: v_dual_add_f32 v1, v4, v1
	s_delay_alu instid0(VALU_DEP_1) | instskip(NEXT) | instid1(VALU_DEP_1)
	v_sub_f32_e32 v4, v8, v13
	v_dual_add_f32 v1, v9, v1 :: v_dual_sub_f32 v4, v15, v4
	s_delay_alu instid0(VALU_DEP_1) | instskip(NEXT) | instid1(VALU_DEP_1)
	v_mul_f32_e32 v1, v12, v1
	v_dual_add_f32 v1, v4, v1 :: v_dual_mov_b32 v4, 0x3f317218
	s_delay_alu instid0(VALU_DEP_1) | instskip(NEXT) | instid1(VALU_DEP_1)
	v_add_f32_e32 v9, v8, v1
	v_mul_f32_e32 v5, v9, v9
	s_delay_alu instid0(VALU_DEP_1) | instskip(SKIP_1) | instid1(VALU_DEP_2)
	v_fmaak_f32 v11, s27, v5, 0x3ecc95a3
	v_mul_f32_e32 v7, v9, v5
	v_fmaak_f32 v5, v5, v11, 0x3f2aaada
	s_delay_alu instid0(VALU_DEP_1) | instskip(NEXT) | instid1(VALU_DEP_1)
	v_pk_mul_f32 v[4:5], v[6:7], v[4:5]
	v_fma_f32 v10, 0x3f317218, v6, -v4
	s_delay_alu instid0(VALU_DEP_1) | instskip(SKIP_1) | instid1(VALU_DEP_1)
	v_fmamk_f32 v6, v6, 0xb102e308, v10
	v_sub_f32_e32 v10, v9, v8
	v_sub_f32_e32 v1, v1, v10
	v_ldexp_f32 v7, v9, 1
	v_mov_b32_e32 v10, v4
	s_delay_alu instid0(VALU_DEP_3) | instskip(NEXT) | instid1(VALU_DEP_3)
	v_ldexp_f32 v1, v1, 1
	v_pk_add_f32 v[8:9], v[4:5], v[6:7]
	s_delay_alu instid0(VALU_DEP_1) | instskip(NEXT) | instid1(VALU_DEP_1)
	v_dual_sub_f32 v7, v9, v7 :: v_dual_mov_b32 v18, v9
	v_sub_f32_e32 v7, v5, v7
	s_delay_alu instid0(VALU_DEP_3) | instskip(NEXT) | instid1(VALU_DEP_2)
	v_pk_add_f32 v[4:5], v[8:9], v[4:5] neg_lo:[0,1] neg_hi:[0,1]
	v_dual_add_f32 v11, v1, v7 :: v_dual_mov_b32 v7, v8
	s_delay_alu instid0(VALU_DEP_1) | instskip(NEXT) | instid1(VALU_DEP_1)
	v_pk_add_f32 v[12:13], v[8:9], v[10:11]
	v_mov_b32_e32 v5, v13
	s_delay_alu instid0(VALU_DEP_1) | instskip(SKIP_2) | instid1(VALU_DEP_3)
	v_pk_add_f32 v[14:15], v[6:7], v[4:5]
	v_mov_b32_e32 v14, v13
	v_pk_add_f32 v[4:5], v[6:7], v[4:5] neg_lo:[0,1] neg_hi:[0,1]
	v_dual_mov_b32 v10, v15 :: v_dual_mov_b32 v5, v15
	s_delay_alu instid0(VALU_DEP_1) | instskip(SKIP_1) | instid1(VALU_DEP_2)
	v_pk_add_f32 v[16:17], v[10:11], v[8:9] neg_lo:[0,1] neg_hi:[0,1]
	v_dual_mov_b32 v9, v8 :: v_dual_mov_b32 v8, v11
	v_dual_mov_b32 v1, v16 :: v_dual_mov_b32 v19, v16
	s_delay_alu instid0(VALU_DEP_1) | instskip(NEXT) | instid1(VALU_DEP_2)
	v_pk_add_f32 v[12:13], v[12:13], v[0:1] neg_lo:[0,1] neg_hi:[0,1]
	v_pk_add_f32 v[6:7], v[14:15], v[18:19] neg_lo:[0,1] neg_hi:[0,1]
	v_mov_b32_e32 v12, v4
	s_delay_alu instid0(VALU_DEP_2) | instskip(NEXT) | instid1(VALU_DEP_1)
	v_pk_add_f32 v[6:7], v[8:9], v[6:7] neg_lo:[0,1] neg_hi:[0,1]
	v_pk_add_f32 v[8:9], v[12:13], v[6:7]
	s_delay_alu instid0(VALU_DEP_1) | instskip(NEXT) | instid1(VALU_DEP_1)
	v_mov_b32_e32 v12, v9
	v_pk_add_f32 v[12:13], v[8:9], v[12:13]
	s_delay_alu instid0(VALU_DEP_1) | instskip(NEXT) | instid1(VALU_DEP_1)
	v_pk_add_f32 v[10:11], v[10:11], v[12:13]
	v_mov_b32_e32 v9, v10
	s_delay_alu instid0(VALU_DEP_1) | instskip(NEXT) | instid1(VALU_DEP_1)
	v_pk_add_f32 v[14:15], v[8:9], v[4:5] neg_lo:[0,1] neg_hi:[0,1]
	v_sub_f32_e32 v1, v8, v14
	s_delay_alu instid0(VALU_DEP_1) | instskip(SKIP_1) | instid1(VALU_DEP_1)
	v_sub_f32_e32 v1, v4, v1
	v_mov_b32_e32 v7, v12
	v_pk_add_f32 v[6:7], v[6:7], v[14:15] neg_lo:[0,1] neg_hi:[0,1]
	s_delay_alu instid0(VALU_DEP_1) | instskip(NEXT) | instid1(VALU_DEP_1)
	v_add_f32_e32 v1, v6, v1
	v_add_f32_e32 v1, v1, v7
	s_delay_alu instid0(VALU_DEP_1) | instskip(NEXT) | instid1(VALU_DEP_1)
	v_add_f32_e32 v1, v10, v1
	v_cndmask_b32_e32 v1, 0x7f800000, v1, vcc_lo
	v_cmp_gt_f32_e64 vcc_lo, 0x33800000, |v3|
	s_delay_alu instid0(VALU_DEP_2) | instskip(NEXT) | instid1(VALU_DEP_1)
	v_cndmask_b32_e32 v1, v1, v3, vcc_lo
	v_div_scale_f32 v3, null, s16, s16, v1
	s_delay_alu instid0(VALU_DEP_1) | instskip(SKIP_1) | instid1(TRANS32_DEP_1)
	v_rcp_f32_e32 v4, v3
	v_nop
	v_fma_f32 v5, -v3, v4, 1.0
	s_delay_alu instid0(VALU_DEP_1) | instskip(SKIP_1) | instid1(VALU_DEP_1)
	v_fmac_f32_e32 v4, v5, v4
	v_div_scale_f32 v5, vcc_lo, v1, s16, v1
	v_mul_f32_e32 v6, v5, v4
	s_delay_alu instid0(VALU_DEP_1) | instskip(NEXT) | instid1(VALU_DEP_1)
	v_fma_f32 v7, -v3, v6, v5
	v_fmac_f32_e32 v6, v7, v4
	s_delay_alu instid0(VALU_DEP_1) | instskip(NEXT) | instid1(VALU_DEP_1)
	v_fma_f32 v3, -v3, v6, v5
	v_div_fmas_f32 v3, v3, v4, v6
	s_delay_alu instid0(VALU_DEP_1) | instskip(NEXT) | instid1(VALU_DEP_1)
	v_div_fixup_f32 v1, v3, s16, v1
	v_cvt_f16_f32_e32 v1, v1
.LBB25_301:
	s_or_b32 exec_lo, exec_lo, s0
	v_mov_b32_e32 v3, 0
	s_and_b32 s27, s18, 0xff
	s_delay_alu instid0(SALU_CYCLE_1) | instskip(NEXT) | instid1(VALU_DEP_1)
	s_cmp_lt_i32 s27, 11
	v_add_nc_u64_e32 v[2:3], s[4:5], v[2:3]
	s_cbranch_scc1 .LBB25_309
; %bb.302:
	s_and_b32 s28, 0xffff, s27
	s_delay_alu instid0(SALU_CYCLE_1)
	s_cmp_gt_i32 s28, 25
	s_cbranch_scc0 .LBB25_311
; %bb.303:
	s_cmp_gt_i32 s28, 28
	s_cbranch_scc0 .LBB25_313
; %bb.304:
	;; [unrolled: 3-line block ×4, first 2 shown]
	s_mov_b32 s30, 0
	s_mov_b32 s0, -1
	s_cmp_eq_u32 s28, 46
	s_mov_b32 s29, 0
	s_cbranch_scc0 .LBB25_326
; %bb.307:
	v_cvt_f32_f16_e32 v4, v1
	v_cmp_o_f16_e32 vcc_lo, v1, v1
	s_mov_b32 s29, -1
	s_mov_b32 s0, 0
	s_delay_alu instid0(VALU_DEP_2) | instskip(NEXT) | instid1(VALU_DEP_1)
	v_bfe_u32 v5, v4, 16, 1
	v_add3_u32 v4, v4, v5, 0x7fff
	s_delay_alu instid0(VALU_DEP_1) | instskip(NEXT) | instid1(VALU_DEP_1)
	v_lshrrev_b32_e32 v4, 16, v4
	v_cndmask_b32_e32 v4, 0x7fc0, v4, vcc_lo
	global_store_b32 v[2:3], v4, off
	s_branch .LBB25_326
.LBB25_308:
	s_mov_b32 s28, -1
	s_mov_b32 s27, 0
	s_mov_b32 s26, s42
                                        ; implicit-def: $vgpr1
	s_branch .LBB25_463
.LBB25_309:
	s_mov_b32 s28, -1
	s_mov_b32 s29, 0
	s_mov_b32 s0, s41
	s_branch .LBB25_395
.LBB25_310:
	s_mov_b32 s28, -1
	s_mov_b32 s27, 0
	s_mov_b32 s26, s42
                                        ; implicit-def: $vgpr1
	s_branch .LBB25_444
.LBB25_311:
	s_mov_b32 s30, -1
	s_mov_b32 s29, 0
	s_mov_b32 s0, s41
	s_branch .LBB25_353
.LBB25_312:
	s_mov_b32 s28, -1
	s_mov_b32 s27, 0
	s_mov_b32 s26, s42
                                        ; implicit-def: $vgpr1
	s_branch .LBB25_439
.LBB25_313:
	s_mov_b32 s30, -1
	s_mov_b32 s29, 0
	s_mov_b32 s0, s41
	s_branch .LBB25_336
.LBB25_314:
	s_and_not1_saveexec_b32 s31, s31
	s_cbranch_execz .LBB25_71
.LBB25_315:
	v_add_f32_e64 v5, 0x46000000, |v4|
	s_and_not1_b32 s30, s30, exec_lo
	s_delay_alu instid0(VALU_DEP_1) | instskip(NEXT) | instid1(VALU_DEP_1)
	v_and_b32_e32 v5, 0xff, v5
	v_cmp_ne_u32_e32 vcc_lo, 0, v5
	s_and_b32 s41, vcc_lo, exec_lo
	s_delay_alu instid0(SALU_CYCLE_1)
	s_or_b32 s30, s30, s41
	s_or_b32 exec_lo, exec_lo, s31
	v_mov_b32_e32 v6, 0
	s_and_saveexec_b32 s31, s30
	s_cbranch_execnz .LBB25_72
	s_branch .LBB25_73
.LBB25_316:
	s_mov_b32 s28, -1
	s_mov_b32 s27, 0
	s_mov_b32 s26, s42
	s_branch .LBB25_321
.LBB25_317:
	s_mov_b32 s30, -1
	s_mov_b32 s29, 0
	s_mov_b32 s0, s41
	s_branch .LBB25_332
.LBB25_318:
	s_and_not1_saveexec_b32 s31, s31
	s_cbranch_execz .LBB25_84
.LBB25_319:
	v_add_f32_e64 v5, 0x42800000, |v4|
	s_and_not1_b32 s30, s30, exec_lo
	s_delay_alu instid0(VALU_DEP_1) | instskip(NEXT) | instid1(VALU_DEP_1)
	v_and_b32_e32 v5, 0xff, v5
	v_cmp_ne_u32_e32 vcc_lo, 0, v5
	s_and_b32 s41, vcc_lo, exec_lo
	s_delay_alu instid0(SALU_CYCLE_1)
	s_or_b32 s30, s30, s41
	s_or_b32 exec_lo, exec_lo, s31
	v_mov_b32_e32 v6, 0
	s_and_saveexec_b32 s31, s30
	s_cbranch_execnz .LBB25_85
	s_branch .LBB25_86
.LBB25_320:
	s_mov_b32 s26, -1
	s_mov_b32 s27, 0
.LBB25_321:
                                        ; implicit-def: $vgpr1
.LBB25_322:
	s_and_b32 vcc_lo, exec_lo, s28
	s_cbranch_vccz .LBB25_438
; %bb.323:
	s_cmp_eq_u32 s0, 44
	s_cbranch_scc0 .LBB25_437
; %bb.324:
	s_wait_loadcnt 0x0
	global_load_u8 v1, v[4:5], off
	s_mov_b32 s26, 0
	s_mov_b32 s27, -1
	s_wait_loadcnt 0x0
	v_lshlrev_b32_e32 v3, 23, v1
	v_cmp_ne_u32_e32 vcc_lo, 0xff, v1
	s_delay_alu instid0(VALU_DEP_2) | instskip(NEXT) | instid1(VALU_DEP_1)
	v_cvt_f16_f32_e32 v3, v3
	v_cndmask_b32_e32 v3, 0x7e00, v3, vcc_lo
	v_cmp_ne_u32_e32 vcc_lo, 0, v1
	s_delay_alu instid0(VALU_DEP_2)
	v_cndmask_b32_e32 v1, 0, v3, vcc_lo
	s_branch .LBB25_438
.LBB25_325:
	s_mov_b32 s30, -1
	s_mov_b32 s29, 0
	s_mov_b32 s0, s41
.LBB25_326:
	s_and_b32 vcc_lo, exec_lo, s30
	s_cbranch_vccz .LBB25_331
; %bb.327:
	s_cmp_eq_u32 s28, 44
	s_mov_b32 s0, -1
	s_cbranch_scc0 .LBB25_331
; %bb.328:
	s_wait_xcnt 0x0
	v_cvt_f32_f16_e32 v4, v1
	v_mov_b32_e32 v5, 0xff
	s_mov_b32 s29, exec_lo
	s_delay_alu instid0(VALU_DEP_2) | instskip(NEXT) | instid1(VALU_DEP_1)
	v_bfe_u32 v6, v4, 23, 8
	v_cmpx_ne_u32_e32 0xff, v6
	s_cbranch_execz .LBB25_330
; %bb.329:
	v_and_b32_e32 v5, 0x400000, v4
	v_and_or_b32 v6, 0x3fffff, v4, v6
	v_lshrrev_b32_e32 v4, 23, v4
	s_delay_alu instid0(VALU_DEP_3) | instskip(NEXT) | instid1(VALU_DEP_3)
	v_cmp_ne_u32_e32 vcc_lo, 0, v5
	v_cmp_ne_u32_e64 s0, 0, v6
	s_and_b32 s0, vcc_lo, s0
	s_delay_alu instid0(SALU_CYCLE_1) | instskip(NEXT) | instid1(VALU_DEP_1)
	v_cndmask_b32_e64 v5, 0, 1, s0
	v_add_nc_u32_e32 v5, v4, v5
.LBB25_330:
	s_or_b32 exec_lo, exec_lo, s29
	s_mov_b32 s29, -1
	s_mov_b32 s0, 0
	global_store_b8 v[2:3], v5, off
.LBB25_331:
	s_mov_b32 s30, 0
.LBB25_332:
	s_delay_alu instid0(SALU_CYCLE_1)
	s_and_b32 vcc_lo, exec_lo, s30
	s_cbranch_vccz .LBB25_335
; %bb.333:
	s_cmp_eq_u32 s28, 29
	s_mov_b32 s0, -1
	s_cbranch_scc0 .LBB25_335
; %bb.334:
	s_wait_xcnt 0x0
	v_cvt_f32_f16_e32 v4, v1
	v_mov_b32_e32 v5, 0
	s_mov_b32 s29, -1
	s_mov_b32 s0, 0
	s_mov_b32 s30, 0
	v_cvt_u32_f32_e32 v4, v4
	global_store_b64 v[2:3], v[4:5], off
	s_branch .LBB25_336
.LBB25_335:
	s_mov_b32 s30, 0
.LBB25_336:
	s_delay_alu instid0(SALU_CYCLE_1)
	s_and_b32 vcc_lo, exec_lo, s30
	s_cbranch_vccz .LBB25_352
; %bb.337:
	s_cmp_lt_i32 s28, 27
	s_mov_b32 s29, -1
	s_cbranch_scc1 .LBB25_343
; %bb.338:
	s_cmp_gt_i32 s28, 27
	s_cbranch_scc0 .LBB25_340
; %bb.339:
	s_wait_xcnt 0x0
	v_cvt_f32_f16_e32 v4, v1
	s_mov_b32 s29, 0
	s_delay_alu instid0(VALU_DEP_1)
	v_cvt_u32_f32_e32 v4, v4
	global_store_b32 v[2:3], v4, off
.LBB25_340:
	s_and_not1_b32 vcc_lo, exec_lo, s29
	s_cbranch_vccnz .LBB25_342
; %bb.341:
	s_wait_xcnt 0x0
	v_cvt_u16_f16_e32 v4, v1
	global_store_b16 v[2:3], v4, off
.LBB25_342:
	s_mov_b32 s29, 0
.LBB25_343:
	s_delay_alu instid0(SALU_CYCLE_1)
	s_and_not1_b32 vcc_lo, exec_lo, s29
	s_cbranch_vccnz .LBB25_351
; %bb.344:
	s_wait_xcnt 0x0
	v_cvt_f32_f16_e32 v4, v1
	v_mov_b32_e32 v6, 0x80
	s_mov_b32 s29, exec_lo
	s_delay_alu instid0(VALU_DEP_2) | instskip(NEXT) | instid1(VALU_DEP_1)
	v_and_b32_e32 v5, 0x7fffffff, v4
	v_cmpx_gt_u32_e32 0x43800000, v5
	s_cbranch_execz .LBB25_350
; %bb.345:
	v_cmp_lt_u32_e32 vcc_lo, 0x3bffffff, v5
	s_mov_b32 s30, 0
                                        ; implicit-def: $vgpr5
	s_and_saveexec_b32 s31, vcc_lo
	s_delay_alu instid0(SALU_CYCLE_1)
	s_xor_b32 s31, exec_lo, s31
	s_cbranch_execz .LBB25_580
; %bb.346:
	v_bfe_u32 v5, v4, 20, 1
	s_mov_b32 s30, exec_lo
	s_delay_alu instid0(VALU_DEP_1) | instskip(NEXT) | instid1(VALU_DEP_1)
	v_add3_u32 v5, v4, v5, 0x487ffff
	v_lshrrev_b32_e32 v5, 20, v5
	s_and_not1_saveexec_b32 s31, s31
	s_cbranch_execnz .LBB25_581
.LBB25_347:
	s_or_b32 exec_lo, exec_lo, s31
	v_mov_b32_e32 v6, 0
	s_and_saveexec_b32 s31, s30
.LBB25_348:
	v_lshrrev_b32_e32 v4, 24, v4
	s_delay_alu instid0(VALU_DEP_1)
	v_and_or_b32 v6, 0x80, v4, v5
.LBB25_349:
	s_or_b32 exec_lo, exec_lo, s31
.LBB25_350:
	s_delay_alu instid0(SALU_CYCLE_1)
	s_or_b32 exec_lo, exec_lo, s29
	global_store_b8 v[2:3], v6, off
.LBB25_351:
	s_mov_b32 s29, -1
.LBB25_352:
	s_mov_b32 s30, 0
.LBB25_353:
	s_delay_alu instid0(SALU_CYCLE_1)
	s_and_b32 vcc_lo, exec_lo, s30
	s_cbranch_vccz .LBB25_394
; %bb.354:
	s_cmp_gt_i32 s28, 22
	s_mov_b32 s30, -1
	s_cbranch_scc0 .LBB25_386
; %bb.355:
	s_cmp_lt_i32 s28, 24
	s_mov_b32 s29, -1
	s_cbranch_scc1 .LBB25_375
; %bb.356:
	s_cmp_gt_i32 s28, 24
	s_cbranch_scc0 .LBB25_364
; %bb.357:
	s_wait_xcnt 0x0
	v_cvt_f32_f16_e32 v4, v1
	v_mov_b32_e32 v6, 0x80
	s_mov_b32 s29, exec_lo
	s_delay_alu instid0(VALU_DEP_2) | instskip(NEXT) | instid1(VALU_DEP_1)
	v_and_b32_e32 v5, 0x7fffffff, v4
	v_cmpx_gt_u32_e32 0x47800000, v5
	s_cbranch_execz .LBB25_363
; %bb.358:
	v_cmp_lt_u32_e32 vcc_lo, 0x37ffffff, v5
	s_mov_b32 s30, 0
                                        ; implicit-def: $vgpr5
	s_and_saveexec_b32 s31, vcc_lo
	s_delay_alu instid0(SALU_CYCLE_1)
	s_xor_b32 s31, exec_lo, s31
	s_cbranch_execz .LBB25_583
; %bb.359:
	v_bfe_u32 v5, v4, 21, 1
	s_mov_b32 s30, exec_lo
	s_delay_alu instid0(VALU_DEP_1) | instskip(NEXT) | instid1(VALU_DEP_1)
	v_add3_u32 v5, v4, v5, 0x88fffff
	v_lshrrev_b32_e32 v5, 21, v5
	s_and_not1_saveexec_b32 s31, s31
	s_cbranch_execnz .LBB25_584
.LBB25_360:
	s_or_b32 exec_lo, exec_lo, s31
	v_mov_b32_e32 v6, 0
	s_and_saveexec_b32 s31, s30
.LBB25_361:
	v_lshrrev_b32_e32 v4, 24, v4
	s_delay_alu instid0(VALU_DEP_1)
	v_and_or_b32 v6, 0x80, v4, v5
.LBB25_362:
	s_or_b32 exec_lo, exec_lo, s31
.LBB25_363:
	s_delay_alu instid0(SALU_CYCLE_1)
	s_or_b32 exec_lo, exec_lo, s29
	s_mov_b32 s29, 0
	global_store_b8 v[2:3], v6, off
.LBB25_364:
	s_and_b32 vcc_lo, exec_lo, s29
	s_cbranch_vccz .LBB25_374
; %bb.365:
	s_wait_xcnt 0x0
	v_cvt_f32_f16_e32 v4, v1
	s_mov_b32 s29, exec_lo
                                        ; implicit-def: $vgpr5
	s_delay_alu instid0(VALU_DEP_1) | instskip(NEXT) | instid1(VALU_DEP_1)
	v_and_b32_e32 v6, 0x7fffffff, v4
	v_cmpx_gt_u32_e32 0x43f00000, v6
	s_xor_b32 s29, exec_lo, s29
	s_cbranch_execz .LBB25_371
; %bb.366:
	s_mov_b32 s30, exec_lo
                                        ; implicit-def: $vgpr5
	v_cmpx_lt_u32_e32 0x3c7fffff, v6
	s_xor_b32 s30, exec_lo, s30
; %bb.367:
	v_bfe_u32 v5, v4, 20, 1
	s_delay_alu instid0(VALU_DEP_1) | instskip(NEXT) | instid1(VALU_DEP_1)
	v_add3_u32 v5, v4, v5, 0x407ffff
	v_and_b32_e32 v6, 0xff00000, v5
	v_lshrrev_b32_e32 v5, 20, v5
	s_delay_alu instid0(VALU_DEP_2) | instskip(NEXT) | instid1(VALU_DEP_2)
	v_cmp_ne_u32_e32 vcc_lo, 0x7f00000, v6
	v_cndmask_b32_e32 v5, 0x7e, v5, vcc_lo
; %bb.368:
	s_and_not1_saveexec_b32 s30, s30
; %bb.369:
	v_add_f32_e64 v5, 0x46800000, |v4|
; %bb.370:
	s_or_b32 exec_lo, exec_lo, s30
                                        ; implicit-def: $vgpr6
.LBB25_371:
	s_and_not1_saveexec_b32 s29, s29
; %bb.372:
	v_mov_b32_e32 v5, 0x7f
	v_cmp_lt_u32_e32 vcc_lo, 0x7f800000, v6
	s_delay_alu instid0(VALU_DEP_2)
	v_cndmask_b32_e32 v5, 0x7e, v5, vcc_lo
; %bb.373:
	s_or_b32 exec_lo, exec_lo, s29
	v_lshrrev_b32_e32 v4, 24, v4
	s_delay_alu instid0(VALU_DEP_1)
	v_and_or_b32 v4, 0x80, v4, v5
	global_store_b8 v[2:3], v4, off
.LBB25_374:
	s_mov_b32 s29, 0
.LBB25_375:
	s_delay_alu instid0(SALU_CYCLE_1)
	s_and_not1_b32 vcc_lo, exec_lo, s29
	s_cbranch_vccnz .LBB25_385
; %bb.376:
	s_wait_xcnt 0x0
	v_cvt_f32_f16_e32 v4, v1
	s_mov_b32 s29, exec_lo
                                        ; implicit-def: $vgpr5
	s_delay_alu instid0(VALU_DEP_1) | instskip(NEXT) | instid1(VALU_DEP_1)
	v_and_b32_e32 v6, 0x7fffffff, v4
	v_cmpx_gt_u32_e32 0x47800000, v6
	s_xor_b32 s29, exec_lo, s29
	s_cbranch_execz .LBB25_382
; %bb.377:
	s_mov_b32 s30, exec_lo
                                        ; implicit-def: $vgpr5
	v_cmpx_lt_u32_e32 0x387fffff, v6
	s_xor_b32 s30, exec_lo, s30
; %bb.378:
	v_bfe_u32 v5, v4, 21, 1
	s_delay_alu instid0(VALU_DEP_1) | instskip(NEXT) | instid1(VALU_DEP_1)
	v_add3_u32 v5, v4, v5, 0x80fffff
	v_lshrrev_b32_e32 v5, 21, v5
; %bb.379:
	s_and_not1_saveexec_b32 s30, s30
; %bb.380:
	v_add_f32_e64 v5, 0x43000000, |v4|
; %bb.381:
	s_or_b32 exec_lo, exec_lo, s30
                                        ; implicit-def: $vgpr6
.LBB25_382:
	s_and_not1_saveexec_b32 s29, s29
; %bb.383:
	v_mov_b32_e32 v5, 0x7f
	v_cmp_lt_u32_e32 vcc_lo, 0x7f800000, v6
	s_delay_alu instid0(VALU_DEP_2)
	v_cndmask_b32_e32 v5, 0x7c, v5, vcc_lo
; %bb.384:
	s_or_b32 exec_lo, exec_lo, s29
	v_lshrrev_b32_e32 v4, 24, v4
	s_delay_alu instid0(VALU_DEP_1)
	v_and_or_b32 v4, 0x80, v4, v5
	global_store_b8 v[2:3], v4, off
.LBB25_385:
	s_mov_b32 s30, 0
	s_mov_b32 s29, -1
.LBB25_386:
	s_and_not1_b32 vcc_lo, exec_lo, s30
	s_cbranch_vccnz .LBB25_394
; %bb.387:
	s_cmp_gt_i32 s28, 14
	s_mov_b32 s30, -1
	s_cbranch_scc0 .LBB25_391
; %bb.388:
	s_cmp_eq_u32 s28, 15
	s_mov_b32 s0, -1
	s_cbranch_scc0 .LBB25_390
; %bb.389:
	s_wait_xcnt 0x0
	v_cvt_f32_f16_e32 v4, v1
	v_cmp_o_f16_e32 vcc_lo, v1, v1
	s_mov_b32 s29, -1
	s_mov_b32 s0, 0
	s_delay_alu instid0(VALU_DEP_2) | instskip(NEXT) | instid1(VALU_DEP_1)
	v_bfe_u32 v5, v4, 16, 1
	v_add3_u32 v4, v4, v5, 0x7fff
	s_delay_alu instid0(VALU_DEP_1) | instskip(NEXT) | instid1(VALU_DEP_1)
	v_lshrrev_b32_e32 v4, 16, v4
	v_cndmask_b32_e32 v4, 0x7fc0, v4, vcc_lo
	global_store_b16 v[2:3], v4, off
.LBB25_390:
	s_mov_b32 s30, 0
.LBB25_391:
	s_delay_alu instid0(SALU_CYCLE_1)
	s_and_b32 vcc_lo, exec_lo, s30
	s_cbranch_vccz .LBB25_394
; %bb.392:
	s_cmp_eq_u32 s28, 11
	s_mov_b32 s0, -1
	s_cbranch_scc0 .LBB25_394
; %bb.393:
	s_wait_xcnt 0x0
	v_and_b32_e32 v4, 0x7fff, v1
	s_mov_b32 s0, 0
	s_mov_b32 s29, -1
	s_delay_alu instid0(VALU_DEP_1)
	v_cmp_ne_u16_e32 vcc_lo, 0, v4
	v_cndmask_b32_e64 v4, 0, 1, vcc_lo
	global_store_b8 v[2:3], v4, off
.LBB25_394:
	s_mov_b32 s28, 0
.LBB25_395:
	s_delay_alu instid0(SALU_CYCLE_1)
	s_and_b32 vcc_lo, exec_lo, s28
	s_cbranch_vccz .LBB25_434
; %bb.396:
	s_and_b32 s27, 0xffff, s27
	s_mov_b32 s28, -1
	s_cmp_lt_i32 s27, 5
	s_cbranch_scc1 .LBB25_417
; %bb.397:
	s_cmp_lt_i32 s27, 8
	s_cbranch_scc1 .LBB25_407
; %bb.398:
	;; [unrolled: 3-line block ×3, first 2 shown]
	s_cmp_gt_i32 s27, 9
	s_cbranch_scc0 .LBB25_401
; %bb.400:
	s_wait_xcnt 0x0
	v_cvt_f32_f16_e32 v4, v1
	v_mov_b32_e32 v6, 0
	s_mov_b32 s28, 0
	s_delay_alu instid0(VALU_DEP_2) | instskip(NEXT) | instid1(VALU_DEP_2)
	v_cvt_f64_f32_e32 v[4:5], v4
	v_mov_b32_e32 v7, v6
	global_store_b128 v[2:3], v[4:7], off
.LBB25_401:
	s_and_not1_b32 vcc_lo, exec_lo, s28
	s_cbranch_vccnz .LBB25_403
; %bb.402:
	s_wait_xcnt 0x0
	v_cvt_f32_f16_e32 v4, v1
	v_mov_b32_e32 v5, 0
	global_store_b64 v[2:3], v[4:5], off
.LBB25_403:
	s_mov_b32 s28, 0
.LBB25_404:
	s_delay_alu instid0(SALU_CYCLE_1)
	s_and_not1_b32 vcc_lo, exec_lo, s28
	s_cbranch_vccnz .LBB25_406
; %bb.405:
	s_wait_xcnt 0x0
	v_and_b32_e32 v4, 0xffff, v1
	global_store_b32 v[2:3], v4, off
.LBB25_406:
	s_mov_b32 s28, 0
.LBB25_407:
	s_delay_alu instid0(SALU_CYCLE_1)
	s_and_not1_b32 vcc_lo, exec_lo, s28
	s_cbranch_vccnz .LBB25_416
; %bb.408:
	s_cmp_lt_i32 s27, 6
	s_mov_b32 s28, -1
	s_cbranch_scc1 .LBB25_414
; %bb.409:
	s_cmp_gt_i32 s27, 6
	s_cbranch_scc0 .LBB25_411
; %bb.410:
	s_wait_xcnt 0x0
	v_cvt_f32_f16_e32 v4, v1
	s_mov_b32 s28, 0
	s_delay_alu instid0(VALU_DEP_1)
	v_cvt_f64_f32_e32 v[4:5], v4
	global_store_b64 v[2:3], v[4:5], off
.LBB25_411:
	s_and_not1_b32 vcc_lo, exec_lo, s28
	s_cbranch_vccnz .LBB25_413
; %bb.412:
	s_wait_xcnt 0x0
	v_cvt_f32_f16_e32 v4, v1
	global_store_b32 v[2:3], v4, off
.LBB25_413:
	s_mov_b32 s28, 0
.LBB25_414:
	s_delay_alu instid0(SALU_CYCLE_1)
	s_and_not1_b32 vcc_lo, exec_lo, s28
	s_cbranch_vccnz .LBB25_416
; %bb.415:
	global_store_b16 v[2:3], v1, off
.LBB25_416:
	s_mov_b32 s28, 0
.LBB25_417:
	s_delay_alu instid0(SALU_CYCLE_1)
	s_and_not1_b32 vcc_lo, exec_lo, s28
	s_cbranch_vccnz .LBB25_433
; %bb.418:
	s_cmp_lt_i32 s27, 2
	s_mov_b32 s28, -1
	s_cbranch_scc1 .LBB25_428
; %bb.419:
	s_cmp_lt_i32 s27, 3
	s_cbranch_scc1 .LBB25_425
; %bb.420:
	s_cmp_gt_i32 s27, 3
	s_cbranch_scc0 .LBB25_422
; %bb.421:
	s_wait_xcnt 0x0
	v_cvt_f32_f16_e32 v4, v1
	s_mov_b32 s28, 0
	s_delay_alu instid0(VALU_DEP_1) | instskip(NEXT) | instid1(VALU_DEP_1)
	v_cvt_i32_f32_e32 v4, v4
	v_ashrrev_i32_e32 v5, 31, v4
	global_store_b64 v[2:3], v[4:5], off
.LBB25_422:
	s_and_not1_b32 vcc_lo, exec_lo, s28
	s_cbranch_vccnz .LBB25_424
; %bb.423:
	s_wait_xcnt 0x0
	v_cvt_f32_f16_e32 v4, v1
	s_delay_alu instid0(VALU_DEP_1)
	v_cvt_i32_f32_e32 v4, v4
	global_store_b32 v[2:3], v4, off
.LBB25_424:
	s_mov_b32 s28, 0
.LBB25_425:
	s_delay_alu instid0(SALU_CYCLE_1)
	s_and_not1_b32 vcc_lo, exec_lo, s28
	s_cbranch_vccnz .LBB25_427
; %bb.426:
	s_wait_xcnt 0x0
	v_cvt_i16_f16_e32 v4, v1
	global_store_b16 v[2:3], v4, off
.LBB25_427:
	s_mov_b32 s28, 0
.LBB25_428:
	s_delay_alu instid0(SALU_CYCLE_1)
	s_and_not1_b32 vcc_lo, exec_lo, s28
	s_cbranch_vccnz .LBB25_433
; %bb.429:
	s_cmp_gt_i32 s27, 0
	s_mov_b32 s27, -1
	s_cbranch_scc0 .LBB25_431
; %bb.430:
	s_wait_xcnt 0x0
	v_cvt_i16_f16_e32 v4, v1
	s_mov_b32 s27, 0
	global_store_b8 v[2:3], v4, off
.LBB25_431:
	s_and_not1_b32 vcc_lo, exec_lo, s27
	s_cbranch_vccnz .LBB25_433
; %bb.432:
	s_wait_xcnt 0x0
	v_cvt_f32_f16_e32 v1, v1
	s_delay_alu instid0(VALU_DEP_1)
	v_cvt_i32_f32_e32 v1, v1
	global_store_b8 v[2:3], v1, off
.LBB25_433:
	s_mov_b32 s29, -1
.LBB25_434:
	s_delay_alu instid0(SALU_CYCLE_1)
	s_and_not1_b32 vcc_lo, exec_lo, s29
	s_cbranch_vccnz .LBB25_436
; %bb.435:
	v_add_nc_u32_e32 v0, 0x80, v0
	s_mov_b32 s27, -1
	s_branch .LBB25_549
.LBB25_436:
	s_mov_b32 s27, 0
	s_branch .LBB25_548
.LBB25_437:
	s_mov_b32 s26, -1
                                        ; implicit-def: $vgpr1
.LBB25_438:
	s_mov_b32 s28, 0
.LBB25_439:
	s_delay_alu instid0(SALU_CYCLE_1)
	s_and_b32 vcc_lo, exec_lo, s28
	s_cbranch_vccz .LBB25_443
; %bb.440:
	s_cmp_eq_u32 s0, 29
	s_cbranch_scc0 .LBB25_442
; %bb.441:
	global_load_b64 v[6:7], v[4:5], off
	s_mov_b32 s27, -1
	s_mov_b32 s26, 0
	s_mov_b32 s28, 0
	s_wait_loadcnt 0x0
	v_clz_i32_u32_e32 v1, v7
	s_delay_alu instid0(VALU_DEP_1) | instskip(NEXT) | instid1(VALU_DEP_1)
	v_min_u32_e32 v1, 32, v1
	v_lshlrev_b64_e32 v[6:7], v1, v[6:7]
	v_sub_nc_u32_e32 v1, 32, v1
	s_delay_alu instid0(VALU_DEP_2) | instskip(NEXT) | instid1(VALU_DEP_1)
	v_min_u32_e32 v3, 1, v6
	v_or_b32_e32 v3, v7, v3
	s_delay_alu instid0(VALU_DEP_1) | instskip(NEXT) | instid1(VALU_DEP_1)
	v_cvt_f32_u32_e32 v3, v3
	v_ldexp_f32 v1, v3, v1
	s_delay_alu instid0(VALU_DEP_1)
	v_cvt_f16_f32_e32 v1, v1
	s_branch .LBB25_444
.LBB25_442:
	s_mov_b32 s26, -1
                                        ; implicit-def: $vgpr1
.LBB25_443:
	s_mov_b32 s28, 0
.LBB25_444:
	s_delay_alu instid0(SALU_CYCLE_1)
	s_and_b32 vcc_lo, exec_lo, s28
	s_cbranch_vccz .LBB25_462
; %bb.445:
	s_cmp_lt_i32 s0, 27
	s_cbranch_scc1 .LBB25_448
; %bb.446:
	s_cmp_gt_i32 s0, 27
	s_cbranch_scc0 .LBB25_449
; %bb.447:
	s_wait_loadcnt 0x0
	global_load_b32 v1, v[4:5], off
	s_mov_b32 s27, 0
	s_wait_loadcnt 0x0
	v_cvt_f32_u32_e32 v1, v1
	s_delay_alu instid0(VALU_DEP_1)
	v_cvt_f16_f32_e32 v1, v1
	s_branch .LBB25_450
.LBB25_448:
	s_mov_b32 s27, -1
                                        ; implicit-def: $vgpr1
	s_branch .LBB25_453
.LBB25_449:
	s_mov_b32 s27, -1
                                        ; implicit-def: $vgpr1
.LBB25_450:
	s_delay_alu instid0(SALU_CYCLE_1)
	s_and_not1_b32 vcc_lo, exec_lo, s27
	s_cbranch_vccnz .LBB25_452
; %bb.451:
	s_wait_loadcnt 0x0
	global_load_u16 v1, v[4:5], off
	s_wait_loadcnt 0x0
	v_cvt_f16_u16_e32 v1, v1
.LBB25_452:
	s_mov_b32 s27, 0
.LBB25_453:
	s_delay_alu instid0(SALU_CYCLE_1)
	s_and_not1_b32 vcc_lo, exec_lo, s27
	s_cbranch_vccnz .LBB25_461
; %bb.454:
	global_load_u8 v3, v[4:5], off
	s_mov_b32 s27, 0
	s_mov_b32 s28, exec_lo
	s_wait_loadcnt 0x0
	v_cmpx_lt_i16_e32 0x7f, v3
	s_xor_b32 s28, exec_lo, s28
	s_cbranch_execz .LBB25_475
; %bb.455:
	s_mov_b32 s27, -1
	s_mov_b32 s29, exec_lo
	v_cmpx_eq_u16_e32 0x80, v3
; %bb.456:
	s_xor_b32 s27, exec_lo, -1
; %bb.457:
	s_or_b32 exec_lo, exec_lo, s29
	s_delay_alu instid0(SALU_CYCLE_1)
	s_and_b32 s27, s27, exec_lo
	s_or_saveexec_b32 s28, s28
	v_mov_b32_e32 v1, 0x7e00
	s_xor_b32 exec_lo, exec_lo, s28
	s_cbranch_execnz .LBB25_476
.LBB25_458:
	s_or_b32 exec_lo, exec_lo, s28
	s_and_saveexec_b32 s28, s27
	s_cbranch_execz .LBB25_460
.LBB25_459:
	v_and_b32_e32 v1, 0xffff, v3
	s_delay_alu instid0(VALU_DEP_1) | instskip(SKIP_1) | instid1(VALU_DEP_2)
	v_and_b32_e32 v6, 7, v1
	v_bfe_u32 v9, v1, 3, 4
	v_clz_i32_u32_e32 v7, v6
	s_delay_alu instid0(VALU_DEP_2) | instskip(NEXT) | instid1(VALU_DEP_2)
	v_cmp_eq_u32_e32 vcc_lo, 0, v9
	v_min_u32_e32 v7, 32, v7
	s_delay_alu instid0(VALU_DEP_1) | instskip(NEXT) | instid1(VALU_DEP_1)
	v_subrev_nc_u32_e32 v8, 28, v7
	v_dual_lshlrev_b32 v1, v8, v1 :: v_dual_sub_nc_u32 v7, 29, v7
	s_delay_alu instid0(VALU_DEP_1) | instskip(NEXT) | instid1(VALU_DEP_1)
	v_dual_lshlrev_b32 v3, 24, v3 :: v_dual_bitop2_b32 v1, 7, v1 bitop3:0x40
	v_dual_cndmask_b32 v1, v6, v1, vcc_lo :: v_dual_cndmask_b32 v7, v9, v7, vcc_lo
	s_delay_alu instid0(VALU_DEP_2) | instskip(NEXT) | instid1(VALU_DEP_2)
	v_and_b32_e32 v3, 0x80000000, v3
	v_lshlrev_b32_e32 v1, 20, v1
	s_delay_alu instid0(VALU_DEP_3) | instskip(NEXT) | instid1(VALU_DEP_1)
	v_lshl_add_u32 v6, v7, 23, 0x3b800000
	v_or3_b32 v1, v3, v6, v1
	s_delay_alu instid0(VALU_DEP_1)
	v_cvt_f16_f32_e32 v1, v1
.LBB25_460:
	s_or_b32 exec_lo, exec_lo, s28
.LBB25_461:
	s_mov_b32 s27, -1
.LBB25_462:
	s_mov_b32 s28, 0
.LBB25_463:
	s_delay_alu instid0(SALU_CYCLE_1)
	s_and_b32 vcc_lo, exec_lo, s28
	s_cbranch_vccz .LBB25_498
; %bb.464:
	s_cmp_gt_i32 s0, 22
	s_cbranch_scc0 .LBB25_474
; %bb.465:
	s_cmp_lt_i32 s0, 24
	s_cbranch_scc1 .LBB25_477
; %bb.466:
	s_cmp_gt_i32 s0, 24
	s_cbranch_scc0 .LBB25_478
; %bb.467:
	global_load_u8 v3, v[4:5], off
	s_mov_b32 s27, 0
	s_mov_b32 s28, exec_lo
	s_wait_loadcnt 0x0
	v_cmpx_lt_i16_e32 0x7f, v3
	s_xor_b32 s28, exec_lo, s28
	s_cbranch_execz .LBB25_490
; %bb.468:
	s_mov_b32 s27, -1
	s_mov_b32 s29, exec_lo
	v_cmpx_eq_u16_e32 0x80, v3
; %bb.469:
	s_xor_b32 s27, exec_lo, -1
; %bb.470:
	s_or_b32 exec_lo, exec_lo, s29
	s_delay_alu instid0(SALU_CYCLE_1)
	s_and_b32 s27, s27, exec_lo
	s_or_saveexec_b32 s28, s28
	v_mov_b32_e32 v1, 0x7e00
	s_xor_b32 exec_lo, exec_lo, s28
	s_cbranch_execnz .LBB25_491
.LBB25_471:
	s_or_b32 exec_lo, exec_lo, s28
	s_and_saveexec_b32 s28, s27
	s_cbranch_execz .LBB25_473
.LBB25_472:
	v_and_b32_e32 v1, 0xffff, v3
	s_delay_alu instid0(VALU_DEP_1) | instskip(SKIP_1) | instid1(VALU_DEP_2)
	v_and_b32_e32 v6, 3, v1
	v_bfe_u32 v9, v1, 2, 5
	v_clz_i32_u32_e32 v7, v6
	s_delay_alu instid0(VALU_DEP_2) | instskip(NEXT) | instid1(VALU_DEP_2)
	v_cmp_eq_u32_e32 vcc_lo, 0, v9
	v_min_u32_e32 v7, 32, v7
	s_delay_alu instid0(VALU_DEP_1) | instskip(NEXT) | instid1(VALU_DEP_1)
	v_subrev_nc_u32_e32 v8, 29, v7
	v_dual_lshlrev_b32 v1, v8, v1 :: v_dual_sub_nc_u32 v7, 30, v7
	s_delay_alu instid0(VALU_DEP_1) | instskip(NEXT) | instid1(VALU_DEP_1)
	v_dual_lshlrev_b32 v3, 24, v3 :: v_dual_bitop2_b32 v1, 3, v1 bitop3:0x40
	v_dual_cndmask_b32 v1, v6, v1, vcc_lo :: v_dual_cndmask_b32 v7, v9, v7, vcc_lo
	s_delay_alu instid0(VALU_DEP_2) | instskip(NEXT) | instid1(VALU_DEP_2)
	v_and_b32_e32 v3, 0x80000000, v3
	v_lshlrev_b32_e32 v1, 21, v1
	s_delay_alu instid0(VALU_DEP_3) | instskip(NEXT) | instid1(VALU_DEP_1)
	v_lshl_add_u32 v6, v7, 23, 0x37800000
	v_or3_b32 v1, v3, v6, v1
	s_delay_alu instid0(VALU_DEP_1)
	v_cvt_f16_f32_e32 v1, v1
.LBB25_473:
	s_or_b32 exec_lo, exec_lo, s28
	s_mov_b32 s27, 0
	s_branch .LBB25_479
.LBB25_474:
	s_mov_b32 s28, -1
                                        ; implicit-def: $vgpr1
	s_branch .LBB25_485
.LBB25_475:
	s_or_saveexec_b32 s28, s28
	v_mov_b32_e32 v1, 0x7e00
	s_xor_b32 exec_lo, exec_lo, s28
	s_cbranch_execz .LBB25_458
.LBB25_476:
	v_cmp_ne_u16_e32 vcc_lo, 0, v3
	v_mov_b32_e32 v1, v3
	s_and_not1_b32 s27, s27, exec_lo
	s_and_b32 s29, vcc_lo, exec_lo
	s_delay_alu instid0(SALU_CYCLE_1)
	s_or_b32 s27, s27, s29
	s_or_b32 exec_lo, exec_lo, s28
	s_and_saveexec_b32 s28, s27
	s_cbranch_execnz .LBB25_459
	s_branch .LBB25_460
.LBB25_477:
	s_mov_b32 s27, -1
                                        ; implicit-def: $vgpr1
	s_branch .LBB25_482
.LBB25_478:
	s_mov_b32 s27, -1
                                        ; implicit-def: $vgpr1
.LBB25_479:
	s_delay_alu instid0(SALU_CYCLE_1)
	s_and_b32 vcc_lo, exec_lo, s27
	s_cbranch_vccz .LBB25_481
; %bb.480:
	s_wait_loadcnt 0x0
	global_load_u8 v1, v[4:5], off
	s_wait_loadcnt 0x0
	v_lshlrev_b32_e32 v1, 24, v1
	s_delay_alu instid0(VALU_DEP_1) | instskip(NEXT) | instid1(VALU_DEP_1)
	v_and_b32_e32 v3, 0x7f000000, v1
	v_clz_i32_u32_e32 v6, v3
	v_cmp_ne_u32_e32 vcc_lo, 0, v3
	v_add_nc_u32_e32 v8, 0x1000000, v3
	s_delay_alu instid0(VALU_DEP_3) | instskip(NEXT) | instid1(VALU_DEP_1)
	v_min_u32_e32 v6, 32, v6
	v_sub_nc_u32_e64 v6, v6, 4 clamp
	s_delay_alu instid0(VALU_DEP_1) | instskip(NEXT) | instid1(VALU_DEP_1)
	v_dual_lshlrev_b32 v7, v6, v3 :: v_dual_lshlrev_b32 v6, 23, v6
	v_lshrrev_b32_e32 v7, 4, v7
	s_delay_alu instid0(VALU_DEP_1) | instskip(NEXT) | instid1(VALU_DEP_1)
	v_dual_sub_nc_u32 v6, v7, v6 :: v_dual_ashrrev_i32 v7, 8, v8
	v_add_nc_u32_e32 v6, 0x3c000000, v6
	s_delay_alu instid0(VALU_DEP_1) | instskip(NEXT) | instid1(VALU_DEP_1)
	v_and_or_b32 v6, 0x7f800000, v7, v6
	v_cndmask_b32_e32 v3, 0, v6, vcc_lo
	s_delay_alu instid0(VALU_DEP_1) | instskip(NEXT) | instid1(VALU_DEP_1)
	v_and_or_b32 v1, 0x80000000, v1, v3
	v_cvt_f16_f32_e32 v1, v1
.LBB25_481:
	s_mov_b32 s27, 0
.LBB25_482:
	s_delay_alu instid0(SALU_CYCLE_1)
	s_and_not1_b32 vcc_lo, exec_lo, s27
	s_cbranch_vccnz .LBB25_484
; %bb.483:
	s_wait_loadcnt 0x0
	global_load_u8 v1, v[4:5], off
	s_wait_loadcnt 0x0
	v_lshlrev_b32_e32 v3, 25, v1
	v_lshlrev_b16 v1, 8, v1
	s_delay_alu instid0(VALU_DEP_1) | instskip(SKIP_1) | instid1(VALU_DEP_2)
	v_and_or_b32 v7, 0x7f00, v1, 0.5
	v_bfe_i32 v1, v1, 0, 16
	v_add_f32_e32 v7, -0.5, v7
	v_lshrrev_b32_e32 v6, 4, v3
	v_cmp_gt_u32_e32 vcc_lo, 0x8000000, v3
	s_delay_alu instid0(VALU_DEP_2) | instskip(NEXT) | instid1(VALU_DEP_1)
	v_or_b32_e32 v6, 0x70000000, v6
	v_mul_f32_e32 v6, 0x7800000, v6
	s_delay_alu instid0(VALU_DEP_1) | instskip(NEXT) | instid1(VALU_DEP_1)
	v_cndmask_b32_e32 v3, v6, v7, vcc_lo
	v_and_or_b32 v1, 0x80000000, v1, v3
	s_delay_alu instid0(VALU_DEP_1)
	v_cvt_f16_f32_e32 v1, v1
.LBB25_484:
	s_mov_b32 s28, 0
	s_mov_b32 s27, -1
.LBB25_485:
	s_and_not1_b32 vcc_lo, exec_lo, s28
	s_cbranch_vccnz .LBB25_498
; %bb.486:
	s_cmp_gt_i32 s0, 14
	s_cbranch_scc0 .LBB25_489
; %bb.487:
	s_cmp_eq_u32 s0, 15
	s_cbranch_scc0 .LBB25_492
; %bb.488:
	s_wait_loadcnt 0x0
	global_load_u16 v1, v[4:5], off
	s_mov_b32 s27, -1
	s_mov_b32 s26, 0
	s_wait_loadcnt 0x0
	v_lshlrev_b32_e32 v1, 16, v1
	s_delay_alu instid0(VALU_DEP_1)
	v_cvt_f16_f32_e32 v1, v1
	s_branch .LBB25_493
.LBB25_489:
	s_mov_b32 s28, -1
                                        ; implicit-def: $vgpr1
	s_branch .LBB25_494
.LBB25_490:
	s_or_saveexec_b32 s28, s28
	v_mov_b32_e32 v1, 0x7e00
	s_xor_b32 exec_lo, exec_lo, s28
	s_cbranch_execz .LBB25_471
.LBB25_491:
	v_cmp_ne_u16_e32 vcc_lo, 0, v3
	v_mov_b32_e32 v1, v3
	s_and_not1_b32 s27, s27, exec_lo
	s_and_b32 s29, vcc_lo, exec_lo
	s_delay_alu instid0(SALU_CYCLE_1)
	s_or_b32 s27, s27, s29
	s_or_b32 exec_lo, exec_lo, s28
	s_and_saveexec_b32 s28, s27
	s_cbranch_execnz .LBB25_472
	s_branch .LBB25_473
.LBB25_492:
	s_mov_b32 s26, -1
                                        ; implicit-def: $vgpr1
.LBB25_493:
	s_mov_b32 s28, 0
.LBB25_494:
	s_delay_alu instid0(SALU_CYCLE_1)
	s_and_b32 vcc_lo, exec_lo, s28
	s_cbranch_vccz .LBB25_498
; %bb.495:
	s_cmp_eq_u32 s0, 11
	s_cbranch_scc0 .LBB25_497
; %bb.496:
	s_wait_loadcnt 0x0
	global_load_u8 v1, v[4:5], off
	s_mov_b32 s26, 0
	s_mov_b32 s27, -1
	s_wait_loadcnt 0x0
	v_cmp_ne_u16_e32 vcc_lo, 0, v1
	v_cndmask_b32_e64 v1, 0, 0x3c00, vcc_lo
	s_branch .LBB25_498
.LBB25_497:
	s_mov_b32 s26, -1
                                        ; implicit-def: $vgpr1
.LBB25_498:
	s_branch .LBB25_298
.LBB25_499:
	s_cmp_lt_i32 s0, 5
	s_cbranch_scc1 .LBB25_504
; %bb.500:
	s_cmp_lt_i32 s0, 8
	s_cbranch_scc1 .LBB25_505
; %bb.501:
	s_cmp_lt_i32 s0, 9
	s_cbranch_scc1 .LBB25_506
; %bb.502:
	s_cmp_gt_i32 s0, 9
	s_cbranch_scc0 .LBB25_507
; %bb.503:
	global_load_b64 v[6:7], v[4:5], off
	s_mov_b32 s27, 0
	s_wait_loadcnt 0x0
	v_and_or_b32 v1, 0x1ff, v7, v6
	v_lshrrev_b32_e32 v3, 8, v7
	v_bfe_u32 v6, v7, 20, 11
	s_delay_alu instid0(VALU_DEP_3) | instskip(NEXT) | instid1(VALU_DEP_2)
	v_cmp_ne_u32_e32 vcc_lo, 0, v1
	v_sub_nc_u32_e32 v8, 0x3f1, v6
	v_add_nc_u32_e32 v6, 0xfffffc10, v6
	v_cndmask_b32_e64 v1, 0, 1, vcc_lo
	s_delay_alu instid0(VALU_DEP_1) | instskip(NEXT) | instid1(VALU_DEP_4)
	v_and_or_b32 v1, 0xffe, v3, v1
	v_med3_i32 v3, v8, 0, 13
	s_delay_alu instid0(VALU_DEP_2) | instskip(NEXT) | instid1(VALU_DEP_1)
	v_or_b32_e32 v8, 0x1000, v1
	v_lshrrev_b32_e32 v9, v3, v8
	s_delay_alu instid0(VALU_DEP_1) | instskip(NEXT) | instid1(VALU_DEP_1)
	v_lshlrev_b32_e32 v3, v3, v9
	v_cmp_ne_u32_e32 vcc_lo, v3, v8
	v_lshl_or_b32 v8, v6, 12, v1
	v_cndmask_b32_e64 v3, 0, 1, vcc_lo
	v_cmp_gt_i32_e32 vcc_lo, 1, v6
	s_delay_alu instid0(VALU_DEP_2) | instskip(NEXT) | instid1(VALU_DEP_1)
	v_or_b32_e32 v3, v9, v3
	v_cndmask_b32_e32 v3, v8, v3, vcc_lo
	s_delay_alu instid0(VALU_DEP_1) | instskip(NEXT) | instid1(VALU_DEP_1)
	v_dual_lshrrev_b32 v3, 2, v3 :: v_dual_bitop2_b32 v8, 7, v3 bitop3:0x40
	v_cmp_lt_i32_e32 vcc_lo, 5, v8
	v_cndmask_b32_e64 v9, 0, 1, vcc_lo
	v_cmp_eq_u32_e32 vcc_lo, 3, v8
	v_cndmask_b32_e64 v8, 0, 1, vcc_lo
	v_cmp_ne_u32_e32 vcc_lo, 0, v1
	s_delay_alu instid0(VALU_DEP_2) | instskip(SKIP_1) | instid1(VALU_DEP_2)
	v_or_b32_e32 v8, v8, v9
	v_mov_b32_e32 v9, 0x7e00
	v_add_nc_u32_e32 v3, v3, v8
	s_delay_alu instid0(VALU_DEP_2) | instskip(SKIP_1) | instid1(VALU_DEP_3)
	v_cndmask_b32_e32 v1, 0x7c00, v9, vcc_lo
	v_cmp_gt_i32_e32 vcc_lo, 31, v6
	v_cndmask_b32_e32 v3, 0x7c00, v3, vcc_lo
	v_cmp_eq_u32_e32 vcc_lo, 0x40f, v6
	s_delay_alu instid0(VALU_DEP_2) | instskip(NEXT) | instid1(VALU_DEP_1)
	v_dual_cndmask_b32 v1, v3, v1, vcc_lo :: v_dual_lshrrev_b32 v3, 16, v7
	v_and_or_b32 v1, 0x8000, v3, v1
	s_branch .LBB25_508
.LBB25_504:
	s_mov_b32 s27, -1
                                        ; implicit-def: $vgpr1
	s_branch .LBB25_526
.LBB25_505:
	s_mov_b32 s27, -1
                                        ; implicit-def: $vgpr1
	s_branch .LBB25_514
.LBB25_506:
	s_mov_b32 s27, -1
                                        ; implicit-def: $vgpr1
	s_branch .LBB25_511
.LBB25_507:
	s_mov_b32 s27, -1
                                        ; implicit-def: $vgpr1
.LBB25_508:
	s_delay_alu instid0(SALU_CYCLE_1)
	s_and_not1_b32 vcc_lo, exec_lo, s27
	s_cbranch_vccnz .LBB25_510
; %bb.509:
	s_wait_loadcnt 0x0
	global_load_b32 v1, v[4:5], off
	s_wait_loadcnt 0x0
	v_cvt_f16_f32_e32 v1, v1
.LBB25_510:
	s_mov_b32 s27, 0
.LBB25_511:
	s_delay_alu instid0(SALU_CYCLE_1)
	s_and_not1_b32 vcc_lo, exec_lo, s27
	s_cbranch_vccnz .LBB25_513
; %bb.512:
	s_wait_loadcnt 0x0
	global_load_b32 v1, v[4:5], off
.LBB25_513:
	s_mov_b32 s27, 0
.LBB25_514:
	s_delay_alu instid0(SALU_CYCLE_1)
	s_and_not1_b32 vcc_lo, exec_lo, s27
	s_cbranch_vccnz .LBB25_525
; %bb.515:
	s_cmp_lt_i32 s0, 6
	s_cbranch_scc1 .LBB25_518
; %bb.516:
	s_cmp_gt_i32 s0, 6
	s_cbranch_scc0 .LBB25_519
; %bb.517:
	global_load_b64 v[6:7], v[4:5], off
	s_mov_b32 s27, 0
	s_wait_loadcnt 0x0
	v_and_or_b32 v1, 0x1ff, v7, v6
	v_lshrrev_b32_e32 v3, 8, v7
	v_bfe_u32 v6, v7, 20, 11
	s_delay_alu instid0(VALU_DEP_3) | instskip(NEXT) | instid1(VALU_DEP_2)
	v_cmp_ne_u32_e32 vcc_lo, 0, v1
	v_sub_nc_u32_e32 v8, 0x3f1, v6
	v_add_nc_u32_e32 v6, 0xfffffc10, v6
	v_cndmask_b32_e64 v1, 0, 1, vcc_lo
	s_delay_alu instid0(VALU_DEP_1) | instskip(NEXT) | instid1(VALU_DEP_4)
	v_and_or_b32 v1, 0xffe, v3, v1
	v_med3_i32 v3, v8, 0, 13
	s_delay_alu instid0(VALU_DEP_2) | instskip(NEXT) | instid1(VALU_DEP_1)
	v_or_b32_e32 v8, 0x1000, v1
	v_lshrrev_b32_e32 v9, v3, v8
	s_delay_alu instid0(VALU_DEP_1) | instskip(NEXT) | instid1(VALU_DEP_1)
	v_lshlrev_b32_e32 v3, v3, v9
	v_cmp_ne_u32_e32 vcc_lo, v3, v8
	v_lshl_or_b32 v8, v6, 12, v1
	v_cndmask_b32_e64 v3, 0, 1, vcc_lo
	v_cmp_gt_i32_e32 vcc_lo, 1, v6
	s_delay_alu instid0(VALU_DEP_2) | instskip(NEXT) | instid1(VALU_DEP_1)
	v_or_b32_e32 v3, v9, v3
	v_cndmask_b32_e32 v3, v8, v3, vcc_lo
	s_delay_alu instid0(VALU_DEP_1) | instskip(NEXT) | instid1(VALU_DEP_1)
	v_dual_lshrrev_b32 v3, 2, v3 :: v_dual_bitop2_b32 v8, 7, v3 bitop3:0x40
	v_cmp_lt_i32_e32 vcc_lo, 5, v8
	v_cndmask_b32_e64 v9, 0, 1, vcc_lo
	v_cmp_eq_u32_e32 vcc_lo, 3, v8
	v_cndmask_b32_e64 v8, 0, 1, vcc_lo
	v_cmp_ne_u32_e32 vcc_lo, 0, v1
	s_delay_alu instid0(VALU_DEP_2) | instskip(SKIP_1) | instid1(VALU_DEP_2)
	v_or_b32_e32 v8, v8, v9
	v_mov_b32_e32 v9, 0x7e00
	v_add_nc_u32_e32 v3, v3, v8
	s_delay_alu instid0(VALU_DEP_2) | instskip(SKIP_1) | instid1(VALU_DEP_3)
	v_cndmask_b32_e32 v1, 0x7c00, v9, vcc_lo
	v_cmp_gt_i32_e32 vcc_lo, 31, v6
	v_cndmask_b32_e32 v3, 0x7c00, v3, vcc_lo
	v_cmp_eq_u32_e32 vcc_lo, 0x40f, v6
	s_delay_alu instid0(VALU_DEP_2) | instskip(NEXT) | instid1(VALU_DEP_1)
	v_dual_cndmask_b32 v1, v3, v1, vcc_lo :: v_dual_lshrrev_b32 v3, 16, v7
	v_and_or_b32 v1, 0x8000, v3, v1
	s_branch .LBB25_520
.LBB25_518:
	s_mov_b32 s27, -1
                                        ; implicit-def: $vgpr1
	s_branch .LBB25_523
.LBB25_519:
	s_mov_b32 s27, -1
                                        ; implicit-def: $vgpr1
.LBB25_520:
	s_delay_alu instid0(SALU_CYCLE_1)
	s_and_not1_b32 vcc_lo, exec_lo, s27
	s_cbranch_vccnz .LBB25_522
; %bb.521:
	s_wait_loadcnt 0x0
	global_load_b32 v1, v[4:5], off
	s_wait_loadcnt 0x0
	v_cvt_f16_f32_e32 v1, v1
.LBB25_522:
	s_mov_b32 s27, 0
.LBB25_523:
	s_delay_alu instid0(SALU_CYCLE_1)
	s_and_not1_b32 vcc_lo, exec_lo, s27
	s_cbranch_vccnz .LBB25_525
; %bb.524:
	s_wait_loadcnt 0x0
	global_load_u16 v1, v[4:5], off
.LBB25_525:
	s_mov_b32 s27, 0
.LBB25_526:
	s_delay_alu instid0(SALU_CYCLE_1)
	s_and_not1_b32 vcc_lo, exec_lo, s27
	s_cbranch_vccnz .LBB25_546
; %bb.527:
	s_cmp_lt_i32 s0, 2
	s_cbranch_scc1 .LBB25_531
; %bb.528:
	s_cmp_lt_i32 s0, 3
	s_cbranch_scc1 .LBB25_532
; %bb.529:
	s_cmp_gt_i32 s0, 3
	s_cbranch_scc0 .LBB25_533
; %bb.530:
	global_load_b64 v[6:7], v[4:5], off
	s_mov_b32 s27, 0
	s_wait_loadcnt 0x0
	v_xor_b32_e32 v1, v6, v7
	v_cls_i32_e32 v3, v7
	s_delay_alu instid0(VALU_DEP_2) | instskip(NEXT) | instid1(VALU_DEP_1)
	v_ashrrev_i32_e32 v1, 31, v1
	v_add_nc_u32_e32 v1, 32, v1
	s_delay_alu instid0(VALU_DEP_1) | instskip(NEXT) | instid1(VALU_DEP_1)
	v_add_min_u32_e64 v1, v3, -1, v1
	v_lshlrev_b64_e32 v[6:7], v1, v[6:7]
	v_sub_nc_u32_e32 v1, 32, v1
	s_delay_alu instid0(VALU_DEP_2) | instskip(NEXT) | instid1(VALU_DEP_1)
	v_min_u32_e32 v3, 1, v6
	v_or_b32_e32 v3, v7, v3
	s_delay_alu instid0(VALU_DEP_1) | instskip(NEXT) | instid1(VALU_DEP_1)
	v_cvt_f32_i32_e32 v3, v3
	v_ldexp_f32 v1, v3, v1
	s_delay_alu instid0(VALU_DEP_1)
	v_cvt_f16_f32_e32 v1, v1
	s_branch .LBB25_534
.LBB25_531:
	s_mov_b32 s27, -1
                                        ; implicit-def: $vgpr1
	s_branch .LBB25_540
.LBB25_532:
	s_mov_b32 s27, -1
                                        ; implicit-def: $vgpr1
	s_branch .LBB25_537
.LBB25_533:
	s_mov_b32 s27, -1
                                        ; implicit-def: $vgpr1
.LBB25_534:
	s_delay_alu instid0(SALU_CYCLE_1)
	s_and_not1_b32 vcc_lo, exec_lo, s27
	s_cbranch_vccnz .LBB25_536
; %bb.535:
	s_wait_loadcnt 0x0
	global_load_b32 v1, v[4:5], off
	s_wait_loadcnt 0x0
	v_cvt_f32_i32_e32 v1, v1
	s_delay_alu instid0(VALU_DEP_1)
	v_cvt_f16_f32_e32 v1, v1
.LBB25_536:
	s_mov_b32 s27, 0
.LBB25_537:
	s_delay_alu instid0(SALU_CYCLE_1)
	s_and_not1_b32 vcc_lo, exec_lo, s27
	s_cbranch_vccnz .LBB25_539
; %bb.538:
	s_wait_loadcnt 0x0
	global_load_u16 v1, v[4:5], off
	s_wait_loadcnt 0x0
	v_cvt_f16_i16_e32 v1, v1
.LBB25_539:
	s_mov_b32 s27, 0
.LBB25_540:
	s_delay_alu instid0(SALU_CYCLE_1)
	s_and_not1_b32 vcc_lo, exec_lo, s27
	s_cbranch_vccnz .LBB25_546
; %bb.541:
	s_cmp_gt_i32 s0, 0
	s_mov_b32 s0, 0
	s_cbranch_scc0 .LBB25_543
; %bb.542:
	s_wait_loadcnt 0x0
	global_load_i8 v1, v[4:5], off
	s_wait_loadcnt 0x0
	v_cvt_f16_i16_e32 v1, v1
	s_branch .LBB25_544
.LBB25_543:
	s_mov_b32 s0, -1
                                        ; implicit-def: $vgpr1
.LBB25_544:
	s_delay_alu instid0(SALU_CYCLE_1)
	s_and_not1_b32 vcc_lo, exec_lo, s0
	s_cbranch_vccnz .LBB25_546
; %bb.545:
	s_wait_loadcnt 0x0
	global_load_u8 v1, v[4:5], off
	s_wait_loadcnt 0x0
	v_cvt_f16_u16_e32 v1, v1
.LBB25_546:
	s_branch .LBB25_299
.LBB25_547:
	s_mov_b32 s27, 0
	s_mov_b32 s0, s41
.LBB25_548:
                                        ; implicit-def: $vgpr0
.LBB25_549:
	s_and_not1_b32 s28, s41, exec_lo
	s_and_b32 s0, s0, exec_lo
	s_and_not1_b32 s29, s42, exec_lo
	s_and_b32 s26, s26, exec_lo
	s_or_b32 s45, s28, s0
	s_or_b32 s44, s29, s26
	s_or_not1_b32 s0, s27, exec_lo
.LBB25_550:
	s_wait_xcnt 0x0
	s_or_b32 exec_lo, exec_lo, s46
	s_mov_b32 s27, 0
	s_mov_b32 s26, 0
	;; [unrolled: 1-line block ×3, first 2 shown]
                                        ; implicit-def: $vgpr4_vgpr5
                                        ; implicit-def: $vgpr2
                                        ; implicit-def: $vgpr6
	s_and_saveexec_b32 s46, s0
	s_cbranch_execz .LBB25_933
; %bb.551:
	s_mov_b32 s29, -1
	s_mov_b32 s0, s44
	s_mov_b32 s30, s45
	s_mov_b32 s47, exec_lo
	v_cmpx_gt_i32_e64 s38, v0
	s_cbranch_execz .LBB25_830
; %bb.552:
	s_and_not1_b32 vcc_lo, exec_lo, s35
	s_cbranch_vccnz .LBB25_558
; %bb.553:
	s_and_not1_b32 vcc_lo, exec_lo, s40
	s_cbranch_vccnz .LBB25_559
; %bb.554:
	s_add_co_i32 s0, s39, 1
	s_cmp_eq_u32 s33, 2
	s_cbranch_scc1 .LBB25_560
; %bb.555:
	v_dual_mov_b32 v2, 0 :: v_dual_mov_b32 v4, 0
	s_wait_loadcnt 0x0
	v_mov_b32_e32 v1, v0
	s_and_b32 s26, s0, 28
	s_mov_b64 s[28:29], s[2:3]
	s_mov_b64 s[30:31], s[24:25]
.LBB25_556:                             ; =>This Inner Loop Header: Depth=1
	s_clause 0x1
	s_load_b256 s[48:55], s[28:29], 0x4
	s_load_b128 s[64:67], s[28:29], 0x24
	s_load_b256 s[56:63], s[30:31], 0x0
	s_add_co_i32 s27, s27, 4
	s_wait_xcnt 0x0
	s_add_nc_u64 s[28:29], s[28:29], 48
	s_cmp_eq_u32 s26, s27
	s_add_nc_u64 s[30:31], s[30:31], 32
	s_wait_kmcnt 0x0
	v_mul_hi_u32 v3, s49, v1
	s_delay_alu instid0(VALU_DEP_1) | instskip(NEXT) | instid1(VALU_DEP_1)
	v_add_nc_u32_e32 v3, v1, v3
	v_lshrrev_b32_e32 v3, s50, v3
	s_delay_alu instid0(VALU_DEP_1) | instskip(NEXT) | instid1(VALU_DEP_1)
	v_mul_hi_u32 v5, s52, v3
	v_add_nc_u32_e32 v5, v3, v5
	s_delay_alu instid0(VALU_DEP_1) | instskip(NEXT) | instid1(VALU_DEP_1)
	v_lshrrev_b32_e32 v5, s53, v5
	v_mul_hi_u32 v6, s55, v5
	s_delay_alu instid0(VALU_DEP_1) | instskip(SKIP_1) | instid1(VALU_DEP_1)
	v_add_nc_u32_e32 v6, v5, v6
	v_mul_lo_u32 v7, v3, s48
	v_sub_nc_u32_e32 v1, v1, v7
	v_mul_lo_u32 v7, v5, s51
	s_delay_alu instid0(VALU_DEP_4) | instskip(NEXT) | instid1(VALU_DEP_3)
	v_lshrrev_b32_e32 v6, s64, v6
	v_mad_u32 v4, v1, s57, v4
	v_mad_u32 v1, v1, s56, v2
	s_delay_alu instid0(VALU_DEP_4) | instskip(NEXT) | instid1(VALU_DEP_4)
	v_sub_nc_u32_e32 v2, v3, v7
	v_mul_hi_u32 v8, s66, v6
	v_mul_lo_u32 v3, v6, s54
	s_delay_alu instid0(VALU_DEP_3) | instskip(SKIP_1) | instid1(VALU_DEP_3)
	v_mad_u32 v4, v2, s59, v4
	v_mad_u32 v2, v2, s58, v1
	v_dual_add_nc_u32 v7, v6, v8 :: v_dual_sub_nc_u32 v3, v5, v3
	s_delay_alu instid0(VALU_DEP_1) | instskip(NEXT) | instid1(VALU_DEP_2)
	v_lshrrev_b32_e32 v1, s67, v7
	v_mad_u32 v4, v3, s61, v4
	s_delay_alu instid0(VALU_DEP_4) | instskip(NEXT) | instid1(VALU_DEP_3)
	v_mad_u32 v2, v3, s60, v2
	v_mul_lo_u32 v5, v1, s65
	s_delay_alu instid0(VALU_DEP_1) | instskip(NEXT) | instid1(VALU_DEP_1)
	v_sub_nc_u32_e32 v3, v6, v5
	v_mad_u32 v4, v3, s63, v4
	s_delay_alu instid0(VALU_DEP_4)
	v_mad_u32 v2, v3, s62, v2
	s_cbranch_scc0 .LBB25_556
; %bb.557:
	s_delay_alu instid0(VALU_DEP_2)
	v_mov_b32_e32 v3, v4
	s_branch .LBB25_561
.LBB25_558:
	s_mov_b32 s0, -1
                                        ; implicit-def: $vgpr4
                                        ; implicit-def: $vgpr2
	s_branch .LBB25_566
.LBB25_559:
	v_dual_mov_b32 v4, 0 :: v_dual_mov_b32 v2, 0
	s_branch .LBB25_565
.LBB25_560:
	v_mov_b64_e32 v[2:3], 0
	s_wait_loadcnt 0x0
	v_mov_b32_e32 v1, v0
                                        ; implicit-def: $vgpr4
.LBB25_561:
	s_and_b32 s0, s0, 3
	s_mov_b32 s27, 0
	s_cmp_eq_u32 s0, 0
	s_cbranch_scc1 .LBB25_565
; %bb.562:
	s_lshl_b32 s28, s26, 3
	s_mov_b32 s29, s27
	s_mul_u64 s[30:31], s[26:27], 12
	s_add_nc_u64 s[28:29], s[2:3], s[28:29]
	s_delay_alu instid0(SALU_CYCLE_1)
	s_add_nc_u64 s[26:27], s[28:29], 0xc4
	s_add_nc_u64 s[28:29], s[2:3], s[30:31]
.LBB25_563:                             ; =>This Inner Loop Header: Depth=1
	s_load_b96 s[48:50], s[28:29], 0x4
	s_load_b64 s[30:31], s[26:27], 0x0
	s_add_co_i32 s0, s0, -1
	s_wait_xcnt 0x0
	s_add_nc_u64 s[28:29], s[28:29], 12
	s_cmp_lg_u32 s0, 0
	s_add_nc_u64 s[26:27], s[26:27], 8
	s_wait_kmcnt 0x0
	v_mul_hi_u32 v4, s49, v1
	s_delay_alu instid0(VALU_DEP_1) | instskip(NEXT) | instid1(VALU_DEP_1)
	v_add_nc_u32_e32 v4, v1, v4
	v_lshrrev_b32_e32 v4, s50, v4
	s_delay_alu instid0(VALU_DEP_1) | instskip(NEXT) | instid1(VALU_DEP_1)
	v_mul_lo_u32 v5, v4, s48
	v_sub_nc_u32_e32 v1, v1, v5
	s_delay_alu instid0(VALU_DEP_1)
	v_mad_u32 v3, v1, s31, v3
	v_mad_u32 v2, v1, s30, v2
	v_mov_b32_e32 v1, v4
	s_cbranch_scc1 .LBB25_563
; %bb.564:
	s_delay_alu instid0(VALU_DEP_3)
	v_mov_b32_e32 v4, v3
.LBB25_565:
	s_mov_b32 s0, 0
.LBB25_566:
	s_delay_alu instid0(SALU_CYCLE_1)
	s_and_not1_b32 vcc_lo, exec_lo, s0
	s_cbranch_vccnz .LBB25_569
; %bb.567:
	s_wait_loadcnt 0x0
	v_mov_b32_e32 v1, 0
	s_and_not1_b32 vcc_lo, exec_lo, s37
	s_delay_alu instid0(VALU_DEP_1) | instskip(NEXT) | instid1(VALU_DEP_1)
	v_mul_u64_e32 v[2:3], s[20:21], v[0:1]
	v_add_nc_u32_e32 v2, v0, v3
	s_delay_alu instid0(VALU_DEP_1) | instskip(NEXT) | instid1(VALU_DEP_1)
	v_lshrrev_b32_e32 v6, s10, v2
	v_mul_lo_u32 v2, v6, s8
	s_delay_alu instid0(VALU_DEP_1) | instskip(NEXT) | instid1(VALU_DEP_1)
	v_sub_nc_u32_e32 v2, v0, v2
	v_mul_lo_u32 v4, v2, s13
	v_mul_lo_u32 v2, v2, s12
	s_cbranch_vccnz .LBB25_569
; %bb.568:
	v_mov_b32_e32 v7, v1
	s_delay_alu instid0(VALU_DEP_1) | instskip(NEXT) | instid1(VALU_DEP_1)
	v_mul_u64_e32 v[8:9], s[22:23], v[6:7]
	v_add_nc_u32_e32 v1, v6, v9
	s_delay_alu instid0(VALU_DEP_1) | instskip(NEXT) | instid1(VALU_DEP_1)
	v_lshrrev_b32_e32 v1, s1, v1
	v_mul_lo_u32 v1, v1, s11
	s_delay_alu instid0(VALU_DEP_1) | instskip(NEXT) | instid1(VALU_DEP_1)
	v_sub_nc_u32_e32 v1, v6, v1
	v_mad_u32 v2, v1, s14, v2
	v_mad_u32 v4, v1, s15, v4
.LBB25_569:
	v_mov_b32_e32 v5, 0
	s_and_b32 s0, 0xffff, s9
	s_delay_alu instid0(SALU_CYCLE_1) | instskip(NEXT) | instid1(VALU_DEP_1)
	s_cmp_lt_i32 s0, 11
	v_add_nc_u64_e32 v[4:5], s[6:7], v[4:5]
	s_cbranch_scc1 .LBB25_576
; %bb.570:
	s_cmp_gt_i32 s0, 25
	s_cbranch_scc0 .LBB25_577
; %bb.571:
	s_cmp_gt_i32 s0, 28
	s_cbranch_scc0 .LBB25_578
	;; [unrolled: 3-line block ×4, first 2 shown]
; %bb.574:
	s_cmp_eq_u32 s0, 46
	s_mov_b32 s28, 0
	s_cbranch_scc0 .LBB25_585
; %bb.575:
	s_wait_loadcnt 0x0
	global_load_b32 v1, v[4:5], off
	s_mov_b32 s27, -1
	s_mov_b32 s26, 0
	s_wait_loadcnt 0x0
	v_lshlrev_b32_e32 v1, 16, v1
	s_delay_alu instid0(VALU_DEP_1)
	v_cvt_f16_f32_e32 v1, v1
	s_branch .LBB25_587
.LBB25_576:
	s_mov_b32 s28, -1
	s_mov_b32 s27, 0
	s_mov_b32 s26, s44
                                        ; implicit-def: $vgpr1
	s_branch .LBB25_652
.LBB25_577:
	s_mov_b32 s28, -1
	s_mov_b32 s27, 0
	s_mov_b32 s26, s44
                                        ; implicit-def: $vgpr1
	s_branch .LBB25_616
.LBB25_578:
	s_mov_b32 s28, -1
	s_mov_b32 s27, 0
	s_mov_b32 s26, s44
                                        ; implicit-def: $vgpr1
	s_branch .LBB25_597
.LBB25_579:
	s_mov_b32 s28, -1
	s_mov_b32 s27, 0
	s_mov_b32 s26, s44
                                        ; implicit-def: $vgpr1
	s_branch .LBB25_592
.LBB25_580:
	s_and_not1_saveexec_b32 s31, s31
	s_cbranch_execz .LBB25_347
.LBB25_581:
	v_add_f32_e64 v5, 0x46000000, |v4|
	s_and_not1_b32 s30, s30, exec_lo
	s_delay_alu instid0(VALU_DEP_1) | instskip(NEXT) | instid1(VALU_DEP_1)
	v_and_b32_e32 v5, 0xff, v5
	v_cmp_ne_u32_e32 vcc_lo, 0, v5
	s_and_b32 s44, vcc_lo, exec_lo
	s_delay_alu instid0(SALU_CYCLE_1)
	s_or_b32 s30, s30, s44
	s_or_b32 exec_lo, exec_lo, s31
	v_mov_b32_e32 v6, 0
	s_and_saveexec_b32 s31, s30
	s_cbranch_execnz .LBB25_348
	s_branch .LBB25_349
.LBB25_582:
	s_mov_b32 s28, -1
	s_mov_b32 s27, 0
	s_mov_b32 s26, s44
	s_branch .LBB25_586
.LBB25_583:
	s_and_not1_saveexec_b32 s31, s31
	s_cbranch_execz .LBB25_360
.LBB25_584:
	v_add_f32_e64 v5, 0x42800000, |v4|
	s_and_not1_b32 s30, s30, exec_lo
	s_delay_alu instid0(VALU_DEP_1) | instskip(NEXT) | instid1(VALU_DEP_1)
	v_and_b32_e32 v5, 0xff, v5
	v_cmp_ne_u32_e32 vcc_lo, 0, v5
	s_and_b32 s44, vcc_lo, exec_lo
	s_delay_alu instid0(SALU_CYCLE_1)
	s_or_b32 s30, s30, s44
	s_or_b32 exec_lo, exec_lo, s31
	v_mov_b32_e32 v6, 0
	s_and_saveexec_b32 s31, s30
	s_cbranch_execnz .LBB25_361
	s_branch .LBB25_362
.LBB25_585:
	s_mov_b32 s26, -1
	s_mov_b32 s27, 0
.LBB25_586:
                                        ; implicit-def: $vgpr1
.LBB25_587:
	s_and_b32 vcc_lo, exec_lo, s28
	s_cbranch_vccz .LBB25_591
; %bb.588:
	s_cmp_eq_u32 s0, 44
	s_cbranch_scc0 .LBB25_590
; %bb.589:
	s_wait_loadcnt 0x0
	global_load_u8 v1, v[4:5], off
	s_mov_b32 s26, 0
	s_mov_b32 s27, -1
	s_wait_loadcnt 0x0
	v_lshlrev_b32_e32 v3, 23, v1
	v_cmp_ne_u32_e32 vcc_lo, 0xff, v1
	s_delay_alu instid0(VALU_DEP_2) | instskip(NEXT) | instid1(VALU_DEP_1)
	v_cvt_f16_f32_e32 v3, v3
	v_cndmask_b32_e32 v3, 0x7e00, v3, vcc_lo
	v_cmp_ne_u32_e32 vcc_lo, 0, v1
	s_delay_alu instid0(VALU_DEP_2)
	v_cndmask_b32_e32 v1, 0, v3, vcc_lo
	s_branch .LBB25_591
.LBB25_590:
	s_mov_b32 s26, -1
                                        ; implicit-def: $vgpr1
.LBB25_591:
	s_mov_b32 s28, 0
.LBB25_592:
	s_delay_alu instid0(SALU_CYCLE_1)
	s_and_b32 vcc_lo, exec_lo, s28
	s_cbranch_vccz .LBB25_596
; %bb.593:
	s_cmp_eq_u32 s0, 29
	s_cbranch_scc0 .LBB25_595
; %bb.594:
	global_load_b64 v[6:7], v[4:5], off
	s_mov_b32 s27, -1
	s_mov_b32 s26, 0
	s_mov_b32 s28, 0
	s_wait_loadcnt 0x0
	v_clz_i32_u32_e32 v1, v7
	s_delay_alu instid0(VALU_DEP_1) | instskip(NEXT) | instid1(VALU_DEP_1)
	v_min_u32_e32 v1, 32, v1
	v_lshlrev_b64_e32 v[6:7], v1, v[6:7]
	v_sub_nc_u32_e32 v1, 32, v1
	s_delay_alu instid0(VALU_DEP_2) | instskip(NEXT) | instid1(VALU_DEP_1)
	v_min_u32_e32 v3, 1, v6
	v_or_b32_e32 v3, v7, v3
	s_delay_alu instid0(VALU_DEP_1) | instskip(NEXT) | instid1(VALU_DEP_1)
	v_cvt_f32_u32_e32 v3, v3
	v_ldexp_f32 v1, v3, v1
	s_delay_alu instid0(VALU_DEP_1)
	v_cvt_f16_f32_e32 v1, v1
	s_branch .LBB25_597
.LBB25_595:
	s_mov_b32 s26, -1
                                        ; implicit-def: $vgpr1
.LBB25_596:
	s_mov_b32 s28, 0
.LBB25_597:
	s_delay_alu instid0(SALU_CYCLE_1)
	s_and_b32 vcc_lo, exec_lo, s28
	s_cbranch_vccz .LBB25_615
; %bb.598:
	s_cmp_lt_i32 s0, 27
	s_cbranch_scc1 .LBB25_601
; %bb.599:
	s_cmp_gt_i32 s0, 27
	s_cbranch_scc0 .LBB25_602
; %bb.600:
	s_wait_loadcnt 0x0
	global_load_b32 v1, v[4:5], off
	s_mov_b32 s27, 0
	s_wait_loadcnt 0x0
	v_cvt_f32_u32_e32 v1, v1
	s_delay_alu instid0(VALU_DEP_1)
	v_cvt_f16_f32_e32 v1, v1
	s_branch .LBB25_603
.LBB25_601:
	s_mov_b32 s27, -1
                                        ; implicit-def: $vgpr1
	s_branch .LBB25_606
.LBB25_602:
	s_mov_b32 s27, -1
                                        ; implicit-def: $vgpr1
.LBB25_603:
	s_delay_alu instid0(SALU_CYCLE_1)
	s_and_not1_b32 vcc_lo, exec_lo, s27
	s_cbranch_vccnz .LBB25_605
; %bb.604:
	s_wait_loadcnt 0x0
	global_load_u16 v1, v[4:5], off
	s_wait_loadcnt 0x0
	v_cvt_f16_u16_e32 v1, v1
.LBB25_605:
	s_mov_b32 s27, 0
.LBB25_606:
	s_delay_alu instid0(SALU_CYCLE_1)
	s_and_not1_b32 vcc_lo, exec_lo, s27
	s_cbranch_vccnz .LBB25_614
; %bb.607:
	global_load_u8 v3, v[4:5], off
	s_mov_b32 s27, 0
	s_mov_b32 s28, exec_lo
	s_wait_loadcnt 0x0
	v_cmpx_lt_i16_e32 0x7f, v3
	s_xor_b32 s28, exec_lo, s28
	s_cbranch_execz .LBB25_628
; %bb.608:
	s_mov_b32 s27, -1
	s_mov_b32 s29, exec_lo
	v_cmpx_eq_u16_e32 0x80, v3
; %bb.609:
	s_xor_b32 s27, exec_lo, -1
; %bb.610:
	s_or_b32 exec_lo, exec_lo, s29
	s_delay_alu instid0(SALU_CYCLE_1)
	s_and_b32 s27, s27, exec_lo
	s_or_saveexec_b32 s28, s28
	v_mov_b32_e32 v1, 0x7e00
	s_xor_b32 exec_lo, exec_lo, s28
	s_cbranch_execnz .LBB25_629
.LBB25_611:
	s_or_b32 exec_lo, exec_lo, s28
	s_and_saveexec_b32 s28, s27
	s_cbranch_execz .LBB25_613
.LBB25_612:
	v_and_b32_e32 v1, 0xffff, v3
	s_delay_alu instid0(VALU_DEP_1) | instskip(SKIP_1) | instid1(VALU_DEP_2)
	v_and_b32_e32 v6, 7, v1
	v_bfe_u32 v9, v1, 3, 4
	v_clz_i32_u32_e32 v7, v6
	s_delay_alu instid0(VALU_DEP_2) | instskip(NEXT) | instid1(VALU_DEP_2)
	v_cmp_eq_u32_e32 vcc_lo, 0, v9
	v_min_u32_e32 v7, 32, v7
	s_delay_alu instid0(VALU_DEP_1) | instskip(NEXT) | instid1(VALU_DEP_1)
	v_subrev_nc_u32_e32 v8, 28, v7
	v_dual_lshlrev_b32 v1, v8, v1 :: v_dual_sub_nc_u32 v7, 29, v7
	s_delay_alu instid0(VALU_DEP_1) | instskip(NEXT) | instid1(VALU_DEP_1)
	v_dual_lshlrev_b32 v3, 24, v3 :: v_dual_bitop2_b32 v1, 7, v1 bitop3:0x40
	v_dual_cndmask_b32 v1, v6, v1, vcc_lo :: v_dual_cndmask_b32 v7, v9, v7, vcc_lo
	s_delay_alu instid0(VALU_DEP_2) | instskip(NEXT) | instid1(VALU_DEP_2)
	v_and_b32_e32 v3, 0x80000000, v3
	v_lshlrev_b32_e32 v1, 20, v1
	s_delay_alu instid0(VALU_DEP_3) | instskip(NEXT) | instid1(VALU_DEP_1)
	v_lshl_add_u32 v6, v7, 23, 0x3b800000
	v_or3_b32 v1, v3, v6, v1
	s_delay_alu instid0(VALU_DEP_1)
	v_cvt_f16_f32_e32 v1, v1
.LBB25_613:
	s_or_b32 exec_lo, exec_lo, s28
.LBB25_614:
	s_mov_b32 s27, -1
.LBB25_615:
	s_mov_b32 s28, 0
.LBB25_616:
	s_delay_alu instid0(SALU_CYCLE_1)
	s_and_b32 vcc_lo, exec_lo, s28
	s_cbranch_vccz .LBB25_651
; %bb.617:
	s_cmp_gt_i32 s0, 22
	s_cbranch_scc0 .LBB25_627
; %bb.618:
	s_cmp_lt_i32 s0, 24
	s_cbranch_scc1 .LBB25_630
; %bb.619:
	s_cmp_gt_i32 s0, 24
	s_cbranch_scc0 .LBB25_631
; %bb.620:
	global_load_u8 v3, v[4:5], off
	s_mov_b32 s27, 0
	s_mov_b32 s28, exec_lo
	s_wait_loadcnt 0x0
	v_cmpx_lt_i16_e32 0x7f, v3
	s_xor_b32 s28, exec_lo, s28
	s_cbranch_execz .LBB25_643
; %bb.621:
	s_mov_b32 s27, -1
	s_mov_b32 s29, exec_lo
	v_cmpx_eq_u16_e32 0x80, v3
; %bb.622:
	s_xor_b32 s27, exec_lo, -1
; %bb.623:
	s_or_b32 exec_lo, exec_lo, s29
	s_delay_alu instid0(SALU_CYCLE_1)
	s_and_b32 s27, s27, exec_lo
	s_or_saveexec_b32 s28, s28
	v_mov_b32_e32 v1, 0x7e00
	s_xor_b32 exec_lo, exec_lo, s28
	s_cbranch_execnz .LBB25_644
.LBB25_624:
	s_or_b32 exec_lo, exec_lo, s28
	s_and_saveexec_b32 s28, s27
	s_cbranch_execz .LBB25_626
.LBB25_625:
	v_and_b32_e32 v1, 0xffff, v3
	s_delay_alu instid0(VALU_DEP_1) | instskip(SKIP_1) | instid1(VALU_DEP_2)
	v_and_b32_e32 v6, 3, v1
	v_bfe_u32 v9, v1, 2, 5
	v_clz_i32_u32_e32 v7, v6
	s_delay_alu instid0(VALU_DEP_2) | instskip(NEXT) | instid1(VALU_DEP_2)
	v_cmp_eq_u32_e32 vcc_lo, 0, v9
	v_min_u32_e32 v7, 32, v7
	s_delay_alu instid0(VALU_DEP_1) | instskip(NEXT) | instid1(VALU_DEP_1)
	v_subrev_nc_u32_e32 v8, 29, v7
	v_dual_lshlrev_b32 v1, v8, v1 :: v_dual_sub_nc_u32 v7, 30, v7
	s_delay_alu instid0(VALU_DEP_1) | instskip(NEXT) | instid1(VALU_DEP_1)
	v_dual_lshlrev_b32 v3, 24, v3 :: v_dual_bitop2_b32 v1, 3, v1 bitop3:0x40
	v_dual_cndmask_b32 v1, v6, v1, vcc_lo :: v_dual_cndmask_b32 v7, v9, v7, vcc_lo
	s_delay_alu instid0(VALU_DEP_2) | instskip(NEXT) | instid1(VALU_DEP_2)
	v_and_b32_e32 v3, 0x80000000, v3
	v_lshlrev_b32_e32 v1, 21, v1
	s_delay_alu instid0(VALU_DEP_3) | instskip(NEXT) | instid1(VALU_DEP_1)
	v_lshl_add_u32 v6, v7, 23, 0x37800000
	v_or3_b32 v1, v3, v6, v1
	s_delay_alu instid0(VALU_DEP_1)
	v_cvt_f16_f32_e32 v1, v1
.LBB25_626:
	s_or_b32 exec_lo, exec_lo, s28
	s_mov_b32 s27, 0
	s_branch .LBB25_632
.LBB25_627:
	s_mov_b32 s28, -1
                                        ; implicit-def: $vgpr1
	s_branch .LBB25_638
.LBB25_628:
	s_or_saveexec_b32 s28, s28
	v_mov_b32_e32 v1, 0x7e00
	s_xor_b32 exec_lo, exec_lo, s28
	s_cbranch_execz .LBB25_611
.LBB25_629:
	v_cmp_ne_u16_e32 vcc_lo, 0, v3
	v_mov_b32_e32 v1, v3
	s_and_not1_b32 s27, s27, exec_lo
	s_and_b32 s29, vcc_lo, exec_lo
	s_delay_alu instid0(SALU_CYCLE_1)
	s_or_b32 s27, s27, s29
	s_or_b32 exec_lo, exec_lo, s28
	s_and_saveexec_b32 s28, s27
	s_cbranch_execnz .LBB25_612
	s_branch .LBB25_613
.LBB25_630:
	s_mov_b32 s27, -1
                                        ; implicit-def: $vgpr1
	s_branch .LBB25_635
.LBB25_631:
	s_mov_b32 s27, -1
                                        ; implicit-def: $vgpr1
.LBB25_632:
	s_delay_alu instid0(SALU_CYCLE_1)
	s_and_b32 vcc_lo, exec_lo, s27
	s_cbranch_vccz .LBB25_634
; %bb.633:
	s_wait_loadcnt 0x0
	global_load_u8 v1, v[4:5], off
	s_wait_loadcnt 0x0
	v_lshlrev_b32_e32 v1, 24, v1
	s_delay_alu instid0(VALU_DEP_1) | instskip(NEXT) | instid1(VALU_DEP_1)
	v_and_b32_e32 v3, 0x7f000000, v1
	v_clz_i32_u32_e32 v6, v3
	v_cmp_ne_u32_e32 vcc_lo, 0, v3
	v_add_nc_u32_e32 v8, 0x1000000, v3
	s_delay_alu instid0(VALU_DEP_3) | instskip(NEXT) | instid1(VALU_DEP_1)
	v_min_u32_e32 v6, 32, v6
	v_sub_nc_u32_e64 v6, v6, 4 clamp
	s_delay_alu instid0(VALU_DEP_1) | instskip(NEXT) | instid1(VALU_DEP_1)
	v_dual_lshlrev_b32 v7, v6, v3 :: v_dual_lshlrev_b32 v6, 23, v6
	v_lshrrev_b32_e32 v7, 4, v7
	s_delay_alu instid0(VALU_DEP_1) | instskip(NEXT) | instid1(VALU_DEP_1)
	v_dual_sub_nc_u32 v6, v7, v6 :: v_dual_ashrrev_i32 v7, 8, v8
	v_add_nc_u32_e32 v6, 0x3c000000, v6
	s_delay_alu instid0(VALU_DEP_1) | instskip(NEXT) | instid1(VALU_DEP_1)
	v_and_or_b32 v6, 0x7f800000, v7, v6
	v_cndmask_b32_e32 v3, 0, v6, vcc_lo
	s_delay_alu instid0(VALU_DEP_1) | instskip(NEXT) | instid1(VALU_DEP_1)
	v_and_or_b32 v1, 0x80000000, v1, v3
	v_cvt_f16_f32_e32 v1, v1
.LBB25_634:
	s_mov_b32 s27, 0
.LBB25_635:
	s_delay_alu instid0(SALU_CYCLE_1)
	s_and_not1_b32 vcc_lo, exec_lo, s27
	s_cbranch_vccnz .LBB25_637
; %bb.636:
	s_wait_loadcnt 0x0
	global_load_u8 v1, v[4:5], off
	s_wait_loadcnt 0x0
	v_lshlrev_b32_e32 v3, 25, v1
	v_lshlrev_b16 v1, 8, v1
	s_delay_alu instid0(VALU_DEP_1) | instskip(SKIP_1) | instid1(VALU_DEP_2)
	v_and_or_b32 v7, 0x7f00, v1, 0.5
	v_bfe_i32 v1, v1, 0, 16
	v_add_f32_e32 v7, -0.5, v7
	v_lshrrev_b32_e32 v6, 4, v3
	v_cmp_gt_u32_e32 vcc_lo, 0x8000000, v3
	s_delay_alu instid0(VALU_DEP_2) | instskip(NEXT) | instid1(VALU_DEP_1)
	v_or_b32_e32 v6, 0x70000000, v6
	v_mul_f32_e32 v6, 0x7800000, v6
	s_delay_alu instid0(VALU_DEP_1) | instskip(NEXT) | instid1(VALU_DEP_1)
	v_cndmask_b32_e32 v3, v6, v7, vcc_lo
	v_and_or_b32 v1, 0x80000000, v1, v3
	s_delay_alu instid0(VALU_DEP_1)
	v_cvt_f16_f32_e32 v1, v1
.LBB25_637:
	s_mov_b32 s28, 0
	s_mov_b32 s27, -1
.LBB25_638:
	s_and_not1_b32 vcc_lo, exec_lo, s28
	s_cbranch_vccnz .LBB25_651
; %bb.639:
	s_cmp_gt_i32 s0, 14
	s_cbranch_scc0 .LBB25_642
; %bb.640:
	s_cmp_eq_u32 s0, 15
	s_cbranch_scc0 .LBB25_645
; %bb.641:
	s_wait_loadcnt 0x0
	global_load_u16 v1, v[4:5], off
	s_mov_b32 s27, -1
	s_mov_b32 s26, 0
	s_wait_loadcnt 0x0
	v_lshlrev_b32_e32 v1, 16, v1
	s_delay_alu instid0(VALU_DEP_1)
	v_cvt_f16_f32_e32 v1, v1
	s_branch .LBB25_646
.LBB25_642:
	s_mov_b32 s28, -1
                                        ; implicit-def: $vgpr1
	s_branch .LBB25_647
.LBB25_643:
	s_or_saveexec_b32 s28, s28
	v_mov_b32_e32 v1, 0x7e00
	s_xor_b32 exec_lo, exec_lo, s28
	s_cbranch_execz .LBB25_624
.LBB25_644:
	v_cmp_ne_u16_e32 vcc_lo, 0, v3
	v_mov_b32_e32 v1, v3
	s_and_not1_b32 s27, s27, exec_lo
	s_and_b32 s29, vcc_lo, exec_lo
	s_delay_alu instid0(SALU_CYCLE_1)
	s_or_b32 s27, s27, s29
	s_or_b32 exec_lo, exec_lo, s28
	s_and_saveexec_b32 s28, s27
	s_cbranch_execnz .LBB25_625
	s_branch .LBB25_626
.LBB25_645:
	s_mov_b32 s26, -1
                                        ; implicit-def: $vgpr1
.LBB25_646:
	s_mov_b32 s28, 0
.LBB25_647:
	s_delay_alu instid0(SALU_CYCLE_1)
	s_and_b32 vcc_lo, exec_lo, s28
	s_cbranch_vccz .LBB25_651
; %bb.648:
	s_cmp_eq_u32 s0, 11
	s_cbranch_scc0 .LBB25_650
; %bb.649:
	s_wait_loadcnt 0x0
	global_load_u8 v1, v[4:5], off
	s_mov_b32 s26, 0
	s_mov_b32 s27, -1
	s_wait_loadcnt 0x0
	v_cmp_ne_u16_e32 vcc_lo, 0, v1
	v_cndmask_b32_e64 v1, 0, 0x3c00, vcc_lo
	s_branch .LBB25_651
.LBB25_650:
	s_mov_b32 s26, -1
                                        ; implicit-def: $vgpr1
.LBB25_651:
	s_mov_b32 s28, 0
.LBB25_652:
	s_delay_alu instid0(SALU_CYCLE_1)
	s_and_b32 vcc_lo, exec_lo, s28
	s_cbranch_vccz .LBB25_701
; %bb.653:
	s_cmp_lt_i32 s0, 5
	s_cbranch_scc1 .LBB25_658
; %bb.654:
	s_cmp_lt_i32 s0, 8
	s_cbranch_scc1 .LBB25_659
	;; [unrolled: 3-line block ×3, first 2 shown]
; %bb.656:
	s_cmp_gt_i32 s0, 9
	s_cbranch_scc0 .LBB25_661
; %bb.657:
	global_load_b64 v[6:7], v[4:5], off
	s_mov_b32 s27, 0
	s_wait_loadcnt 0x0
	v_and_or_b32 v1, 0x1ff, v7, v6
	v_lshrrev_b32_e32 v3, 8, v7
	v_bfe_u32 v6, v7, 20, 11
	s_delay_alu instid0(VALU_DEP_3) | instskip(NEXT) | instid1(VALU_DEP_2)
	v_cmp_ne_u32_e32 vcc_lo, 0, v1
	v_sub_nc_u32_e32 v8, 0x3f1, v6
	v_add_nc_u32_e32 v6, 0xfffffc10, v6
	v_cndmask_b32_e64 v1, 0, 1, vcc_lo
	s_delay_alu instid0(VALU_DEP_1) | instskip(NEXT) | instid1(VALU_DEP_4)
	v_and_or_b32 v1, 0xffe, v3, v1
	v_med3_i32 v3, v8, 0, 13
	s_delay_alu instid0(VALU_DEP_2) | instskip(NEXT) | instid1(VALU_DEP_1)
	v_or_b32_e32 v8, 0x1000, v1
	v_lshrrev_b32_e32 v9, v3, v8
	s_delay_alu instid0(VALU_DEP_1) | instskip(NEXT) | instid1(VALU_DEP_1)
	v_lshlrev_b32_e32 v3, v3, v9
	v_cmp_ne_u32_e32 vcc_lo, v3, v8
	v_lshl_or_b32 v8, v6, 12, v1
	v_cndmask_b32_e64 v3, 0, 1, vcc_lo
	v_cmp_gt_i32_e32 vcc_lo, 1, v6
	s_delay_alu instid0(VALU_DEP_2) | instskip(NEXT) | instid1(VALU_DEP_1)
	v_or_b32_e32 v3, v9, v3
	v_cndmask_b32_e32 v3, v8, v3, vcc_lo
	s_delay_alu instid0(VALU_DEP_1) | instskip(NEXT) | instid1(VALU_DEP_1)
	v_dual_lshrrev_b32 v3, 2, v3 :: v_dual_bitop2_b32 v8, 7, v3 bitop3:0x40
	v_cmp_lt_i32_e32 vcc_lo, 5, v8
	v_cndmask_b32_e64 v9, 0, 1, vcc_lo
	v_cmp_eq_u32_e32 vcc_lo, 3, v8
	v_cndmask_b32_e64 v8, 0, 1, vcc_lo
	v_cmp_ne_u32_e32 vcc_lo, 0, v1
	s_delay_alu instid0(VALU_DEP_2) | instskip(SKIP_1) | instid1(VALU_DEP_2)
	v_or_b32_e32 v8, v8, v9
	v_mov_b32_e32 v9, 0x7e00
	v_add_nc_u32_e32 v3, v3, v8
	s_delay_alu instid0(VALU_DEP_2) | instskip(SKIP_1) | instid1(VALU_DEP_3)
	v_cndmask_b32_e32 v1, 0x7c00, v9, vcc_lo
	v_cmp_gt_i32_e32 vcc_lo, 31, v6
	v_cndmask_b32_e32 v3, 0x7c00, v3, vcc_lo
	v_cmp_eq_u32_e32 vcc_lo, 0x40f, v6
	s_delay_alu instid0(VALU_DEP_2) | instskip(NEXT) | instid1(VALU_DEP_1)
	v_dual_cndmask_b32 v1, v3, v1, vcc_lo :: v_dual_lshrrev_b32 v3, 16, v7
	v_and_or_b32 v1, 0x8000, v3, v1
	s_branch .LBB25_662
.LBB25_658:
	s_mov_b32 s27, -1
                                        ; implicit-def: $vgpr1
	s_branch .LBB25_680
.LBB25_659:
	s_mov_b32 s27, -1
                                        ; implicit-def: $vgpr1
	s_branch .LBB25_668
.LBB25_660:
	s_mov_b32 s27, -1
                                        ; implicit-def: $vgpr1
	s_branch .LBB25_665
.LBB25_661:
	s_mov_b32 s27, -1
                                        ; implicit-def: $vgpr1
.LBB25_662:
	s_delay_alu instid0(SALU_CYCLE_1)
	s_and_not1_b32 vcc_lo, exec_lo, s27
	s_cbranch_vccnz .LBB25_664
; %bb.663:
	s_wait_loadcnt 0x0
	global_load_b32 v1, v[4:5], off
	s_wait_loadcnt 0x0
	v_cvt_f16_f32_e32 v1, v1
.LBB25_664:
	s_mov_b32 s27, 0
.LBB25_665:
	s_delay_alu instid0(SALU_CYCLE_1)
	s_and_not1_b32 vcc_lo, exec_lo, s27
	s_cbranch_vccnz .LBB25_667
; %bb.666:
	s_wait_loadcnt 0x0
	global_load_b32 v1, v[4:5], off
.LBB25_667:
	s_mov_b32 s27, 0
.LBB25_668:
	s_delay_alu instid0(SALU_CYCLE_1)
	s_and_not1_b32 vcc_lo, exec_lo, s27
	s_cbranch_vccnz .LBB25_679
; %bb.669:
	s_cmp_lt_i32 s0, 6
	s_cbranch_scc1 .LBB25_672
; %bb.670:
	s_cmp_gt_i32 s0, 6
	s_cbranch_scc0 .LBB25_673
; %bb.671:
	global_load_b64 v[6:7], v[4:5], off
	s_mov_b32 s27, 0
	s_wait_loadcnt 0x0
	v_and_or_b32 v1, 0x1ff, v7, v6
	v_lshrrev_b32_e32 v3, 8, v7
	v_bfe_u32 v6, v7, 20, 11
	s_delay_alu instid0(VALU_DEP_3) | instskip(NEXT) | instid1(VALU_DEP_2)
	v_cmp_ne_u32_e32 vcc_lo, 0, v1
	v_sub_nc_u32_e32 v8, 0x3f1, v6
	v_add_nc_u32_e32 v6, 0xfffffc10, v6
	v_cndmask_b32_e64 v1, 0, 1, vcc_lo
	s_delay_alu instid0(VALU_DEP_1) | instskip(NEXT) | instid1(VALU_DEP_4)
	v_and_or_b32 v1, 0xffe, v3, v1
	v_med3_i32 v3, v8, 0, 13
	s_delay_alu instid0(VALU_DEP_2) | instskip(NEXT) | instid1(VALU_DEP_1)
	v_or_b32_e32 v8, 0x1000, v1
	v_lshrrev_b32_e32 v9, v3, v8
	s_delay_alu instid0(VALU_DEP_1) | instskip(NEXT) | instid1(VALU_DEP_1)
	v_lshlrev_b32_e32 v3, v3, v9
	v_cmp_ne_u32_e32 vcc_lo, v3, v8
	v_lshl_or_b32 v8, v6, 12, v1
	v_cndmask_b32_e64 v3, 0, 1, vcc_lo
	v_cmp_gt_i32_e32 vcc_lo, 1, v6
	s_delay_alu instid0(VALU_DEP_2) | instskip(NEXT) | instid1(VALU_DEP_1)
	v_or_b32_e32 v3, v9, v3
	v_cndmask_b32_e32 v3, v8, v3, vcc_lo
	s_delay_alu instid0(VALU_DEP_1) | instskip(NEXT) | instid1(VALU_DEP_1)
	v_dual_lshrrev_b32 v3, 2, v3 :: v_dual_bitop2_b32 v8, 7, v3 bitop3:0x40
	v_cmp_lt_i32_e32 vcc_lo, 5, v8
	v_cndmask_b32_e64 v9, 0, 1, vcc_lo
	v_cmp_eq_u32_e32 vcc_lo, 3, v8
	v_cndmask_b32_e64 v8, 0, 1, vcc_lo
	v_cmp_ne_u32_e32 vcc_lo, 0, v1
	s_delay_alu instid0(VALU_DEP_2) | instskip(SKIP_1) | instid1(VALU_DEP_2)
	v_or_b32_e32 v8, v8, v9
	v_mov_b32_e32 v9, 0x7e00
	v_add_nc_u32_e32 v3, v3, v8
	s_delay_alu instid0(VALU_DEP_2) | instskip(SKIP_1) | instid1(VALU_DEP_3)
	v_cndmask_b32_e32 v1, 0x7c00, v9, vcc_lo
	v_cmp_gt_i32_e32 vcc_lo, 31, v6
	v_cndmask_b32_e32 v3, 0x7c00, v3, vcc_lo
	v_cmp_eq_u32_e32 vcc_lo, 0x40f, v6
	s_delay_alu instid0(VALU_DEP_2) | instskip(NEXT) | instid1(VALU_DEP_1)
	v_dual_cndmask_b32 v1, v3, v1, vcc_lo :: v_dual_lshrrev_b32 v3, 16, v7
	v_and_or_b32 v1, 0x8000, v3, v1
	s_branch .LBB25_674
.LBB25_672:
	s_mov_b32 s27, -1
                                        ; implicit-def: $vgpr1
	s_branch .LBB25_677
.LBB25_673:
	s_mov_b32 s27, -1
                                        ; implicit-def: $vgpr1
.LBB25_674:
	s_delay_alu instid0(SALU_CYCLE_1)
	s_and_not1_b32 vcc_lo, exec_lo, s27
	s_cbranch_vccnz .LBB25_676
; %bb.675:
	s_wait_loadcnt 0x0
	global_load_b32 v1, v[4:5], off
	s_wait_loadcnt 0x0
	v_cvt_f16_f32_e32 v1, v1
.LBB25_676:
	s_mov_b32 s27, 0
.LBB25_677:
	s_delay_alu instid0(SALU_CYCLE_1)
	s_and_not1_b32 vcc_lo, exec_lo, s27
	s_cbranch_vccnz .LBB25_679
; %bb.678:
	s_wait_loadcnt 0x0
	global_load_u16 v1, v[4:5], off
.LBB25_679:
	s_mov_b32 s27, 0
.LBB25_680:
	s_delay_alu instid0(SALU_CYCLE_1)
	s_and_not1_b32 vcc_lo, exec_lo, s27
	s_cbranch_vccnz .LBB25_700
; %bb.681:
	s_cmp_lt_i32 s0, 2
	s_cbranch_scc1 .LBB25_685
; %bb.682:
	s_cmp_lt_i32 s0, 3
	s_cbranch_scc1 .LBB25_686
; %bb.683:
	s_cmp_gt_i32 s0, 3
	s_cbranch_scc0 .LBB25_687
; %bb.684:
	global_load_b64 v[6:7], v[4:5], off
	s_mov_b32 s27, 0
	s_wait_loadcnt 0x0
	v_xor_b32_e32 v1, v6, v7
	v_cls_i32_e32 v3, v7
	s_delay_alu instid0(VALU_DEP_2) | instskip(NEXT) | instid1(VALU_DEP_1)
	v_ashrrev_i32_e32 v1, 31, v1
	v_add_nc_u32_e32 v1, 32, v1
	s_delay_alu instid0(VALU_DEP_1) | instskip(NEXT) | instid1(VALU_DEP_1)
	v_add_min_u32_e64 v1, v3, -1, v1
	v_lshlrev_b64_e32 v[6:7], v1, v[6:7]
	v_sub_nc_u32_e32 v1, 32, v1
	s_delay_alu instid0(VALU_DEP_2) | instskip(NEXT) | instid1(VALU_DEP_1)
	v_min_u32_e32 v3, 1, v6
	v_or_b32_e32 v3, v7, v3
	s_delay_alu instid0(VALU_DEP_1) | instskip(NEXT) | instid1(VALU_DEP_1)
	v_cvt_f32_i32_e32 v3, v3
	v_ldexp_f32 v1, v3, v1
	s_delay_alu instid0(VALU_DEP_1)
	v_cvt_f16_f32_e32 v1, v1
	s_branch .LBB25_688
.LBB25_685:
	s_mov_b32 s27, -1
                                        ; implicit-def: $vgpr1
	s_branch .LBB25_694
.LBB25_686:
	s_mov_b32 s27, -1
                                        ; implicit-def: $vgpr1
	s_branch .LBB25_691
.LBB25_687:
	s_mov_b32 s27, -1
                                        ; implicit-def: $vgpr1
.LBB25_688:
	s_delay_alu instid0(SALU_CYCLE_1)
	s_and_not1_b32 vcc_lo, exec_lo, s27
	s_cbranch_vccnz .LBB25_690
; %bb.689:
	s_wait_loadcnt 0x0
	global_load_b32 v1, v[4:5], off
	s_wait_loadcnt 0x0
	v_cvt_f32_i32_e32 v1, v1
	s_delay_alu instid0(VALU_DEP_1)
	v_cvt_f16_f32_e32 v1, v1
.LBB25_690:
	s_mov_b32 s27, 0
.LBB25_691:
	s_delay_alu instid0(SALU_CYCLE_1)
	s_and_not1_b32 vcc_lo, exec_lo, s27
	s_cbranch_vccnz .LBB25_693
; %bb.692:
	s_wait_loadcnt 0x0
	global_load_u16 v1, v[4:5], off
	s_wait_loadcnt 0x0
	v_cvt_f16_i16_e32 v1, v1
.LBB25_693:
	s_mov_b32 s27, 0
.LBB25_694:
	s_delay_alu instid0(SALU_CYCLE_1)
	s_and_not1_b32 vcc_lo, exec_lo, s27
	s_cbranch_vccnz .LBB25_700
; %bb.695:
	s_cmp_gt_i32 s0, 0
	s_mov_b32 s0, 0
	s_cbranch_scc0 .LBB25_697
; %bb.696:
	s_wait_loadcnt 0x0
	global_load_i8 v1, v[4:5], off
	s_wait_loadcnt 0x0
	v_cvt_f16_i16_e32 v1, v1
	s_branch .LBB25_698
.LBB25_697:
	s_mov_b32 s0, -1
                                        ; implicit-def: $vgpr1
.LBB25_698:
	s_delay_alu instid0(SALU_CYCLE_1)
	s_and_not1_b32 vcc_lo, exec_lo, s0
	s_cbranch_vccnz .LBB25_700
; %bb.699:
	s_wait_loadcnt 0x0
	global_load_u8 v1, v[4:5], off
	s_wait_loadcnt 0x0
	v_cvt_f16_u16_e32 v1, v1
.LBB25_700:
	s_mov_b32 s27, -1
.LBB25_701:
	s_delay_alu instid0(SALU_CYCLE_1)
	s_and_not1_b32 vcc_lo, exec_lo, s27
	s_cbranch_vccnz .LBB25_711
; %bb.702:
	s_wait_loadcnt 0x0
	v_cvt_f32_f16_e32 v3, v1
	s_mov_b32 s0, exec_lo
	s_delay_alu instid0(VALU_DEP_1) | instskip(SKIP_1) | instid1(VALU_DEP_1)
	v_mul_f32_e32 v3, s16, v3
	s_wait_xcnt 0x0
	v_cmpx_nlt_f32_e32 s17, v3
	s_cbranch_execz .LBB25_704
; %bb.703:
	v_mul_f32_e32 v1, 0x3fb8aa3b, v3
	v_cmp_ngt_f32_e32 vcc_lo, 0xc2ce8ed0, v3
	s_mov_b32 s27, 0x3e9b6dac
	s_delay_alu instid0(VALU_DEP_2) | instskip(SKIP_1) | instid1(VALU_DEP_2)
	v_rndne_f32_e32 v4, v1
	v_fma_f32 v5, 0x3fb8aa3b, v3, -v1
	v_sub_f32_e32 v1, v1, v4
	s_delay_alu instid0(VALU_DEP_2) | instskip(SKIP_1) | instid1(VALU_DEP_2)
	v_fmamk_f32 v5, v3, 0x32a5705f, v5
	v_cvt_i32_f32_e32 v4, v4
	v_add_f32_e32 v1, v1, v5
	s_delay_alu instid0(VALU_DEP_1) | instskip(SKIP_1) | instid1(TRANS32_DEP_1)
	v_exp_f32_e32 v1, v1
	v_nop
	v_ldexp_f32 v1, v1, v4
	s_delay_alu instid0(VALU_DEP_1) | instskip(SKIP_1) | instid1(VALU_DEP_2)
	v_cndmask_b32_e32 v1, 0, v1, vcc_lo
	v_cmp_nlt_f32_e32 vcc_lo, 0x42b17218, v3
	v_cndmask_b32_e32 v3, 0x7f800000, v1, vcc_lo
	s_delay_alu instid0(VALU_DEP_1) | instskip(NEXT) | instid1(VALU_DEP_1)
	v_add_f32_e32 v1, 1.0, v3
	v_cvt_f64_f32_e32 v[4:5], v1
	s_delay_alu instid0(VALU_DEP_1) | instskip(SKIP_1) | instid1(VALU_DEP_1)
	v_frexp_exp_i32_f64_e32 v4, v[4:5]
	v_frexp_mant_f32_e32 v5, v1
	v_cmp_gt_f32_e32 vcc_lo, 0x3f2aaaab, v5
	s_delay_alu instid0(VALU_DEP_3) | instskip(NEXT) | instid1(VALU_DEP_1)
	v_subrev_co_ci_u32_e64 v10, null, 0, v4, vcc_lo
	v_dual_add_f32 v4, -1.0, v1 :: v_dual_sub_nc_u32 v5, 0, v10
	s_delay_alu instid0(VALU_DEP_1) | instskip(SKIP_1) | instid1(VALU_DEP_3)
	v_dual_sub_f32 v6, v4, v1 :: v_dual_sub_f32 v4, v3, v4
	v_cmp_neq_f32_e32 vcc_lo, 0x7f800000, v3
	v_ldexp_f32 v1, v1, v5
	s_delay_alu instid0(VALU_DEP_1) | instskip(NEXT) | instid1(VALU_DEP_1)
	v_dual_add_f32 v6, 1.0, v6 :: v_dual_add_f32 v7, 1.0, v1
	v_dual_add_f32 v9, -1.0, v1 :: v_dual_add_f32 v4, v4, v6
	s_delay_alu instid0(VALU_DEP_1) | instskip(NEXT) | instid1(VALU_DEP_3)
	v_ldexp_f32 v4, v4, v5
	v_add_f32_e32 v6, -1.0, v7
	s_delay_alu instid0(VALU_DEP_1) | instskip(NEXT) | instid1(VALU_DEP_1)
	v_dual_sub_f32 v5, v1, v6 :: v_dual_add_f32 v6, 1.0, v9
	v_dual_sub_f32 v1, v1, v6 :: v_dual_add_f32 v8, v4, v5
	s_delay_alu instid0(VALU_DEP_1) | instskip(NEXT) | instid1(VALU_DEP_1)
	v_dual_add_f32 v1, v4, v1 :: v_dual_add_f32 v11, v7, v8
	v_dual_add_f32 v5, v9, v1 :: v_dual_sub_f32 v4, v7, v11
	v_rcp_f32_e32 v12, v11
	s_delay_alu instid0(VALU_DEP_1) | instskip(NEXT) | instid1(TRANS32_DEP_1)
	v_dual_sub_f32 v15, v9, v5 :: v_dual_add_f32 v14, v8, v4
	v_mul_f32_e32 v13, v5, v12
	s_delay_alu instid0(VALU_DEP_1) | instskip(NEXT) | instid1(VALU_DEP_1)
	v_dual_add_f32 v1, v1, v15 :: v_dual_mul_f32 v6, v11, v13
	v_fma_f32 v8, v13, v11, -v6
	s_delay_alu instid0(VALU_DEP_1) | instskip(NEXT) | instid1(VALU_DEP_1)
	v_fmac_f32_e32 v8, v13, v14
	v_add_f32_e32 v4, v6, v8
	s_delay_alu instid0(VALU_DEP_1) | instskip(NEXT) | instid1(VALU_DEP_1)
	v_dual_sub_f32 v7, v5, v4 :: v_dual_mov_b32 v9, v4
	v_pk_add_f32 v[4:5], v[4:5], v[6:7] neg_lo:[0,1] neg_hi:[0,1]
	s_delay_alu instid0(VALU_DEP_1) | instskip(NEXT) | instid1(VALU_DEP_1)
	v_pk_add_f32 v[4:5], v[4:5], v[8:9] neg_lo:[0,1] neg_hi:[0,1]
	v_add_f32_e32 v1, v1, v5
	s_delay_alu instid0(VALU_DEP_1) | instskip(NEXT) | instid1(VALU_DEP_1)
	v_add_f32_e32 v1, v4, v1
	v_add_f32_e32 v5, v7, v1
	s_delay_alu instid0(VALU_DEP_1) | instskip(NEXT) | instid1(VALU_DEP_1)
	v_mul_f32_e32 v15, v12, v5
	v_mul_f32_e32 v8, v11, v15
	s_delay_alu instid0(VALU_DEP_1) | instskip(SKIP_1) | instid1(VALU_DEP_1)
	v_fma_f32 v6, v15, v11, -v8
	v_sub_f32_e32 v11, v7, v5
	v_dual_fmac_f32 v6, v15, v14 :: v_dual_add_f32 v1, v1, v11
	s_delay_alu instid0(VALU_DEP_1) | instskip(NEXT) | instid1(VALU_DEP_1)
	v_add_f32_e32 v4, v8, v6
	v_dual_sub_f32 v9, v5, v4 :: v_dual_mov_b32 v7, v4
	s_delay_alu instid0(VALU_DEP_1) | instskip(NEXT) | instid1(VALU_DEP_1)
	v_pk_add_f32 v[4:5], v[4:5], v[8:9] neg_lo:[0,1] neg_hi:[0,1]
	v_pk_add_f32 v[4:5], v[4:5], v[6:7] neg_lo:[0,1] neg_hi:[0,1]
	v_cvt_f32_i32_e32 v6, v10
	s_delay_alu instid0(VALU_DEP_2) | instskip(NEXT) | instid1(VALU_DEP_1)
	v_add_f32_e32 v1, v1, v5
	v_dual_add_f32 v8, v13, v15 :: v_dual_add_f32 v1, v4, v1
	s_delay_alu instid0(VALU_DEP_1) | instskip(NEXT) | instid1(VALU_DEP_1)
	v_sub_f32_e32 v4, v8, v13
	v_dual_add_f32 v1, v9, v1 :: v_dual_sub_f32 v4, v15, v4
	s_delay_alu instid0(VALU_DEP_1) | instskip(NEXT) | instid1(VALU_DEP_1)
	v_mul_f32_e32 v1, v12, v1
	v_dual_add_f32 v1, v4, v1 :: v_dual_mov_b32 v4, 0x3f317218
	s_delay_alu instid0(VALU_DEP_1) | instskip(NEXT) | instid1(VALU_DEP_1)
	v_add_f32_e32 v9, v8, v1
	v_mul_f32_e32 v5, v9, v9
	s_delay_alu instid0(VALU_DEP_1) | instskip(SKIP_1) | instid1(VALU_DEP_2)
	v_fmaak_f32 v11, s27, v5, 0x3ecc95a3
	v_mul_f32_e32 v7, v9, v5
	v_fmaak_f32 v5, v5, v11, 0x3f2aaada
	s_delay_alu instid0(VALU_DEP_1) | instskip(NEXT) | instid1(VALU_DEP_1)
	v_pk_mul_f32 v[4:5], v[6:7], v[4:5]
	v_fma_f32 v10, 0x3f317218, v6, -v4
	s_delay_alu instid0(VALU_DEP_1) | instskip(SKIP_1) | instid1(VALU_DEP_1)
	v_fmamk_f32 v6, v6, 0xb102e308, v10
	v_sub_f32_e32 v10, v9, v8
	v_sub_f32_e32 v1, v1, v10
	v_ldexp_f32 v7, v9, 1
	v_mov_b32_e32 v10, v4
	s_delay_alu instid0(VALU_DEP_3) | instskip(NEXT) | instid1(VALU_DEP_3)
	v_ldexp_f32 v1, v1, 1
	v_pk_add_f32 v[8:9], v[4:5], v[6:7]
	s_delay_alu instid0(VALU_DEP_1) | instskip(NEXT) | instid1(VALU_DEP_1)
	v_dual_sub_f32 v7, v9, v7 :: v_dual_mov_b32 v18, v9
	v_sub_f32_e32 v7, v5, v7
	s_delay_alu instid0(VALU_DEP_3) | instskip(NEXT) | instid1(VALU_DEP_2)
	v_pk_add_f32 v[4:5], v[8:9], v[4:5] neg_lo:[0,1] neg_hi:[0,1]
	v_dual_add_f32 v11, v1, v7 :: v_dual_mov_b32 v7, v8
	s_delay_alu instid0(VALU_DEP_1) | instskip(NEXT) | instid1(VALU_DEP_1)
	v_pk_add_f32 v[12:13], v[8:9], v[10:11]
	v_mov_b32_e32 v5, v13
	s_delay_alu instid0(VALU_DEP_1) | instskip(SKIP_2) | instid1(VALU_DEP_3)
	v_pk_add_f32 v[14:15], v[6:7], v[4:5]
	v_mov_b32_e32 v14, v13
	v_pk_add_f32 v[4:5], v[6:7], v[4:5] neg_lo:[0,1] neg_hi:[0,1]
	v_dual_mov_b32 v10, v15 :: v_dual_mov_b32 v5, v15
	s_delay_alu instid0(VALU_DEP_1) | instskip(SKIP_1) | instid1(VALU_DEP_2)
	v_pk_add_f32 v[16:17], v[10:11], v[8:9] neg_lo:[0,1] neg_hi:[0,1]
	v_dual_mov_b32 v9, v8 :: v_dual_mov_b32 v8, v11
	v_dual_mov_b32 v1, v16 :: v_dual_mov_b32 v19, v16
	s_delay_alu instid0(VALU_DEP_1) | instskip(NEXT) | instid1(VALU_DEP_2)
	v_pk_add_f32 v[12:13], v[12:13], v[0:1] neg_lo:[0,1] neg_hi:[0,1]
	v_pk_add_f32 v[6:7], v[14:15], v[18:19] neg_lo:[0,1] neg_hi:[0,1]
	v_mov_b32_e32 v12, v4
	s_delay_alu instid0(VALU_DEP_2) | instskip(NEXT) | instid1(VALU_DEP_1)
	v_pk_add_f32 v[6:7], v[8:9], v[6:7] neg_lo:[0,1] neg_hi:[0,1]
	v_pk_add_f32 v[8:9], v[12:13], v[6:7]
	s_delay_alu instid0(VALU_DEP_1) | instskip(NEXT) | instid1(VALU_DEP_1)
	v_mov_b32_e32 v12, v9
	v_pk_add_f32 v[12:13], v[8:9], v[12:13]
	s_delay_alu instid0(VALU_DEP_1) | instskip(NEXT) | instid1(VALU_DEP_1)
	v_pk_add_f32 v[10:11], v[10:11], v[12:13]
	v_mov_b32_e32 v9, v10
	s_delay_alu instid0(VALU_DEP_1) | instskip(NEXT) | instid1(VALU_DEP_1)
	v_pk_add_f32 v[14:15], v[8:9], v[4:5] neg_lo:[0,1] neg_hi:[0,1]
	v_sub_f32_e32 v1, v8, v14
	s_delay_alu instid0(VALU_DEP_1) | instskip(SKIP_1) | instid1(VALU_DEP_1)
	v_sub_f32_e32 v1, v4, v1
	v_mov_b32_e32 v7, v12
	v_pk_add_f32 v[6:7], v[6:7], v[14:15] neg_lo:[0,1] neg_hi:[0,1]
	s_delay_alu instid0(VALU_DEP_1) | instskip(NEXT) | instid1(VALU_DEP_1)
	v_add_f32_e32 v1, v6, v1
	v_add_f32_e32 v1, v1, v7
	s_delay_alu instid0(VALU_DEP_1) | instskip(NEXT) | instid1(VALU_DEP_1)
	v_add_f32_e32 v1, v10, v1
	v_cndmask_b32_e32 v1, 0x7f800000, v1, vcc_lo
	v_cmp_gt_f32_e64 vcc_lo, 0x33800000, |v3|
	s_delay_alu instid0(VALU_DEP_2) | instskip(NEXT) | instid1(VALU_DEP_1)
	v_cndmask_b32_e32 v1, v1, v3, vcc_lo
	v_div_scale_f32 v3, null, s16, s16, v1
	s_delay_alu instid0(VALU_DEP_1) | instskip(SKIP_1) | instid1(TRANS32_DEP_1)
	v_rcp_f32_e32 v4, v3
	v_nop
	v_fma_f32 v5, -v3, v4, 1.0
	s_delay_alu instid0(VALU_DEP_1) | instskip(SKIP_1) | instid1(VALU_DEP_1)
	v_fmac_f32_e32 v4, v5, v4
	v_div_scale_f32 v5, vcc_lo, v1, s16, v1
	v_mul_f32_e32 v6, v5, v4
	s_delay_alu instid0(VALU_DEP_1) | instskip(NEXT) | instid1(VALU_DEP_1)
	v_fma_f32 v7, -v3, v6, v5
	v_fmac_f32_e32 v6, v7, v4
	s_delay_alu instid0(VALU_DEP_1) | instskip(NEXT) | instid1(VALU_DEP_1)
	v_fma_f32 v3, -v3, v6, v5
	v_div_fmas_f32 v3, v3, v4, v6
	s_delay_alu instid0(VALU_DEP_1) | instskip(NEXT) | instid1(VALU_DEP_1)
	v_div_fixup_f32 v1, v3, s16, v1
	v_cvt_f16_f32_e32 v1, v1
.LBB25_704:
	s_or_b32 exec_lo, exec_lo, s0
	v_mov_b32_e32 v3, 0
	s_and_b32 s27, s18, 0xff
	s_delay_alu instid0(SALU_CYCLE_1) | instskip(NEXT) | instid1(VALU_DEP_1)
	s_cmp_lt_i32 s27, 11
	v_add_nc_u64_e32 v[2:3], s[4:5], v[2:3]
	s_cbranch_scc1 .LBB25_712
; %bb.705:
	s_and_b32 s28, 0xffff, s27
	s_delay_alu instid0(SALU_CYCLE_1)
	s_cmp_gt_i32 s28, 25
	s_cbranch_scc0 .LBB25_713
; %bb.706:
	s_cmp_gt_i32 s28, 28
	s_cbranch_scc0 .LBB25_714
; %bb.707:
	;; [unrolled: 3-line block ×4, first 2 shown]
	s_mov_b32 s30, 0
	s_mov_b32 s0, -1
	s_cmp_eq_u32 s28, 46
	s_mov_b32 s29, 0
	s_cbranch_scc0 .LBB25_717
; %bb.710:
	v_cvt_f32_f16_e32 v4, v1
	v_cmp_o_f16_e32 vcc_lo, v1, v1
	s_mov_b32 s29, -1
	s_mov_b32 s0, 0
	s_delay_alu instid0(VALU_DEP_2) | instskip(NEXT) | instid1(VALU_DEP_1)
	v_bfe_u32 v5, v4, 16, 1
	v_add3_u32 v4, v4, v5, 0x7fff
	s_delay_alu instid0(VALU_DEP_1) | instskip(NEXT) | instid1(VALU_DEP_1)
	v_lshrrev_b32_e32 v4, 16, v4
	v_cndmask_b32_e32 v4, 0x7fc0, v4, vcc_lo
	global_store_b32 v[2:3], v4, off
	s_branch .LBB25_717
.LBB25_711:
	s_mov_b32 s27, 0
	s_mov_b32 s0, s45
	s_branch .LBB25_828
.LBB25_712:
	s_mov_b32 s28, -1
	s_mov_b32 s29, 0
	s_mov_b32 s0, s45
	s_branch .LBB25_786
.LBB25_713:
	s_mov_b32 s30, -1
	s_mov_b32 s29, 0
	s_mov_b32 s0, s45
	s_branch .LBB25_744
.LBB25_714:
	s_mov_b32 s30, -1
	s_mov_b32 s29, 0
	s_mov_b32 s0, s45
	s_branch .LBB25_727
.LBB25_715:
	s_mov_b32 s30, -1
	s_mov_b32 s29, 0
	s_mov_b32 s0, s45
	s_branch .LBB25_723
.LBB25_716:
	s_mov_b32 s30, -1
	s_mov_b32 s29, 0
	s_mov_b32 s0, s45
.LBB25_717:
	s_and_b32 vcc_lo, exec_lo, s30
	s_cbranch_vccz .LBB25_722
; %bb.718:
	s_cmp_eq_u32 s28, 44
	s_mov_b32 s0, -1
	s_cbranch_scc0 .LBB25_722
; %bb.719:
	s_wait_xcnt 0x0
	v_cvt_f32_f16_e32 v4, v1
	v_mov_b32_e32 v5, 0xff
	s_mov_b32 s29, exec_lo
	s_delay_alu instid0(VALU_DEP_2) | instskip(NEXT) | instid1(VALU_DEP_1)
	v_bfe_u32 v6, v4, 23, 8
	v_cmpx_ne_u32_e32 0xff, v6
	s_cbranch_execz .LBB25_721
; %bb.720:
	v_and_b32_e32 v5, 0x400000, v4
	v_and_or_b32 v6, 0x3fffff, v4, v6
	v_lshrrev_b32_e32 v4, 23, v4
	s_delay_alu instid0(VALU_DEP_3) | instskip(NEXT) | instid1(VALU_DEP_3)
	v_cmp_ne_u32_e32 vcc_lo, 0, v5
	v_cmp_ne_u32_e64 s0, 0, v6
	s_and_b32 s0, vcc_lo, s0
	s_delay_alu instid0(SALU_CYCLE_1) | instskip(NEXT) | instid1(VALU_DEP_1)
	v_cndmask_b32_e64 v5, 0, 1, s0
	v_add_nc_u32_e32 v5, v4, v5
.LBB25_721:
	s_or_b32 exec_lo, exec_lo, s29
	s_mov_b32 s29, -1
	s_mov_b32 s0, 0
	global_store_b8 v[2:3], v5, off
.LBB25_722:
	s_mov_b32 s30, 0
.LBB25_723:
	s_delay_alu instid0(SALU_CYCLE_1)
	s_and_b32 vcc_lo, exec_lo, s30
	s_cbranch_vccz .LBB25_726
; %bb.724:
	s_cmp_eq_u32 s28, 29
	s_mov_b32 s0, -1
	s_cbranch_scc0 .LBB25_726
; %bb.725:
	s_wait_xcnt 0x0
	v_cvt_f32_f16_e32 v4, v1
	v_mov_b32_e32 v5, 0
	s_mov_b32 s29, -1
	s_mov_b32 s0, 0
	s_mov_b32 s30, 0
	v_cvt_u32_f32_e32 v4, v4
	global_store_b64 v[2:3], v[4:5], off
	s_branch .LBB25_727
.LBB25_726:
	s_mov_b32 s30, 0
.LBB25_727:
	s_delay_alu instid0(SALU_CYCLE_1)
	s_and_b32 vcc_lo, exec_lo, s30
	s_cbranch_vccz .LBB25_743
; %bb.728:
	s_cmp_lt_i32 s28, 27
	s_mov_b32 s29, -1
	s_cbranch_scc1 .LBB25_734
; %bb.729:
	s_cmp_gt_i32 s28, 27
	s_cbranch_scc0 .LBB25_731
; %bb.730:
	s_wait_xcnt 0x0
	v_cvt_f32_f16_e32 v4, v1
	s_mov_b32 s29, 0
	s_delay_alu instid0(VALU_DEP_1)
	v_cvt_u32_f32_e32 v4, v4
	global_store_b32 v[2:3], v4, off
.LBB25_731:
	s_and_not1_b32 vcc_lo, exec_lo, s29
	s_cbranch_vccnz .LBB25_733
; %bb.732:
	s_wait_xcnt 0x0
	v_cvt_u16_f16_e32 v4, v1
	global_store_b16 v[2:3], v4, off
.LBB25_733:
	s_mov_b32 s29, 0
.LBB25_734:
	s_delay_alu instid0(SALU_CYCLE_1)
	s_and_not1_b32 vcc_lo, exec_lo, s29
	s_cbranch_vccnz .LBB25_742
; %bb.735:
	s_wait_xcnt 0x0
	v_cvt_f32_f16_e32 v4, v1
	v_mov_b32_e32 v6, 0x80
	s_mov_b32 s29, exec_lo
	s_delay_alu instid0(VALU_DEP_2) | instskip(NEXT) | instid1(VALU_DEP_1)
	v_and_b32_e32 v5, 0x7fffffff, v4
	v_cmpx_gt_u32_e32 0x43800000, v5
	s_cbranch_execz .LBB25_741
; %bb.736:
	v_cmp_lt_u32_e32 vcc_lo, 0x3bffffff, v5
	s_mov_b32 s30, 0
                                        ; implicit-def: $vgpr5
	s_and_saveexec_b32 s31, vcc_lo
	s_delay_alu instid0(SALU_CYCLE_1)
	s_xor_b32 s31, exec_lo, s31
	s_cbranch_execz .LBB25_860
; %bb.737:
	v_bfe_u32 v5, v4, 20, 1
	s_mov_b32 s30, exec_lo
	s_delay_alu instid0(VALU_DEP_1) | instskip(NEXT) | instid1(VALU_DEP_1)
	v_add3_u32 v5, v4, v5, 0x487ffff
	v_lshrrev_b32_e32 v5, 20, v5
	s_and_not1_saveexec_b32 s31, s31
	s_cbranch_execnz .LBB25_861
.LBB25_738:
	s_or_b32 exec_lo, exec_lo, s31
	v_mov_b32_e32 v6, 0
	s_and_saveexec_b32 s31, s30
.LBB25_739:
	v_lshrrev_b32_e32 v4, 24, v4
	s_delay_alu instid0(VALU_DEP_1)
	v_and_or_b32 v6, 0x80, v4, v5
.LBB25_740:
	s_or_b32 exec_lo, exec_lo, s31
.LBB25_741:
	s_delay_alu instid0(SALU_CYCLE_1)
	s_or_b32 exec_lo, exec_lo, s29
	global_store_b8 v[2:3], v6, off
.LBB25_742:
	s_mov_b32 s29, -1
.LBB25_743:
	s_mov_b32 s30, 0
.LBB25_744:
	s_delay_alu instid0(SALU_CYCLE_1)
	s_and_b32 vcc_lo, exec_lo, s30
	s_cbranch_vccz .LBB25_785
; %bb.745:
	s_cmp_gt_i32 s28, 22
	s_mov_b32 s30, -1
	s_cbranch_scc0 .LBB25_777
; %bb.746:
	s_cmp_lt_i32 s28, 24
	s_mov_b32 s29, -1
	s_cbranch_scc1 .LBB25_766
; %bb.747:
	s_cmp_gt_i32 s28, 24
	s_cbranch_scc0 .LBB25_755
; %bb.748:
	s_wait_xcnt 0x0
	v_cvt_f32_f16_e32 v4, v1
	v_mov_b32_e32 v6, 0x80
	s_mov_b32 s29, exec_lo
	s_delay_alu instid0(VALU_DEP_2) | instskip(NEXT) | instid1(VALU_DEP_1)
	v_and_b32_e32 v5, 0x7fffffff, v4
	v_cmpx_gt_u32_e32 0x47800000, v5
	s_cbranch_execz .LBB25_754
; %bb.749:
	v_cmp_lt_u32_e32 vcc_lo, 0x37ffffff, v5
	s_mov_b32 s30, 0
                                        ; implicit-def: $vgpr5
	s_and_saveexec_b32 s31, vcc_lo
	s_delay_alu instid0(SALU_CYCLE_1)
	s_xor_b32 s31, exec_lo, s31
	s_cbranch_execz .LBB25_863
; %bb.750:
	v_bfe_u32 v5, v4, 21, 1
	s_mov_b32 s30, exec_lo
	s_delay_alu instid0(VALU_DEP_1) | instskip(NEXT) | instid1(VALU_DEP_1)
	v_add3_u32 v5, v4, v5, 0x88fffff
	v_lshrrev_b32_e32 v5, 21, v5
	s_and_not1_saveexec_b32 s31, s31
	s_cbranch_execnz .LBB25_864
.LBB25_751:
	s_or_b32 exec_lo, exec_lo, s31
	v_mov_b32_e32 v6, 0
	s_and_saveexec_b32 s31, s30
.LBB25_752:
	v_lshrrev_b32_e32 v4, 24, v4
	s_delay_alu instid0(VALU_DEP_1)
	v_and_or_b32 v6, 0x80, v4, v5
.LBB25_753:
	s_or_b32 exec_lo, exec_lo, s31
.LBB25_754:
	s_delay_alu instid0(SALU_CYCLE_1)
	s_or_b32 exec_lo, exec_lo, s29
	s_mov_b32 s29, 0
	global_store_b8 v[2:3], v6, off
.LBB25_755:
	s_and_b32 vcc_lo, exec_lo, s29
	s_cbranch_vccz .LBB25_765
; %bb.756:
	s_wait_xcnt 0x0
	v_cvt_f32_f16_e32 v4, v1
	s_mov_b32 s29, exec_lo
                                        ; implicit-def: $vgpr5
	s_delay_alu instid0(VALU_DEP_1) | instskip(NEXT) | instid1(VALU_DEP_1)
	v_and_b32_e32 v6, 0x7fffffff, v4
	v_cmpx_gt_u32_e32 0x43f00000, v6
	s_xor_b32 s29, exec_lo, s29
	s_cbranch_execz .LBB25_762
; %bb.757:
	s_mov_b32 s30, exec_lo
                                        ; implicit-def: $vgpr5
	v_cmpx_lt_u32_e32 0x3c7fffff, v6
	s_xor_b32 s30, exec_lo, s30
; %bb.758:
	v_bfe_u32 v5, v4, 20, 1
	s_delay_alu instid0(VALU_DEP_1) | instskip(NEXT) | instid1(VALU_DEP_1)
	v_add3_u32 v5, v4, v5, 0x407ffff
	v_and_b32_e32 v6, 0xff00000, v5
	v_lshrrev_b32_e32 v5, 20, v5
	s_delay_alu instid0(VALU_DEP_2) | instskip(NEXT) | instid1(VALU_DEP_2)
	v_cmp_ne_u32_e32 vcc_lo, 0x7f00000, v6
	v_cndmask_b32_e32 v5, 0x7e, v5, vcc_lo
; %bb.759:
	s_and_not1_saveexec_b32 s30, s30
; %bb.760:
	v_add_f32_e64 v5, 0x46800000, |v4|
; %bb.761:
	s_or_b32 exec_lo, exec_lo, s30
                                        ; implicit-def: $vgpr6
.LBB25_762:
	s_and_not1_saveexec_b32 s29, s29
; %bb.763:
	v_mov_b32_e32 v5, 0x7f
	v_cmp_lt_u32_e32 vcc_lo, 0x7f800000, v6
	s_delay_alu instid0(VALU_DEP_2)
	v_cndmask_b32_e32 v5, 0x7e, v5, vcc_lo
; %bb.764:
	s_or_b32 exec_lo, exec_lo, s29
	v_lshrrev_b32_e32 v4, 24, v4
	s_delay_alu instid0(VALU_DEP_1)
	v_and_or_b32 v4, 0x80, v4, v5
	global_store_b8 v[2:3], v4, off
.LBB25_765:
	s_mov_b32 s29, 0
.LBB25_766:
	s_delay_alu instid0(SALU_CYCLE_1)
	s_and_not1_b32 vcc_lo, exec_lo, s29
	s_cbranch_vccnz .LBB25_776
; %bb.767:
	s_wait_xcnt 0x0
	v_cvt_f32_f16_e32 v4, v1
	s_mov_b32 s29, exec_lo
                                        ; implicit-def: $vgpr5
	s_delay_alu instid0(VALU_DEP_1) | instskip(NEXT) | instid1(VALU_DEP_1)
	v_and_b32_e32 v6, 0x7fffffff, v4
	v_cmpx_gt_u32_e32 0x47800000, v6
	s_xor_b32 s29, exec_lo, s29
	s_cbranch_execz .LBB25_773
; %bb.768:
	s_mov_b32 s30, exec_lo
                                        ; implicit-def: $vgpr5
	v_cmpx_lt_u32_e32 0x387fffff, v6
	s_xor_b32 s30, exec_lo, s30
; %bb.769:
	v_bfe_u32 v5, v4, 21, 1
	s_delay_alu instid0(VALU_DEP_1) | instskip(NEXT) | instid1(VALU_DEP_1)
	v_add3_u32 v5, v4, v5, 0x80fffff
	v_lshrrev_b32_e32 v5, 21, v5
; %bb.770:
	s_and_not1_saveexec_b32 s30, s30
; %bb.771:
	v_add_f32_e64 v5, 0x43000000, |v4|
; %bb.772:
	s_or_b32 exec_lo, exec_lo, s30
                                        ; implicit-def: $vgpr6
.LBB25_773:
	s_and_not1_saveexec_b32 s29, s29
; %bb.774:
	v_mov_b32_e32 v5, 0x7f
	v_cmp_lt_u32_e32 vcc_lo, 0x7f800000, v6
	s_delay_alu instid0(VALU_DEP_2)
	v_cndmask_b32_e32 v5, 0x7c, v5, vcc_lo
; %bb.775:
	s_or_b32 exec_lo, exec_lo, s29
	v_lshrrev_b32_e32 v4, 24, v4
	s_delay_alu instid0(VALU_DEP_1)
	v_and_or_b32 v4, 0x80, v4, v5
	global_store_b8 v[2:3], v4, off
.LBB25_776:
	s_mov_b32 s30, 0
	s_mov_b32 s29, -1
.LBB25_777:
	s_and_not1_b32 vcc_lo, exec_lo, s30
	s_cbranch_vccnz .LBB25_785
; %bb.778:
	s_cmp_gt_i32 s28, 14
	s_mov_b32 s30, -1
	s_cbranch_scc0 .LBB25_782
; %bb.779:
	s_cmp_eq_u32 s28, 15
	s_mov_b32 s0, -1
	s_cbranch_scc0 .LBB25_781
; %bb.780:
	s_wait_xcnt 0x0
	v_cvt_f32_f16_e32 v4, v1
	v_cmp_o_f16_e32 vcc_lo, v1, v1
	s_mov_b32 s29, -1
	s_mov_b32 s0, 0
	s_delay_alu instid0(VALU_DEP_2) | instskip(NEXT) | instid1(VALU_DEP_1)
	v_bfe_u32 v5, v4, 16, 1
	v_add3_u32 v4, v4, v5, 0x7fff
	s_delay_alu instid0(VALU_DEP_1) | instskip(NEXT) | instid1(VALU_DEP_1)
	v_lshrrev_b32_e32 v4, 16, v4
	v_cndmask_b32_e32 v4, 0x7fc0, v4, vcc_lo
	global_store_b16 v[2:3], v4, off
.LBB25_781:
	s_mov_b32 s30, 0
.LBB25_782:
	s_delay_alu instid0(SALU_CYCLE_1)
	s_and_b32 vcc_lo, exec_lo, s30
	s_cbranch_vccz .LBB25_785
; %bb.783:
	s_cmp_eq_u32 s28, 11
	s_mov_b32 s0, -1
	s_cbranch_scc0 .LBB25_785
; %bb.784:
	s_wait_xcnt 0x0
	v_and_b32_e32 v4, 0x7fff, v1
	s_mov_b32 s0, 0
	s_mov_b32 s29, -1
	s_delay_alu instid0(VALU_DEP_1)
	v_cmp_ne_u16_e32 vcc_lo, 0, v4
	v_cndmask_b32_e64 v4, 0, 1, vcc_lo
	global_store_b8 v[2:3], v4, off
.LBB25_785:
	s_mov_b32 s28, 0
.LBB25_786:
	s_delay_alu instid0(SALU_CYCLE_1)
	s_and_b32 vcc_lo, exec_lo, s28
	s_cbranch_vccz .LBB25_825
; %bb.787:
	s_and_b32 s27, 0xffff, s27
	s_mov_b32 s28, -1
	s_cmp_lt_i32 s27, 5
	s_cbranch_scc1 .LBB25_808
; %bb.788:
	s_cmp_lt_i32 s27, 8
	s_cbranch_scc1 .LBB25_798
; %bb.789:
	;; [unrolled: 3-line block ×3, first 2 shown]
	s_cmp_gt_i32 s27, 9
	s_cbranch_scc0 .LBB25_792
; %bb.791:
	s_wait_xcnt 0x0
	v_cvt_f32_f16_e32 v4, v1
	v_mov_b32_e32 v6, 0
	s_mov_b32 s28, 0
	s_delay_alu instid0(VALU_DEP_2) | instskip(NEXT) | instid1(VALU_DEP_2)
	v_cvt_f64_f32_e32 v[4:5], v4
	v_mov_b32_e32 v7, v6
	global_store_b128 v[2:3], v[4:7], off
.LBB25_792:
	s_and_not1_b32 vcc_lo, exec_lo, s28
	s_cbranch_vccnz .LBB25_794
; %bb.793:
	s_wait_xcnt 0x0
	v_cvt_f32_f16_e32 v4, v1
	v_mov_b32_e32 v5, 0
	global_store_b64 v[2:3], v[4:5], off
.LBB25_794:
	s_mov_b32 s28, 0
.LBB25_795:
	s_delay_alu instid0(SALU_CYCLE_1)
	s_and_not1_b32 vcc_lo, exec_lo, s28
	s_cbranch_vccnz .LBB25_797
; %bb.796:
	s_wait_xcnt 0x0
	v_and_b32_e32 v4, 0xffff, v1
	global_store_b32 v[2:3], v4, off
.LBB25_797:
	s_mov_b32 s28, 0
.LBB25_798:
	s_delay_alu instid0(SALU_CYCLE_1)
	s_and_not1_b32 vcc_lo, exec_lo, s28
	s_cbranch_vccnz .LBB25_807
; %bb.799:
	s_cmp_lt_i32 s27, 6
	s_mov_b32 s28, -1
	s_cbranch_scc1 .LBB25_805
; %bb.800:
	s_cmp_gt_i32 s27, 6
	s_cbranch_scc0 .LBB25_802
; %bb.801:
	s_wait_xcnt 0x0
	v_cvt_f32_f16_e32 v4, v1
	s_mov_b32 s28, 0
	s_delay_alu instid0(VALU_DEP_1)
	v_cvt_f64_f32_e32 v[4:5], v4
	global_store_b64 v[2:3], v[4:5], off
.LBB25_802:
	s_and_not1_b32 vcc_lo, exec_lo, s28
	s_cbranch_vccnz .LBB25_804
; %bb.803:
	s_wait_xcnt 0x0
	v_cvt_f32_f16_e32 v4, v1
	global_store_b32 v[2:3], v4, off
.LBB25_804:
	s_mov_b32 s28, 0
.LBB25_805:
	s_delay_alu instid0(SALU_CYCLE_1)
	s_and_not1_b32 vcc_lo, exec_lo, s28
	s_cbranch_vccnz .LBB25_807
; %bb.806:
	global_store_b16 v[2:3], v1, off
.LBB25_807:
	s_mov_b32 s28, 0
.LBB25_808:
	s_delay_alu instid0(SALU_CYCLE_1)
	s_and_not1_b32 vcc_lo, exec_lo, s28
	s_cbranch_vccnz .LBB25_824
; %bb.809:
	s_cmp_lt_i32 s27, 2
	s_mov_b32 s28, -1
	s_cbranch_scc1 .LBB25_819
; %bb.810:
	s_cmp_lt_i32 s27, 3
	s_cbranch_scc1 .LBB25_816
; %bb.811:
	s_cmp_gt_i32 s27, 3
	s_cbranch_scc0 .LBB25_813
; %bb.812:
	s_wait_xcnt 0x0
	v_cvt_f32_f16_e32 v4, v1
	s_mov_b32 s28, 0
	s_delay_alu instid0(VALU_DEP_1) | instskip(NEXT) | instid1(VALU_DEP_1)
	v_cvt_i32_f32_e32 v4, v4
	v_ashrrev_i32_e32 v5, 31, v4
	global_store_b64 v[2:3], v[4:5], off
.LBB25_813:
	s_and_not1_b32 vcc_lo, exec_lo, s28
	s_cbranch_vccnz .LBB25_815
; %bb.814:
	s_wait_xcnt 0x0
	v_cvt_f32_f16_e32 v4, v1
	s_delay_alu instid0(VALU_DEP_1)
	v_cvt_i32_f32_e32 v4, v4
	global_store_b32 v[2:3], v4, off
.LBB25_815:
	s_mov_b32 s28, 0
.LBB25_816:
	s_delay_alu instid0(SALU_CYCLE_1)
	s_and_not1_b32 vcc_lo, exec_lo, s28
	s_cbranch_vccnz .LBB25_818
; %bb.817:
	s_wait_xcnt 0x0
	v_cvt_i16_f16_e32 v4, v1
	global_store_b16 v[2:3], v4, off
.LBB25_818:
	s_mov_b32 s28, 0
.LBB25_819:
	s_delay_alu instid0(SALU_CYCLE_1)
	s_and_not1_b32 vcc_lo, exec_lo, s28
	s_cbranch_vccnz .LBB25_824
; %bb.820:
	s_cmp_gt_i32 s27, 0
	s_mov_b32 s27, -1
	s_cbranch_scc0 .LBB25_822
; %bb.821:
	s_wait_xcnt 0x0
	v_cvt_i16_f16_e32 v4, v1
	s_mov_b32 s27, 0
	global_store_b8 v[2:3], v4, off
.LBB25_822:
	s_and_not1_b32 vcc_lo, exec_lo, s27
	s_cbranch_vccnz .LBB25_824
; %bb.823:
	s_wait_xcnt 0x0
	v_cvt_f32_f16_e32 v1, v1
	s_delay_alu instid0(VALU_DEP_1)
	v_cvt_i32_f32_e32 v1, v1
	global_store_b8 v[2:3], v1, off
.LBB25_824:
	s_mov_b32 s29, -1
.LBB25_825:
	s_delay_alu instid0(SALU_CYCLE_1)
	s_and_not1_b32 vcc_lo, exec_lo, s29
	s_cbranch_vccnz .LBB25_827
; %bb.826:
	v_add_nc_u32_e32 v0, 0x80, v0
	s_mov_b32 s27, -1
	s_branch .LBB25_829
.LBB25_827:
	s_mov_b32 s27, 0
.LBB25_828:
                                        ; implicit-def: $vgpr0
.LBB25_829:
	s_and_not1_b32 s28, s45, exec_lo
	s_and_b32 s0, s0, exec_lo
	s_and_not1_b32 s29, s44, exec_lo
	s_and_b32 s26, s26, exec_lo
	s_or_b32 s30, s28, s0
	s_or_b32 s0, s29, s26
	s_or_not1_b32 s29, s27, exec_lo
.LBB25_830:
	s_wait_xcnt 0x0
	s_or_b32 exec_lo, exec_lo, s47
	s_mov_b32 s27, 0
	s_mov_b32 s26, 0
	;; [unrolled: 1-line block ×3, first 2 shown]
                                        ; implicit-def: $vgpr4_vgpr5
                                        ; implicit-def: $vgpr2
                                        ; implicit-def: $vgpr6
	s_and_saveexec_b32 s31, s29
	s_cbranch_execz .LBB25_932
; %bb.831:
	v_cmp_gt_i32_e32 vcc_lo, s38, v0
	s_mov_b32 s29, s0
                                        ; implicit-def: $vgpr4_vgpr5
                                        ; implicit-def: $vgpr2
                                        ; implicit-def: $vgpr6
	s_and_saveexec_b32 s38, vcc_lo
	s_cbranch_execz .LBB25_931
; %bb.832:
	s_and_not1_b32 vcc_lo, exec_lo, s35
	s_cbranch_vccnz .LBB25_838
; %bb.833:
	s_and_not1_b32 vcc_lo, exec_lo, s40
	s_cbranch_vccnz .LBB25_839
; %bb.834:
	s_add_co_i32 s39, s39, 1
	s_cmp_eq_u32 s33, 2
	s_cbranch_scc1 .LBB25_840
; %bb.835:
	v_dual_mov_b32 v2, 0 :: v_dual_mov_b32 v4, 0
	s_wait_loadcnt 0x0
	v_mov_b32_e32 v1, v0
	s_and_b32 s26, s39, 28
	s_mov_b64 s[28:29], s[2:3]
.LBB25_836:                             ; =>This Inner Loop Header: Depth=1
	s_clause 0x1
	s_load_b256 s[48:55], s[28:29], 0x4
	s_load_b128 s[64:67], s[28:29], 0x24
	s_load_b256 s[56:63], s[24:25], 0x0
	s_add_co_i32 s27, s27, 4
	s_wait_xcnt 0x0
	s_add_nc_u64 s[28:29], s[28:29], 48
	s_cmp_eq_u32 s26, s27
	s_add_nc_u64 s[24:25], s[24:25], 32
	s_wait_kmcnt 0x0
	v_mul_hi_u32 v3, s49, v1
	s_delay_alu instid0(VALU_DEP_1) | instskip(NEXT) | instid1(VALU_DEP_1)
	v_add_nc_u32_e32 v3, v1, v3
	v_lshrrev_b32_e32 v3, s50, v3
	s_delay_alu instid0(VALU_DEP_1) | instskip(NEXT) | instid1(VALU_DEP_1)
	v_mul_hi_u32 v5, s52, v3
	v_add_nc_u32_e32 v5, v3, v5
	s_delay_alu instid0(VALU_DEP_1) | instskip(NEXT) | instid1(VALU_DEP_1)
	v_lshrrev_b32_e32 v5, s53, v5
	v_mul_hi_u32 v6, s55, v5
	s_delay_alu instid0(VALU_DEP_1) | instskip(SKIP_1) | instid1(VALU_DEP_1)
	v_add_nc_u32_e32 v6, v5, v6
	v_mul_lo_u32 v7, v3, s48
	v_sub_nc_u32_e32 v1, v1, v7
	v_mul_lo_u32 v7, v5, s51
	s_delay_alu instid0(VALU_DEP_4) | instskip(NEXT) | instid1(VALU_DEP_3)
	v_lshrrev_b32_e32 v6, s64, v6
	v_mad_u32 v4, v1, s57, v4
	v_mad_u32 v1, v1, s56, v2
	s_delay_alu instid0(VALU_DEP_4) | instskip(NEXT) | instid1(VALU_DEP_4)
	v_sub_nc_u32_e32 v2, v3, v7
	v_mul_hi_u32 v8, s66, v6
	v_mul_lo_u32 v3, v6, s54
	s_delay_alu instid0(VALU_DEP_3) | instskip(SKIP_1) | instid1(VALU_DEP_3)
	v_mad_u32 v4, v2, s59, v4
	v_mad_u32 v2, v2, s58, v1
	v_dual_add_nc_u32 v7, v6, v8 :: v_dual_sub_nc_u32 v3, v5, v3
	s_delay_alu instid0(VALU_DEP_1) | instskip(NEXT) | instid1(VALU_DEP_2)
	v_lshrrev_b32_e32 v1, s67, v7
	v_mad_u32 v4, v3, s61, v4
	s_delay_alu instid0(VALU_DEP_4) | instskip(NEXT) | instid1(VALU_DEP_3)
	v_mad_u32 v2, v3, s60, v2
	v_mul_lo_u32 v5, v1, s65
	s_delay_alu instid0(VALU_DEP_1) | instskip(NEXT) | instid1(VALU_DEP_1)
	v_sub_nc_u32_e32 v3, v6, v5
	v_mad_u32 v4, v3, s63, v4
	s_delay_alu instid0(VALU_DEP_4)
	v_mad_u32 v2, v3, s62, v2
	s_cbranch_scc0 .LBB25_836
; %bb.837:
	s_delay_alu instid0(VALU_DEP_2)
	v_mov_b32_e32 v3, v4
	s_branch .LBB25_841
.LBB25_838:
	s_mov_b32 s24, -1
                                        ; implicit-def: $vgpr4
                                        ; implicit-def: $vgpr2
	s_branch .LBB25_846
.LBB25_839:
	v_dual_mov_b32 v4, 0 :: v_dual_mov_b32 v2, 0
	s_branch .LBB25_845
.LBB25_840:
	v_mov_b64_e32 v[2:3], 0
	s_wait_loadcnt 0x0
	v_mov_b32_e32 v1, v0
                                        ; implicit-def: $vgpr4
.LBB25_841:
	s_and_b32 s28, s39, 3
	s_mov_b32 s27, 0
	s_cmp_eq_u32 s28, 0
	s_cbranch_scc1 .LBB25_845
; %bb.842:
	s_lshl_b32 s24, s26, 3
	s_mov_b32 s25, s27
	s_mul_u64 s[26:27], s[26:27], 12
	s_add_nc_u64 s[24:25], s[2:3], s[24:25]
	s_add_nc_u64 s[26:27], s[2:3], s[26:27]
	;; [unrolled: 1-line block ×3, first 2 shown]
.LBB25_843:                             ; =>This Inner Loop Header: Depth=1
	s_load_b96 s[48:50], s[26:27], 0x4
	s_add_co_i32 s28, s28, -1
	s_wait_xcnt 0x0
	s_add_nc_u64 s[26:27], s[26:27], 12
	s_cmp_lg_u32 s28, 0
	s_wait_kmcnt 0x0
	v_mul_hi_u32 v4, s49, v1
	s_delay_alu instid0(VALU_DEP_1) | instskip(NEXT) | instid1(VALU_DEP_1)
	v_add_nc_u32_e32 v4, v1, v4
	v_lshrrev_b32_e32 v4, s50, v4
	s_load_b64 s[50:51], s[24:25], 0x0
	s_wait_xcnt 0x0
	s_add_nc_u64 s[24:25], s[24:25], 8
	s_delay_alu instid0(VALU_DEP_1) | instskip(NEXT) | instid1(VALU_DEP_1)
	v_mul_lo_u32 v5, v4, s48
	v_sub_nc_u32_e32 v1, v1, v5
	s_wait_kmcnt 0x0
	s_delay_alu instid0(VALU_DEP_1)
	v_mad_u32 v3, v1, s51, v3
	v_mad_u32 v2, v1, s50, v2
	v_mov_b32_e32 v1, v4
	s_cbranch_scc1 .LBB25_843
; %bb.844:
	s_delay_alu instid0(VALU_DEP_3)
	v_mov_b32_e32 v4, v3
.LBB25_845:
	s_mov_b32 s24, 0
.LBB25_846:
	s_delay_alu instid0(SALU_CYCLE_1)
	s_and_not1_b32 vcc_lo, exec_lo, s24
	s_cbranch_vccnz .LBB25_849
; %bb.847:
	s_wait_loadcnt 0x0
	v_mov_b32_e32 v1, 0
	s_and_not1_b32 vcc_lo, exec_lo, s37
	s_delay_alu instid0(VALU_DEP_1) | instskip(NEXT) | instid1(VALU_DEP_1)
	v_mul_u64_e32 v[2:3], s[20:21], v[0:1]
	v_add_nc_u32_e32 v2, v0, v3
	s_delay_alu instid0(VALU_DEP_1) | instskip(NEXT) | instid1(VALU_DEP_1)
	v_lshrrev_b32_e32 v6, s10, v2
	v_mul_lo_u32 v2, v6, s8
	s_delay_alu instid0(VALU_DEP_1) | instskip(NEXT) | instid1(VALU_DEP_1)
	v_sub_nc_u32_e32 v0, v0, v2
	v_mul_lo_u32 v4, v0, s13
	v_mul_lo_u32 v2, v0, s12
	s_cbranch_vccnz .LBB25_849
; %bb.848:
	v_mov_b32_e32 v7, v1
	s_delay_alu instid0(VALU_DEP_1) | instskip(NEXT) | instid1(VALU_DEP_1)
	v_mul_u64_e32 v[0:1], s[22:23], v[6:7]
	v_add_nc_u32_e32 v0, v6, v1
	s_delay_alu instid0(VALU_DEP_1) | instskip(NEXT) | instid1(VALU_DEP_1)
	v_lshrrev_b32_e32 v0, s1, v0
	v_mul_lo_u32 v0, v0, s11
	s_delay_alu instid0(VALU_DEP_1) | instskip(NEXT) | instid1(VALU_DEP_1)
	v_sub_nc_u32_e32 v0, v6, v0
	v_mad_u32 v2, v0, s14, v2
	v_mad_u32 v4, v0, s15, v4
.LBB25_849:
	v_mov_b32_e32 v5, 0
	s_and_b32 s1, 0xffff, s9
	s_delay_alu instid0(SALU_CYCLE_1) | instskip(NEXT) | instid1(VALU_DEP_1)
	s_cmp_lt_i32 s1, 11
	v_add_nc_u64_e32 v[4:5], s[6:7], v[4:5]
	s_cbranch_scc1 .LBB25_856
; %bb.850:
	s_cmp_gt_i32 s1, 25
	s_mov_b32 s7, 0
	s_cbranch_scc0 .LBB25_857
; %bb.851:
	s_cmp_gt_i32 s1, 28
	s_cbranch_scc0 .LBB25_858
; %bb.852:
	s_cmp_gt_i32 s1, 43
	;; [unrolled: 3-line block ×3, first 2 shown]
	s_cbranch_scc0 .LBB25_862
; %bb.854:
	s_cmp_eq_u32 s1, 46
	s_mov_b32 s10, 0
	s_cbranch_scc0 .LBB25_865
; %bb.855:
	global_load_b32 v0, v[4:5], off
	s_mov_b32 s6, 0
	s_mov_b32 s8, -1
	s_wait_loadcnt 0x0
	v_lshlrev_b32_e32 v0, 16, v0
	s_delay_alu instid0(VALU_DEP_1)
	v_cvt_f16_f32_e32 v6, v0
	s_branch .LBB25_867
.LBB25_856:
	s_mov_b32 s1, -1
	s_mov_b32 s8, 0
	s_mov_b32 s7, 0
	;; [unrolled: 1-line block ×3, first 2 shown]
                                        ; implicit-def: $vgpr6
	s_branch .LBB25_930
.LBB25_857:
	s_mov_b32 s10, -1
	s_mov_b32 s8, 0
	s_mov_b32 s6, s0
                                        ; implicit-def: $vgpr6
	s_branch .LBB25_896
.LBB25_858:
	s_mov_b32 s10, -1
	s_mov_b32 s8, 0
	s_mov_b32 s6, s0
                                        ; implicit-def: $vgpr6
	s_branch .LBB25_877
.LBB25_859:
	s_mov_b32 s10, -1
	s_mov_b32 s8, 0
	s_mov_b32 s6, s0
                                        ; implicit-def: $vgpr6
	s_branch .LBB25_872
.LBB25_860:
	s_and_not1_saveexec_b32 s31, s31
	s_cbranch_execz .LBB25_738
.LBB25_861:
	v_add_f32_e64 v5, 0x46000000, |v4|
	s_and_not1_b32 s30, s30, exec_lo
	s_delay_alu instid0(VALU_DEP_1) | instskip(NEXT) | instid1(VALU_DEP_1)
	v_and_b32_e32 v5, 0xff, v5
	v_cmp_ne_u32_e32 vcc_lo, 0, v5
	s_and_b32 s48, vcc_lo, exec_lo
	s_delay_alu instid0(SALU_CYCLE_1)
	s_or_b32 s30, s30, s48
	s_or_b32 exec_lo, exec_lo, s31
	v_mov_b32_e32 v6, 0
	s_and_saveexec_b32 s31, s30
	s_cbranch_execnz .LBB25_739
	s_branch .LBB25_740
.LBB25_862:
	s_mov_b32 s10, -1
	s_mov_b32 s8, 0
	s_mov_b32 s6, s0
	s_branch .LBB25_866
.LBB25_863:
	s_and_not1_saveexec_b32 s31, s31
	s_cbranch_execz .LBB25_751
.LBB25_864:
	v_add_f32_e64 v5, 0x42800000, |v4|
	s_and_not1_b32 s30, s30, exec_lo
	s_delay_alu instid0(VALU_DEP_1) | instskip(NEXT) | instid1(VALU_DEP_1)
	v_and_b32_e32 v5, 0xff, v5
	v_cmp_ne_u32_e32 vcc_lo, 0, v5
	s_and_b32 s48, vcc_lo, exec_lo
	s_delay_alu instid0(SALU_CYCLE_1)
	s_or_b32 s30, s30, s48
	s_or_b32 exec_lo, exec_lo, s31
	v_mov_b32_e32 v6, 0
	s_and_saveexec_b32 s31, s30
	s_cbranch_execnz .LBB25_752
	s_branch .LBB25_753
.LBB25_865:
	s_mov_b32 s6, -1
	s_mov_b32 s8, 0
.LBB25_866:
                                        ; implicit-def: $vgpr6
.LBB25_867:
	s_and_b32 vcc_lo, exec_lo, s10
	s_cbranch_vccz .LBB25_871
; %bb.868:
	s_cmp_eq_u32 s1, 44
	s_cbranch_scc0 .LBB25_870
; %bb.869:
	global_load_u8 v0, v[4:5], off
	s_mov_b32 s6, 0
	s_mov_b32 s8, -1
	s_wait_loadcnt 0x0
	v_lshlrev_b32_e32 v1, 23, v0
	v_cmp_ne_u32_e32 vcc_lo, 0xff, v0
	s_delay_alu instid0(VALU_DEP_2) | instskip(NEXT) | instid1(VALU_DEP_1)
	v_cvt_f16_f32_e32 v1, v1
	v_cndmask_b32_e32 v1, 0x7e00, v1, vcc_lo
	v_cmp_ne_u32_e32 vcc_lo, 0, v0
	s_delay_alu instid0(VALU_DEP_2)
	v_cndmask_b32_e32 v6, 0, v1, vcc_lo
	s_branch .LBB25_871
.LBB25_870:
	s_mov_b32 s6, -1
                                        ; implicit-def: $vgpr6
.LBB25_871:
	s_mov_b32 s10, 0
.LBB25_872:
	s_delay_alu instid0(SALU_CYCLE_1)
	s_and_b32 vcc_lo, exec_lo, s10
	s_cbranch_vccz .LBB25_876
; %bb.873:
	s_cmp_eq_u32 s1, 29
	s_cbranch_scc0 .LBB25_875
; %bb.874:
	s_wait_loadcnt 0x0
	global_load_b64 v[0:1], v[4:5], off
	s_mov_b32 s6, 0
	s_mov_b32 s8, -1
	s_mov_b32 s10, 0
	s_wait_loadcnt 0x0
	v_clz_i32_u32_e32 v3, v1
	s_delay_alu instid0(VALU_DEP_1) | instskip(NEXT) | instid1(VALU_DEP_1)
	v_min_u32_e32 v3, 32, v3
	v_lshlrev_b64_e32 v[0:1], v3, v[0:1]
	s_delay_alu instid0(VALU_DEP_1) | instskip(NEXT) | instid1(VALU_DEP_1)
	v_min_u32_e32 v0, 1, v0
	v_dual_sub_nc_u32 v1, 32, v3 :: v_dual_bitop2_b32 v0, v1, v0 bitop3:0x54
	s_delay_alu instid0(VALU_DEP_1) | instskip(NEXT) | instid1(VALU_DEP_1)
	v_cvt_f32_u32_e32 v0, v0
	v_ldexp_f32 v0, v0, v1
	s_delay_alu instid0(VALU_DEP_1)
	v_cvt_f16_f32_e32 v6, v0
	s_branch .LBB25_877
.LBB25_875:
	s_mov_b32 s6, -1
                                        ; implicit-def: $vgpr6
.LBB25_876:
	s_mov_b32 s10, 0
.LBB25_877:
	s_delay_alu instid0(SALU_CYCLE_1)
	s_and_b32 vcc_lo, exec_lo, s10
	s_cbranch_vccz .LBB25_895
; %bb.878:
	s_cmp_lt_i32 s1, 27
	s_cbranch_scc1 .LBB25_881
; %bb.879:
	s_cmp_gt_i32 s1, 27
	s_cbranch_scc0 .LBB25_882
; %bb.880:
	global_load_b32 v0, v[4:5], off
	s_mov_b32 s8, 0
	s_wait_loadcnt 0x0
	v_cvt_f32_u32_e32 v0, v0
	s_delay_alu instid0(VALU_DEP_1)
	v_cvt_f16_f32_e32 v6, v0
	s_branch .LBB25_883
.LBB25_881:
	s_mov_b32 s8, -1
                                        ; implicit-def: $vgpr6
	s_branch .LBB25_886
.LBB25_882:
	s_mov_b32 s8, -1
                                        ; implicit-def: $vgpr6
.LBB25_883:
	s_delay_alu instid0(SALU_CYCLE_1)
	s_and_not1_b32 vcc_lo, exec_lo, s8
	s_cbranch_vccnz .LBB25_885
; %bb.884:
	global_load_u16 v0, v[4:5], off
	s_wait_loadcnt 0x0
	v_cvt_f16_u16_e32 v6, v0
.LBB25_885:
	s_mov_b32 s8, 0
.LBB25_886:
	s_delay_alu instid0(SALU_CYCLE_1)
	s_and_not1_b32 vcc_lo, exec_lo, s8
	s_cbranch_vccnz .LBB25_894
; %bb.887:
	global_load_u8 v0, v[4:5], off
	s_mov_b32 s8, 0
	s_mov_b32 s10, exec_lo
	s_wait_loadcnt 0x0
	v_cmpx_lt_i16_e32 0x7f, v0
	s_xor_b32 s10, exec_lo, s10
	s_cbranch_execz .LBB25_908
; %bb.888:
	s_mov_b32 s8, -1
	s_mov_b32 s11, exec_lo
	v_cmpx_eq_u16_e32 0x80, v0
; %bb.889:
	s_xor_b32 s8, exec_lo, -1
; %bb.890:
	s_or_b32 exec_lo, exec_lo, s11
	s_delay_alu instid0(SALU_CYCLE_1)
	s_and_b32 s8, s8, exec_lo
	s_or_saveexec_b32 s10, s10
	v_mov_b32_e32 v6, 0x7e00
	s_xor_b32 exec_lo, exec_lo, s10
	s_cbranch_execnz .LBB25_909
.LBB25_891:
	s_or_b32 exec_lo, exec_lo, s10
	s_and_saveexec_b32 s10, s8
	s_cbranch_execz .LBB25_893
.LBB25_892:
	v_and_b32_e32 v1, 0xffff, v0
	s_delay_alu instid0(VALU_DEP_1) | instskip(SKIP_1) | instid1(VALU_DEP_2)
	v_and_b32_e32 v3, 7, v1
	v_bfe_u32 v8, v1, 3, 4
	v_clz_i32_u32_e32 v6, v3
	s_delay_alu instid0(VALU_DEP_2) | instskip(NEXT) | instid1(VALU_DEP_2)
	v_cmp_eq_u32_e32 vcc_lo, 0, v8
	v_min_u32_e32 v6, 32, v6
	s_delay_alu instid0(VALU_DEP_1) | instskip(NEXT) | instid1(VALU_DEP_1)
	v_subrev_nc_u32_e32 v7, 28, v6
	v_dual_lshlrev_b32 v1, v7, v1 :: v_dual_sub_nc_u32 v6, 29, v6
	s_delay_alu instid0(VALU_DEP_1) | instskip(NEXT) | instid1(VALU_DEP_1)
	v_dual_lshlrev_b32 v0, 24, v0 :: v_dual_bitop2_b32 v1, 7, v1 bitop3:0x40
	v_dual_cndmask_b32 v6, v8, v6 :: v_dual_cndmask_b32 v1, v3, v1
	s_delay_alu instid0(VALU_DEP_2) | instskip(NEXT) | instid1(VALU_DEP_2)
	v_and_b32_e32 v0, 0x80000000, v0
	v_lshl_add_u32 v3, v6, 23, 0x3b800000
	s_delay_alu instid0(VALU_DEP_3) | instskip(NEXT) | instid1(VALU_DEP_1)
	v_lshlrev_b32_e32 v1, 20, v1
	v_or3_b32 v0, v0, v3, v1
	s_delay_alu instid0(VALU_DEP_1)
	v_cvt_f16_f32_e32 v6, v0
.LBB25_893:
	s_or_b32 exec_lo, exec_lo, s10
.LBB25_894:
	s_mov_b32 s8, -1
.LBB25_895:
	s_mov_b32 s10, 0
.LBB25_896:
	s_delay_alu instid0(SALU_CYCLE_1)
	s_and_b32 vcc_lo, exec_lo, s10
	s_cbranch_vccz .LBB25_929
; %bb.897:
	s_cmp_gt_i32 s1, 22
	s_cbranch_scc0 .LBB25_907
; %bb.898:
	s_cmp_lt_i32 s1, 24
	s_cbranch_scc1 .LBB25_910
; %bb.899:
	s_cmp_gt_i32 s1, 24
	s_cbranch_scc0 .LBB25_911
; %bb.900:
	global_load_u8 v0, v[4:5], off
	s_mov_b32 s8, exec_lo
	s_wait_loadcnt 0x0
	v_cmpx_lt_i16_e32 0x7f, v0
	s_xor_b32 s8, exec_lo, s8
	s_cbranch_execz .LBB25_923
; %bb.901:
	s_mov_b32 s7, -1
	s_mov_b32 s10, exec_lo
	v_cmpx_eq_u16_e32 0x80, v0
; %bb.902:
	s_xor_b32 s7, exec_lo, -1
; %bb.903:
	s_or_b32 exec_lo, exec_lo, s10
	s_delay_alu instid0(SALU_CYCLE_1)
	s_and_b32 s7, s7, exec_lo
	s_or_saveexec_b32 s8, s8
	v_mov_b32_e32 v6, 0x7e00
	s_xor_b32 exec_lo, exec_lo, s8
	s_cbranch_execnz .LBB25_924
.LBB25_904:
	s_or_b32 exec_lo, exec_lo, s8
	s_and_saveexec_b32 s8, s7
	s_cbranch_execz .LBB25_906
.LBB25_905:
	v_and_b32_e32 v1, 0xffff, v0
	s_delay_alu instid0(VALU_DEP_1) | instskip(SKIP_1) | instid1(VALU_DEP_2)
	v_and_b32_e32 v3, 3, v1
	v_bfe_u32 v8, v1, 2, 5
	v_clz_i32_u32_e32 v6, v3
	s_delay_alu instid0(VALU_DEP_2) | instskip(NEXT) | instid1(VALU_DEP_2)
	v_cmp_eq_u32_e32 vcc_lo, 0, v8
	v_min_u32_e32 v6, 32, v6
	s_delay_alu instid0(VALU_DEP_1) | instskip(NEXT) | instid1(VALU_DEP_1)
	v_subrev_nc_u32_e32 v7, 29, v6
	v_dual_lshlrev_b32 v1, v7, v1 :: v_dual_sub_nc_u32 v6, 30, v6
	s_delay_alu instid0(VALU_DEP_1) | instskip(NEXT) | instid1(VALU_DEP_1)
	v_dual_lshlrev_b32 v0, 24, v0 :: v_dual_bitop2_b32 v1, 3, v1 bitop3:0x40
	v_dual_cndmask_b32 v6, v8, v6 :: v_dual_cndmask_b32 v1, v3, v1
	s_delay_alu instid0(VALU_DEP_2) | instskip(NEXT) | instid1(VALU_DEP_2)
	v_and_b32_e32 v0, 0x80000000, v0
	v_lshl_add_u32 v3, v6, 23, 0x37800000
	s_delay_alu instid0(VALU_DEP_3) | instskip(NEXT) | instid1(VALU_DEP_1)
	v_lshlrev_b32_e32 v1, 21, v1
	v_or3_b32 v0, v0, v3, v1
	s_delay_alu instid0(VALU_DEP_1)
	v_cvt_f16_f32_e32 v6, v0
.LBB25_906:
	s_or_b32 exec_lo, exec_lo, s8
	s_mov_b32 s7, 0
	s_branch .LBB25_912
.LBB25_907:
	s_mov_b32 s7, -1
                                        ; implicit-def: $vgpr6
	s_branch .LBB25_918
.LBB25_908:
	s_or_saveexec_b32 s10, s10
	v_mov_b32_e32 v6, 0x7e00
	s_xor_b32 exec_lo, exec_lo, s10
	s_cbranch_execz .LBB25_891
.LBB25_909:
	v_cmp_ne_u16_e32 vcc_lo, 0, v0
	v_mov_b32_e32 v6, v0
	s_and_not1_b32 s8, s8, exec_lo
	s_and_b32 s11, vcc_lo, exec_lo
	s_delay_alu instid0(SALU_CYCLE_1)
	s_or_b32 s8, s8, s11
	s_or_b32 exec_lo, exec_lo, s10
	s_and_saveexec_b32 s10, s8
	s_cbranch_execnz .LBB25_892
	s_branch .LBB25_893
.LBB25_910:
	s_mov_b32 s7, -1
                                        ; implicit-def: $vgpr6
	s_branch .LBB25_915
.LBB25_911:
	s_mov_b32 s7, -1
                                        ; implicit-def: $vgpr6
.LBB25_912:
	s_delay_alu instid0(SALU_CYCLE_1)
	s_and_b32 vcc_lo, exec_lo, s7
	s_cbranch_vccz .LBB25_914
; %bb.913:
	global_load_u8 v0, v[4:5], off
	s_wait_loadcnt 0x0
	v_lshlrev_b32_e32 v0, 24, v0
	s_delay_alu instid0(VALU_DEP_1) | instskip(NEXT) | instid1(VALU_DEP_1)
	v_and_b32_e32 v1, 0x7f000000, v0
	v_clz_i32_u32_e32 v3, v1
	v_add_nc_u32_e32 v7, 0x1000000, v1
	v_cmp_ne_u32_e32 vcc_lo, 0, v1
	s_delay_alu instid0(VALU_DEP_3) | instskip(NEXT) | instid1(VALU_DEP_1)
	v_min_u32_e32 v3, 32, v3
	v_sub_nc_u32_e64 v3, v3, 4 clamp
	s_delay_alu instid0(VALU_DEP_1) | instskip(NEXT) | instid1(VALU_DEP_1)
	v_dual_lshlrev_b32 v6, v3, v1 :: v_dual_lshlrev_b32 v3, 23, v3
	v_lshrrev_b32_e32 v6, 4, v6
	s_delay_alu instid0(VALU_DEP_1) | instskip(SKIP_1) | instid1(VALU_DEP_2)
	v_sub_nc_u32_e32 v3, v6, v3
	v_ashrrev_i32_e32 v6, 8, v7
	v_add_nc_u32_e32 v3, 0x3c000000, v3
	s_delay_alu instid0(VALU_DEP_1) | instskip(NEXT) | instid1(VALU_DEP_1)
	v_and_or_b32 v3, 0x7f800000, v6, v3
	v_cndmask_b32_e32 v1, 0, v3, vcc_lo
	s_delay_alu instid0(VALU_DEP_1) | instskip(NEXT) | instid1(VALU_DEP_1)
	v_and_or_b32 v0, 0x80000000, v0, v1
	v_cvt_f16_f32_e32 v6, v0
.LBB25_914:
	s_mov_b32 s7, 0
.LBB25_915:
	s_delay_alu instid0(SALU_CYCLE_1)
	s_and_not1_b32 vcc_lo, exec_lo, s7
	s_cbranch_vccnz .LBB25_917
; %bb.916:
	global_load_u8 v0, v[4:5], off
	s_wait_loadcnt 0x0
	v_lshlrev_b32_e32 v1, 25, v0
	v_lshlrev_b16 v0, 8, v0
	s_delay_alu instid0(VALU_DEP_1) | instskip(SKIP_1) | instid1(VALU_DEP_2)
	v_and_or_b32 v6, 0x7f00, v0, 0.5
	v_bfe_i32 v0, v0, 0, 16
	v_dual_add_f32 v6, -0.5, v6 :: v_dual_lshrrev_b32 v3, 4, v1
	v_cmp_gt_u32_e32 vcc_lo, 0x8000000, v1
	s_delay_alu instid0(VALU_DEP_2) | instskip(NEXT) | instid1(VALU_DEP_1)
	v_or_b32_e32 v3, 0x70000000, v3
	v_mul_f32_e32 v3, 0x7800000, v3
	s_delay_alu instid0(VALU_DEP_1) | instskip(NEXT) | instid1(VALU_DEP_1)
	v_cndmask_b32_e32 v1, v3, v6, vcc_lo
	v_and_or_b32 v0, 0x80000000, v0, v1
	s_delay_alu instid0(VALU_DEP_1)
	v_cvt_f16_f32_e32 v6, v0
.LBB25_917:
	s_mov_b32 s7, 0
	s_mov_b32 s8, -1
.LBB25_918:
	s_and_not1_b32 vcc_lo, exec_lo, s7
	s_mov_b32 s7, 0
	s_cbranch_vccnz .LBB25_929
; %bb.919:
	s_cmp_gt_i32 s1, 14
	s_cbranch_scc0 .LBB25_922
; %bb.920:
	s_cmp_eq_u32 s1, 15
	s_cbranch_scc0 .LBB25_925
; %bb.921:
	global_load_u16 v0, v[4:5], off
	s_mov_b32 s6, 0
	s_mov_b32 s8, -1
	s_wait_loadcnt 0x0
	v_lshlrev_b32_e32 v0, 16, v0
	s_delay_alu instid0(VALU_DEP_1)
	v_cvt_f16_f32_e32 v6, v0
	s_branch .LBB25_927
.LBB25_922:
	s_mov_b32 s7, -1
	s_branch .LBB25_926
.LBB25_923:
	s_or_saveexec_b32 s8, s8
	v_mov_b32_e32 v6, 0x7e00
	s_xor_b32 exec_lo, exec_lo, s8
	s_cbranch_execz .LBB25_904
.LBB25_924:
	v_cmp_ne_u16_e32 vcc_lo, 0, v0
	v_mov_b32_e32 v6, v0
	s_and_not1_b32 s7, s7, exec_lo
	s_and_b32 s10, vcc_lo, exec_lo
	s_delay_alu instid0(SALU_CYCLE_1)
	s_or_b32 s7, s7, s10
	s_or_b32 exec_lo, exec_lo, s8
	s_and_saveexec_b32 s8, s7
	s_cbranch_execnz .LBB25_905
	s_branch .LBB25_906
.LBB25_925:
	s_mov_b32 s6, -1
.LBB25_926:
                                        ; implicit-def: $vgpr6
.LBB25_927:
	s_and_b32 vcc_lo, exec_lo, s7
	s_mov_b32 s7, 0
	s_cbranch_vccz .LBB25_929
; %bb.928:
	s_cmp_lg_u32 s1, 11
	s_mov_b32 s7, -1
	s_cselect_b32 s1, -1, 0
	s_and_not1_b32 s6, s6, exec_lo
	s_and_b32 s1, s1, exec_lo
	s_delay_alu instid0(SALU_CYCLE_1)
	s_or_b32 s6, s6, s1
.LBB25_929:
	s_mov_b32 s1, 0
.LBB25_930:
	s_delay_alu instid0(SALU_CYCLE_1)
	s_and_b32 s26, s1, exec_lo
	s_and_not1_b32 s1, s0, exec_lo
	s_and_b32 s6, s6, exec_lo
	s_and_b32 s28, s8, exec_lo
	s_and_b32 s27, s7, exec_lo
	s_or_b32 s29, s1, s6
.LBB25_931:
	s_wait_xcnt 0x0
	s_or_b32 exec_lo, exec_lo, s38
	s_delay_alu instid0(SALU_CYCLE_1)
	s_and_not1_b32 s0, s0, exec_lo
	s_and_b32 s1, s29, exec_lo
	s_and_b32 s28, s28, exec_lo
	;; [unrolled: 1-line block ×4, first 2 shown]
	s_or_b32 s0, s0, s1
.LBB25_932:
	s_or_b32 exec_lo, exec_lo, s31
	s_delay_alu instid0(SALU_CYCLE_1)
	s_and_not1_b32 s1, s45, exec_lo
	s_and_b32 s6, s30, exec_lo
	s_and_b32 s0, s0, exec_lo
	s_or_b32 s45, s1, s6
	s_and_not1_b32 s1, s44, exec_lo
	s_and_b32 s28, s28, exec_lo
	s_and_b32 s26, s26, exec_lo
	;; [unrolled: 1-line block ×3, first 2 shown]
	s_or_b32 s44, s1, s0
.LBB25_933:
	s_or_b32 exec_lo, exec_lo, s46
	s_delay_alu instid0(SALU_CYCLE_1)
	s_and_not1_b32 s0, s41, exec_lo
	s_and_b32 s1, s45, exec_lo
	s_and_b32 s6, s44, exec_lo
	s_or_b32 s41, s0, s1
	s_and_not1_b32 s1, s42, exec_lo
	s_and_b32 s0, s28, exec_lo
	s_and_b32 s26, s26, exec_lo
	s_and_b32 s21, s27, exec_lo
	s_or_b32 s42, s1, s6
	s_or_b32 exec_lo, exec_lo, s43
	s_mov_b32 s1, 0
	s_and_saveexec_b32 s6, s42
	s_cbranch_execz .LBB25_278
.LBB25_934:
	s_mov_b32 s1, exec_lo
	s_and_not1_b32 s21, s21, exec_lo
	s_trap 2
	s_or_b32 exec_lo, exec_lo, s6
	s_and_saveexec_b32 s6, s21
	s_delay_alu instid0(SALU_CYCLE_1)
	s_xor_b32 s6, exec_lo, s6
	s_cbranch_execnz .LBB25_279
.LBB25_935:
	s_or_b32 exec_lo, exec_lo, s6
	s_and_saveexec_b32 s6, s26
	s_cbranch_execz .LBB25_981
.LBB25_936:
	s_sext_i32_i16 s7, s9
	s_delay_alu instid0(SALU_CYCLE_1)
	s_cmp_lt_i32 s7, 5
	s_cbranch_scc1 .LBB25_941
; %bb.937:
	s_cmp_lt_i32 s7, 8
	s_cbranch_scc1 .LBB25_942
; %bb.938:
	s_cmp_lt_i32 s7, 9
	s_cbranch_scc1 .LBB25_943
; %bb.939:
	s_cmp_gt_i32 s7, 9
	s_cbranch_scc0 .LBB25_944
; %bb.940:
	s_wait_loadcnt 0x0
	global_load_b64 v[0:1], v[4:5], off
	s_mov_b32 s7, 0
	s_wait_loadcnt 0x0
	v_and_or_b32 v0, 0x1ff, v1, v0
	v_lshrrev_b32_e32 v3, 8, v1
	v_bfe_u32 v6, v1, 20, 11
	v_lshrrev_b32_e32 v1, 16, v1
	s_delay_alu instid0(VALU_DEP_4) | instskip(NEXT) | instid1(VALU_DEP_3)
	v_cmp_ne_u32_e32 vcc_lo, 0, v0
	v_sub_nc_u32_e32 v7, 0x3f1, v6
	v_cndmask_b32_e64 v0, 0, 1, vcc_lo
	s_delay_alu instid0(VALU_DEP_1) | instskip(NEXT) | instid1(VALU_DEP_3)
	v_and_or_b32 v0, 0xffe, v3, v0
	v_med3_i32 v3, v7, 0, 13
	s_delay_alu instid0(VALU_DEP_2) | instskip(NEXT) | instid1(VALU_DEP_1)
	v_or_b32_e32 v7, 0x1000, v0
	v_lshrrev_b32_e32 v8, v3, v7
	s_delay_alu instid0(VALU_DEP_1) | instskip(NEXT) | instid1(VALU_DEP_1)
	v_lshlrev_b32_e32 v3, v3, v8
	v_cmp_ne_u32_e32 vcc_lo, v3, v7
	v_cndmask_b32_e64 v3, 0, 1, vcc_lo
	s_delay_alu instid0(VALU_DEP_1) | instskip(SKIP_1) | instid1(VALU_DEP_1)
	v_or_b32_e32 v3, v8, v3
	v_add_nc_u32_e32 v6, 0xfffffc10, v6
	v_lshl_or_b32 v7, v6, 12, v0
	v_cmp_gt_i32_e32 vcc_lo, 1, v6
	s_delay_alu instid0(VALU_DEP_2) | instskip(NEXT) | instid1(VALU_DEP_1)
	v_cndmask_b32_e32 v3, v7, v3, vcc_lo
	v_dual_lshrrev_b32 v3, 2, v3 :: v_dual_bitop2_b32 v7, 7, v3 bitop3:0x40
	s_delay_alu instid0(VALU_DEP_1) | instskip(SKIP_4) | instid1(VALU_DEP_2)
	v_cmp_lt_i32_e32 vcc_lo, 5, v7
	v_cndmask_b32_e64 v8, 0, 1, vcc_lo
	v_cmp_eq_u32_e32 vcc_lo, 3, v7
	v_cndmask_b32_e64 v7, 0, 1, vcc_lo
	v_cmp_ne_u32_e32 vcc_lo, 0, v0
	v_or_b32_e32 v7, v7, v8
	s_delay_alu instid0(VALU_DEP_1) | instskip(NEXT) | instid1(VALU_DEP_1)
	v_dual_mov_b32 v8, 0x7e00 :: v_dual_add_nc_u32 v3, v3, v7
	v_cndmask_b32_e32 v0, 0x7c00, v8, vcc_lo
	v_cmp_gt_i32_e32 vcc_lo, 31, v6
	s_delay_alu instid0(VALU_DEP_3) | instskip(SKIP_1) | instid1(VALU_DEP_2)
	v_cndmask_b32_e32 v3, 0x7c00, v3, vcc_lo
	v_cmp_eq_u32_e32 vcc_lo, 0x40f, v6
	v_cndmask_b32_e32 v0, v3, v0, vcc_lo
	s_delay_alu instid0(VALU_DEP_1)
	v_and_or_b32 v6, 0x8000, v1, v0
	s_branch .LBB25_945
.LBB25_941:
                                        ; implicit-def: $vgpr6
	s_branch .LBB25_962
.LBB25_942:
                                        ; implicit-def: $vgpr6
	s_branch .LBB25_951
.LBB25_943:
	s_mov_b32 s7, -1
                                        ; implicit-def: $vgpr6
	s_branch .LBB25_948
.LBB25_944:
	s_mov_b32 s7, -1
                                        ; implicit-def: $vgpr6
.LBB25_945:
	s_delay_alu instid0(SALU_CYCLE_1)
	s_and_not1_b32 vcc_lo, exec_lo, s7
	s_cbranch_vccnz .LBB25_947
; %bb.946:
	global_load_b32 v0, v[4:5], off
	s_wait_loadcnt 0x0
	v_cvt_f16_f32_e32 v6, v0
.LBB25_947:
	s_mov_b32 s7, 0
.LBB25_948:
	s_delay_alu instid0(SALU_CYCLE_1)
	s_and_not1_b32 vcc_lo, exec_lo, s7
	s_cbranch_vccnz .LBB25_950
; %bb.949:
	global_load_b32 v6, v[4:5], off
.LBB25_950:
	s_cbranch_execnz .LBB25_961
.LBB25_951:
	s_sext_i32_i16 s7, s9
	s_delay_alu instid0(SALU_CYCLE_1)
	s_cmp_lt_i32 s7, 6
	s_cbranch_scc1 .LBB25_954
; %bb.952:
	s_cmp_gt_i32 s7, 6
	s_cbranch_scc0 .LBB25_955
; %bb.953:
	s_wait_loadcnt 0x0
	global_load_b64 v[0:1], v[4:5], off
	s_mov_b32 s7, 0
	s_wait_loadcnt 0x0
	v_and_or_b32 v0, 0x1ff, v1, v0
	v_lshrrev_b32_e32 v3, 8, v1
	v_bfe_u32 v6, v1, 20, 11
	v_lshrrev_b32_e32 v1, 16, v1
	s_delay_alu instid0(VALU_DEP_4) | instskip(NEXT) | instid1(VALU_DEP_3)
	v_cmp_ne_u32_e32 vcc_lo, 0, v0
	v_sub_nc_u32_e32 v7, 0x3f1, v6
	v_cndmask_b32_e64 v0, 0, 1, vcc_lo
	s_delay_alu instid0(VALU_DEP_1) | instskip(NEXT) | instid1(VALU_DEP_3)
	v_and_or_b32 v0, 0xffe, v3, v0
	v_med3_i32 v3, v7, 0, 13
	s_delay_alu instid0(VALU_DEP_2) | instskip(NEXT) | instid1(VALU_DEP_1)
	v_or_b32_e32 v7, 0x1000, v0
	v_lshrrev_b32_e32 v8, v3, v7
	s_delay_alu instid0(VALU_DEP_1) | instskip(NEXT) | instid1(VALU_DEP_1)
	v_lshlrev_b32_e32 v3, v3, v8
	v_cmp_ne_u32_e32 vcc_lo, v3, v7
	v_cndmask_b32_e64 v3, 0, 1, vcc_lo
	s_delay_alu instid0(VALU_DEP_1) | instskip(SKIP_1) | instid1(VALU_DEP_1)
	v_or_b32_e32 v3, v8, v3
	v_add_nc_u32_e32 v6, 0xfffffc10, v6
	v_lshl_or_b32 v7, v6, 12, v0
	v_cmp_gt_i32_e32 vcc_lo, 1, v6
	s_delay_alu instid0(VALU_DEP_2) | instskip(NEXT) | instid1(VALU_DEP_1)
	v_cndmask_b32_e32 v3, v7, v3, vcc_lo
	v_dual_lshrrev_b32 v3, 2, v3 :: v_dual_bitop2_b32 v7, 7, v3 bitop3:0x40
	s_delay_alu instid0(VALU_DEP_1) | instskip(SKIP_4) | instid1(VALU_DEP_2)
	v_cmp_lt_i32_e32 vcc_lo, 5, v7
	v_cndmask_b32_e64 v8, 0, 1, vcc_lo
	v_cmp_eq_u32_e32 vcc_lo, 3, v7
	v_cndmask_b32_e64 v7, 0, 1, vcc_lo
	v_cmp_ne_u32_e32 vcc_lo, 0, v0
	v_or_b32_e32 v7, v7, v8
	s_delay_alu instid0(VALU_DEP_1) | instskip(NEXT) | instid1(VALU_DEP_1)
	v_dual_mov_b32 v8, 0x7e00 :: v_dual_add_nc_u32 v3, v3, v7
	v_cndmask_b32_e32 v0, 0x7c00, v8, vcc_lo
	v_cmp_gt_i32_e32 vcc_lo, 31, v6
	s_delay_alu instid0(VALU_DEP_3) | instskip(SKIP_1) | instid1(VALU_DEP_2)
	v_cndmask_b32_e32 v3, 0x7c00, v3, vcc_lo
	v_cmp_eq_u32_e32 vcc_lo, 0x40f, v6
	v_cndmask_b32_e32 v0, v3, v0, vcc_lo
	s_delay_alu instid0(VALU_DEP_1)
	v_and_or_b32 v6, 0x8000, v1, v0
	s_branch .LBB25_956
.LBB25_954:
	s_mov_b32 s7, -1
                                        ; implicit-def: $vgpr6
	s_branch .LBB25_959
.LBB25_955:
	s_mov_b32 s7, -1
                                        ; implicit-def: $vgpr6
.LBB25_956:
	s_delay_alu instid0(SALU_CYCLE_1)
	s_and_not1_b32 vcc_lo, exec_lo, s7
	s_cbranch_vccnz .LBB25_958
; %bb.957:
	global_load_b32 v0, v[4:5], off
	s_wait_loadcnt 0x0
	v_cvt_f16_f32_e32 v6, v0
.LBB25_958:
	s_mov_b32 s7, 0
.LBB25_959:
	s_delay_alu instid0(SALU_CYCLE_1)
	s_and_not1_b32 vcc_lo, exec_lo, s7
	s_cbranch_vccnz .LBB25_961
; %bb.960:
	s_wait_loadcnt 0x0
	global_load_u16 v6, v[4:5], off
.LBB25_961:
	s_cbranch_execnz .LBB25_980
.LBB25_962:
	s_sext_i32_i16 s7, s9
	s_delay_alu instid0(SALU_CYCLE_1)
	s_cmp_lt_i32 s7, 2
	s_cbranch_scc1 .LBB25_966
; %bb.963:
	s_cmp_lt_i32 s7, 3
	s_cbranch_scc1 .LBB25_967
; %bb.964:
	s_cmp_gt_i32 s7, 3
	s_cbranch_scc0 .LBB25_968
; %bb.965:
	s_wait_loadcnt 0x0
	global_load_b64 v[0:1], v[4:5], off
	s_mov_b32 s7, 0
	s_wait_loadcnt 0x0
	v_xor_b32_e32 v3, v0, v1
	v_cls_i32_e32 v6, v1
	s_delay_alu instid0(VALU_DEP_2) | instskip(NEXT) | instid1(VALU_DEP_1)
	v_ashrrev_i32_e32 v3, 31, v3
	v_add_nc_u32_e32 v3, 32, v3
	s_delay_alu instid0(VALU_DEP_1) | instskip(NEXT) | instid1(VALU_DEP_1)
	v_add_min_u32_e64 v3, v6, -1, v3
	v_lshlrev_b64_e32 v[0:1], v3, v[0:1]
	s_delay_alu instid0(VALU_DEP_1) | instskip(NEXT) | instid1(VALU_DEP_1)
	v_min_u32_e32 v0, 1, v0
	v_dual_sub_nc_u32 v1, 32, v3 :: v_dual_bitop2_b32 v0, v1, v0 bitop3:0x54
	s_delay_alu instid0(VALU_DEP_1) | instskip(NEXT) | instid1(VALU_DEP_1)
	v_cvt_f32_i32_e32 v0, v0
	v_ldexp_f32 v0, v0, v1
	s_delay_alu instid0(VALU_DEP_1)
	v_cvt_f16_f32_e32 v6, v0
	s_branch .LBB25_969
.LBB25_966:
                                        ; implicit-def: $vgpr6
	s_branch .LBB25_975
.LBB25_967:
	s_mov_b32 s7, -1
                                        ; implicit-def: $vgpr6
	s_branch .LBB25_972
.LBB25_968:
	s_mov_b32 s7, -1
                                        ; implicit-def: $vgpr6
.LBB25_969:
	s_delay_alu instid0(SALU_CYCLE_1)
	s_and_not1_b32 vcc_lo, exec_lo, s7
	s_cbranch_vccnz .LBB25_971
; %bb.970:
	global_load_b32 v0, v[4:5], off
	s_wait_loadcnt 0x0
	v_cvt_f32_i32_e32 v0, v0
	s_delay_alu instid0(VALU_DEP_1)
	v_cvt_f16_f32_e32 v6, v0
.LBB25_971:
	s_mov_b32 s7, 0
.LBB25_972:
	s_delay_alu instid0(SALU_CYCLE_1)
	s_and_not1_b32 vcc_lo, exec_lo, s7
	s_cbranch_vccnz .LBB25_974
; %bb.973:
	global_load_u16 v0, v[4:5], off
	s_wait_loadcnt 0x0
	v_cvt_f16_i16_e32 v6, v0
.LBB25_974:
	s_cbranch_execnz .LBB25_980
.LBB25_975:
	s_sext_i32_i16 s7, s9
	s_delay_alu instid0(SALU_CYCLE_1)
	s_cmp_gt_i32 s7, 0
	s_mov_b32 s7, 0
	s_cbranch_scc0 .LBB25_977
; %bb.976:
	global_load_i8 v0, v[4:5], off
	s_wait_loadcnt 0x0
	v_cvt_f16_i16_e32 v6, v0
	s_branch .LBB25_978
.LBB25_977:
	s_mov_b32 s7, -1
                                        ; implicit-def: $vgpr6
.LBB25_978:
	s_delay_alu instid0(SALU_CYCLE_1)
	s_and_not1_b32 vcc_lo, exec_lo, s7
	s_cbranch_vccnz .LBB25_980
; %bb.979:
	global_load_u8 v0, v[4:5], off
	s_wait_loadcnt 0x0
	v_cvt_f16_u16_e32 v6, v0
.LBB25_980:
	s_or_b32 s0, s0, exec_lo
.LBB25_981:
	s_wait_xcnt 0x0
	s_or_b32 exec_lo, exec_lo, s6
	s_mov_b32 s9, 0
	s_mov_b32 s8, 0
                                        ; implicit-def: $sgpr6
                                        ; implicit-def: $vgpr0_vgpr1
	s_and_saveexec_b32 s7, s0
	s_cbranch_execz .LBB25_991
; %bb.982:
	s_wait_loadcnt 0x0
	v_cvt_f32_f16_e32 v0, v6
	s_mov_b32 s0, exec_lo
	s_delay_alu instid0(VALU_DEP_1) | instskip(NEXT) | instid1(VALU_DEP_1)
	v_mul_f32_e32 v0, s16, v0
	v_cmpx_nlt_f32_e32 s17, v0
	s_cbranch_execz .LBB25_984
; %bb.983:
	v_mul_f32_e32 v1, 0x3fb8aa3b, v0
	v_cmp_ngt_f32_e32 vcc_lo, 0xc2ce8ed0, v0
	s_mov_b32 s6, 0x3e9b6dac
	s_delay_alu instid0(VALU_DEP_2) | instskip(SKIP_1) | instid1(VALU_DEP_1)
	v_rndne_f32_e32 v3, v1
	v_fma_f32 v4, 0x3fb8aa3b, v0, -v1
	v_dual_sub_f32 v1, v1, v3 :: v_dual_fmamk_f32 v4, v0, 0x32a5705f, v4
	v_cvt_i32_f32_e32 v3, v3
	s_delay_alu instid0(VALU_DEP_2) | instskip(NEXT) | instid1(VALU_DEP_1)
	v_add_f32_e32 v1, v1, v4
	v_exp_f32_e32 v1, v1
	v_nop
	s_delay_alu instid0(TRANS32_DEP_1) | instskip(NEXT) | instid1(VALU_DEP_1)
	v_ldexp_f32 v1, v1, v3
	v_cndmask_b32_e32 v1, 0, v1, vcc_lo
	v_cmp_nlt_f32_e32 vcc_lo, 0x42b17218, v0
	s_delay_alu instid0(VALU_DEP_2) | instskip(NEXT) | instid1(VALU_DEP_1)
	v_cndmask_b32_e32 v18, 0x7f800000, v1, vcc_lo
	v_add_f32_e32 v3, 1.0, v18
	s_delay_alu instid0(VALU_DEP_1) | instskip(NEXT) | instid1(VALU_DEP_1)
	v_cvt_f64_f32_e32 v[0:1], v3
	v_frexp_exp_i32_f64_e32 v0, v[0:1]
	v_frexp_mant_f32_e32 v1, v3
	s_delay_alu instid0(VALU_DEP_1) | instskip(NEXT) | instid1(VALU_DEP_3)
	v_cmp_gt_f32_e32 vcc_lo, 0x3f2aaaab, v1
	v_subrev_co_ci_u32_e64 v8, null, 0, v0, vcc_lo
	s_delay_alu instid0(VALU_DEP_1) | instskip(SKIP_1) | instid1(VALU_DEP_2)
	v_dual_add_f32 v0, -1.0, v3 :: v_dual_sub_nc_u32 v1, 0, v8
	v_cmp_neq_f32_e32 vcc_lo, 0x7f800000, v18
	v_sub_f32_e32 v4, v0, v3
	s_delay_alu instid0(VALU_DEP_3) | instskip(SKIP_1) | instid1(VALU_DEP_2)
	v_ldexp_f32 v3, v3, v1
	v_sub_f32_e32 v0, v18, v0
	v_dual_add_f32 v4, 1.0, v4 :: v_dual_add_f32 v7, -1.0, v3
	s_delay_alu instid0(VALU_DEP_1) | instskip(NEXT) | instid1(VALU_DEP_1)
	v_dual_add_f32 v5, 1.0, v3 :: v_dual_add_f32 v0, v0, v4
	v_add_f32_e32 v4, -1.0, v5
	s_delay_alu instid0(VALU_DEP_2) | instskip(NEXT) | instid1(VALU_DEP_2)
	v_ldexp_f32 v0, v0, v1
	v_dual_sub_f32 v1, v3, v4 :: v_dual_add_f32 v4, 1.0, v7
	s_delay_alu instid0(VALU_DEP_1) | instskip(NEXT) | instid1(VALU_DEP_1)
	v_dual_add_f32 v6, v0, v1 :: v_dual_sub_f32 v1, v3, v4
	v_dual_add_f32 v3, v5, v6 :: v_dual_add_f32 v9, v0, v1
	s_delay_alu instid0(VALU_DEP_1) | instskip(NEXT) | instid1(VALU_DEP_1)
	v_rcp_f32_e32 v10, v3
	v_dual_add_f32 v1, v7, v9 :: v_dual_sub_f32 v0, v5, v3
	s_delay_alu instid0(TRANS32_DEP_1) | instid1(VALU_DEP_1)
	v_dual_sub_f32 v13, v7, v1 :: v_dual_mul_f32 v11, v1, v10
	s_delay_alu instid0(VALU_DEP_1) | instskip(NEXT) | instid1(VALU_DEP_1)
	v_dual_add_f32 v12, v6, v0 :: v_dual_mul_f32 v4, v3, v11
	v_fma_f32 v6, v11, v3, -v4
	s_delay_alu instid0(VALU_DEP_1) | instskip(NEXT) | instid1(VALU_DEP_1)
	v_fmac_f32_e32 v6, v11, v12
	v_add_f32_e32 v0, v4, v6
	s_delay_alu instid0(VALU_DEP_1) | instskip(NEXT) | instid1(VALU_DEP_1)
	v_dual_sub_f32 v5, v1, v0 :: v_dual_mov_b32 v7, v0
	v_pk_add_f32 v[0:1], v[0:1], v[4:5] neg_lo:[0,1] neg_hi:[0,1]
	v_add_f32_e32 v4, v9, v13
	s_delay_alu instid0(VALU_DEP_2) | instskip(NEXT) | instid1(VALU_DEP_1)
	v_pk_add_f32 v[0:1], v[0:1], v[6:7] neg_lo:[0,1] neg_hi:[0,1]
	v_add_f32_e32 v1, v4, v1
	s_delay_alu instid0(VALU_DEP_1) | instskip(NEXT) | instid1(VALU_DEP_1)
	v_add_f32_e32 v9, v0, v1
	v_add_f32_e32 v1, v5, v9
	s_delay_alu instid0(VALU_DEP_1) | instskip(NEXT) | instid1(VALU_DEP_1)
	v_mul_f32_e32 v13, v10, v1
	v_mul_f32_e32 v6, v3, v13
	s_delay_alu instid0(VALU_DEP_1) | instskip(NEXT) | instid1(VALU_DEP_1)
	v_fma_f32 v4, v13, v3, -v6
	v_fmac_f32_e32 v4, v13, v12
	s_delay_alu instid0(VALU_DEP_1) | instskip(NEXT) | instid1(VALU_DEP_1)
	v_dual_add_f32 v0, v6, v4 :: v_dual_sub_f32 v3, v5, v1
	v_dual_sub_f32 v7, v1, v0 :: v_dual_mov_b32 v5, v0
	s_delay_alu instid0(VALU_DEP_2) | instskip(NEXT) | instid1(VALU_DEP_2)
	v_add_f32_e32 v3, v9, v3
	v_pk_add_f32 v[0:1], v[0:1], v[6:7] neg_lo:[0,1] neg_hi:[0,1]
	s_delay_alu instid0(VALU_DEP_1) | instskip(SKIP_1) | instid1(VALU_DEP_2)
	v_pk_add_f32 v[0:1], v[0:1], v[4:5] neg_lo:[0,1] neg_hi:[0,1]
	v_cvt_f32_i32_e32 v4, v8
	v_add_f32_e32 v1, v3, v1
	s_delay_alu instid0(VALU_DEP_1) | instskip(NEXT) | instid1(VALU_DEP_1)
	v_add_f32_e32 v0, v0, v1
	v_add_f32_e32 v0, v7, v0
	s_delay_alu instid0(VALU_DEP_1) | instskip(NEXT) | instid1(VALU_DEP_1)
	v_dual_mul_f32 v0, v10, v0 :: v_dual_add_f32 v3, v11, v13
	v_sub_f32_e32 v1, v3, v11
	s_delay_alu instid0(VALU_DEP_1) | instskip(NEXT) | instid1(VALU_DEP_1)
	v_sub_f32_e32 v1, v13, v1
	v_dual_add_f32 v9, v1, v0 :: v_dual_mov_b32 v0, 0x3f317218
	s_delay_alu instid0(VALU_DEP_1) | instskip(NEXT) | instid1(VALU_DEP_1)
	v_add_f32_e32 v6, v3, v9
	v_dual_mul_f32 v1, v6, v6 :: v_dual_sub_f32 v3, v6, v3
	s_delay_alu instid0(VALU_DEP_1) | instskip(SKIP_1) | instid1(VALU_DEP_1)
	v_mul_f32_e32 v5, v6, v1
	v_fmaak_f32 v7, s6, v1, 0x3ecc95a3
	v_fmaak_f32 v1, v1, v7, 0x3f2aaada
	s_delay_alu instid0(VALU_DEP_1) | instskip(SKIP_1) | instid1(VALU_DEP_2)
	v_pk_mul_f32 v[0:1], v[4:5], v[0:1]
	v_ldexp_f32 v5, v6, 1
	v_fma_f32 v7, 0x3f317218, v4, -v0
	v_mov_b32_e32 v8, v0
	s_delay_alu instid0(VALU_DEP_2) | instskip(NEXT) | instid1(VALU_DEP_1)
	v_fmamk_f32 v4, v4, 0xb102e308, v7
	v_pk_add_f32 v[6:7], v[0:1], v[4:5]
	s_delay_alu instid0(VALU_DEP_1) | instskip(NEXT) | instid1(VALU_DEP_1)
	v_dual_sub_f32 v3, v9, v3 :: v_dual_sub_f32 v5, v7, v5
	v_ldexp_f32 v3, v3, 1
	s_delay_alu instid0(VALU_DEP_2) | instskip(NEXT) | instid1(VALU_DEP_4)
	v_dual_mov_b32 v16, v7 :: v_dual_sub_f32 v5, v1, v5
	v_pk_add_f32 v[0:1], v[6:7], v[0:1] neg_lo:[0,1] neg_hi:[0,1]
	s_delay_alu instid0(VALU_DEP_2) | instskip(NEXT) | instid1(VALU_DEP_1)
	v_dual_add_f32 v9, v3, v5 :: v_dual_mov_b32 v5, v6
	v_pk_add_f32 v[10:11], v[6:7], v[8:9]
	s_delay_alu instid0(VALU_DEP_1) | instskip(NEXT) | instid1(VALU_DEP_1)
	v_mov_b32_e32 v1, v11
	v_pk_add_f32 v[12:13], v[4:5], v[0:1]
	v_mov_b32_e32 v12, v11
	v_pk_add_f32 v[0:1], v[4:5], v[0:1] neg_lo:[0,1] neg_hi:[0,1]
	s_delay_alu instid0(VALU_DEP_3) | instskip(NEXT) | instid1(VALU_DEP_1)
	v_dual_mov_b32 v8, v13 :: v_dual_mov_b32 v1, v13
	v_pk_add_f32 v[14:15], v[8:9], v[6:7] neg_lo:[0,1] neg_hi:[0,1]
	v_dual_mov_b32 v7, v6 :: v_dual_mov_b32 v6, v9
	s_delay_alu instid0(VALU_DEP_2) | instskip(NEXT) | instid1(VALU_DEP_1)
	v_dual_mov_b32 v3, v14 :: v_dual_mov_b32 v17, v14
	v_pk_add_f32 v[10:11], v[10:11], v[2:3] neg_lo:[0,1] neg_hi:[0,1]
	s_delay_alu instid0(VALU_DEP_2) | instskip(SKIP_1) | instid1(VALU_DEP_2)
	v_pk_add_f32 v[4:5], v[12:13], v[16:17] neg_lo:[0,1] neg_hi:[0,1]
	v_mov_b32_e32 v10, v0
	v_pk_add_f32 v[4:5], v[6:7], v[4:5] neg_lo:[0,1] neg_hi:[0,1]
	s_delay_alu instid0(VALU_DEP_1) | instskip(NEXT) | instid1(VALU_DEP_1)
	v_pk_add_f32 v[6:7], v[10:11], v[4:5]
	v_mov_b32_e32 v10, v7
	s_delay_alu instid0(VALU_DEP_1) | instskip(NEXT) | instid1(VALU_DEP_1)
	v_pk_add_f32 v[10:11], v[6:7], v[10:11]
	v_pk_add_f32 v[8:9], v[8:9], v[10:11]
	s_delay_alu instid0(VALU_DEP_1) | instskip(NEXT) | instid1(VALU_DEP_1)
	v_mov_b32_e32 v7, v8
	v_pk_add_f32 v[12:13], v[6:7], v[0:1] neg_lo:[0,1] neg_hi:[0,1]
	s_delay_alu instid0(VALU_DEP_1) | instskip(NEXT) | instid1(VALU_DEP_1)
	v_sub_f32_e32 v1, v6, v12
	v_dual_mov_b32 v5, v10 :: v_dual_sub_f32 v0, v0, v1
	s_delay_alu instid0(VALU_DEP_1) | instskip(NEXT) | instid1(VALU_DEP_1)
	v_pk_add_f32 v[4:5], v[4:5], v[12:13] neg_lo:[0,1] neg_hi:[0,1]
	v_add_f32_e32 v0, v4, v0
	s_delay_alu instid0(VALU_DEP_1) | instskip(NEXT) | instid1(VALU_DEP_1)
	v_add_f32_e32 v0, v0, v5
	v_add_f32_e32 v0, v8, v0
	s_delay_alu instid0(VALU_DEP_1) | instskip(SKIP_1) | instid1(VALU_DEP_2)
	v_cndmask_b32_e32 v0, 0x7f800000, v0, vcc_lo
	v_cmp_gt_f32_e64 vcc_lo, 0x33800000, |v18|
	v_cndmask_b32_e32 v0, v0, v18, vcc_lo
	s_delay_alu instid0(VALU_DEP_1) | instskip(NEXT) | instid1(VALU_DEP_1)
	v_div_scale_f32 v1, null, s16, s16, v0
	v_rcp_f32_e32 v3, v1
	v_nop
	s_delay_alu instid0(TRANS32_DEP_1) | instskip(NEXT) | instid1(VALU_DEP_1)
	v_fma_f32 v4, -v1, v3, 1.0
	v_fmac_f32_e32 v3, v4, v3
	v_div_scale_f32 v4, vcc_lo, v0, s16, v0
	s_delay_alu instid0(VALU_DEP_1) | instskip(NEXT) | instid1(VALU_DEP_1)
	v_mul_f32_e32 v5, v4, v3
	v_fma_f32 v6, -v1, v5, v4
	s_delay_alu instid0(VALU_DEP_1) | instskip(NEXT) | instid1(VALU_DEP_1)
	v_fmac_f32_e32 v5, v6, v3
	v_fma_f32 v1, -v1, v5, v4
	s_delay_alu instid0(VALU_DEP_1) | instskip(NEXT) | instid1(VALU_DEP_1)
	v_div_fmas_f32 v1, v1, v3, v5
	v_div_fixup_f32 v0, v1, s16, v0
	s_delay_alu instid0(VALU_DEP_1)
	v_cvt_f16_f32_e32 v6, v0
.LBB25_984:
	s_or_b32 exec_lo, exec_lo, s0
	v_mov_b32_e32 v3, 0
	s_and_b32 s6, s18, 0xff
	s_delay_alu instid0(SALU_CYCLE_1) | instskip(NEXT) | instid1(VALU_DEP_1)
	s_cmp_lt_i32 s6, 11
	v_add_nc_u64_e32 v[0:1], s[4:5], v[2:3]
	s_cbranch_scc1 .LBB25_994
; %bb.985:
	s_and_b32 s4, 0xffff, s6
	s_mov_b32 s5, -1
	s_cmp_gt_i32 s4, 25
	s_mov_b32 s0, s41
	s_cbranch_scc0 .LBB25_1022
; %bb.986:
	s_cmp_gt_i32 s4, 28
	s_mov_b32 s0, s41
	s_cbranch_scc0 .LBB25_1006
; %bb.987:
	;; [unrolled: 4-line block ×4, first 2 shown]
	s_cmp_eq_u32 s4, 46
	s_mov_b32 s0, -1
	s_cbranch_scc0 .LBB25_995
; %bb.990:
	v_cvt_f32_f16_e32 v2, v6
	v_cmp_o_f16_e32 vcc_lo, v6, v6
	s_mov_b32 s0, 0
	s_mov_b32 s5, 0
	s_delay_alu instid0(VALU_DEP_2) | instskip(NEXT) | instid1(VALU_DEP_1)
	v_bfe_u32 v3, v2, 16, 1
	v_add3_u32 v2, v2, v3, 0x7fff
	s_delay_alu instid0(VALU_DEP_1) | instskip(NEXT) | instid1(VALU_DEP_1)
	v_lshrrev_b32_e32 v2, 16, v2
	v_cndmask_b32_e32 v2, 0x7fc0, v2, vcc_lo
	global_store_b32 v[0:1], v2, off
	s_branch .LBB25_996
.LBB25_991:
	s_or_b32 exec_lo, exec_lo, s7
	s_and_saveexec_b32 s0, s41
	s_cbranch_execnz .LBB25_1064
.LBB25_992:
	s_or_b32 exec_lo, exec_lo, s0
	s_and_saveexec_b32 s0, s9
	s_delay_alu instid0(SALU_CYCLE_1)
	s_xor_b32 s0, exec_lo, s0
	s_cbranch_execz .LBB25_1065
.LBB25_993:
	s_wait_loadcnt 0x0
	v_and_b32_e32 v2, 0x7fff, v6
	s_delay_alu instid0(VALU_DEP_1)
	v_cmp_ne_u16_e32 vcc_lo, 0, v2
	v_cndmask_b32_e64 v2, 0, 1, vcc_lo
	global_store_b8 v[0:1], v2, off
	s_wait_xcnt 0x0
	s_or_b32 exec_lo, exec_lo, s0
	s_and_saveexec_b32 s0, s8
	s_delay_alu instid0(SALU_CYCLE_1)
	s_xor_b32 s0, exec_lo, s0
	s_cbranch_execz .LBB25_1103
	s_branch .LBB25_1066
.LBB25_994:
	s_mov_b32 s5, -1
	s_mov_b32 s0, s41
	s_branch .LBB25_1063
.LBB25_995:
	s_mov_b32 s5, 0
.LBB25_996:
	s_delay_alu instid0(SALU_CYCLE_1)
	s_and_b32 vcc_lo, exec_lo, s5
	s_cbranch_vccz .LBB25_1001
; %bb.997:
	s_cmp_eq_u32 s4, 44
	s_mov_b32 s0, -1
	s_cbranch_scc0 .LBB25_1001
; %bb.998:
	s_wait_xcnt 0x0
	v_cvt_f32_f16_e32 v2, v6
	v_mov_b32_e32 v3, 0xff
	s_mov_b32 s5, exec_lo
	s_delay_alu instid0(VALU_DEP_2) | instskip(NEXT) | instid1(VALU_DEP_1)
	v_bfe_u32 v4, v2, 23, 8
	v_cmpx_ne_u32_e32 0xff, v4
	s_cbranch_execz .LBB25_1000
; %bb.999:
	v_and_b32_e32 v3, 0x400000, v2
	v_and_or_b32 v4, 0x3fffff, v2, v4
	v_lshrrev_b32_e32 v2, 23, v2
	s_delay_alu instid0(VALU_DEP_3) | instskip(NEXT) | instid1(VALU_DEP_3)
	v_cmp_ne_u32_e32 vcc_lo, 0, v3
	v_cmp_ne_u32_e64 s0, 0, v4
	s_and_b32 s0, vcc_lo, s0
	s_delay_alu instid0(SALU_CYCLE_1) | instskip(NEXT) | instid1(VALU_DEP_1)
	v_cndmask_b32_e64 v3, 0, 1, s0
	v_add_nc_u32_e32 v3, v2, v3
.LBB25_1000:
	s_or_b32 exec_lo, exec_lo, s5
	s_mov_b32 s0, 0
	global_store_b8 v[0:1], v3, off
.LBB25_1001:
	s_mov_b32 s5, 0
.LBB25_1002:
	s_delay_alu instid0(SALU_CYCLE_1)
	s_and_b32 vcc_lo, exec_lo, s5
	s_cbranch_vccz .LBB25_1005
; %bb.1003:
	s_cmp_eq_u32 s4, 29
	s_mov_b32 s0, -1
	s_cbranch_scc0 .LBB25_1005
; %bb.1004:
	s_wait_xcnt 0x0
	v_cvt_f32_f16_e32 v2, v6
	v_mov_b32_e32 v3, 0
	s_mov_b32 s0, 0
	s_mov_b32 s5, 0
	s_delay_alu instid0(VALU_DEP_2)
	v_cvt_u32_f32_e32 v2, v2
	global_store_b64 v[0:1], v[2:3], off
	s_branch .LBB25_1006
.LBB25_1005:
	s_mov_b32 s5, 0
.LBB25_1006:
	s_delay_alu instid0(SALU_CYCLE_1)
	s_and_b32 vcc_lo, exec_lo, s5
	s_cbranch_vccz .LBB25_1021
; %bb.1007:
	s_cmp_lt_i32 s4, 27
	s_mov_b32 s5, -1
	s_cbranch_scc1 .LBB25_1013
; %bb.1008:
	s_cmp_gt_i32 s4, 27
	s_cbranch_scc0 .LBB25_1010
; %bb.1009:
	s_wait_xcnt 0x0
	v_cvt_f32_f16_e32 v2, v6
	s_mov_b32 s5, 0
	s_delay_alu instid0(VALU_DEP_1)
	v_cvt_u32_f32_e32 v2, v2
	global_store_b32 v[0:1], v2, off
.LBB25_1010:
	s_and_not1_b32 vcc_lo, exec_lo, s5
	s_cbranch_vccnz .LBB25_1012
; %bb.1011:
	s_wait_xcnt 0x0
	v_cvt_u16_f16_e32 v2, v6
	global_store_b16 v[0:1], v2, off
.LBB25_1012:
	s_mov_b32 s5, 0
.LBB25_1013:
	s_delay_alu instid0(SALU_CYCLE_1)
	s_and_not1_b32 vcc_lo, exec_lo, s5
	s_cbranch_vccnz .LBB25_1021
; %bb.1014:
	s_wait_xcnt 0x0
	v_cvt_f32_f16_e32 v2, v6
	v_mov_b32_e32 v4, 0x80
	s_mov_b32 s5, exec_lo
	s_delay_alu instid0(VALU_DEP_2) | instskip(NEXT) | instid1(VALU_DEP_1)
	v_and_b32_e32 v3, 0x7fffffff, v2
	v_cmpx_gt_u32_e32 0x43800000, v3
	s_cbranch_execz .LBB25_1020
; %bb.1015:
	v_cmp_lt_u32_e32 vcc_lo, 0x3bffffff, v3
                                        ; implicit-def: $vgpr3
	s_and_saveexec_b32 s9, vcc_lo
	s_delay_alu instid0(SALU_CYCLE_1)
	s_xor_b32 s9, exec_lo, s9
	s_cbranch_execz .LBB25_1178
; %bb.1016:
	v_bfe_u32 v3, v2, 20, 1
	s_mov_b32 s8, exec_lo
	s_delay_alu instid0(VALU_DEP_1) | instskip(NEXT) | instid1(VALU_DEP_1)
	v_add3_u32 v3, v2, v3, 0x487ffff
	v_lshrrev_b32_e32 v3, 20, v3
	s_and_not1_saveexec_b32 s9, s9
	s_cbranch_execnz .LBB25_1179
.LBB25_1017:
	s_or_b32 exec_lo, exec_lo, s9
	v_mov_b32_e32 v4, 0
	s_and_saveexec_b32 s9, s8
.LBB25_1018:
	v_lshrrev_b32_e32 v2, 24, v2
	s_delay_alu instid0(VALU_DEP_1)
	v_and_or_b32 v4, 0x80, v2, v3
.LBB25_1019:
	s_or_b32 exec_lo, exec_lo, s9
.LBB25_1020:
	s_delay_alu instid0(SALU_CYCLE_1)
	s_or_b32 exec_lo, exec_lo, s5
	global_store_b8 v[0:1], v4, off
.LBB25_1021:
	s_mov_b32 s5, 0
.LBB25_1022:
	s_delay_alu instid0(SALU_CYCLE_1)
	s_and_b32 vcc_lo, exec_lo, s5
	s_mov_b32 s5, 0
	s_cbranch_vccz .LBB25_1062
; %bb.1023:
	s_cmp_gt_i32 s4, 22
	s_mov_b32 s8, -1
	s_cbranch_scc0 .LBB25_1055
; %bb.1024:
	s_cmp_lt_i32 s4, 24
	s_cbranch_scc1 .LBB25_1044
; %bb.1025:
	s_cmp_gt_i32 s4, 24
	s_cbranch_scc0 .LBB25_1033
; %bb.1026:
	s_wait_xcnt 0x0
	v_cvt_f32_f16_e32 v2, v6
	v_mov_b32_e32 v4, 0x80
	s_mov_b32 s8, exec_lo
	s_delay_alu instid0(VALU_DEP_2) | instskip(NEXT) | instid1(VALU_DEP_1)
	v_and_b32_e32 v3, 0x7fffffff, v2
	v_cmpx_gt_u32_e32 0x47800000, v3
	s_cbranch_execz .LBB25_1032
; %bb.1027:
	v_cmp_lt_u32_e32 vcc_lo, 0x37ffffff, v3
	s_mov_b32 s9, 0
                                        ; implicit-def: $vgpr3
	s_and_saveexec_b32 s10, vcc_lo
	s_delay_alu instid0(SALU_CYCLE_1)
	s_xor_b32 s10, exec_lo, s10
	s_cbranch_execz .LBB25_1306
; %bb.1028:
	v_bfe_u32 v3, v2, 21, 1
	s_mov_b32 s9, exec_lo
	s_delay_alu instid0(VALU_DEP_1) | instskip(NEXT) | instid1(VALU_DEP_1)
	v_add3_u32 v3, v2, v3, 0x88fffff
	v_lshrrev_b32_e32 v3, 21, v3
	s_and_not1_saveexec_b32 s10, s10
	s_cbranch_execnz .LBB25_1307
.LBB25_1029:
	s_or_b32 exec_lo, exec_lo, s10
	v_mov_b32_e32 v4, 0
	s_and_saveexec_b32 s10, s9
.LBB25_1030:
	v_lshrrev_b32_e32 v2, 24, v2
	s_delay_alu instid0(VALU_DEP_1)
	v_and_or_b32 v4, 0x80, v2, v3
.LBB25_1031:
	s_or_b32 exec_lo, exec_lo, s10
.LBB25_1032:
	s_delay_alu instid0(SALU_CYCLE_1)
	s_or_b32 exec_lo, exec_lo, s8
	s_mov_b32 s8, 0
	global_store_b8 v[0:1], v4, off
.LBB25_1033:
	s_and_b32 vcc_lo, exec_lo, s8
	s_cbranch_vccz .LBB25_1043
; %bb.1034:
	s_wait_xcnt 0x0
	v_cvt_f32_f16_e32 v2, v6
	s_mov_b32 s8, exec_lo
                                        ; implicit-def: $vgpr3
	s_delay_alu instid0(VALU_DEP_1) | instskip(NEXT) | instid1(VALU_DEP_1)
	v_and_b32_e32 v4, 0x7fffffff, v2
	v_cmpx_gt_u32_e32 0x43f00000, v4
	s_xor_b32 s8, exec_lo, s8
	s_cbranch_execz .LBB25_1040
; %bb.1035:
	s_mov_b32 s9, exec_lo
                                        ; implicit-def: $vgpr3
	v_cmpx_lt_u32_e32 0x3c7fffff, v4
	s_xor_b32 s9, exec_lo, s9
; %bb.1036:
	v_bfe_u32 v3, v2, 20, 1
	s_delay_alu instid0(VALU_DEP_1) | instskip(NEXT) | instid1(VALU_DEP_1)
	v_add3_u32 v3, v2, v3, 0x407ffff
	v_and_b32_e32 v4, 0xff00000, v3
	v_lshrrev_b32_e32 v3, 20, v3
	s_delay_alu instid0(VALU_DEP_2) | instskip(NEXT) | instid1(VALU_DEP_2)
	v_cmp_ne_u32_e32 vcc_lo, 0x7f00000, v4
	v_cndmask_b32_e32 v3, 0x7e, v3, vcc_lo
; %bb.1037:
	s_and_not1_saveexec_b32 s9, s9
; %bb.1038:
	v_add_f32_e64 v3, 0x46800000, |v2|
; %bb.1039:
	s_or_b32 exec_lo, exec_lo, s9
                                        ; implicit-def: $vgpr4
.LBB25_1040:
	s_and_not1_saveexec_b32 s8, s8
; %bb.1041:
	v_mov_b32_e32 v3, 0x7f
	v_cmp_lt_u32_e32 vcc_lo, 0x7f800000, v4
	s_delay_alu instid0(VALU_DEP_2)
	v_cndmask_b32_e32 v3, 0x7e, v3, vcc_lo
; %bb.1042:
	s_or_b32 exec_lo, exec_lo, s8
	v_lshrrev_b32_e32 v2, 24, v2
	s_delay_alu instid0(VALU_DEP_1)
	v_and_or_b32 v2, 0x80, v2, v3
	global_store_b8 v[0:1], v2, off
.LBB25_1043:
	s_mov_b32 s8, 0
.LBB25_1044:
	s_delay_alu instid0(SALU_CYCLE_1)
	s_and_not1_b32 vcc_lo, exec_lo, s8
	s_cbranch_vccnz .LBB25_1054
; %bb.1045:
	s_wait_xcnt 0x0
	v_cvt_f32_f16_e32 v2, v6
	s_mov_b32 s8, exec_lo
                                        ; implicit-def: $vgpr3
	s_delay_alu instid0(VALU_DEP_1) | instskip(NEXT) | instid1(VALU_DEP_1)
	v_and_b32_e32 v4, 0x7fffffff, v2
	v_cmpx_gt_u32_e32 0x47800000, v4
	s_xor_b32 s8, exec_lo, s8
	s_cbranch_execz .LBB25_1051
; %bb.1046:
	s_mov_b32 s9, exec_lo
                                        ; implicit-def: $vgpr3
	v_cmpx_lt_u32_e32 0x387fffff, v4
	s_xor_b32 s9, exec_lo, s9
; %bb.1047:
	v_bfe_u32 v3, v2, 21, 1
	s_delay_alu instid0(VALU_DEP_1) | instskip(NEXT) | instid1(VALU_DEP_1)
	v_add3_u32 v3, v2, v3, 0x80fffff
	v_lshrrev_b32_e32 v3, 21, v3
; %bb.1048:
	s_and_not1_saveexec_b32 s9, s9
; %bb.1049:
	v_add_f32_e64 v3, 0x43000000, |v2|
; %bb.1050:
	s_or_b32 exec_lo, exec_lo, s9
                                        ; implicit-def: $vgpr4
.LBB25_1051:
	s_and_not1_saveexec_b32 s8, s8
; %bb.1052:
	v_mov_b32_e32 v3, 0x7f
	v_cmp_lt_u32_e32 vcc_lo, 0x7f800000, v4
	s_delay_alu instid0(VALU_DEP_2)
	v_cndmask_b32_e32 v3, 0x7c, v3, vcc_lo
; %bb.1053:
	s_or_b32 exec_lo, exec_lo, s8
	v_lshrrev_b32_e32 v2, 24, v2
	s_delay_alu instid0(VALU_DEP_1)
	v_and_or_b32 v2, 0x80, v2, v3
	global_store_b8 v[0:1], v2, off
.LBB25_1054:
	s_mov_b32 s8, 0
.LBB25_1055:
	s_delay_alu instid0(SALU_CYCLE_1)
	s_and_not1_b32 vcc_lo, exec_lo, s8
	s_mov_b32 s9, 0
	s_cbranch_vccnz .LBB25_1063
; %bb.1056:
	s_cmp_gt_i32 s4, 14
	s_mov_b32 s8, -1
	s_cbranch_scc0 .LBB25_1060
; %bb.1057:
	s_cmp_eq_u32 s4, 15
	s_mov_b32 s0, -1
	s_cbranch_scc0 .LBB25_1059
; %bb.1058:
	s_wait_xcnt 0x0
	v_cvt_f32_f16_e32 v2, v6
	v_cmp_o_f16_e32 vcc_lo, v6, v6
	s_mov_b32 s0, 0
	s_delay_alu instid0(VALU_DEP_2) | instskip(NEXT) | instid1(VALU_DEP_1)
	v_bfe_u32 v3, v2, 16, 1
	v_add3_u32 v2, v2, v3, 0x7fff
	s_delay_alu instid0(VALU_DEP_1) | instskip(NEXT) | instid1(VALU_DEP_1)
	v_lshrrev_b32_e32 v2, 16, v2
	v_cndmask_b32_e32 v2, 0x7fc0, v2, vcc_lo
	global_store_b16 v[0:1], v2, off
.LBB25_1059:
	s_mov_b32 s8, 0
.LBB25_1060:
	s_delay_alu instid0(SALU_CYCLE_1)
	s_and_b32 vcc_lo, exec_lo, s8
	s_cbranch_vccz .LBB25_1063
; %bb.1061:
	s_cmp_lg_u32 s4, 11
	s_mov_b32 s9, -1
	s_cselect_b32 s4, -1, 0
	s_and_not1_b32 s0, s0, exec_lo
	s_and_b32 s4, s4, exec_lo
	s_delay_alu instid0(SALU_CYCLE_1)
	s_or_b32 s0, s0, s4
	s_branch .LBB25_1063
.LBB25_1062:
	s_mov_b32 s9, 0
.LBB25_1063:
	s_and_not1_b32 s4, s41, exec_lo
	s_and_b32 s0, s0, exec_lo
	s_and_b32 s8, s5, exec_lo
	;; [unrolled: 1-line block ×3, first 2 shown]
	s_or_b32 s41, s4, s0
	s_wait_xcnt 0x0
	s_or_b32 exec_lo, exec_lo, s7
	s_and_saveexec_b32 s0, s41
	s_cbranch_execz .LBB25_992
.LBB25_1064:
	s_or_b32 s1, s1, exec_lo
	s_and_not1_b32 s9, s9, exec_lo
	s_trap 2
	s_or_b32 exec_lo, exec_lo, s0
	s_and_saveexec_b32 s0, s9
	s_delay_alu instid0(SALU_CYCLE_1)
	s_xor_b32 s0, exec_lo, s0
	s_cbranch_execnz .LBB25_993
.LBB25_1065:
	s_or_b32 exec_lo, exec_lo, s0
	s_and_saveexec_b32 s0, s8
	s_delay_alu instid0(SALU_CYCLE_1)
	s_xor_b32 s0, exec_lo, s0
	s_cbranch_execz .LBB25_1103
.LBB25_1066:
	s_sext_i32_i16 s5, s6
	s_mov_b32 s4, -1
	s_cmp_lt_i32 s5, 5
	s_cbranch_scc1 .LBB25_1087
; %bb.1067:
	s_cmp_lt_i32 s5, 8
	s_cbranch_scc1 .LBB25_1077
; %bb.1068:
	;; [unrolled: 3-line block ×3, first 2 shown]
	s_cmp_gt_i32 s5, 9
	s_cbranch_scc0 .LBB25_1071
; %bb.1070:
	s_wait_loadcnt 0x0
	v_cvt_f32_f16_e32 v2, v6
	v_mov_b32_e32 v4, 0
	s_mov_b32 s4, 0
	s_delay_alu instid0(VALU_DEP_2) | instskip(NEXT) | instid1(VALU_DEP_2)
	v_cvt_f64_f32_e32 v[2:3], v2
	v_mov_b32_e32 v5, v4
	global_store_b128 v[0:1], v[2:5], off
.LBB25_1071:
	s_and_not1_b32 vcc_lo, exec_lo, s4
	s_cbranch_vccnz .LBB25_1073
; %bb.1072:
	s_wait_loadcnt 0x0
	v_cvt_f32_f16_e32 v2, v6
	v_mov_b32_e32 v3, 0
	global_store_b64 v[0:1], v[2:3], off
.LBB25_1073:
	s_mov_b32 s4, 0
.LBB25_1074:
	s_delay_alu instid0(SALU_CYCLE_1)
	s_and_not1_b32 vcc_lo, exec_lo, s4
	s_cbranch_vccnz .LBB25_1076
; %bb.1075:
	s_wait_loadcnt 0x0
	v_and_b32_e32 v2, 0xffff, v6
	global_store_b32 v[0:1], v2, off
.LBB25_1076:
	s_mov_b32 s4, 0
.LBB25_1077:
	s_delay_alu instid0(SALU_CYCLE_1)
	s_and_not1_b32 vcc_lo, exec_lo, s4
	s_cbranch_vccnz .LBB25_1086
; %bb.1078:
	s_sext_i32_i16 s5, s6
	s_mov_b32 s4, -1
	s_cmp_lt_i32 s5, 6
	s_cbranch_scc1 .LBB25_1084
; %bb.1079:
	s_cmp_gt_i32 s5, 6
	s_cbranch_scc0 .LBB25_1081
; %bb.1080:
	s_wait_loadcnt 0x0
	v_cvt_f32_f16_e32 v2, v6
	s_mov_b32 s4, 0
	s_delay_alu instid0(VALU_DEP_1)
	v_cvt_f64_f32_e32 v[2:3], v2
	global_store_b64 v[0:1], v[2:3], off
.LBB25_1081:
	s_and_not1_b32 vcc_lo, exec_lo, s4
	s_cbranch_vccnz .LBB25_1083
; %bb.1082:
	s_wait_loadcnt 0x0
	v_cvt_f32_f16_e32 v2, v6
	global_store_b32 v[0:1], v2, off
.LBB25_1083:
	s_mov_b32 s4, 0
.LBB25_1084:
	s_delay_alu instid0(SALU_CYCLE_1)
	s_and_not1_b32 vcc_lo, exec_lo, s4
	s_cbranch_vccnz .LBB25_1086
; %bb.1085:
	s_wait_loadcnt 0x0
	global_store_b16 v[0:1], v6, off
.LBB25_1086:
	s_mov_b32 s4, 0
.LBB25_1087:
	s_delay_alu instid0(SALU_CYCLE_1)
	s_and_not1_b32 vcc_lo, exec_lo, s4
	s_cbranch_vccnz .LBB25_1103
; %bb.1088:
	s_sext_i32_i16 s5, s6
	s_mov_b32 s4, -1
	s_cmp_lt_i32 s5, 2
	s_cbranch_scc1 .LBB25_1098
; %bb.1089:
	s_cmp_lt_i32 s5, 3
	s_cbranch_scc1 .LBB25_1095
; %bb.1090:
	s_cmp_gt_i32 s5, 3
	s_cbranch_scc0 .LBB25_1092
; %bb.1091:
	s_wait_loadcnt 0x0
	v_cvt_f32_f16_e32 v2, v6
	s_mov_b32 s4, 0
	s_delay_alu instid0(VALU_DEP_1) | instskip(NEXT) | instid1(VALU_DEP_1)
	v_cvt_i32_f32_e32 v2, v2
	v_ashrrev_i32_e32 v3, 31, v2
	global_store_b64 v[0:1], v[2:3], off
.LBB25_1092:
	s_and_not1_b32 vcc_lo, exec_lo, s4
	s_cbranch_vccnz .LBB25_1094
; %bb.1093:
	s_wait_loadcnt 0x0
	v_cvt_f32_f16_e32 v2, v6
	s_delay_alu instid0(VALU_DEP_1)
	v_cvt_i32_f32_e32 v2, v2
	global_store_b32 v[0:1], v2, off
.LBB25_1094:
	s_mov_b32 s4, 0
.LBB25_1095:
	s_delay_alu instid0(SALU_CYCLE_1)
	s_and_not1_b32 vcc_lo, exec_lo, s4
	s_cbranch_vccnz .LBB25_1097
; %bb.1096:
	s_wait_loadcnt 0x0
	v_cvt_i16_f16_e32 v2, v6
	global_store_b16 v[0:1], v2, off
.LBB25_1097:
	s_mov_b32 s4, 0
.LBB25_1098:
	s_delay_alu instid0(SALU_CYCLE_1)
	s_and_not1_b32 vcc_lo, exec_lo, s4
	s_cbranch_vccnz .LBB25_1103
; %bb.1099:
	s_sext_i32_i16 s4, s6
	s_delay_alu instid0(SALU_CYCLE_1)
	s_cmp_gt_i32 s4, 0
	s_mov_b32 s4, -1
	s_cbranch_scc0 .LBB25_1101
; %bb.1100:
	s_wait_loadcnt 0x0
	v_cvt_i16_f16_e32 v2, v6
	s_mov_b32 s4, 0
	global_store_b8 v[0:1], v2, off
.LBB25_1101:
	s_and_not1_b32 vcc_lo, exec_lo, s4
	s_cbranch_vccnz .LBB25_1103
; %bb.1102:
	s_wait_loadcnt 0x0
	v_cvt_f32_f16_e32 v2, v6
	s_delay_alu instid0(VALU_DEP_1)
	v_cvt_i32_f32_e32 v2, v2
	global_store_b8 v[0:1], v2, off
.LBB25_1103:
	s_wait_xcnt 0x0
	s_or_b32 exec_lo, exec_lo, s0
	s_delay_alu instid0(SALU_CYCLE_1)
	s_and_b32 s8, s1, exec_lo
                                        ; implicit-def: $vgpr9
                                        ; implicit-def: $vgpr0
.LBB25_1104:
	s_or_saveexec_b32 s9, s36
	s_mov_b32 s0, 0
                                        ; implicit-def: $vgpr2_vgpr3
                                        ; implicit-def: $sgpr1
                                        ; implicit-def: $vgpr10
	s_xor_b32 exec_lo, exec_lo, s9
	s_cbranch_execz .LBB25_1769
; %bb.1105:
	s_wait_loadcnt 0x0
	v_cndmask_b32_e64 v1, 0, 1, s35
	s_and_not1_b32 vcc_lo, exec_lo, s35
	s_cbranch_vccnz .LBB25_1111
; %bb.1106:
	s_cmp_lg_u32 s19, 0
	s_mov_b32 s10, 0
	s_cbranch_scc0 .LBB25_1112
; %bb.1107:
	s_min_u32 s1, s33, 15
	s_delay_alu instid0(SALU_CYCLE_1)
	s_add_co_i32 s1, s1, 1
	s_cmp_eq_u32 s33, 2
	s_cbranch_scc1 .LBB25_1113
; %bb.1108:
	v_dual_mov_b32 v6, 0 :: v_dual_mov_b32 v14, 0
	v_mov_b32_e32 v2, v0
	s_and_b32 s0, s1, 28
	s_add_nc_u64 s[4:5], s[2:3], 0xc4
	s_mov_b32 s11, 0
	s_mov_b64 s[6:7], s[2:3]
.LBB25_1109:                            ; =>This Inner Loop Header: Depth=1
	s_clause 0x1
	s_load_b256 s[20:27], s[6:7], 0x4
	s_load_b128 s[12:15], s[6:7], 0x24
	s_load_b256 s[36:43], s[4:5], 0x0
	s_add_co_i32 s11, s11, 4
	s_wait_xcnt 0x0
	s_add_nc_u64 s[6:7], s[6:7], 48
	s_cmp_lg_u32 s0, s11
	s_add_nc_u64 s[4:5], s[4:5], 32
	s_wait_kmcnt 0x0
	v_mul_hi_u32 v3, s21, v2
	s_delay_alu instid0(VALU_DEP_1) | instskip(NEXT) | instid1(VALU_DEP_1)
	v_add_nc_u32_e32 v3, v2, v3
	v_lshrrev_b32_e32 v3, s22, v3
	s_delay_alu instid0(VALU_DEP_1) | instskip(NEXT) | instid1(VALU_DEP_1)
	v_mul_hi_u32 v4, s24, v3
	v_add_nc_u32_e32 v4, v3, v4
	s_delay_alu instid0(VALU_DEP_1) | instskip(NEXT) | instid1(VALU_DEP_1)
	v_lshrrev_b32_e32 v4, s25, v4
	v_mul_hi_u32 v5, s27, v4
	s_delay_alu instid0(VALU_DEP_1) | instskip(SKIP_1) | instid1(VALU_DEP_1)
	v_add_nc_u32_e32 v5, v4, v5
	v_mul_lo_u32 v7, v3, s20
	v_sub_nc_u32_e32 v2, v2, v7
	v_mul_lo_u32 v7, v4, s23
	s_delay_alu instid0(VALU_DEP_4) | instskip(NEXT) | instid1(VALU_DEP_3)
	v_lshrrev_b32_e32 v5, s12, v5
	v_mad_u32 v10, v2, s37, v14
	v_mad_u32 v2, v2, s36, v6
	s_delay_alu instid0(VALU_DEP_4) | instskip(NEXT) | instid1(VALU_DEP_4)
	v_sub_nc_u32_e32 v3, v3, v7
	v_mul_hi_u32 v8, s14, v5
	v_mul_lo_u32 v6, v5, s26
	s_delay_alu instid0(VALU_DEP_1) | instskip(NEXT) | instid1(VALU_DEP_4)
	v_dual_add_nc_u32 v7, v5, v8 :: v_dual_sub_nc_u32 v4, v4, v6
	v_mad_u32 v8, v3, s39, v10
	v_mad_u32 v3, v3, s38, v2
	s_delay_alu instid0(VALU_DEP_3) | instskip(NEXT) | instid1(VALU_DEP_1)
	v_lshrrev_b32_e32 v2, s15, v7
	v_mul_lo_u32 v6, v2, s13
	s_delay_alu instid0(VALU_DEP_4) | instskip(NEXT) | instid1(VALU_DEP_4)
	v_mad_u32 v7, v4, s41, v8
	v_mad_u32 v3, v4, s40, v3
	s_delay_alu instid0(VALU_DEP_3) | instskip(NEXT) | instid1(VALU_DEP_1)
	v_sub_nc_u32_e32 v4, v5, v6
	v_mad_u32 v14, v4, s43, v7
	s_delay_alu instid0(VALU_DEP_3)
	v_mad_u32 v6, v4, s42, v3
	s_cbranch_scc1 .LBB25_1109
; %bb.1110:
	s_delay_alu instid0(VALU_DEP_2)
	v_mov_b32_e32 v7, v14
	s_and_b32 s6, s1, 3
	s_mov_b32 s1, 0
	s_cmp_eq_u32 s6, 0
	s_cbranch_scc0 .LBB25_1114
	s_branch .LBB25_1117
.LBB25_1111:
	s_mov_b32 s10, -1
                                        ; implicit-def: $vgpr14
                                        ; implicit-def: $vgpr6
	s_branch .LBB25_1117
.LBB25_1112:
	v_dual_mov_b32 v14, 0 :: v_dual_mov_b32 v6, 0
	s_branch .LBB25_1117
.LBB25_1113:
	v_mov_b64_e32 v[6:7], 0
	v_mov_b32_e32 v2, v0
                                        ; implicit-def: $vgpr14
	s_and_b32 s6, s1, 3
	s_mov_b32 s1, 0
	s_cmp_eq_u32 s6, 0
	s_cbranch_scc1 .LBB25_1117
.LBB25_1114:
	s_lshl_b32 s4, s0, 3
	s_mov_b32 s5, s1
	s_mul_u64 s[12:13], s[0:1], 12
	s_add_nc_u64 s[4:5], s[2:3], s[4:5]
	s_delay_alu instid0(SALU_CYCLE_1)
	s_add_nc_u64 s[0:1], s[4:5], 0xc4
	s_add_nc_u64 s[4:5], s[2:3], s[12:13]
.LBB25_1115:                            ; =>This Inner Loop Header: Depth=1
	s_load_b96 s[12:14], s[4:5], 0x4
	s_add_co_i32 s6, s6, -1
	s_wait_xcnt 0x0
	s_add_nc_u64 s[4:5], s[4:5], 12
	s_cmp_lg_u32 s6, 0
	s_wait_kmcnt 0x0
	v_mul_hi_u32 v3, s13, v2
	s_delay_alu instid0(VALU_DEP_1) | instskip(NEXT) | instid1(VALU_DEP_1)
	v_add_nc_u32_e32 v3, v2, v3
	v_lshrrev_b32_e32 v3, s14, v3
	s_load_b64 s[14:15], s[0:1], 0x0
	s_wait_xcnt 0x0
	s_add_nc_u64 s[0:1], s[0:1], 8
	s_delay_alu instid0(VALU_DEP_1) | instskip(NEXT) | instid1(VALU_DEP_1)
	v_mul_lo_u32 v4, v3, s12
	v_sub_nc_u32_e32 v2, v2, v4
	s_wait_kmcnt 0x0
	s_delay_alu instid0(VALU_DEP_1)
	v_mad_u32 v7, v2, s15, v7
	v_mad_u32 v6, v2, s14, v6
	v_mov_b32_e32 v2, v3
	s_cbranch_scc1 .LBB25_1115
; %bb.1116:
	s_delay_alu instid0(VALU_DEP_3)
	v_mov_b32_e32 v14, v7
.LBB25_1117:
	s_and_not1_b32 vcc_lo, exec_lo, s10
	s_cbranch_vccnz .LBB25_1120
; %bb.1118:
	s_clause 0x1
	s_load_b96 s[4:6], s[2:3], 0x4
	s_load_b64 s[0:1], s[2:3], 0xc4
	s_cmp_lt_u32 s19, 2
	s_wait_kmcnt 0x0
	v_mul_hi_u32 v2, s5, v0
	s_delay_alu instid0(VALU_DEP_1) | instskip(NEXT) | instid1(VALU_DEP_1)
	v_add_nc_u32_e32 v2, v0, v2
	v_lshrrev_b32_e32 v2, s6, v2
	s_delay_alu instid0(VALU_DEP_1) | instskip(NEXT) | instid1(VALU_DEP_1)
	v_mul_lo_u32 v3, v2, s4
	v_sub_nc_u32_e32 v3, v0, v3
	s_delay_alu instid0(VALU_DEP_1)
	v_mul_lo_u32 v14, v3, s1
	v_mul_lo_u32 v6, v3, s0
	s_cbranch_scc1 .LBB25_1120
; %bb.1119:
	s_clause 0x1
	s_load_b96 s[4:6], s[2:3], 0x10
	s_load_b64 s[0:1], s[2:3], 0xcc
	s_wait_kmcnt 0x0
	v_mul_hi_u32 v3, s5, v2
	s_delay_alu instid0(VALU_DEP_1) | instskip(NEXT) | instid1(VALU_DEP_1)
	v_add_nc_u32_e32 v3, v2, v3
	v_lshrrev_b32_e32 v3, s6, v3
	s_delay_alu instid0(VALU_DEP_1) | instskip(NEXT) | instid1(VALU_DEP_1)
	v_mul_lo_u32 v3, v3, s4
	v_sub_nc_u32_e32 v2, v2, v3
	s_delay_alu instid0(VALU_DEP_1)
	v_mad_u32 v6, v2, s0, v6
	v_mad_u32 v14, v2, s1, v14
.LBB25_1120:
	v_cmp_ne_u32_e32 vcc_lo, 1, v1
	v_add_nc_u32_e32 v2, 0x80, v0
	s_cbranch_vccnz .LBB25_1126
; %bb.1121:
	s_cmp_lg_u32 s19, 0
	s_mov_b32 s10, 0
	s_cbranch_scc0 .LBB25_1127
; %bb.1122:
	s_min_u32 s1, s33, 15
	s_delay_alu instid0(SALU_CYCLE_1)
	s_add_co_i32 s1, s1, 1
	s_cmp_eq_u32 s33, 2
	s_cbranch_scc1 .LBB25_1128
; %bb.1123:
	v_dual_mov_b32 v4, 0 :: v_dual_mov_b32 v12, 0
	v_mov_b32_e32 v3, v2
	s_and_b32 s0, s1, 28
	s_add_nc_u64 s[4:5], s[2:3], 0xc4
	s_mov_b32 s11, 0
	s_mov_b64 s[6:7], s[2:3]
.LBB25_1124:                            ; =>This Inner Loop Header: Depth=1
	s_clause 0x1
	s_load_b256 s[20:27], s[6:7], 0x4
	s_load_b128 s[12:15], s[6:7], 0x24
	s_load_b256 s[36:43], s[4:5], 0x0
	s_add_co_i32 s11, s11, 4
	s_wait_xcnt 0x0
	s_add_nc_u64 s[6:7], s[6:7], 48
	s_cmp_lg_u32 s0, s11
	s_add_nc_u64 s[4:5], s[4:5], 32
	s_wait_kmcnt 0x0
	v_mul_hi_u32 v5, s21, v3
	s_delay_alu instid0(VALU_DEP_1) | instskip(NEXT) | instid1(VALU_DEP_1)
	v_add_nc_u32_e32 v5, v3, v5
	v_lshrrev_b32_e32 v5, s22, v5
	s_delay_alu instid0(VALU_DEP_1) | instskip(NEXT) | instid1(VALU_DEP_1)
	v_mul_hi_u32 v7, s24, v5
	v_add_nc_u32_e32 v7, v5, v7
	s_delay_alu instid0(VALU_DEP_1) | instskip(NEXT) | instid1(VALU_DEP_1)
	v_lshrrev_b32_e32 v7, s25, v7
	v_mul_hi_u32 v8, s27, v7
	s_delay_alu instid0(VALU_DEP_1) | instskip(SKIP_1) | instid1(VALU_DEP_1)
	v_add_nc_u32_e32 v8, v7, v8
	v_mul_lo_u32 v10, v5, s20
	v_sub_nc_u32_e32 v3, v3, v10
	v_mul_lo_u32 v10, v7, s23
	s_delay_alu instid0(VALU_DEP_4) | instskip(NEXT) | instid1(VALU_DEP_3)
	v_lshrrev_b32_e32 v8, s12, v8
	v_mad_u32 v12, v3, s37, v12
	v_mad_u32 v3, v3, s36, v4
	s_delay_alu instid0(VALU_DEP_4) | instskip(NEXT) | instid1(VALU_DEP_4)
	v_sub_nc_u32_e32 v4, v5, v10
	v_mul_hi_u32 v11, s14, v8
	v_mul_lo_u32 v5, v8, s26
	s_delay_alu instid0(VALU_DEP_1) | instskip(NEXT) | instid1(VALU_DEP_4)
	v_dual_add_nc_u32 v10, v8, v11 :: v_dual_sub_nc_u32 v5, v7, v5
	v_mad_u32 v11, v4, s39, v12
	v_mad_u32 v4, v4, s38, v3
	s_delay_alu instid0(VALU_DEP_3) | instskip(NEXT) | instid1(VALU_DEP_1)
	v_lshrrev_b32_e32 v3, s15, v10
	v_mul_lo_u32 v7, v3, s13
	s_delay_alu instid0(VALU_DEP_4) | instskip(NEXT) | instid1(VALU_DEP_4)
	v_mad_u32 v10, v5, s41, v11
	v_mad_u32 v4, v5, s40, v4
	s_delay_alu instid0(VALU_DEP_3) | instskip(NEXT) | instid1(VALU_DEP_1)
	v_sub_nc_u32_e32 v5, v8, v7
	v_mad_u32 v12, v5, s43, v10
	s_delay_alu instid0(VALU_DEP_3)
	v_mad_u32 v4, v5, s42, v4
	s_cbranch_scc1 .LBB25_1124
; %bb.1125:
	s_delay_alu instid0(VALU_DEP_2)
	v_mov_b32_e32 v5, v12
	s_and_b32 s6, s1, 3
	s_mov_b32 s1, 0
	s_cmp_eq_u32 s6, 0
	s_cbranch_scc0 .LBB25_1129
	s_branch .LBB25_1132
.LBB25_1126:
	s_mov_b32 s10, -1
                                        ; implicit-def: $vgpr12
                                        ; implicit-def: $vgpr4
	s_branch .LBB25_1132
.LBB25_1127:
	v_dual_mov_b32 v12, 0 :: v_dual_mov_b32 v4, 0
	s_branch .LBB25_1132
.LBB25_1128:
	v_mov_b64_e32 v[4:5], 0
	v_mov_b32_e32 v3, v2
	s_mov_b32 s0, 0
                                        ; implicit-def: $vgpr12
	s_and_b32 s6, s1, 3
	s_mov_b32 s1, 0
	s_cmp_eq_u32 s6, 0
	s_cbranch_scc1 .LBB25_1132
.LBB25_1129:
	s_lshl_b32 s4, s0, 3
	s_mov_b32 s5, s1
	s_mul_u64 s[12:13], s[0:1], 12
	s_add_nc_u64 s[4:5], s[2:3], s[4:5]
	s_delay_alu instid0(SALU_CYCLE_1)
	s_add_nc_u64 s[0:1], s[4:5], 0xc4
	s_add_nc_u64 s[4:5], s[2:3], s[12:13]
.LBB25_1130:                            ; =>This Inner Loop Header: Depth=1
	s_load_b96 s[12:14], s[4:5], 0x4
	s_add_co_i32 s6, s6, -1
	s_wait_xcnt 0x0
	s_add_nc_u64 s[4:5], s[4:5], 12
	s_cmp_lg_u32 s6, 0
	s_wait_kmcnt 0x0
	v_mul_hi_u32 v7, s13, v3
	s_delay_alu instid0(VALU_DEP_1) | instskip(NEXT) | instid1(VALU_DEP_1)
	v_add_nc_u32_e32 v7, v3, v7
	v_lshrrev_b32_e32 v7, s14, v7
	s_load_b64 s[14:15], s[0:1], 0x0
	s_wait_xcnt 0x0
	s_add_nc_u64 s[0:1], s[0:1], 8
	s_delay_alu instid0(VALU_DEP_1) | instskip(NEXT) | instid1(VALU_DEP_1)
	v_mul_lo_u32 v8, v7, s12
	v_sub_nc_u32_e32 v3, v3, v8
	s_wait_kmcnt 0x0
	s_delay_alu instid0(VALU_DEP_1)
	v_mad_u32 v5, v3, s15, v5
	v_mad_u32 v4, v3, s14, v4
	v_mov_b32_e32 v3, v7
	s_cbranch_scc1 .LBB25_1130
; %bb.1131:
	s_delay_alu instid0(VALU_DEP_3)
	v_mov_b32_e32 v12, v5
.LBB25_1132:
	s_and_not1_b32 vcc_lo, exec_lo, s10
	s_cbranch_vccnz .LBB25_1135
; %bb.1133:
	s_clause 0x1
	s_load_b96 s[4:6], s[2:3], 0x4
	s_load_b64 s[0:1], s[2:3], 0xc4
	s_cmp_lt_u32 s19, 2
	s_wait_kmcnt 0x0
	v_mul_hi_u32 v3, s5, v2
	s_delay_alu instid0(VALU_DEP_1) | instskip(NEXT) | instid1(VALU_DEP_1)
	v_add_nc_u32_e32 v3, v2, v3
	v_lshrrev_b32_e32 v3, s6, v3
	s_delay_alu instid0(VALU_DEP_1) | instskip(NEXT) | instid1(VALU_DEP_1)
	v_mul_lo_u32 v4, v3, s4
	v_sub_nc_u32_e32 v2, v2, v4
	s_delay_alu instid0(VALU_DEP_1)
	v_mul_lo_u32 v12, v2, s1
	v_mul_lo_u32 v4, v2, s0
	s_cbranch_scc1 .LBB25_1135
; %bb.1134:
	s_clause 0x1
	s_load_b96 s[4:6], s[2:3], 0x10
	s_load_b64 s[0:1], s[2:3], 0xcc
	s_wait_kmcnt 0x0
	v_mul_hi_u32 v2, s5, v3
	s_delay_alu instid0(VALU_DEP_1) | instskip(NEXT) | instid1(VALU_DEP_1)
	v_add_nc_u32_e32 v2, v3, v2
	v_lshrrev_b32_e32 v2, s6, v2
	s_delay_alu instid0(VALU_DEP_1) | instskip(NEXT) | instid1(VALU_DEP_1)
	v_mul_lo_u32 v2, v2, s4
	v_sub_nc_u32_e32 v2, v3, v2
	s_delay_alu instid0(VALU_DEP_1)
	v_mad_u32 v4, v2, s0, v4
	v_mad_u32 v12, v2, s1, v12
.LBB25_1135:
	v_cmp_ne_u32_e32 vcc_lo, 1, v1
	v_add_nc_u32_e32 v0, 0x100, v0
	s_cbranch_vccnz .LBB25_1141
; %bb.1136:
	s_cmp_lg_u32 s19, 0
	s_mov_b32 s10, 0
	s_cbranch_scc0 .LBB25_1142
; %bb.1137:
	s_min_u32 s1, s33, 15
	s_delay_alu instid0(SALU_CYCLE_1)
	s_add_co_i32 s1, s1, 1
	s_cmp_eq_u32 s33, 2
	s_cbranch_scc1 .LBB25_1143
; %bb.1138:
	v_dual_mov_b32 v2, 0 :: v_dual_mov_b32 v10, 0
	v_mov_b32_e32 v5, v0
	s_and_b32 s0, s1, 28
	s_add_nc_u64 s[4:5], s[2:3], 0xc4
	s_mov_b32 s11, 0
	s_mov_b64 s[6:7], s[2:3]
.LBB25_1139:                            ; =>This Inner Loop Header: Depth=1
	s_clause 0x1
	s_load_b256 s[20:27], s[6:7], 0x4
	s_load_b128 s[12:15], s[6:7], 0x24
	s_load_b256 s[36:43], s[4:5], 0x0
	s_add_co_i32 s11, s11, 4
	s_wait_xcnt 0x0
	s_add_nc_u64 s[6:7], s[6:7], 48
	s_cmp_lg_u32 s0, s11
	s_add_nc_u64 s[4:5], s[4:5], 32
	s_wait_kmcnt 0x0
	v_mul_hi_u32 v3, s21, v5
	s_delay_alu instid0(VALU_DEP_1) | instskip(NEXT) | instid1(VALU_DEP_1)
	v_add_nc_u32_e32 v3, v5, v3
	v_lshrrev_b32_e32 v3, s22, v3
	s_delay_alu instid0(VALU_DEP_1) | instskip(NEXT) | instid1(VALU_DEP_1)
	v_mul_hi_u32 v7, s24, v3
	v_add_nc_u32_e32 v7, v3, v7
	s_delay_alu instid0(VALU_DEP_1) | instskip(NEXT) | instid1(VALU_DEP_1)
	v_lshrrev_b32_e32 v7, s25, v7
	v_mul_hi_u32 v8, s27, v7
	s_delay_alu instid0(VALU_DEP_1) | instskip(NEXT) | instid1(VALU_DEP_1)
	v_add_nc_u32_e32 v8, v7, v8
	v_lshrrev_b32_e32 v8, s12, v8
	v_mul_lo_u32 v11, v3, s20
	s_delay_alu instid0(VALU_DEP_2) | instskip(NEXT) | instid1(VALU_DEP_2)
	v_mul_hi_u32 v13, s14, v8
	v_sub_nc_u32_e32 v5, v5, v11
	s_delay_alu instid0(VALU_DEP_1) | instskip(SKIP_1) | instid1(VALU_DEP_4)
	v_mad_u32 v10, v5, s37, v10
	v_mad_u32 v2, v5, s36, v2
	v_add_nc_u32_e32 v5, v8, v13
	s_delay_alu instid0(VALU_DEP_1) | instskip(SKIP_1) | instid1(VALU_DEP_1)
	v_lshrrev_b32_e32 v5, s15, v5
	v_mul_lo_u32 v11, v7, s23
	v_sub_nc_u32_e32 v3, v3, v11
	v_mul_lo_u32 v11, v8, s26
	s_delay_alu instid0(VALU_DEP_2) | instskip(SKIP_1) | instid1(VALU_DEP_3)
	v_mad_u32 v10, v3, s39, v10
	v_mad_u32 v2, v3, s38, v2
	v_sub_nc_u32_e32 v3, v7, v11
	v_mul_lo_u32 v7, v5, s13
	s_delay_alu instid0(VALU_DEP_2) | instskip(NEXT) | instid1(VALU_DEP_4)
	v_mad_u32 v10, v3, s41, v10
	v_mad_u32 v2, v3, s40, v2
	s_delay_alu instid0(VALU_DEP_3) | instskip(NEXT) | instid1(VALU_DEP_1)
	v_sub_nc_u32_e32 v3, v8, v7
	v_mad_u32 v10, v3, s43, v10
	s_delay_alu instid0(VALU_DEP_3)
	v_mad_u32 v2, v3, s42, v2
	s_cbranch_scc1 .LBB25_1139
; %bb.1140:
	s_delay_alu instid0(VALU_DEP_2)
	v_mov_b32_e32 v3, v10
	s_and_b32 s6, s1, 3
	s_mov_b32 s1, 0
	s_cmp_eq_u32 s6, 0
	s_cbranch_scc0 .LBB25_1144
	s_branch .LBB25_1147
.LBB25_1141:
	s_mov_b32 s10, -1
                                        ; implicit-def: $vgpr10
                                        ; implicit-def: $vgpr2
	s_branch .LBB25_1147
.LBB25_1142:
	v_dual_mov_b32 v10, 0 :: v_dual_mov_b32 v2, 0
	s_branch .LBB25_1147
.LBB25_1143:
	v_mov_b64_e32 v[2:3], 0
	v_mov_b32_e32 v5, v0
	s_mov_b32 s0, 0
                                        ; implicit-def: $vgpr10
	s_and_b32 s6, s1, 3
	s_mov_b32 s1, 0
	s_cmp_eq_u32 s6, 0
	s_cbranch_scc1 .LBB25_1147
.LBB25_1144:
	s_lshl_b32 s4, s0, 3
	s_mov_b32 s5, s1
	s_mul_u64 s[12:13], s[0:1], 12
	s_add_nc_u64 s[4:5], s[2:3], s[4:5]
	s_delay_alu instid0(SALU_CYCLE_1)
	s_add_nc_u64 s[0:1], s[4:5], 0xc4
	s_add_nc_u64 s[4:5], s[2:3], s[12:13]
.LBB25_1145:                            ; =>This Inner Loop Header: Depth=1
	s_load_b96 s[12:14], s[4:5], 0x4
	s_add_co_i32 s6, s6, -1
	s_wait_xcnt 0x0
	s_add_nc_u64 s[4:5], s[4:5], 12
	s_cmp_lg_u32 s6, 0
	s_wait_kmcnt 0x0
	v_mul_hi_u32 v7, s13, v5
	s_delay_alu instid0(VALU_DEP_1) | instskip(NEXT) | instid1(VALU_DEP_1)
	v_add_nc_u32_e32 v7, v5, v7
	v_lshrrev_b32_e32 v7, s14, v7
	s_load_b64 s[14:15], s[0:1], 0x0
	s_wait_xcnt 0x0
	s_add_nc_u64 s[0:1], s[0:1], 8
	s_delay_alu instid0(VALU_DEP_1) | instskip(NEXT) | instid1(VALU_DEP_1)
	v_mul_lo_u32 v8, v7, s12
	v_sub_nc_u32_e32 v5, v5, v8
	s_wait_kmcnt 0x0
	s_delay_alu instid0(VALU_DEP_1)
	v_mad_u32 v3, v5, s15, v3
	v_mad_u32 v2, v5, s14, v2
	v_mov_b32_e32 v5, v7
	s_cbranch_scc1 .LBB25_1145
; %bb.1146:
	s_delay_alu instid0(VALU_DEP_3)
	v_mov_b32_e32 v10, v3
.LBB25_1147:
	s_and_not1_b32 vcc_lo, exec_lo, s10
	s_cbranch_vccnz .LBB25_1150
; %bb.1148:
	s_clause 0x1
	s_load_b96 s[4:6], s[2:3], 0x4
	s_load_b64 s[0:1], s[2:3], 0xc4
	s_cmp_lt_u32 s19, 2
	s_wait_kmcnt 0x0
	v_mul_hi_u32 v2, s5, v0
	s_delay_alu instid0(VALU_DEP_1) | instskip(NEXT) | instid1(VALU_DEP_1)
	v_add_nc_u32_e32 v2, v0, v2
	v_lshrrev_b32_e32 v3, s6, v2
	s_delay_alu instid0(VALU_DEP_1) | instskip(NEXT) | instid1(VALU_DEP_1)
	v_mul_lo_u32 v2, v3, s4
	v_sub_nc_u32_e32 v0, v0, v2
	s_delay_alu instid0(VALU_DEP_1)
	v_mul_lo_u32 v10, v0, s1
	v_mul_lo_u32 v2, v0, s0
	s_cbranch_scc1 .LBB25_1150
; %bb.1149:
	s_clause 0x1
	s_load_b96 s[4:6], s[2:3], 0x10
	s_load_b64 s[0:1], s[2:3], 0xcc
	s_wait_kmcnt 0x0
	v_mul_hi_u32 v0, s5, v3
	s_delay_alu instid0(VALU_DEP_1) | instskip(NEXT) | instid1(VALU_DEP_1)
	v_add_nc_u32_e32 v0, v3, v0
	v_lshrrev_b32_e32 v0, s6, v0
	s_delay_alu instid0(VALU_DEP_1) | instskip(NEXT) | instid1(VALU_DEP_1)
	v_mul_lo_u32 v0, v0, s4
	v_sub_nc_u32_e32 v0, v3, v0
	s_delay_alu instid0(VALU_DEP_1)
	v_mad_u32 v2, v0, s0, v2
	v_mad_u32 v10, v0, s1, v10
.LBB25_1150:
	v_cmp_ne_u32_e32 vcc_lo, 1, v1
	s_cbranch_vccnz .LBB25_1156
; %bb.1151:
	s_cmp_lg_u32 s19, 0
	s_mov_b32 s10, 0
	s_cbranch_scc0 .LBB25_1157
; %bb.1152:
	s_min_u32 s1, s33, 15
	s_delay_alu instid0(SALU_CYCLE_1)
	s_add_co_i32 s1, s1, 1
	s_cmp_eq_u32 s33, 2
	s_cbranch_scc1 .LBB25_1158
; %bb.1153:
	v_dual_mov_b32 v0, 0 :: v_dual_mov_b32 v8, 0
	v_mov_b32_e32 v3, v9
	s_and_b32 s0, s1, 28
	s_add_nc_u64 s[4:5], s[2:3], 0xc4
	s_mov_b32 s11, 0
	s_mov_b64 s[6:7], s[2:3]
.LBB25_1154:                            ; =>This Inner Loop Header: Depth=1
	s_clause 0x1
	s_load_b256 s[20:27], s[6:7], 0x4
	s_load_b128 s[12:15], s[6:7], 0x24
	s_load_b256 s[36:43], s[4:5], 0x0
	s_add_co_i32 s11, s11, 4
	s_wait_xcnt 0x0
	s_add_nc_u64 s[6:7], s[6:7], 48
	s_cmp_lg_u32 s0, s11
	s_add_nc_u64 s[4:5], s[4:5], 32
	s_wait_kmcnt 0x0
	v_mul_hi_u32 v1, s21, v3
	s_delay_alu instid0(VALU_DEP_1) | instskip(NEXT) | instid1(VALU_DEP_1)
	v_add_nc_u32_e32 v1, v3, v1
	v_lshrrev_b32_e32 v1, s22, v1
	s_delay_alu instid0(VALU_DEP_1) | instskip(NEXT) | instid1(VALU_DEP_1)
	v_mul_lo_u32 v11, v1, s20
	v_sub_nc_u32_e32 v3, v3, v11
	v_mul_hi_u32 v5, s24, v1
	s_delay_alu instid0(VALU_DEP_2) | instskip(SKIP_1) | instid1(VALU_DEP_3)
	v_mad_u32 v8, v3, s37, v8
	v_mad_u32 v0, v3, s36, v0
	v_add_nc_u32_e32 v5, v1, v5
	s_delay_alu instid0(VALU_DEP_1) | instskip(NEXT) | instid1(VALU_DEP_1)
	v_lshrrev_b32_e32 v5, s25, v5
	v_mul_lo_u32 v11, v5, s23
	s_delay_alu instid0(VALU_DEP_1) | instskip(SKIP_1) | instid1(VALU_DEP_2)
	v_sub_nc_u32_e32 v1, v1, v11
	v_mul_hi_u32 v7, s27, v5
	v_mad_u32 v8, v1, s39, v8
	v_mad_u32 v0, v1, s38, v0
	s_delay_alu instid0(VALU_DEP_3) | instskip(NEXT) | instid1(VALU_DEP_1)
	v_add_nc_u32_e32 v7, v5, v7
	v_lshrrev_b32_e32 v7, s12, v7
	s_delay_alu instid0(VALU_DEP_1) | instskip(SKIP_1) | instid1(VALU_DEP_1)
	v_mul_hi_u32 v13, s14, v7
	v_mul_lo_u32 v11, v7, s26
	v_dual_add_nc_u32 v3, v7, v13 :: v_dual_sub_nc_u32 v1, v5, v11
	s_delay_alu instid0(VALU_DEP_1) | instskip(NEXT) | instid1(VALU_DEP_2)
	v_lshrrev_b32_e32 v3, s15, v3
	v_mad_u32 v8, v1, s41, v8
	v_mad_u32 v0, v1, s40, v0
	s_delay_alu instid0(VALU_DEP_3) | instskip(NEXT) | instid1(VALU_DEP_1)
	v_mul_lo_u32 v5, v3, s13
	v_sub_nc_u32_e32 v1, v7, v5
	s_delay_alu instid0(VALU_DEP_1) | instskip(NEXT) | instid1(VALU_DEP_4)
	v_mad_u32 v8, v1, s43, v8
	v_mad_u32 v0, v1, s42, v0
	s_cbranch_scc1 .LBB25_1154
; %bb.1155:
	s_delay_alu instid0(VALU_DEP_2)
	v_mov_b32_e32 v1, v8
	s_and_b32 s6, s1, 3
	s_mov_b32 s1, 0
	s_cmp_eq_u32 s6, 0
	s_cbranch_scc0 .LBB25_1159
	s_branch .LBB25_1162
.LBB25_1156:
	s_mov_b32 s10, -1
                                        ; implicit-def: $vgpr8
                                        ; implicit-def: $vgpr0
	s_branch .LBB25_1162
.LBB25_1157:
	v_dual_mov_b32 v8, 0 :: v_dual_mov_b32 v0, 0
	s_branch .LBB25_1162
.LBB25_1158:
	v_mov_b64_e32 v[0:1], 0
	v_mov_b32_e32 v3, v9
	s_mov_b32 s0, 0
                                        ; implicit-def: $vgpr8
	s_and_b32 s6, s1, 3
	s_mov_b32 s1, 0
	s_cmp_eq_u32 s6, 0
	s_cbranch_scc1 .LBB25_1162
.LBB25_1159:
	s_lshl_b32 s4, s0, 3
	s_mov_b32 s5, s1
	s_mul_u64 s[12:13], s[0:1], 12
	s_add_nc_u64 s[4:5], s[2:3], s[4:5]
	s_delay_alu instid0(SALU_CYCLE_1)
	s_add_nc_u64 s[0:1], s[4:5], 0xc4
	s_add_nc_u64 s[4:5], s[2:3], s[12:13]
.LBB25_1160:                            ; =>This Inner Loop Header: Depth=1
	s_load_b96 s[12:14], s[4:5], 0x4
	s_add_co_i32 s6, s6, -1
	s_wait_xcnt 0x0
	s_add_nc_u64 s[4:5], s[4:5], 12
	s_cmp_lg_u32 s6, 0
	s_wait_kmcnt 0x0
	v_mul_hi_u32 v5, s13, v3
	s_delay_alu instid0(VALU_DEP_1) | instskip(NEXT) | instid1(VALU_DEP_1)
	v_add_nc_u32_e32 v5, v3, v5
	v_lshrrev_b32_e32 v5, s14, v5
	s_load_b64 s[14:15], s[0:1], 0x0
	s_wait_xcnt 0x0
	s_add_nc_u64 s[0:1], s[0:1], 8
	s_delay_alu instid0(VALU_DEP_1) | instskip(NEXT) | instid1(VALU_DEP_1)
	v_mul_lo_u32 v7, v5, s12
	v_sub_nc_u32_e32 v3, v3, v7
	s_wait_kmcnt 0x0
	s_delay_alu instid0(VALU_DEP_1)
	v_mad_u32 v1, v3, s15, v1
	v_mad_u32 v0, v3, s14, v0
	v_mov_b32_e32 v3, v5
	s_cbranch_scc1 .LBB25_1160
; %bb.1161:
	s_delay_alu instid0(VALU_DEP_3)
	v_mov_b32_e32 v8, v1
.LBB25_1162:
	s_and_not1_b32 vcc_lo, exec_lo, s10
	s_cbranch_vccnz .LBB25_1165
; %bb.1163:
	s_clause 0x1
	s_load_b96 s[4:6], s[2:3], 0x4
	s_load_b64 s[0:1], s[2:3], 0xc4
	s_cmp_lt_u32 s19, 2
	s_wait_kmcnt 0x0
	v_mul_hi_u32 v0, s5, v9
	s_delay_alu instid0(VALU_DEP_1) | instskip(NEXT) | instid1(VALU_DEP_1)
	v_add_nc_u32_e32 v0, v9, v0
	v_lshrrev_b32_e32 v1, s6, v0
	s_delay_alu instid0(VALU_DEP_1) | instskip(NEXT) | instid1(VALU_DEP_1)
	v_mul_lo_u32 v0, v1, s4
	v_sub_nc_u32_e32 v0, v9, v0
	s_delay_alu instid0(VALU_DEP_1)
	v_mul_lo_u32 v8, v0, s1
	v_mul_lo_u32 v0, v0, s0
	s_cbranch_scc1 .LBB25_1165
; %bb.1164:
	s_clause 0x1
	s_load_b96 s[4:6], s[2:3], 0x10
	s_load_b64 s[0:1], s[2:3], 0xcc
	s_wait_kmcnt 0x0
	v_mul_hi_u32 v3, s5, v1
	s_delay_alu instid0(VALU_DEP_1) | instskip(NEXT) | instid1(VALU_DEP_1)
	v_add_nc_u32_e32 v3, v1, v3
	v_lshrrev_b32_e32 v3, s6, v3
	s_delay_alu instid0(VALU_DEP_1) | instskip(NEXT) | instid1(VALU_DEP_1)
	v_mul_lo_u32 v3, v3, s4
	v_sub_nc_u32_e32 v1, v1, v3
	s_delay_alu instid0(VALU_DEP_1)
	v_mad_u32 v0, v1, s0, v0
	v_mad_u32 v8, v1, s1, v8
.LBB25_1165:
	v_mov_b32_e32 v15, 0
	s_load_b128 s[4:7], s[2:3], 0x148
	global_load_u8 v1, v15, s[2:3] offset:353
	s_wait_kmcnt 0x0
	v_add_nc_u64_e32 v[14:15], s[6:7], v[14:15]
	s_wait_loadcnt 0x0
	v_and_b32_e32 v3, 0xffff, v1
	v_readfirstlane_b32 s11, v1
	s_delay_alu instid0(VALU_DEP_2)
	v_cmp_gt_i32_e32 vcc_lo, 11, v3
	s_cbranch_vccnz .LBB25_1172
; %bb.1166:
	s_and_b32 s0, 0xffff, s11
	s_mov_b32 s12, 0
	s_cmp_gt_i32 s0, 25
	s_cbranch_scc0 .LBB25_1174
; %bb.1167:
	s_cmp_gt_i32 s0, 28
	s_cbranch_scc0 .LBB25_1175
; %bb.1168:
	;; [unrolled: 3-line block ×4, first 2 shown]
	s_cmp_eq_u32 s0, 46
	s_mov_b32 s10, 0
	s_cbranch_scc0 .LBB25_1180
; %bb.1171:
	global_load_b32 v1, v[14:15], off
	s_mov_b32 s1, 0
	s_mov_b32 s13, -1
	s_wait_loadcnt 0x0
	v_lshlrev_b32_e32 v1, 16, v1
	s_delay_alu instid0(VALU_DEP_1)
	v_cvt_f16_f32_e32 v1, v1
	s_branch .LBB25_1182
.LBB25_1172:
	s_mov_b32 s13, 0
	s_mov_b32 s10, s8
                                        ; implicit-def: $vgpr1
	s_cbranch_execnz .LBB25_1245
.LBB25_1173:
	s_and_not1_b32 vcc_lo, exec_lo, s13
	s_cbranch_vccz .LBB25_1290
	s_branch .LBB25_1767
.LBB25_1174:
	s_mov_b32 s13, 0
	s_mov_b32 s1, 0
                                        ; implicit-def: $vgpr1
	s_cbranch_execnz .LBB25_1210
	s_branch .LBB25_1241
.LBB25_1175:
	s_mov_b32 s10, -1
	s_mov_b32 s13, 0
	s_mov_b32 s1, 0
                                        ; implicit-def: $vgpr1
	s_branch .LBB25_1191
.LBB25_1176:
	s_mov_b32 s13, 0
	s_mov_b32 s1, 0
                                        ; implicit-def: $vgpr1
	s_cbranch_execnz .LBB25_1187
	s_branch .LBB25_1190
.LBB25_1177:
	s_mov_b32 s10, -1
	s_mov_b32 s13, 0
	s_mov_b32 s1, 0
	s_branch .LBB25_1181
.LBB25_1178:
	s_and_not1_saveexec_b32 s9, s9
	s_cbranch_execz .LBB25_1017
.LBB25_1179:
	v_add_f32_e64 v3, 0x46000000, |v2|
	s_and_not1_b32 s8, s8, exec_lo
	s_delay_alu instid0(VALU_DEP_1) | instskip(NEXT) | instid1(VALU_DEP_1)
	v_and_b32_e32 v3, 0xff, v3
	v_cmp_ne_u32_e32 vcc_lo, 0, v3
	s_and_b32 s10, vcc_lo, exec_lo
	s_delay_alu instid0(SALU_CYCLE_1)
	s_or_b32 s8, s8, s10
	s_or_b32 exec_lo, exec_lo, s9
	v_mov_b32_e32 v4, 0
	s_and_saveexec_b32 s9, s8
	s_cbranch_execnz .LBB25_1018
	s_branch .LBB25_1019
.LBB25_1180:
	s_mov_b32 s1, -1
	s_mov_b32 s13, 0
.LBB25_1181:
                                        ; implicit-def: $vgpr1
.LBB25_1182:
	s_and_b32 vcc_lo, exec_lo, s10
	s_cbranch_vccz .LBB25_1185
; %bb.1183:
	s_cmp_eq_u32 s0, 44
	s_cbranch_scc0 .LBB25_1186
; %bb.1184:
	global_load_u8 v1, v[14:15], off
	s_mov_b32 s1, 0
	s_mov_b32 s13, -1
	s_wait_loadcnt 0x0
	v_lshlrev_b32_e32 v3, 23, v1
	v_cmp_ne_u32_e32 vcc_lo, 0xff, v1
	s_delay_alu instid0(VALU_DEP_2) | instskip(NEXT) | instid1(VALU_DEP_1)
	v_cvt_f16_f32_e32 v3, v3
	v_cndmask_b32_e32 v3, 0x7e00, v3, vcc_lo
	v_cmp_ne_u32_e32 vcc_lo, 0, v1
	s_delay_alu instid0(VALU_DEP_2)
	v_cndmask_b32_e32 v1, 0, v3, vcc_lo
.LBB25_1185:
	s_branch .LBB25_1190
.LBB25_1186:
	s_mov_b32 s1, -1
                                        ; implicit-def: $vgpr1
	s_branch .LBB25_1190
.LBB25_1187:
	s_cmp_eq_u32 s0, 29
	s_cbranch_scc0 .LBB25_1189
; %bb.1188:
	global_load_b64 v[16:17], v[14:15], off
	s_mov_b32 s1, 0
	s_mov_b32 s13, -1
	s_mov_b32 s10, 0
	s_wait_loadcnt 0x0
	v_clz_i32_u32_e32 v1, v17
	s_delay_alu instid0(VALU_DEP_1) | instskip(NEXT) | instid1(VALU_DEP_1)
	v_min_u32_e32 v1, 32, v1
	v_lshlrev_b64_e32 v[16:17], v1, v[16:17]
	v_sub_nc_u32_e32 v1, 32, v1
	s_delay_alu instid0(VALU_DEP_2) | instskip(NEXT) | instid1(VALU_DEP_1)
	v_min_u32_e32 v3, 1, v16
	v_or_b32_e32 v3, v17, v3
	s_delay_alu instid0(VALU_DEP_1) | instskip(NEXT) | instid1(VALU_DEP_1)
	v_cvt_f32_u32_e32 v3, v3
	v_ldexp_f32 v1, v3, v1
	s_delay_alu instid0(VALU_DEP_1)
	v_cvt_f16_f32_e32 v1, v1
	s_branch .LBB25_1191
.LBB25_1189:
	s_mov_b32 s1, -1
                                        ; implicit-def: $vgpr1
.LBB25_1190:
	s_mov_b32 s10, 0
.LBB25_1191:
	s_delay_alu instid0(SALU_CYCLE_1)
	s_and_b32 vcc_lo, exec_lo, s10
	s_cbranch_vccz .LBB25_1209
; %bb.1192:
	s_cmp_lt_i32 s0, 27
	s_cbranch_scc1 .LBB25_1195
; %bb.1193:
	s_cmp_gt_i32 s0, 27
	s_cbranch_scc0 .LBB25_1196
; %bb.1194:
	global_load_b32 v1, v[14:15], off
	s_mov_b32 s10, 0
	s_wait_loadcnt 0x0
	v_cvt_f32_u32_e32 v1, v1
	s_delay_alu instid0(VALU_DEP_1)
	v_cvt_f16_f32_e32 v1, v1
	s_branch .LBB25_1197
.LBB25_1195:
	s_mov_b32 s10, -1
                                        ; implicit-def: $vgpr1
	s_branch .LBB25_1200
.LBB25_1196:
	s_mov_b32 s10, -1
                                        ; implicit-def: $vgpr1
.LBB25_1197:
	s_delay_alu instid0(SALU_CYCLE_1)
	s_and_not1_b32 vcc_lo, exec_lo, s10
	s_cbranch_vccnz .LBB25_1199
; %bb.1198:
	global_load_u16 v1, v[14:15], off
	s_wait_loadcnt 0x0
	v_cvt_f16_u16_e32 v1, v1
.LBB25_1199:
	s_mov_b32 s10, 0
.LBB25_1200:
	s_delay_alu instid0(SALU_CYCLE_1)
	s_and_not1_b32 vcc_lo, exec_lo, s10
	s_cbranch_vccnz .LBB25_1208
; %bb.1201:
	global_load_u8 v3, v[14:15], off
	s_mov_b32 s10, 0
	s_mov_b32 s13, exec_lo
	s_wait_loadcnt 0x0
	v_cmpx_lt_i16_e32 0x7f, v3
	s_xor_b32 s13, exec_lo, s13
	s_cbranch_execz .LBB25_1221
; %bb.1202:
	s_mov_b32 s10, -1
	s_mov_b32 s14, exec_lo
	v_cmpx_eq_u16_e32 0x80, v3
; %bb.1203:
	s_xor_b32 s10, exec_lo, -1
; %bb.1204:
	s_or_b32 exec_lo, exec_lo, s14
	s_delay_alu instid0(SALU_CYCLE_1)
	s_and_b32 s10, s10, exec_lo
	s_or_saveexec_b32 s13, s13
	v_mov_b32_e32 v1, 0x7e00
	s_xor_b32 exec_lo, exec_lo, s13
	s_cbranch_execnz .LBB25_1222
.LBB25_1205:
	s_or_b32 exec_lo, exec_lo, s13
	s_and_saveexec_b32 s13, s10
	s_cbranch_execz .LBB25_1207
.LBB25_1206:
	v_and_b32_e32 v1, 0xffff, v3
	s_delay_alu instid0(VALU_DEP_1) | instskip(SKIP_1) | instid1(VALU_DEP_2)
	v_and_b32_e32 v5, 7, v1
	v_bfe_u32 v11, v1, 3, 4
	v_clz_i32_u32_e32 v7, v5
	s_delay_alu instid0(VALU_DEP_2) | instskip(NEXT) | instid1(VALU_DEP_2)
	v_cmp_eq_u32_e32 vcc_lo, 0, v11
	v_min_u32_e32 v7, 32, v7
	s_delay_alu instid0(VALU_DEP_1) | instskip(NEXT) | instid1(VALU_DEP_1)
	v_subrev_nc_u32_e32 v9, 28, v7
	v_dual_lshlrev_b32 v1, v9, v1 :: v_dual_sub_nc_u32 v7, 29, v7
	s_delay_alu instid0(VALU_DEP_1) | instskip(NEXT) | instid1(VALU_DEP_1)
	v_dual_lshlrev_b32 v3, 24, v3 :: v_dual_bitop2_b32 v1, 7, v1 bitop3:0x40
	v_dual_cndmask_b32 v1, v5, v1, vcc_lo :: v_dual_cndmask_b32 v7, v11, v7, vcc_lo
	s_delay_alu instid0(VALU_DEP_2) | instskip(NEXT) | instid1(VALU_DEP_2)
	v_and_b32_e32 v3, 0x80000000, v3
	v_lshlrev_b32_e32 v1, 20, v1
	s_delay_alu instid0(VALU_DEP_3) | instskip(NEXT) | instid1(VALU_DEP_1)
	v_lshl_add_u32 v5, v7, 23, 0x3b800000
	v_or3_b32 v1, v3, v5, v1
	s_delay_alu instid0(VALU_DEP_1)
	v_cvt_f16_f32_e32 v1, v1
.LBB25_1207:
	s_or_b32 exec_lo, exec_lo, s13
.LBB25_1208:
	s_mov_b32 s13, -1
.LBB25_1209:
	s_branch .LBB25_1241
.LBB25_1210:
	s_cmp_gt_i32 s0, 22
	s_cbranch_scc0 .LBB25_1220
; %bb.1211:
	s_cmp_lt_i32 s0, 24
	s_cbranch_scc1 .LBB25_1223
; %bb.1212:
	s_cmp_gt_i32 s0, 24
	s_cbranch_scc0 .LBB25_1224
; %bb.1213:
	global_load_u8 v3, v[14:15], off
	s_mov_b32 s10, 0
	s_mov_b32 s12, exec_lo
	s_wait_loadcnt 0x0
	v_cmpx_lt_i16_e32 0x7f, v3
	s_xor_b32 s12, exec_lo, s12
	s_cbranch_execz .LBB25_1235
; %bb.1214:
	s_mov_b32 s10, -1
	s_mov_b32 s13, exec_lo
	v_cmpx_eq_u16_e32 0x80, v3
; %bb.1215:
	s_xor_b32 s10, exec_lo, -1
; %bb.1216:
	s_or_b32 exec_lo, exec_lo, s13
	s_delay_alu instid0(SALU_CYCLE_1)
	s_and_b32 s10, s10, exec_lo
	s_or_saveexec_b32 s12, s12
	v_mov_b32_e32 v1, 0x7e00
	s_xor_b32 exec_lo, exec_lo, s12
	s_cbranch_execnz .LBB25_1236
.LBB25_1217:
	s_or_b32 exec_lo, exec_lo, s12
	s_and_saveexec_b32 s12, s10
	s_cbranch_execz .LBB25_1219
.LBB25_1218:
	v_and_b32_e32 v1, 0xffff, v3
	s_delay_alu instid0(VALU_DEP_1) | instskip(SKIP_1) | instid1(VALU_DEP_2)
	v_and_b32_e32 v5, 3, v1
	v_bfe_u32 v11, v1, 2, 5
	v_clz_i32_u32_e32 v7, v5
	s_delay_alu instid0(VALU_DEP_2) | instskip(NEXT) | instid1(VALU_DEP_2)
	v_cmp_eq_u32_e32 vcc_lo, 0, v11
	v_min_u32_e32 v7, 32, v7
	s_delay_alu instid0(VALU_DEP_1) | instskip(NEXT) | instid1(VALU_DEP_1)
	v_subrev_nc_u32_e32 v9, 29, v7
	v_dual_lshlrev_b32 v1, v9, v1 :: v_dual_sub_nc_u32 v7, 30, v7
	s_delay_alu instid0(VALU_DEP_1) | instskip(NEXT) | instid1(VALU_DEP_1)
	v_dual_lshlrev_b32 v3, 24, v3 :: v_dual_bitop2_b32 v1, 3, v1 bitop3:0x40
	v_dual_cndmask_b32 v1, v5, v1, vcc_lo :: v_dual_cndmask_b32 v7, v11, v7, vcc_lo
	s_delay_alu instid0(VALU_DEP_2) | instskip(NEXT) | instid1(VALU_DEP_2)
	v_and_b32_e32 v3, 0x80000000, v3
	v_lshlrev_b32_e32 v1, 21, v1
	s_delay_alu instid0(VALU_DEP_3) | instskip(NEXT) | instid1(VALU_DEP_1)
	v_lshl_add_u32 v5, v7, 23, 0x37800000
	v_or3_b32 v1, v3, v5, v1
	s_delay_alu instid0(VALU_DEP_1)
	v_cvt_f16_f32_e32 v1, v1
.LBB25_1219:
	s_or_b32 exec_lo, exec_lo, s12
	s_mov_b32 s10, 0
	s_branch .LBB25_1225
.LBB25_1220:
                                        ; implicit-def: $vgpr1
	s_mov_b32 s12, 0
	s_branch .LBB25_1231
.LBB25_1221:
	s_or_saveexec_b32 s13, s13
	v_mov_b32_e32 v1, 0x7e00
	s_xor_b32 exec_lo, exec_lo, s13
	s_cbranch_execz .LBB25_1205
.LBB25_1222:
	v_cmp_ne_u16_e32 vcc_lo, 0, v3
	v_mov_b32_e32 v1, v3
	s_and_not1_b32 s10, s10, exec_lo
	s_and_b32 s14, vcc_lo, exec_lo
	s_delay_alu instid0(SALU_CYCLE_1)
	s_or_b32 s10, s10, s14
	s_or_b32 exec_lo, exec_lo, s13
	s_and_saveexec_b32 s13, s10
	s_cbranch_execnz .LBB25_1206
	s_branch .LBB25_1207
.LBB25_1223:
	s_mov_b32 s10, -1
                                        ; implicit-def: $vgpr1
	s_branch .LBB25_1228
.LBB25_1224:
	s_mov_b32 s10, -1
                                        ; implicit-def: $vgpr1
.LBB25_1225:
	s_delay_alu instid0(SALU_CYCLE_1)
	s_and_b32 vcc_lo, exec_lo, s10
	s_cbranch_vccz .LBB25_1227
; %bb.1226:
	global_load_u8 v1, v[14:15], off
	s_wait_loadcnt 0x0
	v_lshlrev_b32_e32 v1, 24, v1
	s_delay_alu instid0(VALU_DEP_1) | instskip(NEXT) | instid1(VALU_DEP_1)
	v_and_b32_e32 v3, 0x7f000000, v1
	v_clz_i32_u32_e32 v5, v3
	v_add_nc_u32_e32 v9, 0x1000000, v3
	v_cmp_ne_u32_e32 vcc_lo, 0, v3
	s_delay_alu instid0(VALU_DEP_3) | instskip(NEXT) | instid1(VALU_DEP_1)
	v_min_u32_e32 v5, 32, v5
	v_sub_nc_u32_e64 v5, v5, 4 clamp
	s_delay_alu instid0(VALU_DEP_1) | instskip(NEXT) | instid1(VALU_DEP_1)
	v_dual_lshlrev_b32 v7, v5, v3 :: v_dual_lshlrev_b32 v5, 23, v5
	v_lshrrev_b32_e32 v7, 4, v7
	s_delay_alu instid0(VALU_DEP_1) | instskip(SKIP_1) | instid1(VALU_DEP_2)
	v_sub_nc_u32_e32 v5, v7, v5
	v_ashrrev_i32_e32 v7, 8, v9
	v_add_nc_u32_e32 v5, 0x3c000000, v5
	s_delay_alu instid0(VALU_DEP_1) | instskip(NEXT) | instid1(VALU_DEP_1)
	v_and_or_b32 v5, 0x7f800000, v7, v5
	v_cndmask_b32_e32 v3, 0, v5, vcc_lo
	s_delay_alu instid0(VALU_DEP_1) | instskip(NEXT) | instid1(VALU_DEP_1)
	v_and_or_b32 v1, 0x80000000, v1, v3
	v_cvt_f16_f32_e32 v1, v1
.LBB25_1227:
	s_mov_b32 s10, 0
.LBB25_1228:
	s_delay_alu instid0(SALU_CYCLE_1)
	s_and_not1_b32 vcc_lo, exec_lo, s10
	s_cbranch_vccnz .LBB25_1230
; %bb.1229:
	global_load_u8 v1, v[14:15], off
	s_wait_loadcnt 0x0
	v_lshlrev_b32_e32 v3, 25, v1
	v_lshlrev_b16 v1, 8, v1
	s_delay_alu instid0(VALU_DEP_1) | instskip(SKIP_1) | instid1(VALU_DEP_2)
	v_and_or_b32 v7, 0x7f00, v1, 0.5
	v_bfe_i32 v1, v1, 0, 16
	v_add_f32_e32 v7, -0.5, v7
	v_lshrrev_b32_e32 v5, 4, v3
	v_cmp_gt_u32_e32 vcc_lo, 0x8000000, v3
	s_delay_alu instid0(VALU_DEP_2) | instskip(NEXT) | instid1(VALU_DEP_1)
	v_or_b32_e32 v5, 0x70000000, v5
	v_mul_f32_e32 v5, 0x7800000, v5
	s_delay_alu instid0(VALU_DEP_1) | instskip(NEXT) | instid1(VALU_DEP_1)
	v_cndmask_b32_e32 v3, v5, v7, vcc_lo
	v_and_or_b32 v1, 0x80000000, v1, v3
	s_delay_alu instid0(VALU_DEP_1)
	v_cvt_f16_f32_e32 v1, v1
.LBB25_1230:
	s_mov_b32 s13, -1
	s_mov_b32 s12, 0
	s_cbranch_execnz .LBB25_1241
.LBB25_1231:
	s_cmp_gt_i32 s0, 14
	s_cbranch_scc0 .LBB25_1234
; %bb.1232:
	s_cmp_eq_u32 s0, 15
	s_cbranch_scc0 .LBB25_1237
; %bb.1233:
	global_load_u16 v1, v[14:15], off
	s_mov_b32 s1, 0
	s_mov_b32 s13, -1
	s_wait_loadcnt 0x0
	v_lshlrev_b32_e32 v1, 16, v1
	s_delay_alu instid0(VALU_DEP_1)
	v_cvt_f16_f32_e32 v1, v1
	s_branch .LBB25_1238
.LBB25_1234:
	s_mov_b32 s10, -1
                                        ; implicit-def: $vgpr1
	s_branch .LBB25_1239
.LBB25_1235:
	s_or_saveexec_b32 s12, s12
	v_mov_b32_e32 v1, 0x7e00
	s_xor_b32 exec_lo, exec_lo, s12
	s_cbranch_execz .LBB25_1217
.LBB25_1236:
	v_cmp_ne_u16_e32 vcc_lo, 0, v3
	v_mov_b32_e32 v1, v3
	s_and_not1_b32 s10, s10, exec_lo
	s_and_b32 s13, vcc_lo, exec_lo
	s_delay_alu instid0(SALU_CYCLE_1)
	s_or_b32 s10, s10, s13
	s_or_b32 exec_lo, exec_lo, s12
	s_and_saveexec_b32 s12, s10
	s_cbranch_execnz .LBB25_1218
	s_branch .LBB25_1219
.LBB25_1237:
	s_mov_b32 s1, -1
                                        ; implicit-def: $vgpr1
.LBB25_1238:
	s_mov_b32 s10, 0
.LBB25_1239:
	s_delay_alu instid0(SALU_CYCLE_1)
	s_and_b32 vcc_lo, exec_lo, s10
	s_cbranch_vccz .LBB25_1241
; %bb.1240:
	s_cmp_lg_u32 s0, 11
	s_mov_b32 s12, -1
	s_cselect_b32 s1, -1, 0
.LBB25_1241:
	s_delay_alu instid0(SALU_CYCLE_1)
	s_and_b32 vcc_lo, exec_lo, s1
	s_mov_b32 s10, s8
	s_cbranch_vccnz .LBB25_1304
; %bb.1242:
	s_and_not1_b32 vcc_lo, exec_lo, s12
	s_cbranch_vccnz .LBB25_1244
.LBB25_1243:
	global_load_u8 v1, v[14:15], off
	s_mov_b32 s13, -1
	s_wait_loadcnt 0x0
	v_cmp_ne_u16_e32 vcc_lo, 0, v1
	v_cndmask_b32_e64 v1, 0, 0x3c00, vcc_lo
.LBB25_1244:
	s_branch .LBB25_1173
.LBB25_1245:
	s_and_b32 s0, 0xffff, s11
	s_delay_alu instid0(SALU_CYCLE_1)
	s_cmp_lt_i32 s0, 5
	s_cbranch_scc1 .LBB25_1250
; %bb.1246:
	s_cmp_lt_i32 s0, 8
	s_cbranch_scc1 .LBB25_1251
; %bb.1247:
	;; [unrolled: 3-line block ×3, first 2 shown]
	s_cmp_gt_i32 s0, 9
	s_cbranch_scc0 .LBB25_1253
; %bb.1249:
	global_load_b64 v[16:17], v[14:15], off
	s_mov_b32 s1, 0
	s_wait_loadcnt 0x0
	v_and_or_b32 v1, 0x1ff, v17, v16
	v_lshrrev_b32_e32 v3, 8, v17
	v_bfe_u32 v5, v17, 20, 11
	s_delay_alu instid0(VALU_DEP_3) | instskip(NEXT) | instid1(VALU_DEP_2)
	v_cmp_ne_u32_e32 vcc_lo, 0, v1
	v_sub_nc_u32_e32 v7, 0x3f1, v5
	v_add_nc_u32_e32 v5, 0xfffffc10, v5
	v_cndmask_b32_e64 v1, 0, 1, vcc_lo
	s_delay_alu instid0(VALU_DEP_1) | instskip(NEXT) | instid1(VALU_DEP_4)
	v_and_or_b32 v1, 0xffe, v3, v1
	v_med3_i32 v3, v7, 0, 13
	s_delay_alu instid0(VALU_DEP_2) | instskip(NEXT) | instid1(VALU_DEP_1)
	v_or_b32_e32 v7, 0x1000, v1
	v_lshrrev_b32_e32 v9, v3, v7
	s_delay_alu instid0(VALU_DEP_1) | instskip(NEXT) | instid1(VALU_DEP_1)
	v_lshlrev_b32_e32 v3, v3, v9
	v_cmp_ne_u32_e32 vcc_lo, v3, v7
	v_lshl_or_b32 v7, v5, 12, v1
	v_cndmask_b32_e64 v3, 0, 1, vcc_lo
	v_cmp_gt_i32_e32 vcc_lo, 1, v5
	s_delay_alu instid0(VALU_DEP_2) | instskip(NEXT) | instid1(VALU_DEP_1)
	v_or_b32_e32 v3, v9, v3
	v_cndmask_b32_e32 v3, v7, v3, vcc_lo
	s_delay_alu instid0(VALU_DEP_1) | instskip(NEXT) | instid1(VALU_DEP_1)
	v_and_b32_e32 v7, 7, v3
	v_cmp_lt_i32_e32 vcc_lo, 5, v7
	v_cndmask_b32_e64 v9, 0, 1, vcc_lo
	v_cmp_eq_u32_e32 vcc_lo, 3, v7
	v_cndmask_b32_e64 v7, 0, 1, vcc_lo
	v_cmp_ne_u32_e32 vcc_lo, 0, v1
	s_delay_alu instid0(VALU_DEP_2) | instskip(SKIP_1) | instid1(VALU_DEP_2)
	v_dual_lshrrev_b32 v3, 2, v3 :: v_dual_bitop2_b32 v7, v7, v9 bitop3:0x54
	v_mov_b32_e32 v9, 0x7e00
	v_add_nc_u32_e32 v3, v3, v7
	s_delay_alu instid0(VALU_DEP_2) | instskip(SKIP_1) | instid1(VALU_DEP_3)
	v_cndmask_b32_e32 v1, 0x7c00, v9, vcc_lo
	v_cmp_gt_i32_e32 vcc_lo, 31, v5
	v_cndmask_b32_e32 v3, 0x7c00, v3, vcc_lo
	v_cmp_eq_u32_e32 vcc_lo, 0x40f, v5
	s_delay_alu instid0(VALU_DEP_2) | instskip(SKIP_1) | instid1(VALU_DEP_1)
	v_cndmask_b32_e32 v1, v3, v1, vcc_lo
	v_lshrrev_b32_e32 v3, 16, v17
	v_and_or_b32 v1, 0x8000, v3, v1
	s_branch .LBB25_1254
.LBB25_1250:
                                        ; implicit-def: $vgpr1
	s_branch .LBB25_1271
.LBB25_1251:
                                        ; implicit-def: $vgpr1
	s_branch .LBB25_1260
.LBB25_1252:
	s_mov_b32 s1, -1
                                        ; implicit-def: $vgpr1
	s_branch .LBB25_1257
.LBB25_1253:
	s_mov_b32 s1, -1
                                        ; implicit-def: $vgpr1
.LBB25_1254:
	s_delay_alu instid0(SALU_CYCLE_1)
	s_and_not1_b32 vcc_lo, exec_lo, s1
	s_cbranch_vccnz .LBB25_1256
; %bb.1255:
	global_load_b32 v1, v[14:15], off
	s_wait_loadcnt 0x0
	v_cvt_f16_f32_e32 v1, v1
.LBB25_1256:
	s_mov_b32 s1, 0
.LBB25_1257:
	s_delay_alu instid0(SALU_CYCLE_1)
	s_and_not1_b32 vcc_lo, exec_lo, s1
	s_cbranch_vccnz .LBB25_1259
; %bb.1258:
	global_load_b32 v1, v[14:15], off
.LBB25_1259:
	s_cbranch_execnz .LBB25_1270
.LBB25_1260:
	s_cmp_lt_i32 s0, 6
	s_cbranch_scc1 .LBB25_1263
; %bb.1261:
	s_cmp_gt_i32 s0, 6
	s_cbranch_scc0 .LBB25_1264
; %bb.1262:
	global_load_b64 v[16:17], v[14:15], off
	s_mov_b32 s1, 0
	s_wait_loadcnt 0x0
	v_and_or_b32 v1, 0x1ff, v17, v16
	v_lshrrev_b32_e32 v3, 8, v17
	v_bfe_u32 v5, v17, 20, 11
	s_delay_alu instid0(VALU_DEP_3) | instskip(NEXT) | instid1(VALU_DEP_2)
	v_cmp_ne_u32_e32 vcc_lo, 0, v1
	v_sub_nc_u32_e32 v7, 0x3f1, v5
	v_add_nc_u32_e32 v5, 0xfffffc10, v5
	v_cndmask_b32_e64 v1, 0, 1, vcc_lo
	s_delay_alu instid0(VALU_DEP_1) | instskip(NEXT) | instid1(VALU_DEP_4)
	v_and_or_b32 v1, 0xffe, v3, v1
	v_med3_i32 v3, v7, 0, 13
	s_delay_alu instid0(VALU_DEP_2) | instskip(NEXT) | instid1(VALU_DEP_1)
	v_or_b32_e32 v7, 0x1000, v1
	v_lshrrev_b32_e32 v9, v3, v7
	s_delay_alu instid0(VALU_DEP_1) | instskip(NEXT) | instid1(VALU_DEP_1)
	v_lshlrev_b32_e32 v3, v3, v9
	v_cmp_ne_u32_e32 vcc_lo, v3, v7
	v_lshl_or_b32 v7, v5, 12, v1
	v_cndmask_b32_e64 v3, 0, 1, vcc_lo
	v_cmp_gt_i32_e32 vcc_lo, 1, v5
	s_delay_alu instid0(VALU_DEP_2) | instskip(NEXT) | instid1(VALU_DEP_1)
	v_or_b32_e32 v3, v9, v3
	v_cndmask_b32_e32 v3, v7, v3, vcc_lo
	s_delay_alu instid0(VALU_DEP_1) | instskip(NEXT) | instid1(VALU_DEP_1)
	v_and_b32_e32 v7, 7, v3
	v_cmp_lt_i32_e32 vcc_lo, 5, v7
	v_cndmask_b32_e64 v9, 0, 1, vcc_lo
	v_cmp_eq_u32_e32 vcc_lo, 3, v7
	v_cndmask_b32_e64 v7, 0, 1, vcc_lo
	v_cmp_ne_u32_e32 vcc_lo, 0, v1
	s_delay_alu instid0(VALU_DEP_2) | instskip(SKIP_1) | instid1(VALU_DEP_2)
	v_dual_lshrrev_b32 v3, 2, v3 :: v_dual_bitop2_b32 v7, v7, v9 bitop3:0x54
	v_mov_b32_e32 v9, 0x7e00
	v_add_nc_u32_e32 v3, v3, v7
	s_delay_alu instid0(VALU_DEP_2) | instskip(SKIP_1) | instid1(VALU_DEP_3)
	v_cndmask_b32_e32 v1, 0x7c00, v9, vcc_lo
	v_cmp_gt_i32_e32 vcc_lo, 31, v5
	v_cndmask_b32_e32 v3, 0x7c00, v3, vcc_lo
	v_cmp_eq_u32_e32 vcc_lo, 0x40f, v5
	s_delay_alu instid0(VALU_DEP_2) | instskip(SKIP_1) | instid1(VALU_DEP_1)
	v_cndmask_b32_e32 v1, v3, v1, vcc_lo
	v_lshrrev_b32_e32 v3, 16, v17
	v_and_or_b32 v1, 0x8000, v3, v1
	s_branch .LBB25_1265
.LBB25_1263:
	s_mov_b32 s1, -1
                                        ; implicit-def: $vgpr1
	s_branch .LBB25_1268
.LBB25_1264:
	s_mov_b32 s1, -1
                                        ; implicit-def: $vgpr1
.LBB25_1265:
	s_delay_alu instid0(SALU_CYCLE_1)
	s_and_not1_b32 vcc_lo, exec_lo, s1
	s_cbranch_vccnz .LBB25_1267
; %bb.1266:
	s_wait_loadcnt 0x0
	global_load_b32 v1, v[14:15], off
	s_wait_loadcnt 0x0
	v_cvt_f16_f32_e32 v1, v1
.LBB25_1267:
	s_mov_b32 s1, 0
.LBB25_1268:
	s_delay_alu instid0(SALU_CYCLE_1)
	s_and_not1_b32 vcc_lo, exec_lo, s1
	s_cbranch_vccnz .LBB25_1270
; %bb.1269:
	s_wait_loadcnt 0x0
	global_load_u16 v1, v[14:15], off
.LBB25_1270:
	s_cbranch_execnz .LBB25_1289
.LBB25_1271:
	s_cmp_lt_i32 s0, 2
	s_cbranch_scc1 .LBB25_1275
; %bb.1272:
	s_cmp_lt_i32 s0, 3
	s_cbranch_scc1 .LBB25_1276
; %bb.1273:
	s_cmp_gt_i32 s0, 3
	s_cbranch_scc0 .LBB25_1277
; %bb.1274:
	global_load_b64 v[16:17], v[14:15], off
	s_mov_b32 s1, 0
	s_wait_loadcnt 0x0
	v_xor_b32_e32 v1, v16, v17
	v_cls_i32_e32 v3, v17
	s_delay_alu instid0(VALU_DEP_2) | instskip(NEXT) | instid1(VALU_DEP_1)
	v_ashrrev_i32_e32 v1, 31, v1
	v_add_nc_u32_e32 v1, 32, v1
	s_delay_alu instid0(VALU_DEP_1) | instskip(NEXT) | instid1(VALU_DEP_1)
	v_add_min_u32_e64 v1, v3, -1, v1
	v_lshlrev_b64_e32 v[16:17], v1, v[16:17]
	v_sub_nc_u32_e32 v1, 32, v1
	s_delay_alu instid0(VALU_DEP_2) | instskip(NEXT) | instid1(VALU_DEP_1)
	v_min_u32_e32 v3, 1, v16
	v_or_b32_e32 v3, v17, v3
	s_delay_alu instid0(VALU_DEP_1) | instskip(NEXT) | instid1(VALU_DEP_1)
	v_cvt_f32_i32_e32 v3, v3
	v_ldexp_f32 v1, v3, v1
	s_delay_alu instid0(VALU_DEP_1)
	v_cvt_f16_f32_e32 v1, v1
	s_branch .LBB25_1278
.LBB25_1275:
                                        ; implicit-def: $vgpr1
	s_branch .LBB25_1284
.LBB25_1276:
	s_mov_b32 s1, -1
                                        ; implicit-def: $vgpr1
	s_branch .LBB25_1281
.LBB25_1277:
	s_mov_b32 s1, -1
                                        ; implicit-def: $vgpr1
.LBB25_1278:
	s_delay_alu instid0(SALU_CYCLE_1)
	s_and_not1_b32 vcc_lo, exec_lo, s1
	s_cbranch_vccnz .LBB25_1280
; %bb.1279:
	s_wait_loadcnt 0x0
	global_load_b32 v1, v[14:15], off
	s_wait_loadcnt 0x0
	v_cvt_f32_i32_e32 v1, v1
	s_delay_alu instid0(VALU_DEP_1)
	v_cvt_f16_f32_e32 v1, v1
.LBB25_1280:
	s_mov_b32 s1, 0
.LBB25_1281:
	s_delay_alu instid0(SALU_CYCLE_1)
	s_and_not1_b32 vcc_lo, exec_lo, s1
	s_cbranch_vccnz .LBB25_1283
; %bb.1282:
	s_wait_loadcnt 0x0
	global_load_u16 v1, v[14:15], off
	s_wait_loadcnt 0x0
	v_cvt_f16_i16_e32 v1, v1
.LBB25_1283:
	s_cbranch_execnz .LBB25_1289
.LBB25_1284:
	s_cmp_gt_i32 s0, 0
	s_mov_b32 s0, 0
	s_cbranch_scc0 .LBB25_1286
; %bb.1285:
	s_wait_loadcnt 0x0
	global_load_i8 v1, v[14:15], off
	s_wait_loadcnt 0x0
	v_cvt_f16_i16_e32 v1, v1
	s_branch .LBB25_1287
.LBB25_1286:
	s_mov_b32 s0, -1
                                        ; implicit-def: $vgpr1
.LBB25_1287:
	s_delay_alu instid0(SALU_CYCLE_1)
	s_and_not1_b32 vcc_lo, exec_lo, s0
	s_cbranch_vccnz .LBB25_1289
; %bb.1288:
	s_wait_loadcnt 0x0
	global_load_u8 v1, v[14:15], off
	s_wait_loadcnt 0x0
	v_cvt_f16_u16_e32 v1, v1
.LBB25_1289:
.LBB25_1290:
	s_load_b64 s[0:1], s[2:3], 0x158
	s_wait_loadcnt 0x0
	s_delay_alu instid0(VALU_DEP_1) | instskip(SKIP_2) | instid1(VALU_DEP_1)
	v_cvt_f32_f16_e32 v3, v1
	s_mov_b32 s12, exec_lo
	s_wait_kmcnt 0x0
	v_mul_f32_e32 v3, s0, v3
	s_delay_alu instid0(VALU_DEP_1)
	v_cmpx_nlt_f32_e32 s1, v3
	s_cbranch_execz .LBB25_1292
; %bb.1291:
	v_mul_f32_e32 v1, 0x3fb8aa3b, v3
	v_cmp_ngt_f32_e32 vcc_lo, 0xc2ce8ed0, v3
	s_mov_b32 s13, 0x3e9b6dac
	s_delay_alu instid0(VALU_DEP_2) | instskip(SKIP_1) | instid1(VALU_DEP_2)
	v_rndne_f32_e32 v5, v1
	v_fma_f32 v7, 0x3fb8aa3b, v3, -v1
	v_sub_f32_e32 v1, v1, v5
	s_delay_alu instid0(VALU_DEP_2) | instskip(SKIP_1) | instid1(VALU_DEP_2)
	v_fmamk_f32 v7, v3, 0x32a5705f, v7
	v_cvt_i32_f32_e32 v5, v5
	v_add_f32_e32 v1, v1, v7
	s_delay_alu instid0(VALU_DEP_1) | instskip(SKIP_1) | instid1(TRANS32_DEP_1)
	v_exp_f32_e32 v1, v1
	v_nop
	v_ldexp_f32 v1, v1, v5
	s_delay_alu instid0(VALU_DEP_1) | instskip(SKIP_1) | instid1(VALU_DEP_2)
	v_cndmask_b32_e32 v1, 0, v1, vcc_lo
	v_cmp_nlt_f32_e32 vcc_lo, 0x42b17218, v3
	v_cndmask_b32_e32 v3, 0x7f800000, v1, vcc_lo
	s_delay_alu instid0(VALU_DEP_1) | instskip(NEXT) | instid1(VALU_DEP_1)
	v_add_f32_e32 v1, 1.0, v3
	v_cvt_f64_f32_e32 v[14:15], v1
	v_frexp_mant_f32_e32 v7, v1
	s_delay_alu instid0(VALU_DEP_1) | instskip(SKIP_1) | instid1(VALU_DEP_1)
	v_cmp_gt_f32_e32 vcc_lo, 0x3f2aaaab, v7
	v_add_f32_e32 v7, -1.0, v1
	v_sub_f32_e32 v11, v7, v1
	v_frexp_exp_i32_f64_e32 v5, v[14:15]
	s_delay_alu instid0(VALU_DEP_1) | instskip(NEXT) | instid1(VALU_DEP_1)
	v_subrev_co_ci_u32_e64 v5, null, 0, v5, vcc_lo
	v_sub_nc_u32_e32 v9, 0, v5
	s_delay_alu instid0(VALU_DEP_1) | instskip(NEXT) | instid1(VALU_DEP_1)
	v_ldexp_f32 v1, v1, v9
	v_dual_add_f32 v13, 1.0, v1 :: v_dual_sub_f32 v7, v3, v7
	v_dual_add_f32 v19, -1.0, v1 :: v_dual_add_f32 v11, 1.0, v11
	s_delay_alu instid0(VALU_DEP_1) | instskip(NEXT) | instid1(VALU_DEP_1)
	v_dual_add_f32 v7, v7, v11 :: v_dual_add_f32 v11, -1.0, v13
	v_ldexp_f32 v7, v7, v9
	s_delay_alu instid0(VALU_DEP_2) | instskip(NEXT) | instid1(VALU_DEP_1)
	v_sub_f32_e32 v9, v1, v11
	v_dual_add_f32 v11, 1.0, v19 :: v_dual_add_f32 v9, v7, v9
	s_delay_alu instid0(VALU_DEP_1) | instskip(NEXT) | instid1(VALU_DEP_2)
	v_sub_f32_e32 v1, v1, v11
	v_add_f32_e32 v11, v13, v9
	s_delay_alu instid0(VALU_DEP_1) | instskip(SKIP_1) | instid1(VALU_DEP_1)
	v_dual_add_f32 v1, v7, v1 :: v_dual_sub_f32 v13, v13, v11
	v_rcp_f32_e32 v7, v11
	v_add_f32_e32 v15, v19, v1
	s_delay_alu instid0(VALU_DEP_1) | instskip(NEXT) | instid1(TRANS32_DEP_1)
	v_dual_add_f32 v9, v9, v13 :: v_dual_sub_f32 v13, v19, v15
	v_mul_f32_e32 v20, v15, v7
	v_cmp_neq_f32_e32 vcc_lo, 0x7f800000, v3
	s_delay_alu instid0(VALU_DEP_2) | instskip(NEXT) | instid1(VALU_DEP_1)
	v_dual_add_f32 v1, v1, v13 :: v_dual_mul_f32 v16, v11, v20
	v_fma_f32 v18, v20, v11, -v16
	s_delay_alu instid0(VALU_DEP_1) | instskip(NEXT) | instid1(VALU_DEP_1)
	v_fmac_f32_e32 v18, v20, v9
	v_add_f32_e32 v14, v16, v18
	s_delay_alu instid0(VALU_DEP_1) | instskip(NEXT) | instid1(VALU_DEP_1)
	v_dual_mov_b32 v19, v14 :: v_dual_sub_f32 v17, v15, v14
	v_pk_add_f32 v[14:15], v[14:15], v[16:17] neg_lo:[0,1] neg_hi:[0,1]
	s_delay_alu instid0(VALU_DEP_1) | instskip(NEXT) | instid1(VALU_DEP_1)
	v_pk_add_f32 v[14:15], v[14:15], v[18:19] neg_lo:[0,1] neg_hi:[0,1]
	v_add_f32_e32 v1, v1, v15
	s_delay_alu instid0(VALU_DEP_1) | instskip(NEXT) | instid1(VALU_DEP_1)
	v_add_f32_e32 v1, v14, v1
	v_add_f32_e32 v15, v17, v1
	s_delay_alu instid0(VALU_DEP_1) | instskip(NEXT) | instid1(VALU_DEP_1)
	v_mul_f32_e32 v13, v7, v15
	v_mul_f32_e32 v18, v11, v13
	s_delay_alu instid0(VALU_DEP_1) | instskip(NEXT) | instid1(VALU_DEP_1)
	v_fma_f32 v16, v13, v11, -v18
	v_fmac_f32_e32 v16, v13, v9
	s_delay_alu instid0(VALU_DEP_1) | instskip(NEXT) | instid1(VALU_DEP_1)
	v_dual_add_f32 v14, v18, v16 :: v_dual_sub_f32 v9, v17, v15
	v_dual_sub_f32 v19, v15, v14 :: v_dual_mov_b32 v17, v14
	s_delay_alu instid0(VALU_DEP_2) | instskip(SKIP_1) | instid1(VALU_DEP_3)
	v_add_f32_e32 v1, v1, v9
	v_add_f32_e32 v9, v20, v13
	v_pk_add_f32 v[14:15], v[14:15], v[18:19] neg_lo:[0,1] neg_hi:[0,1]
	s_delay_alu instid0(VALU_DEP_2) | instskip(NEXT) | instid1(VALU_DEP_2)
	v_sub_f32_e32 v11, v9, v20
	v_pk_add_f32 v[14:15], v[14:15], v[16:17] neg_lo:[0,1] neg_hi:[0,1]
	v_cvt_f32_i32_e32 v16, v5
	s_delay_alu instid0(VALU_DEP_3) | instskip(NEXT) | instid1(VALU_DEP_3)
	v_sub_f32_e32 v11, v13, v11
	v_add_f32_e32 v1, v1, v15
	s_delay_alu instid0(VALU_DEP_1) | instskip(NEXT) | instid1(VALU_DEP_1)
	v_dual_add_f32 v1, v14, v1 :: v_dual_mov_b32 v14, 0x3f317218
	v_add_f32_e32 v1, v19, v1
	s_delay_alu instid0(VALU_DEP_1) | instskip(NEXT) | instid1(VALU_DEP_1)
	v_mul_f32_e32 v1, v7, v1
	v_add_f32_e32 v1, v11, v1
	s_delay_alu instid0(VALU_DEP_1) | instskip(NEXT) | instid1(VALU_DEP_1)
	v_add_f32_e32 v7, v9, v1
	v_mul_f32_e32 v11, v7, v7
	s_delay_alu instid0(VALU_DEP_1) | instskip(SKIP_1) | instid1(VALU_DEP_2)
	v_fmaak_f32 v13, s13, v11, 0x3ecc95a3
	v_mul_f32_e32 v17, v7, v11
	v_fmaak_f32 v15, v11, v13, 0x3f2aaada
	s_delay_alu instid0(VALU_DEP_1) | instskip(NEXT) | instid1(VALU_DEP_1)
	v_pk_mul_f32 v[14:15], v[16:17], v[14:15]
	v_fma_f32 v5, 0x3f317218, v16, -v14
	v_mov_b32_e32 v20, v14
	s_delay_alu instid0(VALU_DEP_2) | instskip(SKIP_2) | instid1(VALU_DEP_2)
	v_fmamk_f32 v16, v16, 0xb102e308, v5
	v_ldexp_f32 v17, v7, 1
	v_sub_f32_e32 v5, v7, v9
	v_pk_add_f32 v[18:19], v[14:15], v[16:17]
	s_delay_alu instid0(VALU_DEP_2) | instskip(NEXT) | instid1(VALU_DEP_2)
	v_sub_f32_e32 v1, v1, v5
	v_dual_sub_f32 v5, v19, v17 :: v_dual_mov_b32 v17, v18
	s_delay_alu instid0(VALU_DEP_1) | instskip(NEXT) | instid1(VALU_DEP_3)
	v_sub_f32_e32 v5, v15, v5
	v_ldexp_f32 v1, v1, 1
	v_pk_add_f32 v[14:15], v[18:19], v[14:15] neg_lo:[0,1] neg_hi:[0,1]
	s_delay_alu instid0(VALU_DEP_2) | instskip(NEXT) | instid1(VALU_DEP_1)
	v_add_f32_e32 v21, v1, v5
	v_pk_add_f32 v[22:23], v[18:19], v[20:21]
	s_delay_alu instid0(VALU_DEP_1) | instskip(NEXT) | instid1(VALU_DEP_1)
	v_dual_mov_b32 v28, v19 :: v_dual_mov_b32 v15, v23
	v_pk_add_f32 v[24:25], v[16:17], v[14:15]
	v_mov_b32_e32 v24, v23
	v_pk_add_f32 v[14:15], v[16:17], v[14:15] neg_lo:[0,1] neg_hi:[0,1]
	s_delay_alu instid0(VALU_DEP_3) | instskip(NEXT) | instid1(VALU_DEP_1)
	v_dual_mov_b32 v20, v25 :: v_dual_mov_b32 v15, v25
	v_pk_add_f32 v[26:27], v[20:21], v[18:19] neg_lo:[0,1] neg_hi:[0,1]
	v_dual_mov_b32 v19, v18 :: v_dual_mov_b32 v18, v21
	s_delay_alu instid0(VALU_DEP_2) | instskip(NEXT) | instid1(VALU_DEP_1)
	v_dual_mov_b32 v1, v26 :: v_dual_mov_b32 v29, v26
	v_pk_add_f32 v[22:23], v[22:23], v[0:1] neg_lo:[0,1] neg_hi:[0,1]
	s_delay_alu instid0(VALU_DEP_2) | instskip(SKIP_1) | instid1(VALU_DEP_2)
	v_pk_add_f32 v[16:17], v[24:25], v[28:29] neg_lo:[0,1] neg_hi:[0,1]
	v_mov_b32_e32 v22, v14
	v_pk_add_f32 v[16:17], v[18:19], v[16:17] neg_lo:[0,1] neg_hi:[0,1]
	s_delay_alu instid0(VALU_DEP_1) | instskip(NEXT) | instid1(VALU_DEP_1)
	v_pk_add_f32 v[18:19], v[22:23], v[16:17]
	v_mov_b32_e32 v22, v19
	s_delay_alu instid0(VALU_DEP_1) | instskip(NEXT) | instid1(VALU_DEP_1)
	v_pk_add_f32 v[22:23], v[18:19], v[22:23]
	v_pk_add_f32 v[20:21], v[20:21], v[22:23]
	s_delay_alu instid0(VALU_DEP_1) | instskip(NEXT) | instid1(VALU_DEP_1)
	v_mov_b32_e32 v19, v20
	v_pk_add_f32 v[24:25], v[18:19], v[14:15] neg_lo:[0,1] neg_hi:[0,1]
	s_delay_alu instid0(VALU_DEP_1) | instskip(NEXT) | instid1(VALU_DEP_1)
	v_sub_f32_e32 v1, v18, v24
	v_sub_f32_e32 v1, v14, v1
	v_mov_b32_e32 v17, v22
	s_delay_alu instid0(VALU_DEP_1) | instskip(NEXT) | instid1(VALU_DEP_1)
	v_pk_add_f32 v[16:17], v[16:17], v[24:25] neg_lo:[0,1] neg_hi:[0,1]
	v_add_f32_e32 v1, v16, v1
	s_delay_alu instid0(VALU_DEP_1) | instskip(NEXT) | instid1(VALU_DEP_1)
	v_add_f32_e32 v1, v1, v17
	v_add_f32_e32 v1, v20, v1
	s_delay_alu instid0(VALU_DEP_1) | instskip(SKIP_1) | instid1(VALU_DEP_2)
	v_cndmask_b32_e32 v1, 0x7f800000, v1, vcc_lo
	v_cmp_gt_f32_e64 vcc_lo, 0x33800000, |v3|
	v_cndmask_b32_e32 v1, v1, v3, vcc_lo
	s_delay_alu instid0(VALU_DEP_1) | instskip(NEXT) | instid1(VALU_DEP_1)
	v_div_scale_f32 v3, null, s0, s0, v1
	v_rcp_f32_e32 v5, v3
	v_nop
	s_delay_alu instid0(TRANS32_DEP_1) | instskip(NEXT) | instid1(VALU_DEP_1)
	v_fma_f32 v7, -v3, v5, 1.0
	v_fmac_f32_e32 v5, v7, v5
	v_div_scale_f32 v7, vcc_lo, v1, s0, v1
	s_delay_alu instid0(VALU_DEP_1) | instskip(NEXT) | instid1(VALU_DEP_1)
	v_mul_f32_e32 v9, v7, v5
	v_fma_f32 v11, -v3, v9, v7
	s_delay_alu instid0(VALU_DEP_1) | instskip(NEXT) | instid1(VALU_DEP_1)
	v_fmac_f32_e32 v9, v11, v5
	v_fma_f32 v3, -v3, v9, v7
	s_delay_alu instid0(VALU_DEP_1) | instskip(NEXT) | instid1(VALU_DEP_1)
	v_div_fmas_f32 v3, v3, v5, v9
	v_div_fixup_f32 v1, v3, s0, v1
	s_delay_alu instid0(VALU_DEP_1)
	v_cvt_f16_f32_e32 v1, v1
.LBB25_1292:
	s_or_b32 exec_lo, exec_lo, s12
	v_mov_b32_e32 v13, 0
	s_and_b32 s11, 0xffff, s11
	s_delay_alu instid0(SALU_CYCLE_1) | instskip(NEXT) | instid1(VALU_DEP_1)
	s_cmp_lt_i32 s11, 11
	v_add_nc_u64_e32 v[12:13], s[6:7], v[12:13]
	s_cbranch_scc1 .LBB25_1299
; %bb.1293:
	s_cmp_gt_i32 s11, 25
	s_mov_b32 s13, 0
	s_cbranch_scc0 .LBB25_1301
; %bb.1294:
	s_cmp_gt_i32 s11, 28
	s_cbranch_scc0 .LBB25_1302
; %bb.1295:
	s_cmp_gt_i32 s11, 43
	;; [unrolled: 3-line block ×3, first 2 shown]
	s_cbranch_scc0 .LBB25_1305
; %bb.1297:
	s_cmp_eq_u32 s11, 46
	s_mov_b32 s15, 0
	s_cbranch_scc0 .LBB25_1308
; %bb.1298:
	global_load_b32 v3, v[12:13], off
	s_mov_b32 s12, 0
	s_mov_b32 s14, -1
	s_wait_loadcnt 0x0
	v_lshlrev_b32_e32 v3, 16, v3
	s_delay_alu instid0(VALU_DEP_1)
	v_cvt_f16_f32_e32 v3, v3
	s_branch .LBB25_1310
.LBB25_1299:
	s_mov_b32 s14, 0
                                        ; implicit-def: $vgpr3
	s_cbranch_execnz .LBB25_1375
.LBB25_1300:
	s_and_not1_b32 vcc_lo, exec_lo, s14
	s_cbranch_vccnz .LBB25_1767
	s_branch .LBB25_1422
.LBB25_1301:
	s_mov_b32 s14, 0
	s_mov_b32 s12, 0
                                        ; implicit-def: $vgpr3
	s_cbranch_execnz .LBB25_1339
	s_branch .LBB25_1371
.LBB25_1302:
	s_mov_b32 s15, -1
	s_mov_b32 s14, 0
	s_mov_b32 s12, 0
                                        ; implicit-def: $vgpr3
	s_branch .LBB25_1320
.LBB25_1303:
	s_mov_b32 s15, -1
	s_mov_b32 s14, 0
	s_mov_b32 s12, 0
                                        ; implicit-def: $vgpr3
	s_branch .LBB25_1315
.LBB25_1304:
	s_or_b32 s10, s8, exec_lo
	s_trap 2
	s_cbranch_execz .LBB25_1243
	s_branch .LBB25_1244
.LBB25_1305:
	s_mov_b32 s15, -1
	s_mov_b32 s14, 0
	s_mov_b32 s12, 0
	s_branch .LBB25_1309
.LBB25_1306:
	s_and_not1_saveexec_b32 s10, s10
	s_cbranch_execz .LBB25_1029
.LBB25_1307:
	v_add_f32_e64 v3, 0x42800000, |v2|
	s_and_not1_b32 s9, s9, exec_lo
	s_delay_alu instid0(VALU_DEP_1) | instskip(NEXT) | instid1(VALU_DEP_1)
	v_and_b32_e32 v3, 0xff, v3
	v_cmp_ne_u32_e32 vcc_lo, 0, v3
	s_and_b32 s11, vcc_lo, exec_lo
	s_delay_alu instid0(SALU_CYCLE_1)
	s_or_b32 s9, s9, s11
	s_or_b32 exec_lo, exec_lo, s10
	v_mov_b32_e32 v4, 0
	s_and_saveexec_b32 s10, s9
	s_cbranch_execnz .LBB25_1030
	s_branch .LBB25_1031
.LBB25_1308:
	s_mov_b32 s12, -1
	s_mov_b32 s14, 0
.LBB25_1309:
                                        ; implicit-def: $vgpr3
.LBB25_1310:
	s_and_b32 vcc_lo, exec_lo, s15
	s_cbranch_vccz .LBB25_1314
; %bb.1311:
	s_cmp_eq_u32 s11, 44
	s_cbranch_scc0 .LBB25_1313
; %bb.1312:
	global_load_u8 v3, v[12:13], off
	s_mov_b32 s12, 0
	s_mov_b32 s14, -1
	s_wait_loadcnt 0x0
	v_lshlrev_b32_e32 v5, 23, v3
	v_cmp_ne_u32_e32 vcc_lo, 0xff, v3
	s_delay_alu instid0(VALU_DEP_2) | instskip(NEXT) | instid1(VALU_DEP_1)
	v_cvt_f16_f32_e32 v5, v5
	v_cndmask_b32_e32 v5, 0x7e00, v5, vcc_lo
	v_cmp_ne_u32_e32 vcc_lo, 0, v3
	s_delay_alu instid0(VALU_DEP_2)
	v_cndmask_b32_e32 v3, 0, v5, vcc_lo
	s_branch .LBB25_1314
.LBB25_1313:
	s_mov_b32 s12, -1
                                        ; implicit-def: $vgpr3
.LBB25_1314:
	s_mov_b32 s15, 0
.LBB25_1315:
	s_delay_alu instid0(SALU_CYCLE_1)
	s_and_b32 vcc_lo, exec_lo, s15
	s_cbranch_vccz .LBB25_1319
; %bb.1316:
	s_cmp_eq_u32 s11, 29
	s_cbranch_scc0 .LBB25_1318
; %bb.1317:
	global_load_b64 v[14:15], v[12:13], off
	s_mov_b32 s12, 0
	s_mov_b32 s14, -1
	s_mov_b32 s15, 0
	s_wait_loadcnt 0x0
	v_clz_i32_u32_e32 v3, v15
	s_delay_alu instid0(VALU_DEP_1) | instskip(NEXT) | instid1(VALU_DEP_1)
	v_min_u32_e32 v3, 32, v3
	v_lshlrev_b64_e32 v[14:15], v3, v[14:15]
	v_sub_nc_u32_e32 v3, 32, v3
	s_delay_alu instid0(VALU_DEP_2) | instskip(NEXT) | instid1(VALU_DEP_1)
	v_min_u32_e32 v5, 1, v14
	v_or_b32_e32 v5, v15, v5
	s_delay_alu instid0(VALU_DEP_1) | instskip(NEXT) | instid1(VALU_DEP_1)
	v_cvt_f32_u32_e32 v5, v5
	v_ldexp_f32 v3, v5, v3
	s_delay_alu instid0(VALU_DEP_1)
	v_cvt_f16_f32_e32 v3, v3
	s_branch .LBB25_1320
.LBB25_1318:
	s_mov_b32 s12, -1
                                        ; implicit-def: $vgpr3
.LBB25_1319:
	s_mov_b32 s15, 0
.LBB25_1320:
	s_delay_alu instid0(SALU_CYCLE_1)
	s_and_b32 vcc_lo, exec_lo, s15
	s_cbranch_vccz .LBB25_1338
; %bb.1321:
	s_cmp_lt_i32 s11, 27
	s_cbranch_scc1 .LBB25_1324
; %bb.1322:
	s_cmp_gt_i32 s11, 27
	s_cbranch_scc0 .LBB25_1325
; %bb.1323:
	global_load_b32 v3, v[12:13], off
	s_mov_b32 s14, 0
	s_wait_loadcnt 0x0
	v_cvt_f32_u32_e32 v3, v3
	s_delay_alu instid0(VALU_DEP_1)
	v_cvt_f16_f32_e32 v3, v3
	s_branch .LBB25_1326
.LBB25_1324:
	s_mov_b32 s14, -1
                                        ; implicit-def: $vgpr3
	s_branch .LBB25_1329
.LBB25_1325:
	s_mov_b32 s14, -1
                                        ; implicit-def: $vgpr3
.LBB25_1326:
	s_delay_alu instid0(SALU_CYCLE_1)
	s_and_not1_b32 vcc_lo, exec_lo, s14
	s_cbranch_vccnz .LBB25_1328
; %bb.1327:
	global_load_u16 v3, v[12:13], off
	s_wait_loadcnt 0x0
	v_cvt_f16_u16_e32 v3, v3
.LBB25_1328:
	s_mov_b32 s14, 0
.LBB25_1329:
	s_delay_alu instid0(SALU_CYCLE_1)
	s_and_not1_b32 vcc_lo, exec_lo, s14
	s_cbranch_vccnz .LBB25_1337
; %bb.1330:
	global_load_u8 v5, v[12:13], off
	s_mov_b32 s14, 0
	s_mov_b32 s15, exec_lo
	s_wait_loadcnt 0x0
	v_cmpx_lt_i16_e32 0x7f, v5
	s_xor_b32 s15, exec_lo, s15
	s_cbranch_execz .LBB25_1350
; %bb.1331:
	s_mov_b32 s14, -1
	s_mov_b32 s16, exec_lo
	v_cmpx_eq_u16_e32 0x80, v5
; %bb.1332:
	s_xor_b32 s14, exec_lo, -1
; %bb.1333:
	s_or_b32 exec_lo, exec_lo, s16
	s_delay_alu instid0(SALU_CYCLE_1)
	s_and_b32 s14, s14, exec_lo
	s_or_saveexec_b32 s15, s15
	v_mov_b32_e32 v3, 0x7e00
	s_xor_b32 exec_lo, exec_lo, s15
	s_cbranch_execnz .LBB25_1351
.LBB25_1334:
	s_or_b32 exec_lo, exec_lo, s15
	s_and_saveexec_b32 s15, s14
	s_cbranch_execz .LBB25_1336
.LBB25_1335:
	v_and_b32_e32 v3, 0xffff, v5
	s_delay_alu instid0(VALU_DEP_1) | instskip(SKIP_1) | instid1(VALU_DEP_2)
	v_and_b32_e32 v7, 7, v3
	v_bfe_u32 v14, v3, 3, 4
	v_clz_i32_u32_e32 v9, v7
	s_delay_alu instid0(VALU_DEP_2) | instskip(NEXT) | instid1(VALU_DEP_2)
	v_cmp_eq_u32_e32 vcc_lo, 0, v14
	v_min_u32_e32 v9, 32, v9
	s_delay_alu instid0(VALU_DEP_1) | instskip(NEXT) | instid1(VALU_DEP_1)
	v_subrev_nc_u32_e32 v11, 28, v9
	v_dual_lshlrev_b32 v3, v11, v3 :: v_dual_sub_nc_u32 v9, 29, v9
	s_delay_alu instid0(VALU_DEP_1) | instskip(NEXT) | instid1(VALU_DEP_1)
	v_dual_lshlrev_b32 v5, 24, v5 :: v_dual_bitop2_b32 v3, 7, v3 bitop3:0x40
	v_dual_cndmask_b32 v3, v7, v3, vcc_lo :: v_dual_cndmask_b32 v9, v14, v9, vcc_lo
	s_delay_alu instid0(VALU_DEP_2) | instskip(NEXT) | instid1(VALU_DEP_2)
	v_and_b32_e32 v5, 0x80000000, v5
	v_lshlrev_b32_e32 v3, 20, v3
	s_delay_alu instid0(VALU_DEP_3) | instskip(NEXT) | instid1(VALU_DEP_1)
	v_lshl_add_u32 v7, v9, 23, 0x3b800000
	v_or3_b32 v3, v5, v7, v3
	s_delay_alu instid0(VALU_DEP_1)
	v_cvt_f16_f32_e32 v3, v3
.LBB25_1336:
	s_or_b32 exec_lo, exec_lo, s15
.LBB25_1337:
	s_mov_b32 s14, -1
.LBB25_1338:
	s_branch .LBB25_1371
.LBB25_1339:
	s_cmp_gt_i32 s11, 22
	s_cbranch_scc0 .LBB25_1349
; %bb.1340:
	s_cmp_lt_i32 s11, 24
	s_cbranch_scc1 .LBB25_1352
; %bb.1341:
	s_cmp_gt_i32 s11, 24
	s_cbranch_scc0 .LBB25_1353
; %bb.1342:
	global_load_u8 v5, v[12:13], off
	s_mov_b32 s14, exec_lo
	s_wait_loadcnt 0x0
	v_cmpx_lt_i16_e32 0x7f, v5
	s_xor_b32 s14, exec_lo, s14
	s_cbranch_execz .LBB25_1365
; %bb.1343:
	s_mov_b32 s13, -1
	s_mov_b32 s15, exec_lo
	v_cmpx_eq_u16_e32 0x80, v5
; %bb.1344:
	s_xor_b32 s13, exec_lo, -1
; %bb.1345:
	s_or_b32 exec_lo, exec_lo, s15
	s_delay_alu instid0(SALU_CYCLE_1)
	s_and_b32 s13, s13, exec_lo
	s_or_saveexec_b32 s14, s14
	v_mov_b32_e32 v3, 0x7e00
	s_xor_b32 exec_lo, exec_lo, s14
	s_cbranch_execnz .LBB25_1366
.LBB25_1346:
	s_or_b32 exec_lo, exec_lo, s14
	s_and_saveexec_b32 s14, s13
	s_cbranch_execz .LBB25_1348
.LBB25_1347:
	v_and_b32_e32 v3, 0xffff, v5
	s_delay_alu instid0(VALU_DEP_1) | instskip(SKIP_1) | instid1(VALU_DEP_2)
	v_and_b32_e32 v7, 3, v3
	v_bfe_u32 v14, v3, 2, 5
	v_clz_i32_u32_e32 v9, v7
	s_delay_alu instid0(VALU_DEP_2) | instskip(NEXT) | instid1(VALU_DEP_2)
	v_cmp_eq_u32_e32 vcc_lo, 0, v14
	v_min_u32_e32 v9, 32, v9
	s_delay_alu instid0(VALU_DEP_1) | instskip(NEXT) | instid1(VALU_DEP_1)
	v_subrev_nc_u32_e32 v11, 29, v9
	v_dual_lshlrev_b32 v3, v11, v3 :: v_dual_sub_nc_u32 v9, 30, v9
	s_delay_alu instid0(VALU_DEP_1) | instskip(NEXT) | instid1(VALU_DEP_1)
	v_dual_lshlrev_b32 v5, 24, v5 :: v_dual_bitop2_b32 v3, 3, v3 bitop3:0x40
	v_dual_cndmask_b32 v3, v7, v3, vcc_lo :: v_dual_cndmask_b32 v9, v14, v9, vcc_lo
	s_delay_alu instid0(VALU_DEP_2) | instskip(NEXT) | instid1(VALU_DEP_2)
	v_and_b32_e32 v5, 0x80000000, v5
	v_lshlrev_b32_e32 v3, 21, v3
	s_delay_alu instid0(VALU_DEP_3) | instskip(NEXT) | instid1(VALU_DEP_1)
	v_lshl_add_u32 v7, v9, 23, 0x37800000
	v_or3_b32 v3, v5, v7, v3
	s_delay_alu instid0(VALU_DEP_1)
	v_cvt_f16_f32_e32 v3, v3
.LBB25_1348:
	s_or_b32 exec_lo, exec_lo, s14
	s_mov_b32 s13, 0
	s_branch .LBB25_1354
.LBB25_1349:
	s_mov_b32 s13, -1
                                        ; implicit-def: $vgpr3
	s_branch .LBB25_1360
.LBB25_1350:
	s_or_saveexec_b32 s15, s15
	v_mov_b32_e32 v3, 0x7e00
	s_xor_b32 exec_lo, exec_lo, s15
	s_cbranch_execz .LBB25_1334
.LBB25_1351:
	v_cmp_ne_u16_e32 vcc_lo, 0, v5
	v_mov_b32_e32 v3, v5
	s_and_not1_b32 s14, s14, exec_lo
	s_and_b32 s16, vcc_lo, exec_lo
	s_delay_alu instid0(SALU_CYCLE_1)
	s_or_b32 s14, s14, s16
	s_or_b32 exec_lo, exec_lo, s15
	s_and_saveexec_b32 s15, s14
	s_cbranch_execnz .LBB25_1335
	s_branch .LBB25_1336
.LBB25_1352:
	s_mov_b32 s13, -1
                                        ; implicit-def: $vgpr3
	s_branch .LBB25_1357
.LBB25_1353:
	s_mov_b32 s13, -1
                                        ; implicit-def: $vgpr3
.LBB25_1354:
	s_delay_alu instid0(SALU_CYCLE_1)
	s_and_b32 vcc_lo, exec_lo, s13
	s_cbranch_vccz .LBB25_1356
; %bb.1355:
	global_load_u8 v3, v[12:13], off
	s_wait_loadcnt 0x0
	v_lshlrev_b32_e32 v3, 24, v3
	s_delay_alu instid0(VALU_DEP_1) | instskip(NEXT) | instid1(VALU_DEP_1)
	v_and_b32_e32 v5, 0x7f000000, v3
	v_clz_i32_u32_e32 v7, v5
	v_add_nc_u32_e32 v11, 0x1000000, v5
	v_cmp_ne_u32_e32 vcc_lo, 0, v5
	s_delay_alu instid0(VALU_DEP_3) | instskip(NEXT) | instid1(VALU_DEP_1)
	v_min_u32_e32 v7, 32, v7
	v_sub_nc_u32_e64 v7, v7, 4 clamp
	s_delay_alu instid0(VALU_DEP_1) | instskip(NEXT) | instid1(VALU_DEP_1)
	v_dual_lshlrev_b32 v9, v7, v5 :: v_dual_lshlrev_b32 v7, 23, v7
	v_lshrrev_b32_e32 v9, 4, v9
	s_delay_alu instid0(VALU_DEP_1) | instskip(SKIP_1) | instid1(VALU_DEP_2)
	v_sub_nc_u32_e32 v7, v9, v7
	v_ashrrev_i32_e32 v9, 8, v11
	v_add_nc_u32_e32 v7, 0x3c000000, v7
	s_delay_alu instid0(VALU_DEP_1) | instskip(NEXT) | instid1(VALU_DEP_1)
	v_and_or_b32 v7, 0x7f800000, v9, v7
	v_cndmask_b32_e32 v5, 0, v7, vcc_lo
	s_delay_alu instid0(VALU_DEP_1) | instskip(NEXT) | instid1(VALU_DEP_1)
	v_and_or_b32 v3, 0x80000000, v3, v5
	v_cvt_f16_f32_e32 v3, v3
.LBB25_1356:
	s_mov_b32 s13, 0
.LBB25_1357:
	s_delay_alu instid0(SALU_CYCLE_1)
	s_and_not1_b32 vcc_lo, exec_lo, s13
	s_cbranch_vccnz .LBB25_1359
; %bb.1358:
	global_load_u8 v3, v[12:13], off
	s_wait_loadcnt 0x0
	v_lshlrev_b32_e32 v5, 25, v3
	v_lshlrev_b16 v3, 8, v3
	s_delay_alu instid0(VALU_DEP_1) | instskip(SKIP_1) | instid1(VALU_DEP_2)
	v_and_or_b32 v9, 0x7f00, v3, 0.5
	v_bfe_i32 v3, v3, 0, 16
	v_add_f32_e32 v9, -0.5, v9
	v_lshrrev_b32_e32 v7, 4, v5
	v_cmp_gt_u32_e32 vcc_lo, 0x8000000, v5
	s_delay_alu instid0(VALU_DEP_2) | instskip(NEXT) | instid1(VALU_DEP_1)
	v_or_b32_e32 v7, 0x70000000, v7
	v_mul_f32_e32 v7, 0x7800000, v7
	s_delay_alu instid0(VALU_DEP_1) | instskip(NEXT) | instid1(VALU_DEP_1)
	v_cndmask_b32_e32 v5, v7, v9, vcc_lo
	v_and_or_b32 v3, 0x80000000, v3, v5
	s_delay_alu instid0(VALU_DEP_1)
	v_cvt_f16_f32_e32 v3, v3
.LBB25_1359:
	s_mov_b32 s13, 0
	s_mov_b32 s14, -1
.LBB25_1360:
	s_and_not1_b32 vcc_lo, exec_lo, s13
	s_mov_b32 s13, 0
	s_cbranch_vccnz .LBB25_1371
; %bb.1361:
	s_cmp_gt_i32 s11, 14
	s_cbranch_scc0 .LBB25_1364
; %bb.1362:
	s_cmp_eq_u32 s11, 15
	s_cbranch_scc0 .LBB25_1367
; %bb.1363:
	global_load_u16 v3, v[12:13], off
	s_mov_b32 s12, 0
	s_mov_b32 s14, -1
	s_wait_loadcnt 0x0
	v_lshlrev_b32_e32 v3, 16, v3
	s_delay_alu instid0(VALU_DEP_1)
	v_cvt_f16_f32_e32 v3, v3
	s_branch .LBB25_1369
.LBB25_1364:
	s_mov_b32 s13, -1
	s_branch .LBB25_1368
.LBB25_1365:
	s_or_saveexec_b32 s14, s14
	v_mov_b32_e32 v3, 0x7e00
	s_xor_b32 exec_lo, exec_lo, s14
	s_cbranch_execz .LBB25_1346
.LBB25_1366:
	v_cmp_ne_u16_e32 vcc_lo, 0, v5
	v_mov_b32_e32 v3, v5
	s_and_not1_b32 s13, s13, exec_lo
	s_and_b32 s15, vcc_lo, exec_lo
	s_delay_alu instid0(SALU_CYCLE_1)
	s_or_b32 s13, s13, s15
	s_or_b32 exec_lo, exec_lo, s14
	s_and_saveexec_b32 s14, s13
	s_cbranch_execnz .LBB25_1347
	s_branch .LBB25_1348
.LBB25_1367:
	s_mov_b32 s12, -1
.LBB25_1368:
                                        ; implicit-def: $vgpr3
.LBB25_1369:
	s_and_b32 vcc_lo, exec_lo, s13
	s_mov_b32 s13, 0
	s_cbranch_vccz .LBB25_1371
; %bb.1370:
	s_cmp_lg_u32 s11, 11
	s_mov_b32 s13, -1
	s_cselect_b32 s12, -1, 0
.LBB25_1371:
	s_delay_alu instid0(SALU_CYCLE_1)
	s_and_b32 vcc_lo, exec_lo, s12
	s_cbranch_vccnz .LBB25_1436
; %bb.1372:
	s_and_not1_b32 vcc_lo, exec_lo, s13
	s_cbranch_vccnz .LBB25_1374
.LBB25_1373:
	global_load_u8 v3, v[12:13], off
	s_mov_b32 s14, -1
	s_wait_loadcnt 0x0
	v_cmp_ne_u16_e32 vcc_lo, 0, v3
	v_cndmask_b32_e64 v3, 0, 0x3c00, vcc_lo
.LBB25_1374:
	s_branch .LBB25_1300
.LBB25_1375:
	s_cmp_lt_i32 s11, 5
	s_cbranch_scc1 .LBB25_1380
; %bb.1376:
	s_cmp_lt_i32 s11, 8
	s_cbranch_scc1 .LBB25_1381
; %bb.1377:
	;; [unrolled: 3-line block ×3, first 2 shown]
	s_cmp_gt_i32 s11, 9
	s_cbranch_scc0 .LBB25_1383
; %bb.1379:
	global_load_b64 v[14:15], v[12:13], off
	s_mov_b32 s12, 0
	s_wait_loadcnt 0x0
	v_and_or_b32 v3, 0x1ff, v15, v14
	v_lshrrev_b32_e32 v5, 8, v15
	v_bfe_u32 v7, v15, 20, 11
	s_delay_alu instid0(VALU_DEP_3) | instskip(NEXT) | instid1(VALU_DEP_2)
	v_cmp_ne_u32_e32 vcc_lo, 0, v3
	v_sub_nc_u32_e32 v9, 0x3f1, v7
	v_add_nc_u32_e32 v7, 0xfffffc10, v7
	v_cndmask_b32_e64 v3, 0, 1, vcc_lo
	s_delay_alu instid0(VALU_DEP_1) | instskip(NEXT) | instid1(VALU_DEP_4)
	v_and_or_b32 v3, 0xffe, v5, v3
	v_med3_i32 v5, v9, 0, 13
	s_delay_alu instid0(VALU_DEP_2) | instskip(NEXT) | instid1(VALU_DEP_1)
	v_or_b32_e32 v9, 0x1000, v3
	v_lshrrev_b32_e32 v11, v5, v9
	s_delay_alu instid0(VALU_DEP_1) | instskip(NEXT) | instid1(VALU_DEP_1)
	v_lshlrev_b32_e32 v5, v5, v11
	v_cmp_ne_u32_e32 vcc_lo, v5, v9
	v_lshl_or_b32 v9, v7, 12, v3
	v_cndmask_b32_e64 v5, 0, 1, vcc_lo
	v_cmp_gt_i32_e32 vcc_lo, 1, v7
	s_delay_alu instid0(VALU_DEP_2) | instskip(NEXT) | instid1(VALU_DEP_1)
	v_or_b32_e32 v5, v11, v5
	v_cndmask_b32_e32 v5, v9, v5, vcc_lo
	s_delay_alu instid0(VALU_DEP_1) | instskip(NEXT) | instid1(VALU_DEP_1)
	v_and_b32_e32 v9, 7, v5
	v_cmp_lt_i32_e32 vcc_lo, 5, v9
	v_cndmask_b32_e64 v11, 0, 1, vcc_lo
	v_cmp_eq_u32_e32 vcc_lo, 3, v9
	v_cndmask_b32_e64 v9, 0, 1, vcc_lo
	v_cmp_ne_u32_e32 vcc_lo, 0, v3
	s_delay_alu instid0(VALU_DEP_2) | instskip(SKIP_1) | instid1(VALU_DEP_2)
	v_dual_lshrrev_b32 v5, 2, v5 :: v_dual_bitop2_b32 v9, v9, v11 bitop3:0x54
	v_mov_b32_e32 v11, 0x7e00
	v_add_nc_u32_e32 v5, v5, v9
	s_delay_alu instid0(VALU_DEP_2) | instskip(SKIP_1) | instid1(VALU_DEP_3)
	v_cndmask_b32_e32 v3, 0x7c00, v11, vcc_lo
	v_cmp_gt_i32_e32 vcc_lo, 31, v7
	v_cndmask_b32_e32 v5, 0x7c00, v5, vcc_lo
	v_cmp_eq_u32_e32 vcc_lo, 0x40f, v7
	s_delay_alu instid0(VALU_DEP_2) | instskip(SKIP_1) | instid1(VALU_DEP_1)
	v_cndmask_b32_e32 v3, v5, v3, vcc_lo
	v_lshrrev_b32_e32 v5, 16, v15
	v_and_or_b32 v3, 0x8000, v5, v3
	s_branch .LBB25_1384
.LBB25_1380:
                                        ; implicit-def: $vgpr3
	s_branch .LBB25_1402
.LBB25_1381:
	s_mov_b32 s12, -1
                                        ; implicit-def: $vgpr3
	s_branch .LBB25_1390
.LBB25_1382:
	s_mov_b32 s12, -1
                                        ; implicit-def: $vgpr3
	s_branch .LBB25_1387
.LBB25_1383:
	s_mov_b32 s12, -1
                                        ; implicit-def: $vgpr3
.LBB25_1384:
	s_delay_alu instid0(SALU_CYCLE_1)
	s_and_not1_b32 vcc_lo, exec_lo, s12
	s_cbranch_vccnz .LBB25_1386
; %bb.1385:
	global_load_b32 v3, v[12:13], off
	s_wait_loadcnt 0x0
	v_cvt_f16_f32_e32 v3, v3
.LBB25_1386:
	s_mov_b32 s12, 0
.LBB25_1387:
	s_delay_alu instid0(SALU_CYCLE_1)
	s_and_not1_b32 vcc_lo, exec_lo, s12
	s_cbranch_vccnz .LBB25_1389
; %bb.1388:
	global_load_b32 v3, v[12:13], off
.LBB25_1389:
	s_mov_b32 s12, 0
.LBB25_1390:
	s_delay_alu instid0(SALU_CYCLE_1)
	s_and_not1_b32 vcc_lo, exec_lo, s12
	s_cbranch_vccnz .LBB25_1401
; %bb.1391:
	s_cmp_lt_i32 s11, 6
	s_cbranch_scc1 .LBB25_1394
; %bb.1392:
	s_cmp_gt_i32 s11, 6
	s_cbranch_scc0 .LBB25_1395
; %bb.1393:
	global_load_b64 v[14:15], v[12:13], off
	s_mov_b32 s12, 0
	s_wait_loadcnt 0x0
	v_and_or_b32 v3, 0x1ff, v15, v14
	v_lshrrev_b32_e32 v5, 8, v15
	v_bfe_u32 v7, v15, 20, 11
	s_delay_alu instid0(VALU_DEP_3) | instskip(NEXT) | instid1(VALU_DEP_2)
	v_cmp_ne_u32_e32 vcc_lo, 0, v3
	v_sub_nc_u32_e32 v9, 0x3f1, v7
	v_add_nc_u32_e32 v7, 0xfffffc10, v7
	v_cndmask_b32_e64 v3, 0, 1, vcc_lo
	s_delay_alu instid0(VALU_DEP_1) | instskip(NEXT) | instid1(VALU_DEP_4)
	v_and_or_b32 v3, 0xffe, v5, v3
	v_med3_i32 v5, v9, 0, 13
	s_delay_alu instid0(VALU_DEP_2) | instskip(NEXT) | instid1(VALU_DEP_1)
	v_or_b32_e32 v9, 0x1000, v3
	v_lshrrev_b32_e32 v11, v5, v9
	s_delay_alu instid0(VALU_DEP_1) | instskip(NEXT) | instid1(VALU_DEP_1)
	v_lshlrev_b32_e32 v5, v5, v11
	v_cmp_ne_u32_e32 vcc_lo, v5, v9
	v_lshl_or_b32 v9, v7, 12, v3
	v_cndmask_b32_e64 v5, 0, 1, vcc_lo
	v_cmp_gt_i32_e32 vcc_lo, 1, v7
	s_delay_alu instid0(VALU_DEP_2) | instskip(NEXT) | instid1(VALU_DEP_1)
	v_or_b32_e32 v5, v11, v5
	v_cndmask_b32_e32 v5, v9, v5, vcc_lo
	s_delay_alu instid0(VALU_DEP_1) | instskip(NEXT) | instid1(VALU_DEP_1)
	v_and_b32_e32 v9, 7, v5
	v_cmp_lt_i32_e32 vcc_lo, 5, v9
	v_cndmask_b32_e64 v11, 0, 1, vcc_lo
	v_cmp_eq_u32_e32 vcc_lo, 3, v9
	v_cndmask_b32_e64 v9, 0, 1, vcc_lo
	v_cmp_ne_u32_e32 vcc_lo, 0, v3
	s_delay_alu instid0(VALU_DEP_2) | instskip(SKIP_1) | instid1(VALU_DEP_2)
	v_dual_lshrrev_b32 v5, 2, v5 :: v_dual_bitop2_b32 v9, v9, v11 bitop3:0x54
	v_mov_b32_e32 v11, 0x7e00
	v_add_nc_u32_e32 v5, v5, v9
	s_delay_alu instid0(VALU_DEP_2) | instskip(SKIP_1) | instid1(VALU_DEP_3)
	v_cndmask_b32_e32 v3, 0x7c00, v11, vcc_lo
	v_cmp_gt_i32_e32 vcc_lo, 31, v7
	v_cndmask_b32_e32 v5, 0x7c00, v5, vcc_lo
	v_cmp_eq_u32_e32 vcc_lo, 0x40f, v7
	s_delay_alu instid0(VALU_DEP_2) | instskip(SKIP_1) | instid1(VALU_DEP_1)
	v_cndmask_b32_e32 v3, v5, v3, vcc_lo
	v_lshrrev_b32_e32 v5, 16, v15
	v_and_or_b32 v3, 0x8000, v5, v3
	s_branch .LBB25_1396
.LBB25_1394:
	s_mov_b32 s12, -1
                                        ; implicit-def: $vgpr3
	s_branch .LBB25_1399
.LBB25_1395:
	s_mov_b32 s12, -1
                                        ; implicit-def: $vgpr3
.LBB25_1396:
	s_delay_alu instid0(SALU_CYCLE_1)
	s_and_not1_b32 vcc_lo, exec_lo, s12
	s_cbranch_vccnz .LBB25_1398
; %bb.1397:
	s_wait_loadcnt 0x0
	global_load_b32 v3, v[12:13], off
	s_wait_loadcnt 0x0
	v_cvt_f16_f32_e32 v3, v3
.LBB25_1398:
	s_mov_b32 s12, 0
.LBB25_1399:
	s_delay_alu instid0(SALU_CYCLE_1)
	s_and_not1_b32 vcc_lo, exec_lo, s12
	s_cbranch_vccnz .LBB25_1401
; %bb.1400:
	s_wait_loadcnt 0x0
	global_load_u16 v3, v[12:13], off
.LBB25_1401:
	s_cbranch_execnz .LBB25_1421
.LBB25_1402:
	s_cmp_lt_i32 s11, 2
	s_cbranch_scc1 .LBB25_1406
; %bb.1403:
	s_cmp_lt_i32 s11, 3
	s_cbranch_scc1 .LBB25_1407
; %bb.1404:
	s_cmp_gt_i32 s11, 3
	s_cbranch_scc0 .LBB25_1408
; %bb.1405:
	global_load_b64 v[14:15], v[12:13], off
	s_mov_b32 s12, 0
	s_wait_loadcnt 0x0
	v_xor_b32_e32 v3, v14, v15
	v_cls_i32_e32 v5, v15
	s_delay_alu instid0(VALU_DEP_2) | instskip(NEXT) | instid1(VALU_DEP_1)
	v_ashrrev_i32_e32 v3, 31, v3
	v_add_nc_u32_e32 v3, 32, v3
	s_delay_alu instid0(VALU_DEP_1) | instskip(NEXT) | instid1(VALU_DEP_1)
	v_add_min_u32_e64 v3, v5, -1, v3
	v_lshlrev_b64_e32 v[14:15], v3, v[14:15]
	v_sub_nc_u32_e32 v3, 32, v3
	s_delay_alu instid0(VALU_DEP_2) | instskip(NEXT) | instid1(VALU_DEP_1)
	v_min_u32_e32 v5, 1, v14
	v_or_b32_e32 v5, v15, v5
	s_delay_alu instid0(VALU_DEP_1) | instskip(NEXT) | instid1(VALU_DEP_1)
	v_cvt_f32_i32_e32 v5, v5
	v_ldexp_f32 v3, v5, v3
	s_delay_alu instid0(VALU_DEP_1)
	v_cvt_f16_f32_e32 v3, v3
	s_branch .LBB25_1409
.LBB25_1406:
	s_mov_b32 s12, -1
                                        ; implicit-def: $vgpr3
	s_branch .LBB25_1415
.LBB25_1407:
	s_mov_b32 s12, -1
                                        ; implicit-def: $vgpr3
	s_branch .LBB25_1412
.LBB25_1408:
	s_mov_b32 s12, -1
                                        ; implicit-def: $vgpr3
.LBB25_1409:
	s_delay_alu instid0(SALU_CYCLE_1)
	s_and_not1_b32 vcc_lo, exec_lo, s12
	s_cbranch_vccnz .LBB25_1411
; %bb.1410:
	s_wait_loadcnt 0x0
	global_load_b32 v3, v[12:13], off
	s_wait_loadcnt 0x0
	v_cvt_f32_i32_e32 v3, v3
	s_delay_alu instid0(VALU_DEP_1)
	v_cvt_f16_f32_e32 v3, v3
.LBB25_1411:
	s_mov_b32 s12, 0
.LBB25_1412:
	s_delay_alu instid0(SALU_CYCLE_1)
	s_and_not1_b32 vcc_lo, exec_lo, s12
	s_cbranch_vccnz .LBB25_1414
; %bb.1413:
	s_wait_loadcnt 0x0
	global_load_u16 v3, v[12:13], off
	s_wait_loadcnt 0x0
	v_cvt_f16_i16_e32 v3, v3
.LBB25_1414:
	s_mov_b32 s12, 0
.LBB25_1415:
	s_delay_alu instid0(SALU_CYCLE_1)
	s_and_not1_b32 vcc_lo, exec_lo, s12
	s_cbranch_vccnz .LBB25_1421
; %bb.1416:
	s_cmp_gt_i32 s11, 0
	s_mov_b32 s12, 0
	s_cbranch_scc0 .LBB25_1418
; %bb.1417:
	s_wait_loadcnt 0x0
	global_load_i8 v3, v[12:13], off
	s_wait_loadcnt 0x0
	v_cvt_f16_i16_e32 v3, v3
	s_branch .LBB25_1419
.LBB25_1418:
	s_mov_b32 s12, -1
                                        ; implicit-def: $vgpr3
.LBB25_1419:
	s_delay_alu instid0(SALU_CYCLE_1)
	s_and_not1_b32 vcc_lo, exec_lo, s12
	s_cbranch_vccnz .LBB25_1421
; %bb.1420:
	s_wait_loadcnt 0x0
	global_load_u8 v3, v[12:13], off
	s_wait_loadcnt 0x0
	v_cvt_f16_u16_e32 v3, v3
.LBB25_1421:
.LBB25_1422:
	s_wait_loadcnt 0x0
	s_delay_alu instid0(VALU_DEP_1) | instskip(SKIP_1) | instid1(VALU_DEP_1)
	v_cvt_f32_f16_e32 v5, v3
	s_mov_b32 s12, exec_lo
	v_mul_f32_e32 v5, s0, v5
	s_wait_xcnt 0x0
	s_delay_alu instid0(VALU_DEP_1)
	v_cmpx_nlt_f32_e32 s1, v5
	s_cbranch_execz .LBB25_1424
; %bb.1423:
	v_mul_f32_e32 v3, 0x3fb8aa3b, v5
	v_cmp_ngt_f32_e32 vcc_lo, 0xc2ce8ed0, v5
	s_mov_b32 s13, 0x3e9b6dac
	s_delay_alu instid0(VALU_DEP_2) | instskip(SKIP_1) | instid1(VALU_DEP_2)
	v_rndne_f32_e32 v7, v3
	v_fma_f32 v9, 0x3fb8aa3b, v5, -v3
	v_sub_f32_e32 v3, v3, v7
	s_delay_alu instid0(VALU_DEP_2) | instskip(SKIP_1) | instid1(VALU_DEP_2)
	v_fmamk_f32 v9, v5, 0x32a5705f, v9
	v_cvt_i32_f32_e32 v7, v7
	v_add_f32_e32 v3, v3, v9
	s_delay_alu instid0(VALU_DEP_1) | instskip(SKIP_1) | instid1(TRANS32_DEP_1)
	v_exp_f32_e32 v3, v3
	v_nop
	v_ldexp_f32 v3, v3, v7
	s_delay_alu instid0(VALU_DEP_1) | instskip(SKIP_1) | instid1(VALU_DEP_2)
	v_cndmask_b32_e32 v3, 0, v3, vcc_lo
	v_cmp_nlt_f32_e32 vcc_lo, 0x42b17218, v5
	v_cndmask_b32_e32 v5, 0x7f800000, v3, vcc_lo
	s_delay_alu instid0(VALU_DEP_1) | instskip(NEXT) | instid1(VALU_DEP_1)
	v_add_f32_e32 v3, 1.0, v5
	v_cvt_f64_f32_e32 v[12:13], v3
	v_frexp_mant_f32_e32 v9, v3
	s_delay_alu instid0(VALU_DEP_1) | instskip(SKIP_1) | instid1(VALU_DEP_4)
	v_cmp_gt_f32_e32 vcc_lo, 0x3f2aaaab, v9
	v_add_f32_e32 v9, -1.0, v3
	v_frexp_exp_i32_f64_e32 v7, v[12:13]
	s_delay_alu instid0(VALU_DEP_2) | instskip(NEXT) | instid1(VALU_DEP_1)
	v_sub_f32_e32 v12, v9, v3
	v_add_f32_e32 v12, 1.0, v12
	s_delay_alu instid0(VALU_DEP_3) | instskip(SKIP_1) | instid1(VALU_DEP_2)
	v_subrev_co_ci_u32_e64 v7, null, 0, v7, vcc_lo
	v_cmp_neq_f32_e32 vcc_lo, 0x7f800000, v5
	v_sub_nc_u32_e32 v11, 0, v7
	s_delay_alu instid0(VALU_DEP_1) | instskip(NEXT) | instid1(VALU_DEP_1)
	v_ldexp_f32 v3, v3, v11
	v_dual_add_f32 v14, 1.0, v3 :: v_dual_add_f32 v17, -1.0, v3
	v_sub_f32_e32 v9, v5, v9
	s_delay_alu instid0(VALU_DEP_1) | instskip(NEXT) | instid1(VALU_DEP_1)
	v_dual_add_f32 v9, v9, v12 :: v_dual_add_f32 v12, -1.0, v14
	v_ldexp_f32 v9, v9, v11
	s_delay_alu instid0(VALU_DEP_2) | instskip(NEXT) | instid1(VALU_DEP_1)
	v_dual_sub_f32 v11, v3, v12 :: v_dual_add_f32 v12, 1.0, v17
	v_dual_add_f32 v11, v9, v11 :: v_dual_sub_f32 v3, v3, v12
	s_delay_alu instid0(VALU_DEP_1) | instskip(NEXT) | instid1(VALU_DEP_1)
	v_add_f32_e32 v3, v9, v3
	v_add_f32_e32 v13, v17, v3
	s_delay_alu instid0(VALU_DEP_3) | instskip(NEXT) | instid1(VALU_DEP_1)
	v_add_f32_e32 v18, v14, v11
	v_rcp_f32_e32 v9, v18
	v_nop
	s_delay_alu instid0(TRANS32_DEP_1) | instskip(NEXT) | instid1(VALU_DEP_1)
	v_dual_mul_f32 v19, v13, v9 :: v_dual_sub_f32 v12, v14, v18
	v_dual_add_f32 v11, v11, v12 :: v_dual_mul_f32 v14, v18, v19
	s_delay_alu instid0(VALU_DEP_1) | instskip(NEXT) | instid1(VALU_DEP_1)
	v_dual_sub_f32 v20, v17, v13 :: v_dual_fma_f32 v16, v19, v18, -v14
	v_add_f32_e32 v3, v3, v20
	s_delay_alu instid0(VALU_DEP_2) | instskip(NEXT) | instid1(VALU_DEP_1)
	v_fmac_f32_e32 v16, v19, v11
	v_add_f32_e32 v12, v14, v16
	s_delay_alu instid0(VALU_DEP_1) | instskip(NEXT) | instid1(VALU_DEP_1)
	v_dual_sub_f32 v15, v13, v12 :: v_dual_mov_b32 v17, v12
	v_pk_add_f32 v[12:13], v[12:13], v[14:15] neg_lo:[0,1] neg_hi:[0,1]
	s_delay_alu instid0(VALU_DEP_1) | instskip(NEXT) | instid1(VALU_DEP_1)
	v_pk_add_f32 v[12:13], v[12:13], v[16:17] neg_lo:[0,1] neg_hi:[0,1]
	v_add_f32_e32 v3, v3, v13
	s_delay_alu instid0(VALU_DEP_1) | instskip(NEXT) | instid1(VALU_DEP_1)
	v_add_f32_e32 v3, v12, v3
	v_add_f32_e32 v13, v15, v3
	s_delay_alu instid0(VALU_DEP_1) | instskip(NEXT) | instid1(VALU_DEP_1)
	v_mul_f32_e32 v20, v9, v13
	v_mul_f32_e32 v16, v18, v20
	s_delay_alu instid0(VALU_DEP_1) | instskip(NEXT) | instid1(VALU_DEP_1)
	v_fma_f32 v14, v20, v18, -v16
	v_dual_fmac_f32 v14, v20, v11 :: v_dual_sub_f32 v11, v15, v13
	s_delay_alu instid0(VALU_DEP_1) | instskip(NEXT) | instid1(VALU_DEP_1)
	v_dual_add_f32 v12, v16, v14 :: v_dual_add_f32 v3, v3, v11
	v_dual_mov_b32 v15, v12 :: v_dual_sub_f32 v17, v13, v12
	s_delay_alu instid0(VALU_DEP_1) | instskip(NEXT) | instid1(VALU_DEP_1)
	v_pk_add_f32 v[12:13], v[12:13], v[16:17] neg_lo:[0,1] neg_hi:[0,1]
	v_pk_add_f32 v[12:13], v[12:13], v[14:15] neg_lo:[0,1] neg_hi:[0,1]
	v_cvt_f32_i32_e32 v14, v7
	s_delay_alu instid0(VALU_DEP_2) | instskip(NEXT) | instid1(VALU_DEP_1)
	v_add_f32_e32 v3, v3, v13
	v_dual_add_f32 v11, v19, v20 :: v_dual_add_f32 v3, v12, v3
	s_delay_alu instid0(VALU_DEP_1) | instskip(NEXT) | instid1(VALU_DEP_1)
	v_sub_f32_e32 v12, v11, v19
	v_dual_add_f32 v3, v17, v3 :: v_dual_sub_f32 v12, v20, v12
	s_delay_alu instid0(VALU_DEP_1) | instskip(NEXT) | instid1(VALU_DEP_1)
	v_mul_f32_e32 v3, v9, v3
	v_dual_add_f32 v3, v12, v3 :: v_dual_mov_b32 v12, 0x3f317218
	s_delay_alu instid0(VALU_DEP_1) | instskip(NEXT) | instid1(VALU_DEP_1)
	v_add_f32_e32 v9, v11, v3
	v_mul_f32_e32 v13, v9, v9
	s_delay_alu instid0(VALU_DEP_1) | instskip(NEXT) | instid1(VALU_DEP_1)
	v_dual_fmaak_f32 v16, s13, v13, 0x3ecc95a3 :: v_dual_mul_f32 v15, v9, v13
	v_fmaak_f32 v13, v13, v16, 0x3f2aaada
	s_delay_alu instid0(VALU_DEP_1) | instskip(NEXT) | instid1(VALU_DEP_1)
	v_pk_mul_f32 v[12:13], v[14:15], v[12:13]
	v_fma_f32 v7, 0x3f317218, v14, -v12
	v_mov_b32_e32 v18, v12
	s_delay_alu instid0(VALU_DEP_2) | instskip(SKIP_1) | instid1(VALU_DEP_1)
	v_fmamk_f32 v14, v14, 0xb102e308, v7
	v_ldexp_f32 v15, v9, 1
	v_pk_add_f32 v[16:17], v[12:13], v[14:15]
	v_sub_f32_e32 v7, v9, v11
	s_delay_alu instid0(VALU_DEP_1) | instskip(NEXT) | instid1(VALU_DEP_3)
	v_sub_f32_e32 v3, v3, v7
	v_dual_sub_f32 v7, v17, v15 :: v_dual_mov_b32 v15, v16
	s_delay_alu instid0(VALU_DEP_1) | instskip(NEXT) | instid1(VALU_DEP_3)
	v_sub_f32_e32 v7, v13, v7
	v_ldexp_f32 v3, v3, 1
	v_pk_add_f32 v[12:13], v[16:17], v[12:13] neg_lo:[0,1] neg_hi:[0,1]
	s_delay_alu instid0(VALU_DEP_2) | instskip(NEXT) | instid1(VALU_DEP_1)
	v_add_f32_e32 v19, v3, v7
	v_pk_add_f32 v[20:21], v[16:17], v[18:19]
	s_delay_alu instid0(VALU_DEP_1) | instskip(NEXT) | instid1(VALU_DEP_1)
	v_dual_mov_b32 v26, v17 :: v_dual_mov_b32 v13, v21
	v_pk_add_f32 v[22:23], v[14:15], v[12:13]
	v_mov_b32_e32 v22, v21
	v_pk_add_f32 v[12:13], v[14:15], v[12:13] neg_lo:[0,1] neg_hi:[0,1]
	s_delay_alu instid0(VALU_DEP_3) | instskip(NEXT) | instid1(VALU_DEP_1)
	v_dual_mov_b32 v18, v23 :: v_dual_mov_b32 v13, v23
	v_pk_add_f32 v[24:25], v[18:19], v[16:17] neg_lo:[0,1] neg_hi:[0,1]
	v_dual_mov_b32 v17, v16 :: v_dual_mov_b32 v16, v19
	s_delay_alu instid0(VALU_DEP_2) | instskip(NEXT) | instid1(VALU_DEP_1)
	v_dual_mov_b32 v3, v24 :: v_dual_mov_b32 v27, v24
	v_pk_add_f32 v[20:21], v[20:21], v[2:3] neg_lo:[0,1] neg_hi:[0,1]
	s_delay_alu instid0(VALU_DEP_2) | instskip(SKIP_1) | instid1(VALU_DEP_2)
	v_pk_add_f32 v[14:15], v[22:23], v[26:27] neg_lo:[0,1] neg_hi:[0,1]
	v_mov_b32_e32 v20, v12
	v_pk_add_f32 v[14:15], v[16:17], v[14:15] neg_lo:[0,1] neg_hi:[0,1]
	s_delay_alu instid0(VALU_DEP_1) | instskip(NEXT) | instid1(VALU_DEP_1)
	v_pk_add_f32 v[16:17], v[20:21], v[14:15]
	v_mov_b32_e32 v20, v17
	s_delay_alu instid0(VALU_DEP_1) | instskip(NEXT) | instid1(VALU_DEP_1)
	v_pk_add_f32 v[20:21], v[16:17], v[20:21]
	v_pk_add_f32 v[18:19], v[18:19], v[20:21]
	s_delay_alu instid0(VALU_DEP_1) | instskip(NEXT) | instid1(VALU_DEP_1)
	v_mov_b32_e32 v17, v18
	v_pk_add_f32 v[22:23], v[16:17], v[12:13] neg_lo:[0,1] neg_hi:[0,1]
	s_delay_alu instid0(VALU_DEP_1) | instskip(NEXT) | instid1(VALU_DEP_1)
	v_sub_f32_e32 v3, v16, v22
	v_sub_f32_e32 v3, v12, v3
	v_mov_b32_e32 v15, v20
	s_delay_alu instid0(VALU_DEP_1) | instskip(NEXT) | instid1(VALU_DEP_1)
	v_pk_add_f32 v[14:15], v[14:15], v[22:23] neg_lo:[0,1] neg_hi:[0,1]
	v_add_f32_e32 v3, v14, v3
	s_delay_alu instid0(VALU_DEP_1) | instskip(NEXT) | instid1(VALU_DEP_1)
	v_add_f32_e32 v3, v3, v15
	v_add_f32_e32 v3, v18, v3
	s_delay_alu instid0(VALU_DEP_1) | instskip(SKIP_1) | instid1(VALU_DEP_2)
	v_cndmask_b32_e32 v3, 0x7f800000, v3, vcc_lo
	v_cmp_gt_f32_e64 vcc_lo, 0x33800000, |v5|
	v_cndmask_b32_e32 v3, v3, v5, vcc_lo
	s_delay_alu instid0(VALU_DEP_1) | instskip(NEXT) | instid1(VALU_DEP_1)
	v_div_scale_f32 v5, null, s0, s0, v3
	v_rcp_f32_e32 v7, v5
	v_nop
	s_delay_alu instid0(TRANS32_DEP_1) | instskip(NEXT) | instid1(VALU_DEP_1)
	v_fma_f32 v9, -v5, v7, 1.0
	v_fmac_f32_e32 v7, v9, v7
	v_div_scale_f32 v9, vcc_lo, v3, s0, v3
	s_delay_alu instid0(VALU_DEP_1) | instskip(NEXT) | instid1(VALU_DEP_1)
	v_mul_f32_e32 v11, v9, v7
	v_fma_f32 v12, -v5, v11, v9
	s_delay_alu instid0(VALU_DEP_1) | instskip(NEXT) | instid1(VALU_DEP_1)
	v_fmac_f32_e32 v11, v12, v7
	v_fma_f32 v5, -v5, v11, v9
	s_delay_alu instid0(VALU_DEP_1) | instskip(NEXT) | instid1(VALU_DEP_1)
	v_div_fmas_f32 v5, v5, v7, v11
	v_div_fixup_f32 v3, v5, s0, v3
	s_delay_alu instid0(VALU_DEP_1)
	v_cvt_f16_f32_e32 v3, v3
.LBB25_1424:
	s_or_b32 exec_lo, exec_lo, s12
	v_mov_b32_e32 v11, 0
	s_cmp_lt_i32 s11, 11
	s_delay_alu instid0(VALU_DEP_1)
	v_add_nc_u64_e32 v[10:11], s[6:7], v[10:11]
	s_cbranch_scc1 .LBB25_1431
; %bb.1425:
	s_cmp_gt_i32 s11, 25
	s_mov_b32 s13, 0
	s_cbranch_scc0 .LBB25_1433
; %bb.1426:
	s_cmp_gt_i32 s11, 28
	s_cbranch_scc0 .LBB25_1434
; %bb.1427:
	s_cmp_gt_i32 s11, 43
	;; [unrolled: 3-line block ×3, first 2 shown]
	s_cbranch_scc0 .LBB25_1437
; %bb.1429:
	s_cmp_eq_u32 s11, 46
	s_mov_b32 s15, 0
	s_cbranch_scc0 .LBB25_1438
; %bb.1430:
	global_load_b32 v5, v[10:11], off
	s_mov_b32 s12, 0
	s_mov_b32 s14, -1
	s_wait_loadcnt 0x0
	v_lshlrev_b32_e32 v5, 16, v5
	s_delay_alu instid0(VALU_DEP_1)
	v_cvt_f16_f32_e32 v12, v5
	s_branch .LBB25_1440
.LBB25_1431:
	s_mov_b32 s14, 0
                                        ; implicit-def: $vgpr12
	s_cbranch_execnz .LBB25_1506
.LBB25_1432:
	s_and_not1_b32 vcc_lo, exec_lo, s14
	s_cbranch_vccnz .LBB25_1767
	s_branch .LBB25_1554
.LBB25_1433:
	s_mov_b32 s15, -1
	s_mov_b32 s14, 0
	s_mov_b32 s12, 0
                                        ; implicit-def: $vgpr12
	s_branch .LBB25_1469
.LBB25_1434:
	s_mov_b32 s15, -1
	s_mov_b32 s14, 0
	s_mov_b32 s12, 0
                                        ; implicit-def: $vgpr12
	s_branch .LBB25_1450
.LBB25_1435:
	s_mov_b32 s15, -1
	s_mov_b32 s14, 0
	s_mov_b32 s12, 0
                                        ; implicit-def: $vgpr12
	s_branch .LBB25_1445
.LBB25_1436:
	s_or_b32 s10, s10, exec_lo
	s_trap 2
	s_cbranch_execz .LBB25_1373
	s_branch .LBB25_1374
.LBB25_1437:
	s_mov_b32 s15, -1
	s_mov_b32 s14, 0
	s_mov_b32 s12, 0
	s_branch .LBB25_1439
.LBB25_1438:
	s_mov_b32 s12, -1
	s_mov_b32 s14, 0
.LBB25_1439:
                                        ; implicit-def: $vgpr12
.LBB25_1440:
	s_and_b32 vcc_lo, exec_lo, s15
	s_cbranch_vccz .LBB25_1444
; %bb.1441:
	s_cmp_eq_u32 s11, 44
	s_cbranch_scc0 .LBB25_1443
; %bb.1442:
	global_load_u8 v5, v[10:11], off
	s_mov_b32 s12, 0
	s_mov_b32 s14, -1
	s_wait_loadcnt 0x0
	v_lshlrev_b32_e32 v7, 23, v5
	v_cmp_ne_u32_e32 vcc_lo, 0xff, v5
	s_delay_alu instid0(VALU_DEP_2) | instskip(NEXT) | instid1(VALU_DEP_1)
	v_cvt_f16_f32_e32 v7, v7
	v_cndmask_b32_e32 v7, 0x7e00, v7, vcc_lo
	v_cmp_ne_u32_e32 vcc_lo, 0, v5
	s_delay_alu instid0(VALU_DEP_2)
	v_cndmask_b32_e32 v12, 0, v7, vcc_lo
	s_branch .LBB25_1444
.LBB25_1443:
	s_mov_b32 s12, -1
                                        ; implicit-def: $vgpr12
.LBB25_1444:
	s_mov_b32 s15, 0
.LBB25_1445:
	s_delay_alu instid0(SALU_CYCLE_1)
	s_and_b32 vcc_lo, exec_lo, s15
	s_cbranch_vccz .LBB25_1449
; %bb.1446:
	s_cmp_eq_u32 s11, 29
	s_cbranch_scc0 .LBB25_1448
; %bb.1447:
	global_load_b64 v[12:13], v[10:11], off
	s_mov_b32 s12, 0
	s_mov_b32 s14, -1
	s_mov_b32 s15, 0
	s_wait_loadcnt 0x0
	v_clz_i32_u32_e32 v5, v13
	s_delay_alu instid0(VALU_DEP_1) | instskip(NEXT) | instid1(VALU_DEP_1)
	v_min_u32_e32 v5, 32, v5
	v_lshlrev_b64_e32 v[12:13], v5, v[12:13]
	v_sub_nc_u32_e32 v5, 32, v5
	s_delay_alu instid0(VALU_DEP_2) | instskip(NEXT) | instid1(VALU_DEP_1)
	v_min_u32_e32 v7, 1, v12
	v_or_b32_e32 v7, v13, v7
	s_delay_alu instid0(VALU_DEP_1) | instskip(NEXT) | instid1(VALU_DEP_1)
	v_cvt_f32_u32_e32 v7, v7
	v_ldexp_f32 v5, v7, v5
	s_delay_alu instid0(VALU_DEP_1)
	v_cvt_f16_f32_e32 v12, v5
	s_branch .LBB25_1450
.LBB25_1448:
	s_mov_b32 s12, -1
                                        ; implicit-def: $vgpr12
.LBB25_1449:
	s_mov_b32 s15, 0
.LBB25_1450:
	s_delay_alu instid0(SALU_CYCLE_1)
	s_and_b32 vcc_lo, exec_lo, s15
	s_cbranch_vccz .LBB25_1468
; %bb.1451:
	s_cmp_lt_i32 s11, 27
	s_cbranch_scc1 .LBB25_1454
; %bb.1452:
	s_cmp_gt_i32 s11, 27
	s_cbranch_scc0 .LBB25_1455
; %bb.1453:
	global_load_b32 v5, v[10:11], off
	s_mov_b32 s14, 0
	s_wait_loadcnt 0x0
	v_cvt_f32_u32_e32 v5, v5
	s_delay_alu instid0(VALU_DEP_1)
	v_cvt_f16_f32_e32 v12, v5
	s_branch .LBB25_1456
.LBB25_1454:
	s_mov_b32 s14, -1
                                        ; implicit-def: $vgpr12
	s_branch .LBB25_1459
.LBB25_1455:
	s_mov_b32 s14, -1
                                        ; implicit-def: $vgpr12
.LBB25_1456:
	s_delay_alu instid0(SALU_CYCLE_1)
	s_and_not1_b32 vcc_lo, exec_lo, s14
	s_cbranch_vccnz .LBB25_1458
; %bb.1457:
	global_load_u16 v5, v[10:11], off
	s_wait_loadcnt 0x0
	v_cvt_f16_u16_e32 v12, v5
.LBB25_1458:
	s_mov_b32 s14, 0
.LBB25_1459:
	s_delay_alu instid0(SALU_CYCLE_1)
	s_and_not1_b32 vcc_lo, exec_lo, s14
	s_cbranch_vccnz .LBB25_1467
; %bb.1460:
	global_load_u8 v5, v[10:11], off
	s_mov_b32 s14, 0
	s_mov_b32 s15, exec_lo
	s_wait_loadcnt 0x0
	v_cmpx_lt_i16_e32 0x7f, v5
	s_xor_b32 s15, exec_lo, s15
	s_cbranch_execz .LBB25_1481
; %bb.1461:
	s_mov_b32 s14, -1
	s_mov_b32 s16, exec_lo
	v_cmpx_eq_u16_e32 0x80, v5
; %bb.1462:
	s_xor_b32 s14, exec_lo, -1
; %bb.1463:
	s_or_b32 exec_lo, exec_lo, s16
	s_delay_alu instid0(SALU_CYCLE_1)
	s_and_b32 s14, s14, exec_lo
	s_or_saveexec_b32 s15, s15
	v_mov_b32_e32 v12, 0x7e00
	s_xor_b32 exec_lo, exec_lo, s15
	s_cbranch_execnz .LBB25_1482
.LBB25_1464:
	s_or_b32 exec_lo, exec_lo, s15
	s_and_saveexec_b32 s15, s14
	s_cbranch_execz .LBB25_1466
.LBB25_1465:
	v_and_b32_e32 v7, 0xffff, v5
	s_delay_alu instid0(VALU_DEP_1) | instskip(SKIP_1) | instid1(VALU_DEP_2)
	v_and_b32_e32 v9, 7, v7
	v_bfe_u32 v14, v7, 3, 4
	v_clz_i32_u32_e32 v12, v9
	s_delay_alu instid0(VALU_DEP_2) | instskip(NEXT) | instid1(VALU_DEP_2)
	v_cmp_eq_u32_e32 vcc_lo, 0, v14
	v_min_u32_e32 v12, 32, v12
	s_delay_alu instid0(VALU_DEP_1) | instskip(NEXT) | instid1(VALU_DEP_1)
	v_subrev_nc_u32_e32 v13, 28, v12
	v_dual_lshlrev_b32 v7, v13, v7 :: v_dual_sub_nc_u32 v12, 29, v12
	s_delay_alu instid0(VALU_DEP_1) | instskip(NEXT) | instid1(VALU_DEP_1)
	v_dual_lshlrev_b32 v5, 24, v5 :: v_dual_bitop2_b32 v7, 7, v7 bitop3:0x40
	v_dual_cndmask_b32 v12, v14, v12 :: v_dual_cndmask_b32 v7, v9, v7
	s_delay_alu instid0(VALU_DEP_2) | instskip(NEXT) | instid1(VALU_DEP_2)
	v_and_b32_e32 v5, 0x80000000, v5
	v_lshl_add_u32 v9, v12, 23, 0x3b800000
	s_delay_alu instid0(VALU_DEP_3) | instskip(NEXT) | instid1(VALU_DEP_1)
	v_lshlrev_b32_e32 v7, 20, v7
	v_or3_b32 v5, v5, v9, v7
	s_delay_alu instid0(VALU_DEP_1)
	v_cvt_f16_f32_e32 v12, v5
.LBB25_1466:
	s_or_b32 exec_lo, exec_lo, s15
.LBB25_1467:
	s_mov_b32 s14, -1
.LBB25_1468:
	s_mov_b32 s15, 0
.LBB25_1469:
	s_delay_alu instid0(SALU_CYCLE_1)
	s_and_b32 vcc_lo, exec_lo, s15
	s_cbranch_vccz .LBB25_1502
; %bb.1470:
	s_cmp_gt_i32 s11, 22
	s_cbranch_scc0 .LBB25_1480
; %bb.1471:
	s_cmp_lt_i32 s11, 24
	s_cbranch_scc1 .LBB25_1483
; %bb.1472:
	s_cmp_gt_i32 s11, 24
	s_cbranch_scc0 .LBB25_1484
; %bb.1473:
	global_load_u8 v5, v[10:11], off
	s_mov_b32 s14, exec_lo
	s_wait_loadcnt 0x0
	v_cmpx_lt_i16_e32 0x7f, v5
	s_xor_b32 s14, exec_lo, s14
	s_cbranch_execz .LBB25_1496
; %bb.1474:
	s_mov_b32 s13, -1
	s_mov_b32 s15, exec_lo
	v_cmpx_eq_u16_e32 0x80, v5
; %bb.1475:
	s_xor_b32 s13, exec_lo, -1
; %bb.1476:
	s_or_b32 exec_lo, exec_lo, s15
	s_delay_alu instid0(SALU_CYCLE_1)
	s_and_b32 s13, s13, exec_lo
	s_or_saveexec_b32 s14, s14
	v_mov_b32_e32 v12, 0x7e00
	s_xor_b32 exec_lo, exec_lo, s14
	s_cbranch_execnz .LBB25_1497
.LBB25_1477:
	s_or_b32 exec_lo, exec_lo, s14
	s_and_saveexec_b32 s14, s13
	s_cbranch_execz .LBB25_1479
.LBB25_1478:
	v_and_b32_e32 v7, 0xffff, v5
	s_delay_alu instid0(VALU_DEP_1) | instskip(SKIP_1) | instid1(VALU_DEP_2)
	v_and_b32_e32 v9, 3, v7
	v_bfe_u32 v14, v7, 2, 5
	v_clz_i32_u32_e32 v12, v9
	s_delay_alu instid0(VALU_DEP_2) | instskip(NEXT) | instid1(VALU_DEP_2)
	v_cmp_eq_u32_e32 vcc_lo, 0, v14
	v_min_u32_e32 v12, 32, v12
	s_delay_alu instid0(VALU_DEP_1) | instskip(NEXT) | instid1(VALU_DEP_1)
	v_subrev_nc_u32_e32 v13, 29, v12
	v_dual_lshlrev_b32 v7, v13, v7 :: v_dual_sub_nc_u32 v12, 30, v12
	s_delay_alu instid0(VALU_DEP_1) | instskip(NEXT) | instid1(VALU_DEP_1)
	v_dual_lshlrev_b32 v5, 24, v5 :: v_dual_bitop2_b32 v7, 3, v7 bitop3:0x40
	v_dual_cndmask_b32 v12, v14, v12 :: v_dual_cndmask_b32 v7, v9, v7
	s_delay_alu instid0(VALU_DEP_2) | instskip(NEXT) | instid1(VALU_DEP_2)
	v_and_b32_e32 v5, 0x80000000, v5
	v_lshl_add_u32 v9, v12, 23, 0x37800000
	s_delay_alu instid0(VALU_DEP_3) | instskip(NEXT) | instid1(VALU_DEP_1)
	v_lshlrev_b32_e32 v7, 21, v7
	v_or3_b32 v5, v5, v9, v7
	s_delay_alu instid0(VALU_DEP_1)
	v_cvt_f16_f32_e32 v12, v5
.LBB25_1479:
	s_or_b32 exec_lo, exec_lo, s14
	s_mov_b32 s13, 0
	s_branch .LBB25_1485
.LBB25_1480:
	s_mov_b32 s13, -1
                                        ; implicit-def: $vgpr12
	s_branch .LBB25_1491
.LBB25_1481:
	s_or_saveexec_b32 s15, s15
	v_mov_b32_e32 v12, 0x7e00
	s_xor_b32 exec_lo, exec_lo, s15
	s_cbranch_execz .LBB25_1464
.LBB25_1482:
	v_cmp_ne_u16_e32 vcc_lo, 0, v5
	v_mov_b32_e32 v12, v5
	s_and_not1_b32 s14, s14, exec_lo
	s_and_b32 s16, vcc_lo, exec_lo
	s_delay_alu instid0(SALU_CYCLE_1)
	s_or_b32 s14, s14, s16
	s_or_b32 exec_lo, exec_lo, s15
	s_and_saveexec_b32 s15, s14
	s_cbranch_execnz .LBB25_1465
	s_branch .LBB25_1466
.LBB25_1483:
	s_mov_b32 s13, -1
                                        ; implicit-def: $vgpr12
	s_branch .LBB25_1488
.LBB25_1484:
	s_mov_b32 s13, -1
                                        ; implicit-def: $vgpr12
.LBB25_1485:
	s_delay_alu instid0(SALU_CYCLE_1)
	s_and_b32 vcc_lo, exec_lo, s13
	s_cbranch_vccz .LBB25_1487
; %bb.1486:
	global_load_u8 v5, v[10:11], off
	s_wait_loadcnt 0x0
	v_lshlrev_b32_e32 v5, 24, v5
	s_delay_alu instid0(VALU_DEP_1) | instskip(NEXT) | instid1(VALU_DEP_1)
	v_and_b32_e32 v7, 0x7f000000, v5
	v_clz_i32_u32_e32 v9, v7
	v_add_nc_u32_e32 v13, 0x1000000, v7
	v_cmp_ne_u32_e32 vcc_lo, 0, v7
	s_delay_alu instid0(VALU_DEP_3) | instskip(NEXT) | instid1(VALU_DEP_1)
	v_min_u32_e32 v9, 32, v9
	v_sub_nc_u32_e64 v9, v9, 4 clamp
	s_delay_alu instid0(VALU_DEP_1) | instskip(NEXT) | instid1(VALU_DEP_1)
	v_dual_lshlrev_b32 v12, v9, v7 :: v_dual_lshlrev_b32 v9, 23, v9
	v_lshrrev_b32_e32 v12, 4, v12
	s_delay_alu instid0(VALU_DEP_1) | instskip(SKIP_1) | instid1(VALU_DEP_2)
	v_sub_nc_u32_e32 v9, v12, v9
	v_ashrrev_i32_e32 v12, 8, v13
	v_add_nc_u32_e32 v9, 0x3c000000, v9
	s_delay_alu instid0(VALU_DEP_1) | instskip(NEXT) | instid1(VALU_DEP_1)
	v_and_or_b32 v9, 0x7f800000, v12, v9
	v_cndmask_b32_e32 v7, 0, v9, vcc_lo
	s_delay_alu instid0(VALU_DEP_1) | instskip(NEXT) | instid1(VALU_DEP_1)
	v_and_or_b32 v5, 0x80000000, v5, v7
	v_cvt_f16_f32_e32 v12, v5
.LBB25_1487:
	s_mov_b32 s13, 0
.LBB25_1488:
	s_delay_alu instid0(SALU_CYCLE_1)
	s_and_not1_b32 vcc_lo, exec_lo, s13
	s_cbranch_vccnz .LBB25_1490
; %bb.1489:
	global_load_u8 v5, v[10:11], off
	s_wait_loadcnt 0x0
	v_lshlrev_b32_e32 v7, 25, v5
	v_lshlrev_b16 v5, 8, v5
	s_delay_alu instid0(VALU_DEP_1) | instskip(SKIP_1) | instid1(VALU_DEP_2)
	v_and_or_b32 v12, 0x7f00, v5, 0.5
	v_bfe_i32 v5, v5, 0, 16
	v_dual_add_f32 v12, -0.5, v12 :: v_dual_lshrrev_b32 v9, 4, v7
	v_cmp_gt_u32_e32 vcc_lo, 0x8000000, v7
	s_delay_alu instid0(VALU_DEP_2) | instskip(NEXT) | instid1(VALU_DEP_1)
	v_or_b32_e32 v9, 0x70000000, v9
	v_mul_f32_e32 v9, 0x7800000, v9
	s_delay_alu instid0(VALU_DEP_1) | instskip(NEXT) | instid1(VALU_DEP_1)
	v_cndmask_b32_e32 v7, v9, v12, vcc_lo
	v_and_or_b32 v5, 0x80000000, v5, v7
	s_delay_alu instid0(VALU_DEP_1)
	v_cvt_f16_f32_e32 v12, v5
.LBB25_1490:
	s_mov_b32 s13, 0
	s_mov_b32 s14, -1
.LBB25_1491:
	s_and_not1_b32 vcc_lo, exec_lo, s13
	s_mov_b32 s13, 0
	s_cbranch_vccnz .LBB25_1502
; %bb.1492:
	s_cmp_gt_i32 s11, 14
	s_cbranch_scc0 .LBB25_1495
; %bb.1493:
	s_cmp_eq_u32 s11, 15
	s_cbranch_scc0 .LBB25_1498
; %bb.1494:
	global_load_u16 v5, v[10:11], off
	s_mov_b32 s12, 0
	s_mov_b32 s14, -1
	s_wait_loadcnt 0x0
	v_lshlrev_b32_e32 v5, 16, v5
	s_delay_alu instid0(VALU_DEP_1)
	v_cvt_f16_f32_e32 v12, v5
	s_branch .LBB25_1500
.LBB25_1495:
	s_mov_b32 s13, -1
	s_branch .LBB25_1499
.LBB25_1496:
	s_or_saveexec_b32 s14, s14
	v_mov_b32_e32 v12, 0x7e00
	s_xor_b32 exec_lo, exec_lo, s14
	s_cbranch_execz .LBB25_1477
.LBB25_1497:
	v_cmp_ne_u16_e32 vcc_lo, 0, v5
	v_mov_b32_e32 v12, v5
	s_and_not1_b32 s13, s13, exec_lo
	s_and_b32 s15, vcc_lo, exec_lo
	s_delay_alu instid0(SALU_CYCLE_1)
	s_or_b32 s13, s13, s15
	s_or_b32 exec_lo, exec_lo, s14
	s_and_saveexec_b32 s14, s13
	s_cbranch_execnz .LBB25_1478
	s_branch .LBB25_1479
.LBB25_1498:
	s_mov_b32 s12, -1
.LBB25_1499:
                                        ; implicit-def: $vgpr12
.LBB25_1500:
	s_and_b32 vcc_lo, exec_lo, s13
	s_mov_b32 s13, 0
	s_cbranch_vccz .LBB25_1502
; %bb.1501:
	s_cmp_lg_u32 s11, 11
	s_mov_b32 s13, -1
	s_cselect_b32 s12, -1, 0
.LBB25_1502:
	s_delay_alu instid0(SALU_CYCLE_1)
	s_and_b32 vcc_lo, exec_lo, s12
	s_cbranch_vccnz .LBB25_1567
; %bb.1503:
	s_and_not1_b32 vcc_lo, exec_lo, s13
	s_cbranch_vccnz .LBB25_1505
.LBB25_1504:
	global_load_u8 v5, v[10:11], off
	s_mov_b32 s14, -1
	s_wait_loadcnt 0x0
	v_cmp_ne_u16_e32 vcc_lo, 0, v5
	v_cndmask_b32_e64 v12, 0, 0x3c00, vcc_lo
.LBB25_1505:
	s_branch .LBB25_1432
.LBB25_1506:
	s_cmp_lt_i32 s11, 5
	s_cbranch_scc1 .LBB25_1511
; %bb.1507:
	s_cmp_lt_i32 s11, 8
	s_cbranch_scc1 .LBB25_1512
; %bb.1508:
	;; [unrolled: 3-line block ×3, first 2 shown]
	s_cmp_gt_i32 s11, 9
	s_cbranch_scc0 .LBB25_1514
; %bb.1510:
	global_load_b64 v[12:13], v[10:11], off
	s_mov_b32 s12, 0
	s_wait_loadcnt 0x0
	v_and_or_b32 v5, 0x1ff, v13, v12
	v_lshrrev_b32_e32 v7, 8, v13
	v_bfe_u32 v9, v13, 20, 11
	s_delay_alu instid0(VALU_DEP_3) | instskip(NEXT) | instid1(VALU_DEP_2)
	v_cmp_ne_u32_e32 vcc_lo, 0, v5
	v_sub_nc_u32_e32 v12, 0x3f1, v9
	v_add_nc_u32_e32 v9, 0xfffffc10, v9
	v_cndmask_b32_e64 v5, 0, 1, vcc_lo
	s_delay_alu instid0(VALU_DEP_1) | instskip(NEXT) | instid1(VALU_DEP_4)
	v_and_or_b32 v5, 0xffe, v7, v5
	v_med3_i32 v7, v12, 0, 13
	s_delay_alu instid0(VALU_DEP_2) | instskip(NEXT) | instid1(VALU_DEP_1)
	v_or_b32_e32 v12, 0x1000, v5
	v_lshrrev_b32_e32 v14, v7, v12
	s_delay_alu instid0(VALU_DEP_1) | instskip(NEXT) | instid1(VALU_DEP_1)
	v_lshlrev_b32_e32 v7, v7, v14
	v_cmp_ne_u32_e32 vcc_lo, v7, v12
	v_lshl_or_b32 v12, v9, 12, v5
	v_cndmask_b32_e64 v7, 0, 1, vcc_lo
	v_cmp_gt_i32_e32 vcc_lo, 1, v9
	s_delay_alu instid0(VALU_DEP_2) | instskip(NEXT) | instid1(VALU_DEP_1)
	v_or_b32_e32 v7, v14, v7
	v_cndmask_b32_e32 v7, v12, v7, vcc_lo
	s_delay_alu instid0(VALU_DEP_1) | instskip(NEXT) | instid1(VALU_DEP_1)
	v_dual_lshrrev_b32 v7, 2, v7 :: v_dual_bitop2_b32 v12, 7, v7 bitop3:0x40
	v_cmp_lt_i32_e32 vcc_lo, 5, v12
	v_cndmask_b32_e64 v14, 0, 1, vcc_lo
	v_cmp_eq_u32_e32 vcc_lo, 3, v12
	v_cndmask_b32_e64 v12, 0, 1, vcc_lo
	v_cmp_ne_u32_e32 vcc_lo, 0, v5
	s_delay_alu instid0(VALU_DEP_2) | instskip(NEXT) | instid1(VALU_DEP_1)
	v_or_b32_e32 v12, v12, v14
	v_dual_mov_b32 v14, 0x7e00 :: v_dual_add_nc_u32 v7, v7, v12
	s_delay_alu instid0(VALU_DEP_1) | instskip(SKIP_1) | instid1(VALU_DEP_3)
	v_cndmask_b32_e32 v5, 0x7c00, v14, vcc_lo
	v_cmp_gt_i32_e32 vcc_lo, 31, v9
	v_cndmask_b32_e32 v7, 0x7c00, v7, vcc_lo
	v_cmp_eq_u32_e32 vcc_lo, 0x40f, v9
	s_delay_alu instid0(VALU_DEP_2) | instskip(SKIP_1) | instid1(VALU_DEP_1)
	v_cndmask_b32_e32 v5, v7, v5, vcc_lo
	v_lshrrev_b32_e32 v7, 16, v13
	v_and_or_b32 v12, 0x8000, v7, v5
	s_branch .LBB25_1515
.LBB25_1511:
	s_mov_b32 s12, -1
                                        ; implicit-def: $vgpr12
	s_branch .LBB25_1533
.LBB25_1512:
	s_mov_b32 s12, -1
                                        ; implicit-def: $vgpr12
	s_branch .LBB25_1521
.LBB25_1513:
	s_mov_b32 s12, -1
                                        ; implicit-def: $vgpr12
	s_branch .LBB25_1518
.LBB25_1514:
	s_mov_b32 s12, -1
                                        ; implicit-def: $vgpr12
.LBB25_1515:
	s_delay_alu instid0(SALU_CYCLE_1)
	s_and_not1_b32 vcc_lo, exec_lo, s12
	s_cbranch_vccnz .LBB25_1517
; %bb.1516:
	global_load_b32 v5, v[10:11], off
	s_wait_loadcnt 0x0
	v_cvt_f16_f32_e32 v12, v5
.LBB25_1517:
	s_mov_b32 s12, 0
.LBB25_1518:
	s_delay_alu instid0(SALU_CYCLE_1)
	s_and_not1_b32 vcc_lo, exec_lo, s12
	s_cbranch_vccnz .LBB25_1520
; %bb.1519:
	global_load_b32 v12, v[10:11], off
.LBB25_1520:
	s_mov_b32 s12, 0
.LBB25_1521:
	s_delay_alu instid0(SALU_CYCLE_1)
	s_and_not1_b32 vcc_lo, exec_lo, s12
	s_cbranch_vccnz .LBB25_1532
; %bb.1522:
	s_cmp_lt_i32 s11, 6
	s_cbranch_scc1 .LBB25_1525
; %bb.1523:
	s_cmp_gt_i32 s11, 6
	s_cbranch_scc0 .LBB25_1526
; %bb.1524:
	s_wait_loadcnt 0x0
	global_load_b64 v[12:13], v[10:11], off
	s_mov_b32 s12, 0
	s_wait_loadcnt 0x0
	v_and_or_b32 v5, 0x1ff, v13, v12
	v_lshrrev_b32_e32 v7, 8, v13
	v_bfe_u32 v9, v13, 20, 11
	s_delay_alu instid0(VALU_DEP_3) | instskip(NEXT) | instid1(VALU_DEP_2)
	v_cmp_ne_u32_e32 vcc_lo, 0, v5
	v_sub_nc_u32_e32 v12, 0x3f1, v9
	v_add_nc_u32_e32 v9, 0xfffffc10, v9
	v_cndmask_b32_e64 v5, 0, 1, vcc_lo
	s_delay_alu instid0(VALU_DEP_1) | instskip(NEXT) | instid1(VALU_DEP_4)
	v_and_or_b32 v5, 0xffe, v7, v5
	v_med3_i32 v7, v12, 0, 13
	s_delay_alu instid0(VALU_DEP_2) | instskip(NEXT) | instid1(VALU_DEP_1)
	v_or_b32_e32 v12, 0x1000, v5
	v_lshrrev_b32_e32 v14, v7, v12
	s_delay_alu instid0(VALU_DEP_1) | instskip(NEXT) | instid1(VALU_DEP_1)
	v_lshlrev_b32_e32 v7, v7, v14
	v_cmp_ne_u32_e32 vcc_lo, v7, v12
	v_lshl_or_b32 v12, v9, 12, v5
	v_cndmask_b32_e64 v7, 0, 1, vcc_lo
	v_cmp_gt_i32_e32 vcc_lo, 1, v9
	s_delay_alu instid0(VALU_DEP_2) | instskip(NEXT) | instid1(VALU_DEP_1)
	v_or_b32_e32 v7, v14, v7
	v_cndmask_b32_e32 v7, v12, v7, vcc_lo
	s_delay_alu instid0(VALU_DEP_1) | instskip(NEXT) | instid1(VALU_DEP_1)
	v_dual_lshrrev_b32 v7, 2, v7 :: v_dual_bitop2_b32 v12, 7, v7 bitop3:0x40
	v_cmp_lt_i32_e32 vcc_lo, 5, v12
	v_cndmask_b32_e64 v14, 0, 1, vcc_lo
	v_cmp_eq_u32_e32 vcc_lo, 3, v12
	v_cndmask_b32_e64 v12, 0, 1, vcc_lo
	v_cmp_ne_u32_e32 vcc_lo, 0, v5
	s_delay_alu instid0(VALU_DEP_2) | instskip(NEXT) | instid1(VALU_DEP_1)
	v_or_b32_e32 v12, v12, v14
	v_dual_mov_b32 v14, 0x7e00 :: v_dual_add_nc_u32 v7, v7, v12
	s_delay_alu instid0(VALU_DEP_1) | instskip(SKIP_1) | instid1(VALU_DEP_3)
	v_cndmask_b32_e32 v5, 0x7c00, v14, vcc_lo
	v_cmp_gt_i32_e32 vcc_lo, 31, v9
	v_cndmask_b32_e32 v7, 0x7c00, v7, vcc_lo
	v_cmp_eq_u32_e32 vcc_lo, 0x40f, v9
	s_delay_alu instid0(VALU_DEP_2) | instskip(SKIP_1) | instid1(VALU_DEP_1)
	v_cndmask_b32_e32 v5, v7, v5, vcc_lo
	v_lshrrev_b32_e32 v7, 16, v13
	v_and_or_b32 v12, 0x8000, v7, v5
	s_branch .LBB25_1527
.LBB25_1525:
	s_mov_b32 s12, -1
                                        ; implicit-def: $vgpr12
	s_branch .LBB25_1530
.LBB25_1526:
	s_mov_b32 s12, -1
                                        ; implicit-def: $vgpr12
.LBB25_1527:
	s_delay_alu instid0(SALU_CYCLE_1)
	s_and_not1_b32 vcc_lo, exec_lo, s12
	s_cbranch_vccnz .LBB25_1529
; %bb.1528:
	global_load_b32 v5, v[10:11], off
	s_wait_loadcnt 0x0
	v_cvt_f16_f32_e32 v12, v5
.LBB25_1529:
	s_mov_b32 s12, 0
.LBB25_1530:
	s_delay_alu instid0(SALU_CYCLE_1)
	s_and_not1_b32 vcc_lo, exec_lo, s12
	s_cbranch_vccnz .LBB25_1532
; %bb.1531:
	s_wait_loadcnt 0x0
	global_load_u16 v12, v[10:11], off
.LBB25_1532:
	s_mov_b32 s12, 0
.LBB25_1533:
	s_delay_alu instid0(SALU_CYCLE_1)
	s_and_not1_b32 vcc_lo, exec_lo, s12
	s_cbranch_vccnz .LBB25_1553
; %bb.1534:
	s_cmp_lt_i32 s11, 2
	s_cbranch_scc1 .LBB25_1538
; %bb.1535:
	s_cmp_lt_i32 s11, 3
	s_cbranch_scc1 .LBB25_1539
; %bb.1536:
	s_cmp_gt_i32 s11, 3
	s_cbranch_scc0 .LBB25_1540
; %bb.1537:
	s_wait_loadcnt 0x0
	global_load_b64 v[12:13], v[10:11], off
	s_mov_b32 s12, 0
	s_wait_loadcnt 0x0
	v_xor_b32_e32 v5, v12, v13
	v_cls_i32_e32 v7, v13
	s_delay_alu instid0(VALU_DEP_2) | instskip(NEXT) | instid1(VALU_DEP_1)
	v_ashrrev_i32_e32 v5, 31, v5
	v_add_nc_u32_e32 v5, 32, v5
	s_delay_alu instid0(VALU_DEP_1) | instskip(NEXT) | instid1(VALU_DEP_1)
	v_add_min_u32_e64 v5, v7, -1, v5
	v_lshlrev_b64_e32 v[12:13], v5, v[12:13]
	v_sub_nc_u32_e32 v5, 32, v5
	s_delay_alu instid0(VALU_DEP_2) | instskip(NEXT) | instid1(VALU_DEP_1)
	v_min_u32_e32 v7, 1, v12
	v_or_b32_e32 v7, v13, v7
	s_delay_alu instid0(VALU_DEP_1) | instskip(NEXT) | instid1(VALU_DEP_1)
	v_cvt_f32_i32_e32 v7, v7
	v_ldexp_f32 v5, v7, v5
	s_delay_alu instid0(VALU_DEP_1)
	v_cvt_f16_f32_e32 v12, v5
	s_branch .LBB25_1541
.LBB25_1538:
	s_mov_b32 s12, -1
                                        ; implicit-def: $vgpr12
	s_branch .LBB25_1547
.LBB25_1539:
	s_mov_b32 s12, -1
                                        ; implicit-def: $vgpr12
	s_branch .LBB25_1544
.LBB25_1540:
	s_mov_b32 s12, -1
                                        ; implicit-def: $vgpr12
.LBB25_1541:
	s_delay_alu instid0(SALU_CYCLE_1)
	s_and_not1_b32 vcc_lo, exec_lo, s12
	s_cbranch_vccnz .LBB25_1543
; %bb.1542:
	global_load_b32 v5, v[10:11], off
	s_wait_loadcnt 0x0
	v_cvt_f32_i32_e32 v5, v5
	s_delay_alu instid0(VALU_DEP_1)
	v_cvt_f16_f32_e32 v12, v5
.LBB25_1543:
	s_mov_b32 s12, 0
.LBB25_1544:
	s_delay_alu instid0(SALU_CYCLE_1)
	s_and_not1_b32 vcc_lo, exec_lo, s12
	s_cbranch_vccnz .LBB25_1546
; %bb.1545:
	global_load_u16 v5, v[10:11], off
	s_wait_loadcnt 0x0
	v_cvt_f16_i16_e32 v12, v5
.LBB25_1546:
	s_mov_b32 s12, 0
.LBB25_1547:
	s_delay_alu instid0(SALU_CYCLE_1)
	s_and_not1_b32 vcc_lo, exec_lo, s12
	s_cbranch_vccnz .LBB25_1553
; %bb.1548:
	s_cmp_gt_i32 s11, 0
	s_mov_b32 s12, 0
	s_cbranch_scc0 .LBB25_1550
; %bb.1549:
	global_load_i8 v5, v[10:11], off
	s_wait_loadcnt 0x0
	v_cvt_f16_i16_e32 v12, v5
	s_branch .LBB25_1551
.LBB25_1550:
	s_mov_b32 s12, -1
                                        ; implicit-def: $vgpr12
.LBB25_1551:
	s_delay_alu instid0(SALU_CYCLE_1)
	s_and_not1_b32 vcc_lo, exec_lo, s12
	s_cbranch_vccnz .LBB25_1553
; %bb.1552:
	global_load_u8 v5, v[10:11], off
	s_wait_loadcnt 0x0
	v_cvt_f16_u16_e32 v12, v5
.LBB25_1553:
.LBB25_1554:
	s_wait_loadcnt 0x0
	s_delay_alu instid0(VALU_DEP_1) | instskip(SKIP_1) | instid1(VALU_DEP_1)
	v_cvt_f32_f16_e32 v5, v12
	s_mov_b32 s12, exec_lo
	v_mul_f32_e32 v5, s0, v5
	s_wait_xcnt 0x0
	s_delay_alu instid0(VALU_DEP_1)
	v_cmpx_nlt_f32_e32 s1, v5
	s_cbranch_execz .LBB25_1556
; %bb.1555:
	v_mul_f32_e32 v7, 0x3fb8aa3b, v5
	v_cmp_ngt_f32_e32 vcc_lo, 0xc2ce8ed0, v5
	s_mov_b32 s13, 0x3e9b6dac
	s_delay_alu instid0(VALU_DEP_2) | instskip(SKIP_1) | instid1(VALU_DEP_1)
	v_rndne_f32_e32 v9, v7
	v_fma_f32 v10, 0x3fb8aa3b, v5, -v7
	v_dual_sub_f32 v7, v7, v9 :: v_dual_fmamk_f32 v10, v5, 0x32a5705f, v10
	v_cvt_i32_f32_e32 v9, v9
	s_delay_alu instid0(VALU_DEP_2) | instskip(NEXT) | instid1(VALU_DEP_1)
	v_add_f32_e32 v7, v7, v10
	v_exp_f32_e32 v7, v7
	v_nop
	s_delay_alu instid0(TRANS32_DEP_1) | instskip(NEXT) | instid1(VALU_DEP_1)
	v_ldexp_f32 v7, v7, v9
	v_cndmask_b32_e32 v7, 0, v7, vcc_lo
	v_cmp_nlt_f32_e32 vcc_lo, 0x42b17218, v5
	s_delay_alu instid0(VALU_DEP_2) | instskip(NEXT) | instid1(VALU_DEP_1)
	v_cndmask_b32_e32 v7, 0x7f800000, v7, vcc_lo
	v_add_f32_e32 v5, 1.0, v7
	s_delay_alu instid0(VALU_DEP_1) | instskip(NEXT) | instid1(VALU_DEP_1)
	v_cvt_f64_f32_e32 v[10:11], v5
	v_frexp_exp_i32_f64_e32 v9, v[10:11]
	v_frexp_mant_f32_e32 v10, v5
	s_delay_alu instid0(VALU_DEP_1) | instskip(SKIP_1) | instid1(VALU_DEP_1)
	v_cmp_gt_f32_e32 vcc_lo, 0x3f2aaaab, v10
	v_add_f32_e32 v10, -1.0, v5
	v_sub_f32_e32 v12, v10, v5
	s_delay_alu instid0(VALU_DEP_1) | instskip(NEXT) | instid1(VALU_DEP_1)
	v_dual_add_f32 v12, 1.0, v12 :: v_dual_sub_f32 v10, v7, v10
	v_add_f32_e32 v10, v10, v12
	v_subrev_co_ci_u32_e64 v9, null, 0, v9, vcc_lo
	v_cmp_neq_f32_e32 vcc_lo, 0x7f800000, v7
	s_delay_alu instid0(VALU_DEP_2) | instskip(NEXT) | instid1(VALU_DEP_1)
	v_sub_nc_u32_e32 v11, 0, v9
	v_ldexp_f32 v5, v5, v11
	v_ldexp_f32 v10, v10, v11
	s_delay_alu instid0(VALU_DEP_2) | instskip(NEXT) | instid1(VALU_DEP_1)
	v_add_f32_e32 v13, 1.0, v5
	v_add_f32_e32 v12, -1.0, v13
	s_delay_alu instid0(VALU_DEP_1) | instskip(NEXT) | instid1(VALU_DEP_1)
	v_dual_add_f32 v15, -1.0, v5 :: v_dual_sub_f32 v11, v5, v12
	v_add_f32_e32 v14, v10, v11
	s_delay_alu instid0(VALU_DEP_1) | instskip(NEXT) | instid1(VALU_DEP_1)
	v_dual_add_f32 v12, 1.0, v15 :: v_dual_add_f32 v16, v13, v14
	v_rcp_f32_e32 v17, v16
	s_delay_alu instid0(VALU_DEP_1) | instskip(NEXT) | instid1(VALU_DEP_1)
	v_sub_f32_e32 v5, v5, v12
	v_dual_add_f32 v5, v10, v5 :: v_dual_sub_f32 v10, v13, v16
	s_delay_alu instid0(VALU_DEP_1)
	v_add_f32_e32 v11, v15, v5
	s_delay_alu instid0(TRANS32_DEP_1) | instid1(VALU_DEP_1)
	v_mul_f32_e32 v18, v11, v17
	s_delay_alu instid0(VALU_DEP_1) | instskip(NEXT) | instid1(VALU_DEP_4)
	v_mul_f32_e32 v12, v16, v18
	v_dual_add_f32 v19, v14, v10 :: v_dual_sub_f32 v20, v15, v11
	s_delay_alu instid0(VALU_DEP_2) | instskip(NEXT) | instid1(VALU_DEP_1)
	v_fma_f32 v14, v18, v16, -v12
	v_dual_add_f32 v5, v5, v20 :: v_dual_fmac_f32 v14, v18, v19
	s_delay_alu instid0(VALU_DEP_1) | instskip(NEXT) | instid1(VALU_DEP_1)
	v_add_f32_e32 v10, v12, v14
	v_dual_sub_f32 v13, v11, v10 :: v_dual_mov_b32 v15, v10
	s_delay_alu instid0(VALU_DEP_1) | instskip(NEXT) | instid1(VALU_DEP_1)
	v_pk_add_f32 v[10:11], v[10:11], v[12:13] neg_lo:[0,1] neg_hi:[0,1]
	v_pk_add_f32 v[10:11], v[10:11], v[14:15] neg_lo:[0,1] neg_hi:[0,1]
	s_delay_alu instid0(VALU_DEP_1) | instskip(NEXT) | instid1(VALU_DEP_1)
	v_add_f32_e32 v5, v5, v11
	v_add_f32_e32 v5, v10, v5
	s_delay_alu instid0(VALU_DEP_1) | instskip(NEXT) | instid1(VALU_DEP_1)
	v_add_f32_e32 v11, v13, v5
	v_mul_f32_e32 v20, v17, v11
	s_delay_alu instid0(VALU_DEP_1) | instskip(NEXT) | instid1(VALU_DEP_1)
	v_mul_f32_e32 v14, v16, v20
	v_dual_fma_f32 v12, v20, v16, -v14 :: v_dual_sub_f32 v16, v13, v11
	s_delay_alu instid0(VALU_DEP_1) | instskip(NEXT) | instid1(VALU_DEP_1)
	v_fmac_f32_e32 v12, v20, v19
	v_add_f32_e32 v10, v14, v12
	s_delay_alu instid0(VALU_DEP_1) | instskip(NEXT) | instid1(VALU_DEP_1)
	v_dual_sub_f32 v15, v11, v10 :: v_dual_mov_b32 v13, v10
	v_pk_add_f32 v[10:11], v[10:11], v[14:15] neg_lo:[0,1] neg_hi:[0,1]
	v_add_f32_e32 v14, v18, v20
	v_add_f32_e32 v5, v5, v16
	s_delay_alu instid0(VALU_DEP_3) | instskip(SKIP_1) | instid1(VALU_DEP_2)
	v_pk_add_f32 v[10:11], v[10:11], v[12:13] neg_lo:[0,1] neg_hi:[0,1]
	v_cvt_f32_i32_e32 v12, v9
	v_add_f32_e32 v5, v5, v11
	s_delay_alu instid0(VALU_DEP_1) | instskip(NEXT) | instid1(VALU_DEP_1)
	v_add_f32_e32 v5, v10, v5
	v_dual_sub_f32 v10, v14, v18 :: v_dual_add_f32 v5, v15, v5
	s_delay_alu instid0(VALU_DEP_1) | instskip(NEXT) | instid1(VALU_DEP_1)
	v_dual_sub_f32 v10, v20, v10 :: v_dual_mul_f32 v5, v17, v5
	v_dual_add_f32 v5, v10, v5 :: v_dual_mov_b32 v10, 0x3f317218
	s_delay_alu instid0(VALU_DEP_1) | instskip(NEXT) | instid1(VALU_DEP_1)
	v_add_f32_e32 v15, v14, v5
	v_mul_f32_e32 v11, v15, v15
	s_delay_alu instid0(VALU_DEP_1) | instskip(NEXT) | instid1(VALU_DEP_1)
	v_dual_fmaak_f32 v16, s13, v11, 0x3ecc95a3 :: v_dual_mul_f32 v13, v15, v11
	v_fmaak_f32 v11, v11, v16, 0x3f2aaada
	s_delay_alu instid0(VALU_DEP_1) | instskip(NEXT) | instid1(VALU_DEP_1)
	v_pk_mul_f32 v[10:11], v[12:13], v[10:11]
	v_fma_f32 v9, 0x3f317218, v12, -v10
	v_mov_b32_e32 v16, v10
	s_delay_alu instid0(VALU_DEP_2) | instskip(SKIP_2) | instid1(VALU_DEP_2)
	v_fmamk_f32 v12, v12, 0xb102e308, v9
	v_ldexp_f32 v13, v15, 1
	v_sub_f32_e32 v9, v15, v14
	v_pk_add_f32 v[14:15], v[10:11], v[12:13]
	s_delay_alu instid0(VALU_DEP_2) | instskip(NEXT) | instid1(VALU_DEP_2)
	v_sub_f32_e32 v5, v5, v9
	v_dual_sub_f32 v9, v15, v13 :: v_dual_mov_b32 v13, v14
	s_delay_alu instid0(VALU_DEP_1) | instskip(NEXT) | instid1(VALU_DEP_3)
	v_sub_f32_e32 v9, v11, v9
	v_ldexp_f32 v5, v5, 1
	v_pk_add_f32 v[10:11], v[14:15], v[10:11] neg_lo:[0,1] neg_hi:[0,1]
	s_delay_alu instid0(VALU_DEP_2) | instskip(NEXT) | instid1(VALU_DEP_1)
	v_add_f32_e32 v17, v5, v9
	v_pk_add_f32 v[18:19], v[14:15], v[16:17]
	s_delay_alu instid0(VALU_DEP_1) | instskip(NEXT) | instid1(VALU_DEP_1)
	v_dual_mov_b32 v24, v15 :: v_dual_mov_b32 v11, v19
	v_pk_add_f32 v[20:21], v[12:13], v[10:11]
	v_mov_b32_e32 v20, v19
	v_pk_add_f32 v[10:11], v[12:13], v[10:11] neg_lo:[0,1] neg_hi:[0,1]
	s_delay_alu instid0(VALU_DEP_3) | instskip(NEXT) | instid1(VALU_DEP_1)
	v_dual_mov_b32 v16, v21 :: v_dual_mov_b32 v11, v21
	v_pk_add_f32 v[22:23], v[16:17], v[14:15] neg_lo:[0,1] neg_hi:[0,1]
	v_dual_mov_b32 v15, v14 :: v_dual_mov_b32 v14, v17
	s_delay_alu instid0(VALU_DEP_2) | instskip(NEXT) | instid1(VALU_DEP_1)
	v_dual_mov_b32 v5, v22 :: v_dual_mov_b32 v25, v22
	v_pk_add_f32 v[18:19], v[18:19], v[4:5] neg_lo:[0,1] neg_hi:[0,1]
	s_delay_alu instid0(VALU_DEP_2) | instskip(SKIP_1) | instid1(VALU_DEP_2)
	v_pk_add_f32 v[12:13], v[20:21], v[24:25] neg_lo:[0,1] neg_hi:[0,1]
	v_mov_b32_e32 v18, v10
	v_pk_add_f32 v[12:13], v[14:15], v[12:13] neg_lo:[0,1] neg_hi:[0,1]
	s_delay_alu instid0(VALU_DEP_1) | instskip(NEXT) | instid1(VALU_DEP_1)
	v_pk_add_f32 v[14:15], v[18:19], v[12:13]
	v_mov_b32_e32 v18, v15
	s_delay_alu instid0(VALU_DEP_1) | instskip(NEXT) | instid1(VALU_DEP_1)
	v_pk_add_f32 v[18:19], v[14:15], v[18:19]
	v_pk_add_f32 v[16:17], v[16:17], v[18:19]
	s_delay_alu instid0(VALU_DEP_1) | instskip(NEXT) | instid1(VALU_DEP_1)
	v_mov_b32_e32 v15, v16
	v_pk_add_f32 v[20:21], v[14:15], v[10:11] neg_lo:[0,1] neg_hi:[0,1]
	s_delay_alu instid0(VALU_DEP_1) | instskip(NEXT) | instid1(VALU_DEP_1)
	v_sub_f32_e32 v5, v14, v20
	v_sub_f32_e32 v5, v10, v5
	v_mov_b32_e32 v13, v18
	s_delay_alu instid0(VALU_DEP_1) | instskip(NEXT) | instid1(VALU_DEP_1)
	v_pk_add_f32 v[12:13], v[12:13], v[20:21] neg_lo:[0,1] neg_hi:[0,1]
	v_add_f32_e32 v5, v12, v5
	s_delay_alu instid0(VALU_DEP_1) | instskip(NEXT) | instid1(VALU_DEP_1)
	v_add_f32_e32 v5, v5, v13
	v_add_f32_e32 v5, v16, v5
	s_delay_alu instid0(VALU_DEP_1) | instskip(SKIP_1) | instid1(VALU_DEP_2)
	v_cndmask_b32_e32 v5, 0x7f800000, v5, vcc_lo
	v_cmp_gt_f32_e64 vcc_lo, 0x33800000, |v7|
	v_cndmask_b32_e32 v5, v5, v7, vcc_lo
	s_delay_alu instid0(VALU_DEP_1) | instskip(NEXT) | instid1(VALU_DEP_1)
	v_div_scale_f32 v7, null, s0, s0, v5
	v_rcp_f32_e32 v9, v7
	v_nop
	s_delay_alu instid0(TRANS32_DEP_1) | instskip(NEXT) | instid1(VALU_DEP_1)
	v_fma_f32 v10, -v7, v9, 1.0
	v_fmac_f32_e32 v9, v10, v9
	v_div_scale_f32 v10, vcc_lo, v5, s0, v5
	s_delay_alu instid0(VALU_DEP_1) | instskip(NEXT) | instid1(VALU_DEP_1)
	v_mul_f32_e32 v11, v10, v9
	v_fma_f32 v12, -v7, v11, v10
	s_delay_alu instid0(VALU_DEP_1) | instskip(NEXT) | instid1(VALU_DEP_1)
	v_fmac_f32_e32 v11, v12, v9
	v_fma_f32 v7, -v7, v11, v10
	s_delay_alu instid0(VALU_DEP_1) | instskip(NEXT) | instid1(VALU_DEP_1)
	v_div_fmas_f32 v7, v7, v9, v11
	v_div_fixup_f32 v5, v7, s0, v5
	s_delay_alu instid0(VALU_DEP_1)
	v_cvt_f16_f32_e32 v12, v5
.LBB25_1556:
	s_or_b32 exec_lo, exec_lo, s12
	v_mov_b32_e32 v9, 0
	s_cmp_lt_i32 s11, 11
	s_delay_alu instid0(VALU_DEP_1)
	v_add_nc_u64_e32 v[8:9], s[6:7], v[8:9]
	s_cbranch_scc1 .LBB25_1563
; %bb.1557:
	s_cmp_gt_i32 s11, 25
	s_mov_b32 s7, 0
	s_cbranch_scc0 .LBB25_1564
; %bb.1558:
	s_cmp_gt_i32 s11, 28
	s_cbranch_scc0 .LBB25_1565
; %bb.1559:
	s_cmp_gt_i32 s11, 43
	;; [unrolled: 3-line block ×3, first 2 shown]
	s_cbranch_scc0 .LBB25_1568
; %bb.1561:
	s_cmp_eq_u32 s11, 46
	s_mov_b32 s13, 0
	s_cbranch_scc0 .LBB25_1569
; %bb.1562:
	global_load_b32 v5, v[8:9], off
	s_mov_b32 s6, 0
	s_mov_b32 s12, -1
	s_wait_loadcnt 0x0
	v_lshlrev_b32_e32 v5, 16, v5
	s_delay_alu instid0(VALU_DEP_1)
	v_cvt_f16_f32_e32 v10, v5
	s_branch .LBB25_1571
.LBB25_1563:
	s_mov_b32 s6, -1
	s_mov_b32 s12, 0
                                        ; implicit-def: $vgpr10
	s_branch .LBB25_1637
.LBB25_1564:
	s_mov_b32 s13, -1
	s_mov_b32 s12, 0
	s_mov_b32 s6, 0
                                        ; implicit-def: $vgpr10
	s_branch .LBB25_1600
.LBB25_1565:
	s_mov_b32 s13, -1
	s_mov_b32 s12, 0
	s_mov_b32 s6, 0
                                        ; implicit-def: $vgpr10
	s_branch .LBB25_1581
.LBB25_1566:
	s_mov_b32 s13, -1
	s_mov_b32 s12, 0
	s_mov_b32 s6, 0
                                        ; implicit-def: $vgpr10
	s_branch .LBB25_1576
.LBB25_1567:
	s_or_b32 s10, s10, exec_lo
	s_trap 2
	s_cbranch_execz .LBB25_1504
	s_branch .LBB25_1505
.LBB25_1568:
	s_mov_b32 s13, -1
	s_mov_b32 s12, 0
	s_mov_b32 s6, 0
	s_branch .LBB25_1570
.LBB25_1569:
	s_mov_b32 s6, -1
	s_mov_b32 s12, 0
.LBB25_1570:
                                        ; implicit-def: $vgpr10
.LBB25_1571:
	s_and_b32 vcc_lo, exec_lo, s13
	s_cbranch_vccz .LBB25_1575
; %bb.1572:
	s_cmp_eq_u32 s11, 44
	s_cbranch_scc0 .LBB25_1574
; %bb.1573:
	global_load_u8 v5, v[8:9], off
	s_mov_b32 s6, 0
	s_mov_b32 s12, -1
	s_wait_loadcnt 0x0
	v_lshlrev_b32_e32 v7, 23, v5
	v_cmp_ne_u32_e32 vcc_lo, 0xff, v5
	s_delay_alu instid0(VALU_DEP_2) | instskip(NEXT) | instid1(VALU_DEP_1)
	v_cvt_f16_f32_e32 v7, v7
	v_cndmask_b32_e32 v7, 0x7e00, v7, vcc_lo
	v_cmp_ne_u32_e32 vcc_lo, 0, v5
	s_delay_alu instid0(VALU_DEP_2)
	v_cndmask_b32_e32 v10, 0, v7, vcc_lo
	s_branch .LBB25_1575
.LBB25_1574:
	s_mov_b32 s6, -1
                                        ; implicit-def: $vgpr10
.LBB25_1575:
	s_mov_b32 s13, 0
.LBB25_1576:
	s_delay_alu instid0(SALU_CYCLE_1)
	s_and_b32 vcc_lo, exec_lo, s13
	s_cbranch_vccz .LBB25_1580
; %bb.1577:
	s_cmp_eq_u32 s11, 29
	s_cbranch_scc0 .LBB25_1579
; %bb.1578:
	global_load_b64 v[10:11], v[8:9], off
	s_mov_b32 s6, 0
	s_mov_b32 s12, -1
	s_mov_b32 s13, 0
	s_wait_loadcnt 0x0
	v_clz_i32_u32_e32 v5, v11
	s_delay_alu instid0(VALU_DEP_1) | instskip(NEXT) | instid1(VALU_DEP_1)
	v_min_u32_e32 v5, 32, v5
	v_lshlrev_b64_e32 v[10:11], v5, v[10:11]
	v_sub_nc_u32_e32 v5, 32, v5
	s_delay_alu instid0(VALU_DEP_2) | instskip(NEXT) | instid1(VALU_DEP_1)
	v_min_u32_e32 v7, 1, v10
	v_or_b32_e32 v7, v11, v7
	s_delay_alu instid0(VALU_DEP_1) | instskip(NEXT) | instid1(VALU_DEP_1)
	v_cvt_f32_u32_e32 v7, v7
	v_ldexp_f32 v5, v7, v5
	s_delay_alu instid0(VALU_DEP_1)
	v_cvt_f16_f32_e32 v10, v5
	s_branch .LBB25_1581
.LBB25_1579:
	s_mov_b32 s6, -1
                                        ; implicit-def: $vgpr10
.LBB25_1580:
	s_mov_b32 s13, 0
.LBB25_1581:
	s_delay_alu instid0(SALU_CYCLE_1)
	s_and_b32 vcc_lo, exec_lo, s13
	s_cbranch_vccz .LBB25_1599
; %bb.1582:
	s_cmp_lt_i32 s11, 27
	s_cbranch_scc1 .LBB25_1585
; %bb.1583:
	s_cmp_gt_i32 s11, 27
	s_cbranch_scc0 .LBB25_1586
; %bb.1584:
	global_load_b32 v5, v[8:9], off
	s_mov_b32 s12, 0
	s_wait_loadcnt 0x0
	v_cvt_f32_u32_e32 v5, v5
	s_delay_alu instid0(VALU_DEP_1)
	v_cvt_f16_f32_e32 v10, v5
	s_branch .LBB25_1587
.LBB25_1585:
	s_mov_b32 s12, -1
                                        ; implicit-def: $vgpr10
	s_branch .LBB25_1590
.LBB25_1586:
	s_mov_b32 s12, -1
                                        ; implicit-def: $vgpr10
.LBB25_1587:
	s_delay_alu instid0(SALU_CYCLE_1)
	s_and_not1_b32 vcc_lo, exec_lo, s12
	s_cbranch_vccnz .LBB25_1589
; %bb.1588:
	global_load_u16 v5, v[8:9], off
	s_wait_loadcnt 0x0
	v_cvt_f16_u16_e32 v10, v5
.LBB25_1589:
	s_mov_b32 s12, 0
.LBB25_1590:
	s_delay_alu instid0(SALU_CYCLE_1)
	s_and_not1_b32 vcc_lo, exec_lo, s12
	s_cbranch_vccnz .LBB25_1598
; %bb.1591:
	global_load_u8 v5, v[8:9], off
	s_mov_b32 s12, 0
	s_mov_b32 s13, exec_lo
	s_wait_loadcnt 0x0
	v_cmpx_lt_i16_e32 0x7f, v5
	s_xor_b32 s13, exec_lo, s13
	s_cbranch_execz .LBB25_1612
; %bb.1592:
	s_mov_b32 s12, -1
	s_mov_b32 s14, exec_lo
	v_cmpx_eq_u16_e32 0x80, v5
; %bb.1593:
	s_xor_b32 s12, exec_lo, -1
; %bb.1594:
	s_or_b32 exec_lo, exec_lo, s14
	s_delay_alu instid0(SALU_CYCLE_1)
	s_and_b32 s12, s12, exec_lo
	s_or_saveexec_b32 s13, s13
	v_mov_b32_e32 v10, 0x7e00
	s_xor_b32 exec_lo, exec_lo, s13
	s_cbranch_execnz .LBB25_1613
.LBB25_1595:
	s_or_b32 exec_lo, exec_lo, s13
	s_and_saveexec_b32 s13, s12
	s_cbranch_execz .LBB25_1597
.LBB25_1596:
	v_and_b32_e32 v7, 0xffff, v5
	s_delay_alu instid0(VALU_DEP_1) | instskip(SKIP_1) | instid1(VALU_DEP_2)
	v_dual_lshlrev_b32 v5, 24, v5 :: v_dual_bitop2_b32 v10, 7, v7 bitop3:0x40
	v_bfe_u32 v14, v7, 3, 4
	v_and_b32_e32 v5, 0x80000000, v5
	s_delay_alu instid0(VALU_DEP_3) | instskip(NEXT) | instid1(VALU_DEP_3)
	v_clz_i32_u32_e32 v11, v10
	v_cmp_eq_u32_e32 vcc_lo, 0, v14
	s_delay_alu instid0(VALU_DEP_2) | instskip(NEXT) | instid1(VALU_DEP_1)
	v_min_u32_e32 v11, 32, v11
	v_subrev_nc_u32_e32 v13, 28, v11
	v_sub_nc_u32_e32 v11, 29, v11
	s_delay_alu instid0(VALU_DEP_2) | instskip(NEXT) | instid1(VALU_DEP_2)
	v_lshlrev_b32_e32 v7, v13, v7
	v_cndmask_b32_e32 v11, v14, v11, vcc_lo
	s_delay_alu instid0(VALU_DEP_2) | instskip(NEXT) | instid1(VALU_DEP_1)
	v_and_b32_e32 v7, 7, v7
	v_cndmask_b32_e32 v7, v10, v7, vcc_lo
	s_delay_alu instid0(VALU_DEP_3) | instskip(NEXT) | instid1(VALU_DEP_2)
	v_lshl_add_u32 v10, v11, 23, 0x3b800000
	v_lshlrev_b32_e32 v7, 20, v7
	s_delay_alu instid0(VALU_DEP_1) | instskip(NEXT) | instid1(VALU_DEP_1)
	v_or3_b32 v5, v5, v10, v7
	v_cvt_f16_f32_e32 v10, v5
.LBB25_1597:
	s_or_b32 exec_lo, exec_lo, s13
.LBB25_1598:
	s_mov_b32 s12, -1
.LBB25_1599:
	s_mov_b32 s13, 0
.LBB25_1600:
	s_delay_alu instid0(SALU_CYCLE_1)
	s_and_b32 vcc_lo, exec_lo, s13
	s_cbranch_vccz .LBB25_1633
; %bb.1601:
	s_cmp_gt_i32 s11, 22
	s_cbranch_scc0 .LBB25_1611
; %bb.1602:
	s_cmp_lt_i32 s11, 24
	s_cbranch_scc1 .LBB25_1614
; %bb.1603:
	s_cmp_gt_i32 s11, 24
	s_cbranch_scc0 .LBB25_1615
; %bb.1604:
	global_load_u8 v5, v[8:9], off
	s_mov_b32 s12, exec_lo
	s_wait_loadcnt 0x0
	v_cmpx_lt_i16_e32 0x7f, v5
	s_xor_b32 s12, exec_lo, s12
	s_cbranch_execz .LBB25_1627
; %bb.1605:
	s_mov_b32 s7, -1
	s_mov_b32 s13, exec_lo
	v_cmpx_eq_u16_e32 0x80, v5
; %bb.1606:
	s_xor_b32 s7, exec_lo, -1
; %bb.1607:
	s_or_b32 exec_lo, exec_lo, s13
	s_delay_alu instid0(SALU_CYCLE_1)
	s_and_b32 s7, s7, exec_lo
	s_or_saveexec_b32 s12, s12
	v_mov_b32_e32 v10, 0x7e00
	s_xor_b32 exec_lo, exec_lo, s12
	s_cbranch_execnz .LBB25_1628
.LBB25_1608:
	s_or_b32 exec_lo, exec_lo, s12
	s_and_saveexec_b32 s12, s7
	s_cbranch_execz .LBB25_1610
.LBB25_1609:
	v_and_b32_e32 v7, 0xffff, v5
	s_delay_alu instid0(VALU_DEP_1) | instskip(SKIP_1) | instid1(VALU_DEP_2)
	v_dual_lshlrev_b32 v5, 24, v5 :: v_dual_bitop2_b32 v10, 3, v7 bitop3:0x40
	v_bfe_u32 v14, v7, 2, 5
	v_and_b32_e32 v5, 0x80000000, v5
	s_delay_alu instid0(VALU_DEP_3) | instskip(NEXT) | instid1(VALU_DEP_3)
	v_clz_i32_u32_e32 v11, v10
	v_cmp_eq_u32_e32 vcc_lo, 0, v14
	s_delay_alu instid0(VALU_DEP_2) | instskip(NEXT) | instid1(VALU_DEP_1)
	v_min_u32_e32 v11, 32, v11
	v_subrev_nc_u32_e32 v13, 29, v11
	v_sub_nc_u32_e32 v11, 30, v11
	s_delay_alu instid0(VALU_DEP_2) | instskip(NEXT) | instid1(VALU_DEP_2)
	v_lshlrev_b32_e32 v7, v13, v7
	v_cndmask_b32_e32 v11, v14, v11, vcc_lo
	s_delay_alu instid0(VALU_DEP_2) | instskip(NEXT) | instid1(VALU_DEP_1)
	v_and_b32_e32 v7, 3, v7
	v_cndmask_b32_e32 v7, v10, v7, vcc_lo
	s_delay_alu instid0(VALU_DEP_3) | instskip(NEXT) | instid1(VALU_DEP_2)
	v_lshl_add_u32 v10, v11, 23, 0x37800000
	v_lshlrev_b32_e32 v7, 21, v7
	s_delay_alu instid0(VALU_DEP_1) | instskip(NEXT) | instid1(VALU_DEP_1)
	v_or3_b32 v5, v5, v10, v7
	v_cvt_f16_f32_e32 v10, v5
.LBB25_1610:
	s_or_b32 exec_lo, exec_lo, s12
	s_mov_b32 s7, 0
	s_branch .LBB25_1616
.LBB25_1611:
	s_mov_b32 s7, -1
                                        ; implicit-def: $vgpr10
	s_branch .LBB25_1622
.LBB25_1612:
	s_or_saveexec_b32 s13, s13
	v_mov_b32_e32 v10, 0x7e00
	s_xor_b32 exec_lo, exec_lo, s13
	s_cbranch_execz .LBB25_1595
.LBB25_1613:
	v_cmp_ne_u16_e32 vcc_lo, 0, v5
	v_mov_b32_e32 v10, v5
	s_and_not1_b32 s12, s12, exec_lo
	s_and_b32 s14, vcc_lo, exec_lo
	s_delay_alu instid0(SALU_CYCLE_1)
	s_or_b32 s12, s12, s14
	s_or_b32 exec_lo, exec_lo, s13
	s_and_saveexec_b32 s13, s12
	s_cbranch_execnz .LBB25_1596
	s_branch .LBB25_1597
.LBB25_1614:
	s_mov_b32 s7, -1
                                        ; implicit-def: $vgpr10
	s_branch .LBB25_1619
.LBB25_1615:
	s_mov_b32 s7, -1
                                        ; implicit-def: $vgpr10
.LBB25_1616:
	s_delay_alu instid0(SALU_CYCLE_1)
	s_and_b32 vcc_lo, exec_lo, s7
	s_cbranch_vccz .LBB25_1618
; %bb.1617:
	global_load_u8 v5, v[8:9], off
	s_wait_loadcnt 0x0
	v_lshlrev_b32_e32 v5, 24, v5
	s_delay_alu instid0(VALU_DEP_1) | instskip(NEXT) | instid1(VALU_DEP_1)
	v_and_b32_e32 v7, 0x7f000000, v5
	v_clz_i32_u32_e32 v10, v7
	v_add_nc_u32_e32 v13, 0x1000000, v7
	v_cmp_ne_u32_e32 vcc_lo, 0, v7
	s_delay_alu instid0(VALU_DEP_3) | instskip(NEXT) | instid1(VALU_DEP_1)
	v_min_u32_e32 v10, 32, v10
	v_sub_nc_u32_e64 v10, v10, 4 clamp
	s_delay_alu instid0(VALU_DEP_1) | instskip(NEXT) | instid1(VALU_DEP_1)
	v_dual_lshlrev_b32 v11, v10, v7 :: v_dual_lshlrev_b32 v10, 23, v10
	v_lshrrev_b32_e32 v11, 4, v11
	s_delay_alu instid0(VALU_DEP_1) | instskip(NEXT) | instid1(VALU_DEP_1)
	v_dual_sub_nc_u32 v10, v11, v10 :: v_dual_ashrrev_i32 v11, 8, v13
	v_add_nc_u32_e32 v10, 0x3c000000, v10
	s_delay_alu instid0(VALU_DEP_1) | instskip(NEXT) | instid1(VALU_DEP_1)
	v_and_or_b32 v10, 0x7f800000, v11, v10
	v_cndmask_b32_e32 v7, 0, v10, vcc_lo
	s_delay_alu instid0(VALU_DEP_1) | instskip(NEXT) | instid1(VALU_DEP_1)
	v_and_or_b32 v5, 0x80000000, v5, v7
	v_cvt_f16_f32_e32 v10, v5
.LBB25_1618:
	s_mov_b32 s7, 0
.LBB25_1619:
	s_delay_alu instid0(SALU_CYCLE_1)
	s_and_not1_b32 vcc_lo, exec_lo, s7
	s_cbranch_vccnz .LBB25_1621
; %bb.1620:
	global_load_u8 v5, v[8:9], off
	s_wait_loadcnt 0x0
	v_lshlrev_b32_e32 v7, 25, v5
	v_lshlrev_b16 v5, 8, v5
	s_delay_alu instid0(VALU_DEP_1) | instskip(SKIP_1) | instid1(VALU_DEP_2)
	v_and_or_b32 v11, 0x7f00, v5, 0.5
	v_bfe_i32 v5, v5, 0, 16
	v_add_f32_e32 v11, -0.5, v11
	v_lshrrev_b32_e32 v10, 4, v7
	v_cmp_gt_u32_e32 vcc_lo, 0x8000000, v7
	s_delay_alu instid0(VALU_DEP_2) | instskip(NEXT) | instid1(VALU_DEP_1)
	v_or_b32_e32 v10, 0x70000000, v10
	v_mul_f32_e32 v10, 0x7800000, v10
	s_delay_alu instid0(VALU_DEP_1) | instskip(NEXT) | instid1(VALU_DEP_1)
	v_cndmask_b32_e32 v7, v10, v11, vcc_lo
	v_and_or_b32 v5, 0x80000000, v5, v7
	s_delay_alu instid0(VALU_DEP_1)
	v_cvt_f16_f32_e32 v10, v5
.LBB25_1621:
	s_mov_b32 s7, 0
	s_mov_b32 s12, -1
.LBB25_1622:
	s_and_not1_b32 vcc_lo, exec_lo, s7
	s_mov_b32 s7, 0
	s_cbranch_vccnz .LBB25_1633
; %bb.1623:
	s_cmp_gt_i32 s11, 14
	s_cbranch_scc0 .LBB25_1626
; %bb.1624:
	s_cmp_eq_u32 s11, 15
	s_cbranch_scc0 .LBB25_1629
; %bb.1625:
	global_load_u16 v5, v[8:9], off
	s_mov_b32 s6, 0
	s_mov_b32 s12, -1
	s_wait_loadcnt 0x0
	v_lshlrev_b32_e32 v5, 16, v5
	s_delay_alu instid0(VALU_DEP_1)
	v_cvt_f16_f32_e32 v10, v5
	s_branch .LBB25_1631
.LBB25_1626:
	s_mov_b32 s7, -1
	s_branch .LBB25_1630
.LBB25_1627:
	s_or_saveexec_b32 s12, s12
	v_mov_b32_e32 v10, 0x7e00
	s_xor_b32 exec_lo, exec_lo, s12
	s_cbranch_execz .LBB25_1608
.LBB25_1628:
	v_cmp_ne_u16_e32 vcc_lo, 0, v5
	v_mov_b32_e32 v10, v5
	s_and_not1_b32 s7, s7, exec_lo
	s_and_b32 s13, vcc_lo, exec_lo
	s_delay_alu instid0(SALU_CYCLE_1)
	s_or_b32 s7, s7, s13
	s_or_b32 exec_lo, exec_lo, s12
	s_and_saveexec_b32 s12, s7
	s_cbranch_execnz .LBB25_1609
	s_branch .LBB25_1610
.LBB25_1629:
	s_mov_b32 s6, -1
.LBB25_1630:
                                        ; implicit-def: $vgpr10
.LBB25_1631:
	s_and_b32 vcc_lo, exec_lo, s7
	s_mov_b32 s7, 0
	s_cbranch_vccz .LBB25_1633
; %bb.1632:
	s_cmp_lg_u32 s11, 11
	s_mov_b32 s7, -1
	s_cselect_b32 s6, -1, 0
.LBB25_1633:
	s_delay_alu instid0(SALU_CYCLE_1)
	s_and_b32 vcc_lo, exec_lo, s6
	s_cbranch_vccnz .LBB25_2169
; %bb.1634:
	s_and_not1_b32 vcc_lo, exec_lo, s7
	s_cbranch_vccnz .LBB25_1636
.LBB25_1635:
	global_load_u8 v5, v[8:9], off
	s_mov_b32 s12, -1
	s_wait_loadcnt 0x0
	v_cmp_ne_u16_e32 vcc_lo, 0, v5
	v_cndmask_b32_e64 v10, 0, 0x3c00, vcc_lo
.LBB25_1636:
	s_mov_b32 s6, 0
.LBB25_1637:
	s_delay_alu instid0(SALU_CYCLE_1)
	s_and_b32 vcc_lo, exec_lo, s6
	s_cbranch_vccz .LBB25_1686
; %bb.1638:
	s_cmp_lt_i32 s11, 5
	s_cbranch_scc1 .LBB25_1643
; %bb.1639:
	s_cmp_lt_i32 s11, 8
	s_cbranch_scc1 .LBB25_1644
	;; [unrolled: 3-line block ×3, first 2 shown]
; %bb.1641:
	s_cmp_gt_i32 s11, 9
	s_cbranch_scc0 .LBB25_1646
; %bb.1642:
	global_load_b64 v[10:11], v[8:9], off
	s_mov_b32 s6, 0
	s_wait_loadcnt 0x0
	v_and_or_b32 v5, 0x1ff, v11, v10
	v_lshrrev_b32_e32 v7, 8, v11
	v_bfe_u32 v10, v11, 20, 11
	s_delay_alu instid0(VALU_DEP_3) | instskip(NEXT) | instid1(VALU_DEP_2)
	v_cmp_ne_u32_e32 vcc_lo, 0, v5
	v_sub_nc_u32_e32 v13, 0x3f1, v10
	v_add_nc_u32_e32 v10, 0xfffffc10, v10
	v_cndmask_b32_e64 v5, 0, 1, vcc_lo
	s_delay_alu instid0(VALU_DEP_1) | instskip(NEXT) | instid1(VALU_DEP_4)
	v_and_or_b32 v5, 0xffe, v7, v5
	v_med3_i32 v7, v13, 0, 13
	s_delay_alu instid0(VALU_DEP_2) | instskip(NEXT) | instid1(VALU_DEP_1)
	v_or_b32_e32 v13, 0x1000, v5
	v_lshrrev_b32_e32 v14, v7, v13
	s_delay_alu instid0(VALU_DEP_1) | instskip(NEXT) | instid1(VALU_DEP_1)
	v_lshlrev_b32_e32 v7, v7, v14
	v_cmp_ne_u32_e32 vcc_lo, v7, v13
	v_lshl_or_b32 v13, v10, 12, v5
	v_cndmask_b32_e64 v7, 0, 1, vcc_lo
	v_cmp_gt_i32_e32 vcc_lo, 1, v10
	s_delay_alu instid0(VALU_DEP_2) | instskip(NEXT) | instid1(VALU_DEP_1)
	v_or_b32_e32 v7, v14, v7
	v_cndmask_b32_e32 v7, v13, v7, vcc_lo
	s_delay_alu instid0(VALU_DEP_1) | instskip(NEXT) | instid1(VALU_DEP_1)
	v_dual_lshrrev_b32 v7, 2, v7 :: v_dual_bitop2_b32 v13, 7, v7 bitop3:0x40
	v_cmp_lt_i32_e32 vcc_lo, 5, v13
	v_cndmask_b32_e64 v14, 0, 1, vcc_lo
	v_cmp_eq_u32_e32 vcc_lo, 3, v13
	v_cndmask_b32_e64 v13, 0, 1, vcc_lo
	v_cmp_ne_u32_e32 vcc_lo, 0, v5
	s_delay_alu instid0(VALU_DEP_2) | instskip(NEXT) | instid1(VALU_DEP_1)
	v_or_b32_e32 v13, v13, v14
	v_dual_mov_b32 v14, 0x7e00 :: v_dual_add_nc_u32 v7, v7, v13
	s_delay_alu instid0(VALU_DEP_1) | instskip(SKIP_1) | instid1(VALU_DEP_3)
	v_cndmask_b32_e32 v5, 0x7c00, v14, vcc_lo
	v_cmp_gt_i32_e32 vcc_lo, 31, v10
	v_cndmask_b32_e32 v7, 0x7c00, v7, vcc_lo
	v_cmp_eq_u32_e32 vcc_lo, 0x40f, v10
	s_delay_alu instid0(VALU_DEP_2) | instskip(NEXT) | instid1(VALU_DEP_1)
	v_dual_cndmask_b32 v5, v7, v5, vcc_lo :: v_dual_lshrrev_b32 v7, 16, v11
	v_and_or_b32 v10, 0x8000, v7, v5
	s_branch .LBB25_1647
.LBB25_1643:
	s_mov_b32 s6, -1
                                        ; implicit-def: $vgpr10
	s_branch .LBB25_1665
.LBB25_1644:
	s_mov_b32 s6, -1
                                        ; implicit-def: $vgpr10
	s_branch .LBB25_1653
.LBB25_1645:
	s_mov_b32 s6, -1
                                        ; implicit-def: $vgpr10
	s_branch .LBB25_1650
.LBB25_1646:
	s_mov_b32 s6, -1
                                        ; implicit-def: $vgpr10
.LBB25_1647:
	s_delay_alu instid0(SALU_CYCLE_1)
	s_and_not1_b32 vcc_lo, exec_lo, s6
	s_cbranch_vccnz .LBB25_1649
; %bb.1648:
	global_load_b32 v5, v[8:9], off
	s_wait_loadcnt 0x0
	v_cvt_f16_f32_e32 v10, v5
.LBB25_1649:
	s_mov_b32 s6, 0
.LBB25_1650:
	s_delay_alu instid0(SALU_CYCLE_1)
	s_and_not1_b32 vcc_lo, exec_lo, s6
	s_cbranch_vccnz .LBB25_1652
; %bb.1651:
	global_load_b32 v10, v[8:9], off
.LBB25_1652:
	s_mov_b32 s6, 0
.LBB25_1653:
	s_delay_alu instid0(SALU_CYCLE_1)
	s_and_not1_b32 vcc_lo, exec_lo, s6
	s_cbranch_vccnz .LBB25_1664
; %bb.1654:
	s_cmp_lt_i32 s11, 6
	s_cbranch_scc1 .LBB25_1657
; %bb.1655:
	s_cmp_gt_i32 s11, 6
	s_cbranch_scc0 .LBB25_1658
; %bb.1656:
	s_wait_loadcnt 0x0
	global_load_b64 v[10:11], v[8:9], off
	s_mov_b32 s6, 0
	s_wait_loadcnt 0x0
	v_and_or_b32 v5, 0x1ff, v11, v10
	v_lshrrev_b32_e32 v7, 8, v11
	v_bfe_u32 v10, v11, 20, 11
	s_delay_alu instid0(VALU_DEP_3) | instskip(NEXT) | instid1(VALU_DEP_2)
	v_cmp_ne_u32_e32 vcc_lo, 0, v5
	v_sub_nc_u32_e32 v13, 0x3f1, v10
	v_add_nc_u32_e32 v10, 0xfffffc10, v10
	v_cndmask_b32_e64 v5, 0, 1, vcc_lo
	s_delay_alu instid0(VALU_DEP_1) | instskip(NEXT) | instid1(VALU_DEP_4)
	v_and_or_b32 v5, 0xffe, v7, v5
	v_med3_i32 v7, v13, 0, 13
	s_delay_alu instid0(VALU_DEP_2) | instskip(NEXT) | instid1(VALU_DEP_1)
	v_or_b32_e32 v13, 0x1000, v5
	v_lshrrev_b32_e32 v14, v7, v13
	s_delay_alu instid0(VALU_DEP_1) | instskip(NEXT) | instid1(VALU_DEP_1)
	v_lshlrev_b32_e32 v7, v7, v14
	v_cmp_ne_u32_e32 vcc_lo, v7, v13
	v_lshl_or_b32 v13, v10, 12, v5
	v_cndmask_b32_e64 v7, 0, 1, vcc_lo
	v_cmp_gt_i32_e32 vcc_lo, 1, v10
	s_delay_alu instid0(VALU_DEP_2) | instskip(NEXT) | instid1(VALU_DEP_1)
	v_or_b32_e32 v7, v14, v7
	v_cndmask_b32_e32 v7, v13, v7, vcc_lo
	s_delay_alu instid0(VALU_DEP_1) | instskip(NEXT) | instid1(VALU_DEP_1)
	v_dual_lshrrev_b32 v7, 2, v7 :: v_dual_bitop2_b32 v13, 7, v7 bitop3:0x40
	v_cmp_lt_i32_e32 vcc_lo, 5, v13
	v_cndmask_b32_e64 v14, 0, 1, vcc_lo
	v_cmp_eq_u32_e32 vcc_lo, 3, v13
	v_cndmask_b32_e64 v13, 0, 1, vcc_lo
	v_cmp_ne_u32_e32 vcc_lo, 0, v5
	s_delay_alu instid0(VALU_DEP_2) | instskip(NEXT) | instid1(VALU_DEP_1)
	v_or_b32_e32 v13, v13, v14
	v_dual_mov_b32 v14, 0x7e00 :: v_dual_add_nc_u32 v7, v7, v13
	s_delay_alu instid0(VALU_DEP_1) | instskip(SKIP_1) | instid1(VALU_DEP_3)
	v_cndmask_b32_e32 v5, 0x7c00, v14, vcc_lo
	v_cmp_gt_i32_e32 vcc_lo, 31, v10
	v_cndmask_b32_e32 v7, 0x7c00, v7, vcc_lo
	v_cmp_eq_u32_e32 vcc_lo, 0x40f, v10
	s_delay_alu instid0(VALU_DEP_2) | instskip(NEXT) | instid1(VALU_DEP_1)
	v_dual_cndmask_b32 v5, v7, v5, vcc_lo :: v_dual_lshrrev_b32 v7, 16, v11
	v_and_or_b32 v10, 0x8000, v7, v5
	s_branch .LBB25_1659
.LBB25_1657:
	s_mov_b32 s6, -1
                                        ; implicit-def: $vgpr10
	s_branch .LBB25_1662
.LBB25_1658:
	s_mov_b32 s6, -1
                                        ; implicit-def: $vgpr10
.LBB25_1659:
	s_delay_alu instid0(SALU_CYCLE_1)
	s_and_not1_b32 vcc_lo, exec_lo, s6
	s_cbranch_vccnz .LBB25_1661
; %bb.1660:
	global_load_b32 v5, v[8:9], off
	s_wait_loadcnt 0x0
	v_cvt_f16_f32_e32 v10, v5
.LBB25_1661:
	s_mov_b32 s6, 0
.LBB25_1662:
	s_delay_alu instid0(SALU_CYCLE_1)
	s_and_not1_b32 vcc_lo, exec_lo, s6
	s_cbranch_vccnz .LBB25_1664
; %bb.1663:
	s_wait_loadcnt 0x0
	global_load_u16 v10, v[8:9], off
.LBB25_1664:
	s_mov_b32 s6, 0
.LBB25_1665:
	s_delay_alu instid0(SALU_CYCLE_1)
	s_and_not1_b32 vcc_lo, exec_lo, s6
	s_cbranch_vccnz .LBB25_1685
; %bb.1666:
	s_cmp_lt_i32 s11, 2
	s_cbranch_scc1 .LBB25_1670
; %bb.1667:
	s_cmp_lt_i32 s11, 3
	s_cbranch_scc1 .LBB25_1671
; %bb.1668:
	s_cmp_gt_i32 s11, 3
	s_cbranch_scc0 .LBB25_1672
; %bb.1669:
	s_wait_loadcnt 0x0
	global_load_b64 v[10:11], v[8:9], off
	s_mov_b32 s6, 0
	s_wait_loadcnt 0x0
	v_xor_b32_e32 v5, v10, v11
	v_cls_i32_e32 v7, v11
	s_delay_alu instid0(VALU_DEP_2) | instskip(NEXT) | instid1(VALU_DEP_1)
	v_ashrrev_i32_e32 v5, 31, v5
	v_add_nc_u32_e32 v5, 32, v5
	s_delay_alu instid0(VALU_DEP_1) | instskip(NEXT) | instid1(VALU_DEP_1)
	v_add_min_u32_e64 v5, v7, -1, v5
	v_lshlrev_b64_e32 v[10:11], v5, v[10:11]
	v_sub_nc_u32_e32 v5, 32, v5
	s_delay_alu instid0(VALU_DEP_2) | instskip(NEXT) | instid1(VALU_DEP_1)
	v_min_u32_e32 v7, 1, v10
	v_or_b32_e32 v7, v11, v7
	s_delay_alu instid0(VALU_DEP_1) | instskip(NEXT) | instid1(VALU_DEP_1)
	v_cvt_f32_i32_e32 v7, v7
	v_ldexp_f32 v5, v7, v5
	s_delay_alu instid0(VALU_DEP_1)
	v_cvt_f16_f32_e32 v10, v5
	s_branch .LBB25_1673
.LBB25_1670:
	s_mov_b32 s6, -1
                                        ; implicit-def: $vgpr10
	s_branch .LBB25_1679
.LBB25_1671:
	s_mov_b32 s6, -1
                                        ; implicit-def: $vgpr10
	s_branch .LBB25_1676
.LBB25_1672:
	s_mov_b32 s6, -1
                                        ; implicit-def: $vgpr10
.LBB25_1673:
	s_delay_alu instid0(SALU_CYCLE_1)
	s_and_not1_b32 vcc_lo, exec_lo, s6
	s_cbranch_vccnz .LBB25_1675
; %bb.1674:
	global_load_b32 v5, v[8:9], off
	s_wait_loadcnt 0x0
	v_cvt_f32_i32_e32 v5, v5
	s_delay_alu instid0(VALU_DEP_1)
	v_cvt_f16_f32_e32 v10, v5
.LBB25_1675:
	s_mov_b32 s6, 0
.LBB25_1676:
	s_delay_alu instid0(SALU_CYCLE_1)
	s_and_not1_b32 vcc_lo, exec_lo, s6
	s_cbranch_vccnz .LBB25_1678
; %bb.1677:
	global_load_u16 v5, v[8:9], off
	s_wait_loadcnt 0x0
	v_cvt_f16_i16_e32 v10, v5
.LBB25_1678:
	s_mov_b32 s6, 0
.LBB25_1679:
	s_delay_alu instid0(SALU_CYCLE_1)
	s_and_not1_b32 vcc_lo, exec_lo, s6
	s_cbranch_vccnz .LBB25_1685
; %bb.1680:
	s_cmp_gt_i32 s11, 0
	s_mov_b32 s6, 0
	s_cbranch_scc0 .LBB25_1682
; %bb.1681:
	global_load_i8 v5, v[8:9], off
	s_wait_loadcnt 0x0
	v_cvt_f16_i16_e32 v10, v5
	s_branch .LBB25_1683
.LBB25_1682:
	s_mov_b32 s6, -1
                                        ; implicit-def: $vgpr10
.LBB25_1683:
	s_delay_alu instid0(SALU_CYCLE_1)
	s_and_not1_b32 vcc_lo, exec_lo, s6
	s_cbranch_vccnz .LBB25_1685
; %bb.1684:
	global_load_u8 v5, v[8:9], off
	s_wait_loadcnt 0x0
	v_cvt_f16_u16_e32 v10, v5
.LBB25_1685:
	s_mov_b32 s12, -1
.LBB25_1686:
	s_delay_alu instid0(SALU_CYCLE_1)
	s_and_not1_b32 vcc_lo, exec_lo, s12
	s_cbranch_vccnz .LBB25_1767
; %bb.1687:
	s_wait_loadcnt 0x0
	v_cvt_f32_f16_e32 v5, v10
	s_delay_alu instid0(VALU_DEP_1) | instskip(NEXT) | instid1(VALU_DEP_1)
	v_mul_f32_e32 v5, s0, v5
	v_cmp_nlt_f32_e32 vcc_lo, s1, v5
	s_wait_xcnt 0x0
	s_and_saveexec_b32 s1, vcc_lo
	s_cbranch_execz .LBB25_1689
; %bb.1688:
	v_mul_f32_e32 v7, 0x3fb8aa3b, v5
	v_cmp_ngt_f32_e32 vcc_lo, 0xc2ce8ed0, v5
	s_mov_b32 s6, 0x3e9b6dac
	s_delay_alu instid0(VALU_DEP_2) | instskip(SKIP_1) | instid1(VALU_DEP_2)
	v_rndne_f32_e32 v8, v7
	v_fma_f32 v9, 0x3fb8aa3b, v5, -v7
	v_sub_f32_e32 v7, v7, v8
	s_delay_alu instid0(VALU_DEP_2) | instskip(SKIP_1) | instid1(VALU_DEP_2)
	v_fmamk_f32 v9, v5, 0x32a5705f, v9
	v_cvt_i32_f32_e32 v8, v8
	v_add_f32_e32 v7, v7, v9
	s_delay_alu instid0(VALU_DEP_1) | instskip(SKIP_1) | instid1(TRANS32_DEP_1)
	v_exp_f32_e32 v7, v7
	v_nop
	v_ldexp_f32 v7, v7, v8
	s_delay_alu instid0(VALU_DEP_1) | instskip(SKIP_1) | instid1(VALU_DEP_2)
	v_cndmask_b32_e32 v7, 0, v7, vcc_lo
	v_cmp_nlt_f32_e32 vcc_lo, 0x42b17218, v5
	v_cndmask_b32_e32 v7, 0x7f800000, v7, vcc_lo
	s_delay_alu instid0(VALU_DEP_1) | instskip(NEXT) | instid1(VALU_DEP_1)
	v_add_f32_e32 v5, 1.0, v7
	v_cvt_f64_f32_e32 v[8:9], v5
	s_delay_alu instid0(VALU_DEP_1) | instskip(SKIP_1) | instid1(VALU_DEP_1)
	v_frexp_exp_i32_f64_e32 v8, v[8:9]
	v_frexp_mant_f32_e32 v9, v5
	v_cmp_gt_f32_e32 vcc_lo, 0x3f2aaaab, v9
	s_delay_alu instid0(VALU_DEP_3) | instskip(SKIP_1) | instid1(VALU_DEP_2)
	v_subrev_co_ci_u32_e64 v13, null, 0, v8, vcc_lo
	v_add_f32_e32 v8, -1.0, v5
	v_sub_nc_u32_e32 v9, 0, v13
	s_delay_alu instid0(VALU_DEP_2) | instskip(NEXT) | instid1(VALU_DEP_2)
	v_dual_sub_f32 v10, v8, v5 :: v_dual_sub_f32 v8, v7, v8
	v_ldexp_f32 v5, v5, v9
	s_delay_alu instid0(VALU_DEP_1) | instskip(NEXT) | instid1(VALU_DEP_1)
	v_dual_add_f32 v10, 1.0, v10 :: v_dual_add_f32 v11, 1.0, v5
	v_dual_add_f32 v15, -1.0, v5 :: v_dual_add_f32 v8, v8, v10
	v_cmp_neq_f32_e32 vcc_lo, 0x7f800000, v7
	s_delay_alu instid0(VALU_DEP_3) | instskip(NEXT) | instid1(VALU_DEP_3)
	v_add_f32_e32 v10, -1.0, v11
	v_ldexp_f32 v8, v8, v9
	s_delay_alu instid0(VALU_DEP_2) | instskip(NEXT) | instid1(VALU_DEP_1)
	v_dual_sub_f32 v9, v5, v10 :: v_dual_add_f32 v10, 1.0, v15
	v_dual_add_f32 v14, v8, v9 :: v_dual_sub_f32 v5, v5, v10
	s_delay_alu instid0(VALU_DEP_1) | instskip(NEXT) | instid1(VALU_DEP_1)
	v_dual_add_f32 v16, v11, v14 :: v_dual_add_f32 v5, v8, v5
	v_rcp_f32_e32 v17, v16
	s_delay_alu instid0(VALU_DEP_1)
	v_add_f32_e32 v9, v15, v5
	s_delay_alu instid0(TRANS32_DEP_1) | instid1(VALU_DEP_1)
	v_dual_sub_f32 v8, v11, v16 :: v_dual_mul_f32 v18, v9, v17
	s_delay_alu instid0(VALU_DEP_1) | instskip(NEXT) | instid1(VALU_DEP_1)
	v_dual_mul_f32 v10, v16, v18 :: v_dual_add_f32 v19, v14, v8
	v_dual_sub_f32 v20, v15, v9 :: v_dual_fma_f32 v14, v18, v16, -v10
	s_delay_alu instid0(VALU_DEP_1) | instskip(NEXT) | instid1(VALU_DEP_1)
	v_dual_add_f32 v5, v5, v20 :: v_dual_fmac_f32 v14, v18, v19
	v_add_f32_e32 v8, v10, v14
	s_delay_alu instid0(VALU_DEP_1) | instskip(NEXT) | instid1(VALU_DEP_1)
	v_dual_sub_f32 v11, v9, v8 :: v_dual_mov_b32 v15, v8
	v_pk_add_f32 v[8:9], v[8:9], v[10:11] neg_lo:[0,1] neg_hi:[0,1]
	s_delay_alu instid0(VALU_DEP_1) | instskip(NEXT) | instid1(VALU_DEP_1)
	v_pk_add_f32 v[8:9], v[8:9], v[14:15] neg_lo:[0,1] neg_hi:[0,1]
	v_add_f32_e32 v5, v5, v9
	s_delay_alu instid0(VALU_DEP_1) | instskip(NEXT) | instid1(VALU_DEP_1)
	v_add_f32_e32 v5, v8, v5
	v_add_f32_e32 v9, v11, v5
	s_delay_alu instid0(VALU_DEP_1) | instskip(NEXT) | instid1(VALU_DEP_1)
	v_mul_f32_e32 v20, v17, v9
	v_mul_f32_e32 v14, v16, v20
	s_delay_alu instid0(VALU_DEP_1) | instskip(NEXT) | instid1(VALU_DEP_1)
	v_dual_fma_f32 v10, v20, v16, -v14 :: v_dual_sub_f32 v16, v11, v9
	v_fmac_f32_e32 v10, v20, v19
	s_delay_alu instid0(VALU_DEP_1) | instskip(NEXT) | instid1(VALU_DEP_1)
	v_dual_add_f32 v8, v14, v10 :: v_dual_add_f32 v5, v5, v16
	v_dual_mov_b32 v11, v8 :: v_dual_sub_f32 v15, v9, v8
	s_delay_alu instid0(VALU_DEP_1) | instskip(SKIP_1) | instid1(VALU_DEP_2)
	v_pk_add_f32 v[8:9], v[8:9], v[14:15] neg_lo:[0,1] neg_hi:[0,1]
	v_add_f32_e32 v14, v18, v20
	v_pk_add_f32 v[8:9], v[8:9], v[10:11] neg_lo:[0,1] neg_hi:[0,1]
	v_cvt_f32_i32_e32 v10, v13
	s_delay_alu instid0(VALU_DEP_2) | instskip(NEXT) | instid1(VALU_DEP_1)
	v_add_f32_e32 v5, v5, v9
	v_dual_add_f32 v5, v8, v5 :: v_dual_sub_f32 v8, v14, v18
	s_delay_alu instid0(VALU_DEP_1) | instskip(NEXT) | instid1(VALU_DEP_1)
	v_dual_add_f32 v5, v15, v5 :: v_dual_sub_f32 v8, v20, v8
	v_mul_f32_e32 v5, v17, v5
	s_delay_alu instid0(VALU_DEP_1) | instskip(NEXT) | instid1(VALU_DEP_1)
	v_dual_add_f32 v5, v8, v5 :: v_dual_mov_b32 v8, 0x3f317218
	v_add_f32_e32 v15, v14, v5
	s_delay_alu instid0(VALU_DEP_1) | instskip(NEXT) | instid1(VALU_DEP_1)
	v_mul_f32_e32 v9, v15, v15
	v_dual_fmaak_f32 v16, s6, v9, 0x3ecc95a3 :: v_dual_mul_f32 v11, v15, v9
	s_delay_alu instid0(VALU_DEP_1) | instskip(NEXT) | instid1(VALU_DEP_1)
	v_fmaak_f32 v9, v9, v16, 0x3f2aaada
	v_pk_mul_f32 v[8:9], v[10:11], v[8:9]
	v_ldexp_f32 v11, v15, 1
	s_delay_alu instid0(VALU_DEP_2) | instskip(SKIP_1) | instid1(VALU_DEP_2)
	v_fma_f32 v13, 0x3f317218, v10, -v8
	v_mov_b32_e32 v16, v8
	v_dual_fmamk_f32 v10, v10, 0xb102e308, v13 :: v_dual_sub_f32 v13, v15, v14
	s_delay_alu instid0(VALU_DEP_1) | instskip(NEXT) | instid1(VALU_DEP_1)
	v_pk_add_f32 v[14:15], v[8:9], v[10:11]
	v_dual_sub_f32 v5, v5, v13 :: v_dual_sub_f32 v11, v15, v11
	s_delay_alu instid0(VALU_DEP_1) | instskip(NEXT) | instid1(VALU_DEP_2)
	v_ldexp_f32 v5, v5, 1
	v_sub_f32_e32 v11, v9, v11
	s_delay_alu instid0(VALU_DEP_4) | instskip(NEXT) | instid1(VALU_DEP_2)
	v_pk_add_f32 v[8:9], v[14:15], v[8:9] neg_lo:[0,1] neg_hi:[0,1]
	v_dual_add_f32 v17, v5, v11 :: v_dual_mov_b32 v11, v14
	s_delay_alu instid0(VALU_DEP_1) | instskip(NEXT) | instid1(VALU_DEP_1)
	v_pk_add_f32 v[18:19], v[14:15], v[16:17]
	v_dual_mov_b32 v24, v15 :: v_dual_mov_b32 v9, v19
	s_delay_alu instid0(VALU_DEP_1) | instskip(NEXT) | instid1(VALU_DEP_1)
	v_pk_add_f32 v[20:21], v[10:11], v[8:9]
	v_dual_mov_b32 v20, v19 :: v_dual_mov_b32 v16, v21
	v_pk_add_f32 v[8:9], v[10:11], v[8:9] neg_lo:[0,1] neg_hi:[0,1]
	v_mov_b32_e32 v9, v21
	s_delay_alu instid0(VALU_DEP_3) | instskip(SKIP_1) | instid1(VALU_DEP_2)
	v_pk_add_f32 v[22:23], v[16:17], v[14:15] neg_lo:[0,1] neg_hi:[0,1]
	v_dual_mov_b32 v15, v14 :: v_dual_mov_b32 v14, v17
	v_dual_mov_b32 v5, v22 :: v_dual_mov_b32 v25, v22
	s_delay_alu instid0(VALU_DEP_1) | instskip(NEXT) | instid1(VALU_DEP_2)
	v_pk_add_f32 v[18:19], v[18:19], v[4:5] neg_lo:[0,1] neg_hi:[0,1]
	v_pk_add_f32 v[10:11], v[20:21], v[24:25] neg_lo:[0,1] neg_hi:[0,1]
	v_mov_b32_e32 v18, v8
	s_delay_alu instid0(VALU_DEP_2) | instskip(NEXT) | instid1(VALU_DEP_1)
	v_pk_add_f32 v[10:11], v[14:15], v[10:11] neg_lo:[0,1] neg_hi:[0,1]
	v_pk_add_f32 v[14:15], v[18:19], v[10:11]
	s_delay_alu instid0(VALU_DEP_1) | instskip(NEXT) | instid1(VALU_DEP_1)
	v_mov_b32_e32 v18, v15
	v_pk_add_f32 v[18:19], v[14:15], v[18:19]
	s_delay_alu instid0(VALU_DEP_1) | instskip(NEXT) | instid1(VALU_DEP_1)
	v_pk_add_f32 v[16:17], v[16:17], v[18:19]
	v_mov_b32_e32 v15, v16
	s_delay_alu instid0(VALU_DEP_1) | instskip(NEXT) | instid1(VALU_DEP_1)
	v_pk_add_f32 v[20:21], v[14:15], v[8:9] neg_lo:[0,1] neg_hi:[0,1]
	v_sub_f32_e32 v5, v14, v20
	s_delay_alu instid0(VALU_DEP_1) | instskip(NEXT) | instid1(VALU_DEP_1)
	v_dual_mov_b32 v11, v18 :: v_dual_sub_f32 v5, v8, v5
	v_pk_add_f32 v[10:11], v[10:11], v[20:21] neg_lo:[0,1] neg_hi:[0,1]
	s_delay_alu instid0(VALU_DEP_1) | instskip(NEXT) | instid1(VALU_DEP_1)
	v_add_f32_e32 v5, v10, v5
	v_add_f32_e32 v5, v5, v11
	s_delay_alu instid0(VALU_DEP_1) | instskip(NEXT) | instid1(VALU_DEP_1)
	v_add_f32_e32 v5, v16, v5
	v_cndmask_b32_e32 v5, 0x7f800000, v5, vcc_lo
	v_cmp_gt_f32_e64 vcc_lo, 0x33800000, |v7|
	s_delay_alu instid0(VALU_DEP_2) | instskip(NEXT) | instid1(VALU_DEP_1)
	v_cndmask_b32_e32 v5, v5, v7, vcc_lo
	v_div_scale_f32 v7, null, s0, s0, v5
	s_delay_alu instid0(VALU_DEP_1) | instskip(SKIP_1) | instid1(TRANS32_DEP_1)
	v_rcp_f32_e32 v8, v7
	v_nop
	v_fma_f32 v9, -v7, v8, 1.0
	s_delay_alu instid0(VALU_DEP_1) | instskip(SKIP_1) | instid1(VALU_DEP_1)
	v_fmac_f32_e32 v8, v9, v8
	v_div_scale_f32 v9, vcc_lo, v5, s0, v5
	v_mul_f32_e32 v10, v9, v8
	s_delay_alu instid0(VALU_DEP_1) | instskip(NEXT) | instid1(VALU_DEP_1)
	v_fma_f32 v11, -v7, v10, v9
	v_fmac_f32_e32 v10, v11, v8
	s_delay_alu instid0(VALU_DEP_1) | instskip(NEXT) | instid1(VALU_DEP_1)
	v_fma_f32 v7, -v7, v10, v9
	v_div_fmas_f32 v7, v7, v8, v10
	s_delay_alu instid0(VALU_DEP_1) | instskip(NEXT) | instid1(VALU_DEP_1)
	v_div_fixup_f32 v5, v7, s0, v5
	v_cvt_f16_f32_e32 v10, v5
.LBB25_1689:
	s_or_b32 exec_lo, exec_lo, s1
	s_load_b32 s0, s[2:3], 0x160
	v_mov_b32_e32 v7, 0
	s_delay_alu instid0(VALU_DEP_1) | instskip(SKIP_2) | instid1(SALU_CYCLE_1)
	v_add_nc_u64_e32 v[6:7], s[4:5], v[6:7]
	s_wait_kmcnt 0x0
	s_and_b32 s1, s0, 0xff
	s_cmp_lt_i32 s1, 11
	s_cbranch_scc1 .LBB25_1812
; %bb.1690:
	s_and_b32 s2, 0xffff, s1
	s_mov_b32 s7, -1
	s_mov_b32 s3, 0
	s_cmp_gt_i32 s2, 25
	s_mov_b32 s6, 0
	s_mov_b32 s0, 0
	s_cbranch_scc0 .LBB25_1723
; %bb.1691:
	s_cmp_gt_i32 s2, 28
	s_cbranch_scc0 .LBB25_1706
; %bb.1692:
	s_cmp_gt_i32 s2, 43
	;; [unrolled: 3-line block ×3, first 2 shown]
	s_cbranch_scc0 .LBB25_1696
; %bb.1694:
	s_mov_b32 s0, -1
	s_mov_b32 s7, 0
	s_cmp_eq_u32 s2, 46
	s_cbranch_scc0 .LBB25_1696
; %bb.1695:
	v_cvt_f32_f16_e32 v5, v1
	v_cmp_o_f16_e32 vcc_lo, v1, v1
	s_mov_b32 s0, 0
	s_mov_b32 s6, -1
	s_delay_alu instid0(VALU_DEP_2) | instskip(NEXT) | instid1(VALU_DEP_1)
	v_bfe_u32 v8, v5, 16, 1
	v_add3_u32 v5, v5, v8, 0x7fff
	s_delay_alu instid0(VALU_DEP_1) | instskip(NEXT) | instid1(VALU_DEP_1)
	v_lshrrev_b32_e32 v5, 16, v5
	v_cndmask_b32_e32 v5, 0x7fc0, v5, vcc_lo
	global_store_b32 v[6:7], v5, off
.LBB25_1696:
	s_and_b32 vcc_lo, exec_lo, s7
	s_cbranch_vccz .LBB25_1701
; %bb.1697:
	s_cmp_eq_u32 s2, 44
	s_mov_b32 s0, -1
	s_cbranch_scc0 .LBB25_1701
; %bb.1698:
	s_wait_xcnt 0x0
	v_cvt_f32_f16_e32 v5, v1
	v_mov_b32_e32 v8, 0xff
	s_mov_b32 s6, exec_lo
	s_delay_alu instid0(VALU_DEP_2) | instskip(NEXT) | instid1(VALU_DEP_1)
	v_bfe_u32 v9, v5, 23, 8
	v_cmpx_ne_u32_e32 0xff, v9
	s_cbranch_execz .LBB25_1700
; %bb.1699:
	v_and_b32_e32 v8, 0x400000, v5
	v_and_or_b32 v9, 0x3fffff, v5, v9
	v_lshrrev_b32_e32 v5, 23, v5
	s_delay_alu instid0(VALU_DEP_3) | instskip(NEXT) | instid1(VALU_DEP_3)
	v_cmp_ne_u32_e32 vcc_lo, 0, v8
	v_cmp_ne_u32_e64 s0, 0, v9
	s_and_b32 s0, vcc_lo, s0
	s_delay_alu instid0(SALU_CYCLE_1) | instskip(NEXT) | instid1(VALU_DEP_1)
	v_cndmask_b32_e64 v8, 0, 1, s0
	v_add_nc_u32_e32 v8, v5, v8
.LBB25_1700:
	s_or_b32 exec_lo, exec_lo, s6
	s_mov_b32 s0, 0
	s_mov_b32 s6, -1
	global_store_b8 v[6:7], v8, off
.LBB25_1701:
	s_mov_b32 s7, 0
.LBB25_1702:
	s_delay_alu instid0(SALU_CYCLE_1)
	s_and_b32 vcc_lo, exec_lo, s7
	s_cbranch_vccz .LBB25_1705
; %bb.1703:
	s_cmp_eq_u32 s2, 29
	s_mov_b32 s0, -1
	s_cbranch_scc0 .LBB25_1705
; %bb.1704:
	s_wait_xcnt 0x0
	v_cvt_f32_f16_e32 v5, v1
	v_mov_b32_e32 v9, 0
	s_mov_b32 s0, 0
	s_mov_b32 s6, -1
	s_delay_alu instid0(VALU_DEP_2)
	v_cvt_u32_f32_e32 v8, v5
	global_store_b64 v[6:7], v[8:9], off
.LBB25_1705:
	s_mov_b32 s7, 0
.LBB25_1706:
	s_delay_alu instid0(SALU_CYCLE_1)
	s_and_b32 vcc_lo, exec_lo, s7
	s_cbranch_vccz .LBB25_1722
; %bb.1707:
	s_cmp_lt_i32 s2, 27
	s_mov_b32 s6, -1
	s_cbranch_scc1 .LBB25_1713
; %bb.1708:
	s_cmp_gt_i32 s2, 27
	s_cbranch_scc0 .LBB25_1710
; %bb.1709:
	s_wait_xcnt 0x0
	v_cvt_f32_f16_e32 v5, v1
	s_mov_b32 s6, 0
	s_delay_alu instid0(VALU_DEP_1)
	v_cvt_u32_f32_e32 v5, v5
	global_store_b32 v[6:7], v5, off
.LBB25_1710:
	s_and_not1_b32 vcc_lo, exec_lo, s6
	s_cbranch_vccnz .LBB25_1712
; %bb.1711:
	s_wait_xcnt 0x0
	v_cvt_u16_f16_e32 v5, v1
	global_store_b16 v[6:7], v5, off
.LBB25_1712:
	s_mov_b32 s6, 0
.LBB25_1713:
	s_delay_alu instid0(SALU_CYCLE_1)
	s_and_not1_b32 vcc_lo, exec_lo, s6
	s_cbranch_vccnz .LBB25_1721
; %bb.1714:
	s_wait_xcnt 0x0
	v_cvt_f32_f16_e32 v5, v1
	v_mov_b32_e32 v9, 0x80
	s_mov_b32 s6, exec_lo
	s_delay_alu instid0(VALU_DEP_2) | instskip(NEXT) | instid1(VALU_DEP_1)
	v_and_b32_e32 v8, 0x7fffffff, v5
	v_cmpx_gt_u32_e32 0x43800000, v8
	s_cbranch_execz .LBB25_1720
; %bb.1715:
	v_cmp_lt_u32_e32 vcc_lo, 0x3bffffff, v8
	s_mov_b32 s7, 0
                                        ; implicit-def: $vgpr8
	s_and_saveexec_b32 s11, vcc_lo
	s_delay_alu instid0(SALU_CYCLE_1)
	s_xor_b32 s11, exec_lo, s11
	s_cbranch_execz .LBB25_2170
; %bb.1716:
	v_bfe_u32 v8, v5, 20, 1
	s_mov_b32 s7, exec_lo
	s_delay_alu instid0(VALU_DEP_1) | instskip(NEXT) | instid1(VALU_DEP_1)
	v_add3_u32 v8, v5, v8, 0x487ffff
	v_lshrrev_b32_e32 v8, 20, v8
	s_and_not1_saveexec_b32 s11, s11
	s_cbranch_execnz .LBB25_2171
.LBB25_1717:
	s_or_b32 exec_lo, exec_lo, s11
	v_mov_b32_e32 v9, 0
	s_and_saveexec_b32 s11, s7
.LBB25_1718:
	v_lshrrev_b32_e32 v5, 24, v5
	s_delay_alu instid0(VALU_DEP_1)
	v_and_or_b32 v9, 0x80, v5, v8
.LBB25_1719:
	s_or_b32 exec_lo, exec_lo, s11
.LBB25_1720:
	s_delay_alu instid0(SALU_CYCLE_1)
	s_or_b32 exec_lo, exec_lo, s6
	global_store_b8 v[6:7], v9, off
.LBB25_1721:
	s_mov_b32 s6, -1
.LBB25_1722:
	s_mov_b32 s7, 0
.LBB25_1723:
	s_delay_alu instid0(SALU_CYCLE_1)
	s_and_b32 vcc_lo, exec_lo, s7
	s_cbranch_vccz .LBB25_1763
; %bb.1724:
	s_cmp_gt_i32 s2, 22
	s_mov_b32 s3, -1
	s_cbranch_scc0 .LBB25_1756
; %bb.1725:
	s_cmp_lt_i32 s2, 24
	s_cbranch_scc1 .LBB25_1745
; %bb.1726:
	s_cmp_gt_i32 s2, 24
	s_cbranch_scc0 .LBB25_1734
; %bb.1727:
	s_wait_xcnt 0x0
	v_cvt_f32_f16_e32 v5, v1
	v_mov_b32_e32 v9, 0x80
	s_mov_b32 s3, exec_lo
	s_delay_alu instid0(VALU_DEP_2) | instskip(NEXT) | instid1(VALU_DEP_1)
	v_and_b32_e32 v8, 0x7fffffff, v5
	v_cmpx_gt_u32_e32 0x47800000, v8
	s_cbranch_execz .LBB25_1733
; %bb.1728:
	v_cmp_lt_u32_e32 vcc_lo, 0x37ffffff, v8
	s_mov_b32 s6, 0
                                        ; implicit-def: $vgpr8
	s_and_saveexec_b32 s7, vcc_lo
	s_delay_alu instid0(SALU_CYCLE_1)
	s_xor_b32 s7, exec_lo, s7
	s_cbranch_execz .LBB25_2173
; %bb.1729:
	v_bfe_u32 v8, v5, 21, 1
	s_mov_b32 s6, exec_lo
	s_delay_alu instid0(VALU_DEP_1) | instskip(NEXT) | instid1(VALU_DEP_1)
	v_add3_u32 v8, v5, v8, 0x88fffff
	v_lshrrev_b32_e32 v8, 21, v8
	s_and_not1_saveexec_b32 s7, s7
	s_cbranch_execnz .LBB25_2174
.LBB25_1730:
	s_or_b32 exec_lo, exec_lo, s7
	v_mov_b32_e32 v9, 0
	s_and_saveexec_b32 s7, s6
.LBB25_1731:
	v_lshrrev_b32_e32 v5, 24, v5
	s_delay_alu instid0(VALU_DEP_1)
	v_and_or_b32 v9, 0x80, v5, v8
.LBB25_1732:
	s_or_b32 exec_lo, exec_lo, s7
.LBB25_1733:
	s_delay_alu instid0(SALU_CYCLE_1)
	s_or_b32 exec_lo, exec_lo, s3
	s_mov_b32 s3, 0
	global_store_b8 v[6:7], v9, off
.LBB25_1734:
	s_and_b32 vcc_lo, exec_lo, s3
	s_cbranch_vccz .LBB25_1744
; %bb.1735:
	s_wait_xcnt 0x0
	v_cvt_f32_f16_e32 v5, v1
	s_mov_b32 s3, exec_lo
                                        ; implicit-def: $vgpr8
	s_delay_alu instid0(VALU_DEP_1) | instskip(NEXT) | instid1(VALU_DEP_1)
	v_and_b32_e32 v9, 0x7fffffff, v5
	v_cmpx_gt_u32_e32 0x43f00000, v9
	s_xor_b32 s3, exec_lo, s3
	s_cbranch_execz .LBB25_1741
; %bb.1736:
	s_mov_b32 s6, exec_lo
                                        ; implicit-def: $vgpr8
	v_cmpx_lt_u32_e32 0x3c7fffff, v9
	s_xor_b32 s6, exec_lo, s6
; %bb.1737:
	v_bfe_u32 v8, v5, 20, 1
	s_delay_alu instid0(VALU_DEP_1) | instskip(NEXT) | instid1(VALU_DEP_1)
	v_add3_u32 v8, v5, v8, 0x407ffff
	v_and_b32_e32 v9, 0xff00000, v8
	v_lshrrev_b32_e32 v8, 20, v8
	s_delay_alu instid0(VALU_DEP_2) | instskip(NEXT) | instid1(VALU_DEP_2)
	v_cmp_ne_u32_e32 vcc_lo, 0x7f00000, v9
	v_cndmask_b32_e32 v8, 0x7e, v8, vcc_lo
; %bb.1738:
	s_and_not1_saveexec_b32 s6, s6
; %bb.1739:
	v_add_f32_e64 v8, 0x46800000, |v5|
; %bb.1740:
	s_or_b32 exec_lo, exec_lo, s6
                                        ; implicit-def: $vgpr9
.LBB25_1741:
	s_and_not1_saveexec_b32 s3, s3
; %bb.1742:
	v_mov_b32_e32 v8, 0x7f
	v_cmp_lt_u32_e32 vcc_lo, 0x7f800000, v9
	s_delay_alu instid0(VALU_DEP_2)
	v_cndmask_b32_e32 v8, 0x7e, v8, vcc_lo
; %bb.1743:
	s_or_b32 exec_lo, exec_lo, s3
	v_lshrrev_b32_e32 v5, 24, v5
	s_delay_alu instid0(VALU_DEP_1)
	v_and_or_b32 v5, 0x80, v5, v8
	global_store_b8 v[6:7], v5, off
.LBB25_1744:
	s_mov_b32 s3, 0
.LBB25_1745:
	s_delay_alu instid0(SALU_CYCLE_1)
	s_and_not1_b32 vcc_lo, exec_lo, s3
	s_cbranch_vccnz .LBB25_1755
; %bb.1746:
	s_wait_xcnt 0x0
	v_cvt_f32_f16_e32 v5, v1
	s_mov_b32 s3, exec_lo
                                        ; implicit-def: $vgpr8
	s_delay_alu instid0(VALU_DEP_1) | instskip(NEXT) | instid1(VALU_DEP_1)
	v_and_b32_e32 v9, 0x7fffffff, v5
	v_cmpx_gt_u32_e32 0x47800000, v9
	s_xor_b32 s3, exec_lo, s3
	s_cbranch_execz .LBB25_1752
; %bb.1747:
	s_mov_b32 s6, exec_lo
                                        ; implicit-def: $vgpr8
	v_cmpx_lt_u32_e32 0x387fffff, v9
	s_xor_b32 s6, exec_lo, s6
; %bb.1748:
	v_bfe_u32 v8, v5, 21, 1
	s_delay_alu instid0(VALU_DEP_1) | instskip(NEXT) | instid1(VALU_DEP_1)
	v_add3_u32 v8, v5, v8, 0x80fffff
	v_lshrrev_b32_e32 v8, 21, v8
; %bb.1749:
	s_and_not1_saveexec_b32 s6, s6
; %bb.1750:
	v_add_f32_e64 v8, 0x43000000, |v5|
; %bb.1751:
	s_or_b32 exec_lo, exec_lo, s6
                                        ; implicit-def: $vgpr9
.LBB25_1752:
	s_and_not1_saveexec_b32 s3, s3
; %bb.1753:
	v_mov_b32_e32 v8, 0x7f
	v_cmp_lt_u32_e32 vcc_lo, 0x7f800000, v9
	s_delay_alu instid0(VALU_DEP_2)
	v_cndmask_b32_e32 v8, 0x7c, v8, vcc_lo
; %bb.1754:
	s_or_b32 exec_lo, exec_lo, s3
	v_lshrrev_b32_e32 v5, 24, v5
	s_delay_alu instid0(VALU_DEP_1)
	v_and_or_b32 v5, 0x80, v5, v8
	global_store_b8 v[6:7], v5, off
.LBB25_1755:
	s_mov_b32 s3, 0
	s_mov_b32 s6, -1
.LBB25_1756:
	s_and_not1_b32 vcc_lo, exec_lo, s3
	s_mov_b32 s3, 0
	s_cbranch_vccnz .LBB25_1763
; %bb.1757:
	s_cmp_gt_i32 s2, 14
	s_mov_b32 s3, -1
	s_cbranch_scc0 .LBB25_1761
; %bb.1758:
	s_cmp_eq_u32 s2, 15
	s_mov_b32 s0, -1
	s_cbranch_scc0 .LBB25_1760
; %bb.1759:
	s_wait_xcnt 0x0
	v_cvt_f32_f16_e32 v5, v1
	v_cmp_o_f16_e32 vcc_lo, v1, v1
	s_mov_b32 s0, 0
	s_mov_b32 s6, -1
	s_delay_alu instid0(VALU_DEP_2) | instskip(NEXT) | instid1(VALU_DEP_1)
	v_bfe_u32 v8, v5, 16, 1
	v_add3_u32 v5, v5, v8, 0x7fff
	s_delay_alu instid0(VALU_DEP_1) | instskip(NEXT) | instid1(VALU_DEP_1)
	v_lshrrev_b32_e32 v5, 16, v5
	v_cndmask_b32_e32 v5, 0x7fc0, v5, vcc_lo
	global_store_b16 v[6:7], v5, off
.LBB25_1760:
	s_mov_b32 s3, 0
.LBB25_1761:
	s_delay_alu instid0(SALU_CYCLE_1)
	s_and_b32 vcc_lo, exec_lo, s3
	s_mov_b32 s3, 0
	s_cbranch_vccz .LBB25_1763
; %bb.1762:
	s_cmp_lg_u32 s2, 11
	s_mov_b32 s3, -1
	s_cselect_b32 s0, -1, 0
.LBB25_1763:
	s_delay_alu instid0(SALU_CYCLE_1)
	s_and_b32 vcc_lo, exec_lo, s0
	s_cbranch_vccnz .LBB25_2172
; %bb.1764:
	s_and_not1_b32 vcc_lo, exec_lo, s3
	s_cbranch_vccnz .LBB25_1766
.LBB25_1765:
	s_wait_xcnt 0x0
	v_and_b32_e32 v5, 0x7fff, v1
	s_mov_b32 s6, -1
	s_delay_alu instid0(VALU_DEP_1)
	v_cmp_ne_u16_e32 vcc_lo, 0, v5
	v_cndmask_b32_e64 v5, 0, 1, vcc_lo
	global_store_b8 v[6:7], v5, off
.LBB25_1766:
	s_mov_b32 s0, 0
	s_branch .LBB25_1813
.LBB25_1767:
	s_mov_b32 s0, 0
	s_mov_b32 s3, 0
                                        ; implicit-def: $vgpr2_vgpr3
                                        ; implicit-def: $sgpr1
                                        ; implicit-def: $vgpr10
.LBB25_1768:
	s_and_not1_b32 s2, s8, exec_lo
	s_and_b32 s4, s10, exec_lo
	s_and_b32 s0, s0, exec_lo
	;; [unrolled: 1-line block ×3, first 2 shown]
	s_or_b32 s8, s2, s4
.LBB25_1769:
	s_wait_xcnt 0x0
	s_or_b32 exec_lo, exec_lo, s9
	s_and_saveexec_b32 s2, s8
	s_cbranch_execz .LBB25_1772
; %bb.1770:
	; divergent unreachable
	s_or_b32 exec_lo, exec_lo, s2
	s_and_saveexec_b32 s2, s34
	s_delay_alu instid0(SALU_CYCLE_1)
	s_xor_b32 s2, exec_lo, s2
	s_cbranch_execnz .LBB25_1773
.LBB25_1771:
	s_or_b32 exec_lo, exec_lo, s2
	s_and_saveexec_b32 s2, s0
	s_cbranch_execnz .LBB25_1774
	s_branch .LBB25_1811
.LBB25_1772:
	s_or_b32 exec_lo, exec_lo, s2
	s_and_saveexec_b32 s2, s34
	s_delay_alu instid0(SALU_CYCLE_1)
	s_xor_b32 s2, exec_lo, s2
	s_cbranch_execz .LBB25_1771
.LBB25_1773:
	s_wait_loadcnt 0x0
	v_and_b32_e32 v0, 0x7fff, v10
	s_delay_alu instid0(VALU_DEP_1)
	v_cmp_ne_u16_e32 vcc_lo, 0, v0
	v_cndmask_b32_e64 v0, 0, 1, vcc_lo
	global_store_b8 v[2:3], v0, off
	s_wait_xcnt 0x0
	s_or_b32 exec_lo, exec_lo, s2
	s_and_saveexec_b32 s2, s0
	s_cbranch_execz .LBB25_1811
.LBB25_1774:
	s_sext_i32_i16 s2, s1
	s_mov_b32 s0, -1
	s_cmp_lt_i32 s2, 5
	s_cbranch_scc1 .LBB25_1795
; %bb.1775:
	s_cmp_lt_i32 s2, 8
	s_cbranch_scc1 .LBB25_1785
; %bb.1776:
	;; [unrolled: 3-line block ×3, first 2 shown]
	s_cmp_gt_i32 s2, 9
	s_cbranch_scc0 .LBB25_1779
; %bb.1778:
	s_wait_loadcnt 0x0
	v_cvt_f32_f16_e32 v0, v10
	v_mov_b32_e32 v6, 0
	s_mov_b32 s0, 0
	s_delay_alu instid0(VALU_DEP_2) | instskip(NEXT) | instid1(VALU_DEP_2)
	v_cvt_f64_f32_e32 v[4:5], v0
	v_mov_b32_e32 v7, v6
	global_store_b128 v[2:3], v[4:7], off
.LBB25_1779:
	s_and_not1_b32 vcc_lo, exec_lo, s0
	s_cbranch_vccnz .LBB25_1781
; %bb.1780:
	s_wait_loadcnt 0x0
	v_cvt_f32_f16_e32 v0, v10
	v_mov_b32_e32 v1, 0
	global_store_b64 v[2:3], v[0:1], off
.LBB25_1781:
	s_mov_b32 s0, 0
.LBB25_1782:
	s_delay_alu instid0(SALU_CYCLE_1)
	s_and_not1_b32 vcc_lo, exec_lo, s0
	s_cbranch_vccnz .LBB25_1784
; %bb.1783:
	s_wait_loadcnt 0x0
	v_and_b32_e32 v0, 0xffff, v10
	global_store_b32 v[2:3], v0, off
.LBB25_1784:
	s_mov_b32 s0, 0
.LBB25_1785:
	s_delay_alu instid0(SALU_CYCLE_1)
	s_and_not1_b32 vcc_lo, exec_lo, s0
	s_cbranch_vccnz .LBB25_1794
; %bb.1786:
	s_sext_i32_i16 s2, s1
	s_mov_b32 s0, -1
	s_cmp_lt_i32 s2, 6
	s_cbranch_scc1 .LBB25_1792
; %bb.1787:
	s_cmp_gt_i32 s2, 6
	s_cbranch_scc0 .LBB25_1789
; %bb.1788:
	s_wait_loadcnt 0x0
	v_cvt_f32_f16_e32 v0, v10
	s_mov_b32 s0, 0
	s_delay_alu instid0(VALU_DEP_1)
	v_cvt_f64_f32_e32 v[0:1], v0
	global_store_b64 v[2:3], v[0:1], off
.LBB25_1789:
	s_and_not1_b32 vcc_lo, exec_lo, s0
	s_cbranch_vccnz .LBB25_1791
; %bb.1790:
	s_wait_loadcnt 0x0
	v_cvt_f32_f16_e32 v0, v10
	global_store_b32 v[2:3], v0, off
.LBB25_1791:
	s_mov_b32 s0, 0
.LBB25_1792:
	s_delay_alu instid0(SALU_CYCLE_1)
	s_and_not1_b32 vcc_lo, exec_lo, s0
	s_cbranch_vccnz .LBB25_1794
; %bb.1793:
	s_wait_loadcnt 0x0
	global_store_b16 v[2:3], v10, off
.LBB25_1794:
	s_mov_b32 s0, 0
.LBB25_1795:
	s_delay_alu instid0(SALU_CYCLE_1)
	s_and_not1_b32 vcc_lo, exec_lo, s0
	s_cbranch_vccnz .LBB25_1811
; %bb.1796:
	s_sext_i32_i16 s2, s1
	s_mov_b32 s0, -1
	s_cmp_lt_i32 s2, 2
	s_cbranch_scc1 .LBB25_1806
; %bb.1797:
	s_cmp_lt_i32 s2, 3
	s_cbranch_scc1 .LBB25_1803
; %bb.1798:
	s_cmp_gt_i32 s2, 3
	s_cbranch_scc0 .LBB25_1800
; %bb.1799:
	s_wait_loadcnt 0x0
	v_cvt_f32_f16_e32 v0, v10
	s_mov_b32 s0, 0
	s_delay_alu instid0(VALU_DEP_1) | instskip(NEXT) | instid1(VALU_DEP_1)
	v_cvt_i32_f32_e32 v0, v0
	v_ashrrev_i32_e32 v1, 31, v0
	global_store_b64 v[2:3], v[0:1], off
.LBB25_1800:
	s_and_not1_b32 vcc_lo, exec_lo, s0
	s_cbranch_vccnz .LBB25_1802
; %bb.1801:
	s_wait_loadcnt 0x0
	v_cvt_f32_f16_e32 v0, v10
	s_delay_alu instid0(VALU_DEP_1)
	v_cvt_i32_f32_e32 v0, v0
	global_store_b32 v[2:3], v0, off
.LBB25_1802:
	s_mov_b32 s0, 0
.LBB25_1803:
	s_delay_alu instid0(SALU_CYCLE_1)
	s_and_not1_b32 vcc_lo, exec_lo, s0
	s_cbranch_vccnz .LBB25_1805
; %bb.1804:
	s_wait_loadcnt 0x0
	v_cvt_i16_f16_e32 v0, v10
	global_store_b16 v[2:3], v0, off
.LBB25_1805:
	s_mov_b32 s0, 0
.LBB25_1806:
	s_delay_alu instid0(SALU_CYCLE_1)
	s_and_not1_b32 vcc_lo, exec_lo, s0
	s_cbranch_vccnz .LBB25_1811
; %bb.1807:
	s_sext_i32_i16 s0, s1
	s_delay_alu instid0(SALU_CYCLE_1)
	s_cmp_gt_i32 s0, 0
	s_mov_b32 s0, -1
	s_cbranch_scc0 .LBB25_1809
; %bb.1808:
	s_wait_loadcnt 0x0
	v_cvt_i16_f16_e32 v0, v10
	s_mov_b32 s0, 0
	global_store_b8 v[2:3], v0, off
.LBB25_1809:
	s_and_not1_b32 vcc_lo, exec_lo, s0
	s_cbranch_vccnz .LBB25_1811
; %bb.1810:
	s_wait_loadcnt 0x0
	v_cvt_f32_f16_e32 v0, v10
	s_delay_alu instid0(VALU_DEP_1)
	v_cvt_i32_f32_e32 v0, v0
	global_store_b8 v[2:3], v0, off
	s_endpgm
.LBB25_1811:
	s_endpgm
.LBB25_1812:
	s_mov_b32 s0, -1
	s_mov_b32 s6, 0
.LBB25_1813:
	s_and_b32 vcc_lo, exec_lo, s0
	s_cbranch_vccz .LBB25_1852
; %bb.1814:
	s_and_b32 s0, 0xffff, s1
	s_mov_b32 s2, -1
	s_cmp_lt_i32 s0, 5
	s_cbranch_scc1 .LBB25_1835
; %bb.1815:
	s_cmp_lt_i32 s0, 8
	s_cbranch_scc1 .LBB25_1825
; %bb.1816:
	;; [unrolled: 3-line block ×3, first 2 shown]
	s_cmp_gt_i32 s0, 9
	s_cbranch_scc0 .LBB25_1819
; %bb.1818:
	s_wait_xcnt 0x0
	v_cvt_f32_f16_e32 v5, v1
	v_mov_b32_e32 v16, 0
	s_mov_b32 s2, 0
	s_delay_alu instid0(VALU_DEP_2) | instskip(NEXT) | instid1(VALU_DEP_2)
	v_cvt_f64_f32_e32 v[14:15], v5
	v_mov_b32_e32 v17, v16
	global_store_b128 v[6:7], v[14:17], off
.LBB25_1819:
	s_and_not1_b32 vcc_lo, exec_lo, s2
	s_cbranch_vccnz .LBB25_1821
; %bb.1820:
	s_wait_xcnt 0x0
	v_cvt_f32_f16_e32 v8, v1
	v_mov_b32_e32 v9, 0
	global_store_b64 v[6:7], v[8:9], off
.LBB25_1821:
	s_mov_b32 s2, 0
.LBB25_1822:
	s_delay_alu instid0(SALU_CYCLE_1)
	s_and_not1_b32 vcc_lo, exec_lo, s2
	s_cbranch_vccnz .LBB25_1824
; %bb.1823:
	s_wait_xcnt 0x0
	v_and_b32_e32 v5, 0xffff, v1
	global_store_b32 v[6:7], v5, off
.LBB25_1824:
	s_mov_b32 s2, 0
.LBB25_1825:
	s_delay_alu instid0(SALU_CYCLE_1)
	s_and_not1_b32 vcc_lo, exec_lo, s2
	s_cbranch_vccnz .LBB25_1834
; %bb.1826:
	s_cmp_lt_i32 s0, 6
	s_mov_b32 s2, -1
	s_cbranch_scc1 .LBB25_1832
; %bb.1827:
	s_cmp_gt_i32 s0, 6
	s_cbranch_scc0 .LBB25_1829
; %bb.1828:
	s_wait_xcnt 0x0
	v_cvt_f32_f16_e32 v5, v1
	s_mov_b32 s2, 0
	s_delay_alu instid0(VALU_DEP_1)
	v_cvt_f64_f32_e32 v[8:9], v5
	global_store_b64 v[6:7], v[8:9], off
.LBB25_1829:
	s_and_not1_b32 vcc_lo, exec_lo, s2
	s_cbranch_vccnz .LBB25_1831
; %bb.1830:
	s_wait_xcnt 0x0
	v_cvt_f32_f16_e32 v5, v1
	global_store_b32 v[6:7], v5, off
.LBB25_1831:
	s_mov_b32 s2, 0
.LBB25_1832:
	s_delay_alu instid0(SALU_CYCLE_1)
	s_and_not1_b32 vcc_lo, exec_lo, s2
	s_cbranch_vccnz .LBB25_1834
; %bb.1833:
	global_store_b16 v[6:7], v1, off
.LBB25_1834:
	s_mov_b32 s2, 0
.LBB25_1835:
	s_delay_alu instid0(SALU_CYCLE_1)
	s_and_not1_b32 vcc_lo, exec_lo, s2
	s_cbranch_vccnz .LBB25_1851
; %bb.1836:
	s_cmp_lt_i32 s0, 2
	s_mov_b32 s2, -1
	s_cbranch_scc1 .LBB25_1846
; %bb.1837:
	s_cmp_lt_i32 s0, 3
	s_cbranch_scc1 .LBB25_1843
; %bb.1838:
	s_cmp_gt_i32 s0, 3
	s_cbranch_scc0 .LBB25_1840
; %bb.1839:
	s_wait_xcnt 0x0
	v_cvt_f32_f16_e32 v5, v1
	s_mov_b32 s2, 0
	s_delay_alu instid0(VALU_DEP_1) | instskip(NEXT) | instid1(VALU_DEP_1)
	v_cvt_i32_f32_e32 v8, v5
	v_ashrrev_i32_e32 v9, 31, v8
	global_store_b64 v[6:7], v[8:9], off
.LBB25_1840:
	s_and_not1_b32 vcc_lo, exec_lo, s2
	s_cbranch_vccnz .LBB25_1842
; %bb.1841:
	s_wait_xcnt 0x0
	v_cvt_f32_f16_e32 v5, v1
	s_delay_alu instid0(VALU_DEP_1)
	v_cvt_i32_f32_e32 v5, v5
	global_store_b32 v[6:7], v5, off
.LBB25_1842:
	s_mov_b32 s2, 0
.LBB25_1843:
	s_delay_alu instid0(SALU_CYCLE_1)
	s_and_not1_b32 vcc_lo, exec_lo, s2
	s_cbranch_vccnz .LBB25_1845
; %bb.1844:
	s_wait_xcnt 0x0
	v_cvt_i16_f16_e32 v5, v1
	global_store_b16 v[6:7], v5, off
.LBB25_1845:
	s_mov_b32 s2, 0
.LBB25_1846:
	s_delay_alu instid0(SALU_CYCLE_1)
	s_and_not1_b32 vcc_lo, exec_lo, s2
	s_cbranch_vccnz .LBB25_1851
; %bb.1847:
	s_cmp_gt_i32 s0, 0
	s_mov_b32 s0, -1
	s_cbranch_scc0 .LBB25_1849
; %bb.1848:
	s_wait_xcnt 0x0
	v_cvt_i16_f16_e32 v5, v1
	s_mov_b32 s0, 0
	global_store_b8 v[6:7], v5, off
.LBB25_1849:
	s_and_not1_b32 vcc_lo, exec_lo, s0
	s_cbranch_vccnz .LBB25_1851
; %bb.1850:
	s_wait_xcnt 0x0
	v_cvt_f32_f16_e32 v1, v1
	s_delay_alu instid0(VALU_DEP_1)
	v_cvt_i32_f32_e32 v1, v1
	global_store_b8 v[6:7], v1, off
.LBB25_1851:
	s_mov_b32 s6, -1
.LBB25_1852:
	s_delay_alu instid0(SALU_CYCLE_1)
	s_and_not1_b32 vcc_lo, exec_lo, s6
	s_cbranch_vccnz .LBB25_2167
; %bb.1853:
	s_wait_xcnt 0x0
	v_mov_b32_e32 v5, 0
	s_and_b32 s2, 0xffff, s1
	s_delay_alu instid0(SALU_CYCLE_1) | instskip(NEXT) | instid1(VALU_DEP_1)
	s_cmp_lt_i32 s2, 11
	v_add_nc_u64_e32 v[4:5], s[4:5], v[4:5]
	s_cbranch_scc1 .LBB25_1931
; %bb.1854:
	s_mov_b32 s7, -1
	s_mov_b32 s3, 0
	s_cmp_gt_i32 s2, 25
	s_mov_b32 s6, 0
	s_mov_b32 s0, 0
	s_cbranch_scc0 .LBB25_1887
; %bb.1855:
	s_cmp_gt_i32 s2, 28
	s_cbranch_scc0 .LBB25_1870
; %bb.1856:
	s_cmp_gt_i32 s2, 43
	;; [unrolled: 3-line block ×3, first 2 shown]
	s_cbranch_scc0 .LBB25_1860
; %bb.1858:
	s_mov_b32 s0, -1
	s_mov_b32 s7, 0
	s_cmp_eq_u32 s2, 46
	s_cbranch_scc0 .LBB25_1860
; %bb.1859:
	v_cvt_f32_f16_e32 v1, v3
	v_cmp_o_f16_e32 vcc_lo, v3, v3
	s_mov_b32 s0, 0
	s_mov_b32 s6, -1
	s_delay_alu instid0(VALU_DEP_2) | instskip(NEXT) | instid1(VALU_DEP_1)
	v_bfe_u32 v6, v1, 16, 1
	v_add3_u32 v1, v1, v6, 0x7fff
	s_delay_alu instid0(VALU_DEP_1) | instskip(NEXT) | instid1(VALU_DEP_1)
	v_lshrrev_b32_e32 v1, 16, v1
	v_cndmask_b32_e32 v1, 0x7fc0, v1, vcc_lo
	global_store_b32 v[4:5], v1, off
.LBB25_1860:
	s_and_b32 vcc_lo, exec_lo, s7
	s_cbranch_vccz .LBB25_1865
; %bb.1861:
	s_cmp_eq_u32 s2, 44
	s_mov_b32 s0, -1
	s_cbranch_scc0 .LBB25_1865
; %bb.1862:
	s_wait_xcnt 0x0
	v_cvt_f32_f16_e32 v1, v3
	v_mov_b32_e32 v6, 0xff
	s_mov_b32 s6, exec_lo
	s_delay_alu instid0(VALU_DEP_2) | instskip(NEXT) | instid1(VALU_DEP_1)
	v_bfe_u32 v7, v1, 23, 8
	v_cmpx_ne_u32_e32 0xff, v7
	s_cbranch_execz .LBB25_1864
; %bb.1863:
	v_and_b32_e32 v6, 0x400000, v1
	v_and_or_b32 v7, 0x3fffff, v1, v7
	v_lshrrev_b32_e32 v1, 23, v1
	s_delay_alu instid0(VALU_DEP_3) | instskip(NEXT) | instid1(VALU_DEP_3)
	v_cmp_ne_u32_e32 vcc_lo, 0, v6
	v_cmp_ne_u32_e64 s0, 0, v7
	s_and_b32 s0, vcc_lo, s0
	s_delay_alu instid0(SALU_CYCLE_1) | instskip(NEXT) | instid1(VALU_DEP_1)
	v_cndmask_b32_e64 v6, 0, 1, s0
	v_add_nc_u32_e32 v6, v1, v6
.LBB25_1864:
	s_or_b32 exec_lo, exec_lo, s6
	s_mov_b32 s0, 0
	s_mov_b32 s6, -1
	global_store_b8 v[4:5], v6, off
.LBB25_1865:
	s_mov_b32 s7, 0
.LBB25_1866:
	s_delay_alu instid0(SALU_CYCLE_1)
	s_and_b32 vcc_lo, exec_lo, s7
	s_cbranch_vccz .LBB25_1869
; %bb.1867:
	s_cmp_eq_u32 s2, 29
	s_mov_b32 s0, -1
	s_cbranch_scc0 .LBB25_1869
; %bb.1868:
	s_wait_xcnt 0x0
	v_cvt_f32_f16_e32 v1, v3
	v_mov_b32_e32 v7, 0
	s_mov_b32 s0, 0
	s_mov_b32 s6, -1
	s_delay_alu instid0(VALU_DEP_2)
	v_cvt_u32_f32_e32 v6, v1
	global_store_b64 v[4:5], v[6:7], off
.LBB25_1869:
	s_mov_b32 s7, 0
.LBB25_1870:
	s_delay_alu instid0(SALU_CYCLE_1)
	s_and_b32 vcc_lo, exec_lo, s7
	s_cbranch_vccz .LBB25_1886
; %bb.1871:
	s_cmp_lt_i32 s2, 27
	s_mov_b32 s6, -1
	s_cbranch_scc1 .LBB25_1877
; %bb.1872:
	s_cmp_gt_i32 s2, 27
	s_cbranch_scc0 .LBB25_1874
; %bb.1873:
	s_wait_xcnt 0x0
	v_cvt_f32_f16_e32 v1, v3
	s_mov_b32 s6, 0
	s_delay_alu instid0(VALU_DEP_1)
	v_cvt_u32_f32_e32 v1, v1
	global_store_b32 v[4:5], v1, off
.LBB25_1874:
	s_and_not1_b32 vcc_lo, exec_lo, s6
	s_cbranch_vccnz .LBB25_1876
; %bb.1875:
	s_wait_xcnt 0x0
	v_cvt_u16_f16_e32 v1, v3
	global_store_b16 v[4:5], v1, off
.LBB25_1876:
	s_mov_b32 s6, 0
.LBB25_1877:
	s_delay_alu instid0(SALU_CYCLE_1)
	s_and_not1_b32 vcc_lo, exec_lo, s6
	s_cbranch_vccnz .LBB25_1885
; %bb.1878:
	s_wait_xcnt 0x0
	v_cvt_f32_f16_e32 v1, v3
	v_mov_b32_e32 v7, 0x80
	s_mov_b32 s6, exec_lo
	s_delay_alu instid0(VALU_DEP_2) | instskip(NEXT) | instid1(VALU_DEP_1)
	v_and_b32_e32 v6, 0x7fffffff, v1
	v_cmpx_gt_u32_e32 0x43800000, v6
	s_cbranch_execz .LBB25_1884
; %bb.1879:
	v_cmp_lt_u32_e32 vcc_lo, 0x3bffffff, v6
	s_mov_b32 s7, 0
                                        ; implicit-def: $vgpr6
	s_and_saveexec_b32 s11, vcc_lo
	s_delay_alu instid0(SALU_CYCLE_1)
	s_xor_b32 s11, exec_lo, s11
	s_cbranch_execz .LBB25_2175
; %bb.1880:
	v_bfe_u32 v6, v1, 20, 1
	s_mov_b32 s7, exec_lo
	s_delay_alu instid0(VALU_DEP_1) | instskip(NEXT) | instid1(VALU_DEP_1)
	v_add3_u32 v6, v1, v6, 0x487ffff
	v_lshrrev_b32_e32 v6, 20, v6
	s_and_not1_saveexec_b32 s11, s11
	s_cbranch_execnz .LBB25_2176
.LBB25_1881:
	s_or_b32 exec_lo, exec_lo, s11
	v_mov_b32_e32 v7, 0
	s_and_saveexec_b32 s11, s7
.LBB25_1882:
	v_lshrrev_b32_e32 v1, 24, v1
	s_delay_alu instid0(VALU_DEP_1)
	v_and_or_b32 v7, 0x80, v1, v6
.LBB25_1883:
	s_or_b32 exec_lo, exec_lo, s11
.LBB25_1884:
	s_delay_alu instid0(SALU_CYCLE_1)
	s_or_b32 exec_lo, exec_lo, s6
	global_store_b8 v[4:5], v7, off
.LBB25_1885:
	s_mov_b32 s6, -1
.LBB25_1886:
	s_mov_b32 s7, 0
.LBB25_1887:
	s_delay_alu instid0(SALU_CYCLE_1)
	s_and_b32 vcc_lo, exec_lo, s7
	s_cbranch_vccz .LBB25_1927
; %bb.1888:
	s_cmp_gt_i32 s2, 22
	s_mov_b32 s3, -1
	s_cbranch_scc0 .LBB25_1920
; %bb.1889:
	s_cmp_lt_i32 s2, 24
	s_cbranch_scc1 .LBB25_1909
; %bb.1890:
	s_cmp_gt_i32 s2, 24
	s_cbranch_scc0 .LBB25_1898
; %bb.1891:
	s_wait_xcnt 0x0
	v_cvt_f32_f16_e32 v1, v3
	v_mov_b32_e32 v7, 0x80
	s_mov_b32 s3, exec_lo
	s_delay_alu instid0(VALU_DEP_2) | instskip(NEXT) | instid1(VALU_DEP_1)
	v_and_b32_e32 v6, 0x7fffffff, v1
	v_cmpx_gt_u32_e32 0x47800000, v6
	s_cbranch_execz .LBB25_1897
; %bb.1892:
	v_cmp_lt_u32_e32 vcc_lo, 0x37ffffff, v6
	s_mov_b32 s6, 0
                                        ; implicit-def: $vgpr6
	s_and_saveexec_b32 s7, vcc_lo
	s_delay_alu instid0(SALU_CYCLE_1)
	s_xor_b32 s7, exec_lo, s7
	s_cbranch_execz .LBB25_2178
; %bb.1893:
	v_bfe_u32 v6, v1, 21, 1
	s_mov_b32 s6, exec_lo
	s_delay_alu instid0(VALU_DEP_1) | instskip(NEXT) | instid1(VALU_DEP_1)
	v_add3_u32 v6, v1, v6, 0x88fffff
	v_lshrrev_b32_e32 v6, 21, v6
	s_and_not1_saveexec_b32 s7, s7
	s_cbranch_execnz .LBB25_2179
.LBB25_1894:
	s_or_b32 exec_lo, exec_lo, s7
	v_mov_b32_e32 v7, 0
	s_and_saveexec_b32 s7, s6
.LBB25_1895:
	v_lshrrev_b32_e32 v1, 24, v1
	s_delay_alu instid0(VALU_DEP_1)
	v_and_or_b32 v7, 0x80, v1, v6
.LBB25_1896:
	s_or_b32 exec_lo, exec_lo, s7
.LBB25_1897:
	s_delay_alu instid0(SALU_CYCLE_1)
	s_or_b32 exec_lo, exec_lo, s3
	s_mov_b32 s3, 0
	global_store_b8 v[4:5], v7, off
.LBB25_1898:
	s_and_b32 vcc_lo, exec_lo, s3
	s_cbranch_vccz .LBB25_1908
; %bb.1899:
	s_wait_xcnt 0x0
	v_cvt_f32_f16_e32 v1, v3
	s_mov_b32 s3, exec_lo
                                        ; implicit-def: $vgpr6
	s_delay_alu instid0(VALU_DEP_1) | instskip(NEXT) | instid1(VALU_DEP_1)
	v_and_b32_e32 v7, 0x7fffffff, v1
	v_cmpx_gt_u32_e32 0x43f00000, v7
	s_xor_b32 s3, exec_lo, s3
	s_cbranch_execz .LBB25_1905
; %bb.1900:
	s_mov_b32 s6, exec_lo
                                        ; implicit-def: $vgpr6
	v_cmpx_lt_u32_e32 0x3c7fffff, v7
	s_xor_b32 s6, exec_lo, s6
; %bb.1901:
	v_bfe_u32 v6, v1, 20, 1
	s_delay_alu instid0(VALU_DEP_1) | instskip(NEXT) | instid1(VALU_DEP_1)
	v_add3_u32 v6, v1, v6, 0x407ffff
	v_and_b32_e32 v7, 0xff00000, v6
	v_lshrrev_b32_e32 v6, 20, v6
	s_delay_alu instid0(VALU_DEP_2) | instskip(NEXT) | instid1(VALU_DEP_2)
	v_cmp_ne_u32_e32 vcc_lo, 0x7f00000, v7
	v_cndmask_b32_e32 v6, 0x7e, v6, vcc_lo
; %bb.1902:
	s_and_not1_saveexec_b32 s6, s6
; %bb.1903:
	v_add_f32_e64 v6, 0x46800000, |v1|
; %bb.1904:
	s_or_b32 exec_lo, exec_lo, s6
                                        ; implicit-def: $vgpr7
.LBB25_1905:
	s_and_not1_saveexec_b32 s3, s3
; %bb.1906:
	v_mov_b32_e32 v6, 0x7f
	v_cmp_lt_u32_e32 vcc_lo, 0x7f800000, v7
	s_delay_alu instid0(VALU_DEP_2)
	v_cndmask_b32_e32 v6, 0x7e, v6, vcc_lo
; %bb.1907:
	s_or_b32 exec_lo, exec_lo, s3
	v_lshrrev_b32_e32 v1, 24, v1
	s_delay_alu instid0(VALU_DEP_1)
	v_and_or_b32 v1, 0x80, v1, v6
	global_store_b8 v[4:5], v1, off
.LBB25_1908:
	s_mov_b32 s3, 0
.LBB25_1909:
	s_delay_alu instid0(SALU_CYCLE_1)
	s_and_not1_b32 vcc_lo, exec_lo, s3
	s_cbranch_vccnz .LBB25_1919
; %bb.1910:
	s_wait_xcnt 0x0
	v_cvt_f32_f16_e32 v1, v3
	s_mov_b32 s3, exec_lo
                                        ; implicit-def: $vgpr6
	s_delay_alu instid0(VALU_DEP_1) | instskip(NEXT) | instid1(VALU_DEP_1)
	v_and_b32_e32 v7, 0x7fffffff, v1
	v_cmpx_gt_u32_e32 0x47800000, v7
	s_xor_b32 s3, exec_lo, s3
	s_cbranch_execz .LBB25_1916
; %bb.1911:
	s_mov_b32 s6, exec_lo
                                        ; implicit-def: $vgpr6
	v_cmpx_lt_u32_e32 0x387fffff, v7
	s_xor_b32 s6, exec_lo, s6
; %bb.1912:
	v_bfe_u32 v6, v1, 21, 1
	s_delay_alu instid0(VALU_DEP_1) | instskip(NEXT) | instid1(VALU_DEP_1)
	v_add3_u32 v6, v1, v6, 0x80fffff
	v_lshrrev_b32_e32 v6, 21, v6
; %bb.1913:
	s_and_not1_saveexec_b32 s6, s6
; %bb.1914:
	v_add_f32_e64 v6, 0x43000000, |v1|
; %bb.1915:
	s_or_b32 exec_lo, exec_lo, s6
                                        ; implicit-def: $vgpr7
.LBB25_1916:
	s_and_not1_saveexec_b32 s3, s3
; %bb.1917:
	v_mov_b32_e32 v6, 0x7f
	v_cmp_lt_u32_e32 vcc_lo, 0x7f800000, v7
	s_delay_alu instid0(VALU_DEP_2)
	v_cndmask_b32_e32 v6, 0x7c, v6, vcc_lo
; %bb.1918:
	s_or_b32 exec_lo, exec_lo, s3
	v_lshrrev_b32_e32 v1, 24, v1
	s_delay_alu instid0(VALU_DEP_1)
	v_and_or_b32 v1, 0x80, v1, v6
	global_store_b8 v[4:5], v1, off
.LBB25_1919:
	s_mov_b32 s3, 0
	s_mov_b32 s6, -1
.LBB25_1920:
	s_and_not1_b32 vcc_lo, exec_lo, s3
	s_mov_b32 s3, 0
	s_cbranch_vccnz .LBB25_1927
; %bb.1921:
	s_cmp_gt_i32 s2, 14
	s_mov_b32 s3, -1
	s_cbranch_scc0 .LBB25_1925
; %bb.1922:
	s_cmp_eq_u32 s2, 15
	s_mov_b32 s0, -1
	s_cbranch_scc0 .LBB25_1924
; %bb.1923:
	s_wait_xcnt 0x0
	v_cvt_f32_f16_e32 v1, v3
	v_cmp_o_f16_e32 vcc_lo, v3, v3
	s_mov_b32 s0, 0
	s_mov_b32 s6, -1
	s_delay_alu instid0(VALU_DEP_2) | instskip(NEXT) | instid1(VALU_DEP_1)
	v_bfe_u32 v6, v1, 16, 1
	v_add3_u32 v1, v1, v6, 0x7fff
	s_delay_alu instid0(VALU_DEP_1) | instskip(NEXT) | instid1(VALU_DEP_1)
	v_lshrrev_b32_e32 v1, 16, v1
	v_cndmask_b32_e32 v1, 0x7fc0, v1, vcc_lo
	global_store_b16 v[4:5], v1, off
.LBB25_1924:
	s_mov_b32 s3, 0
.LBB25_1925:
	s_delay_alu instid0(SALU_CYCLE_1)
	s_and_b32 vcc_lo, exec_lo, s3
	s_mov_b32 s3, 0
	s_cbranch_vccz .LBB25_1927
; %bb.1926:
	s_cmp_lg_u32 s2, 11
	s_mov_b32 s3, -1
	s_cselect_b32 s0, -1, 0
.LBB25_1927:
	s_delay_alu instid0(SALU_CYCLE_1)
	s_and_b32 vcc_lo, exec_lo, s0
	s_cbranch_vccnz .LBB25_2177
; %bb.1928:
	s_and_not1_b32 vcc_lo, exec_lo, s3
	s_cbranch_vccnz .LBB25_1930
.LBB25_1929:
	s_wait_xcnt 0x0
	v_and_b32_e32 v1, 0x7fff, v3
	s_mov_b32 s6, -1
	s_delay_alu instid0(VALU_DEP_1)
	v_cmp_ne_u16_e32 vcc_lo, 0, v1
	v_cndmask_b32_e64 v1, 0, 1, vcc_lo
	global_store_b8 v[4:5], v1, off
.LBB25_1930:
	s_mov_b32 s0, 0
	s_branch .LBB25_1932
.LBB25_1931:
	s_mov_b32 s0, -1
	s_mov_b32 s6, 0
.LBB25_1932:
	s_and_b32 vcc_lo, exec_lo, s0
	s_cbranch_vccz .LBB25_1971
; %bb.1933:
	s_cmp_lt_i32 s2, 5
	s_mov_b32 s0, -1
	s_cbranch_scc1 .LBB25_1954
; %bb.1934:
	s_cmp_lt_i32 s2, 8
	s_cbranch_scc1 .LBB25_1944
; %bb.1935:
	s_cmp_lt_i32 s2, 9
	s_cbranch_scc1 .LBB25_1941
; %bb.1936:
	s_cmp_gt_i32 s2, 9
	s_cbranch_scc0 .LBB25_1938
; %bb.1937:
	s_wait_xcnt 0x0
	v_cvt_f32_f16_e32 v1, v3
	v_mov_b32_e32 v8, 0
	s_mov_b32 s0, 0
	s_delay_alu instid0(VALU_DEP_2) | instskip(NEXT) | instid1(VALU_DEP_2)
	v_cvt_f64_f32_e32 v[6:7], v1
	v_mov_b32_e32 v9, v8
	global_store_b128 v[4:5], v[6:9], off
.LBB25_1938:
	s_and_not1_b32 vcc_lo, exec_lo, s0
	s_cbranch_vccnz .LBB25_1940
; %bb.1939:
	s_wait_xcnt 0x0
	v_cvt_f32_f16_e32 v6, v3
	v_mov_b32_e32 v7, 0
	global_store_b64 v[4:5], v[6:7], off
.LBB25_1940:
	s_mov_b32 s0, 0
.LBB25_1941:
	s_delay_alu instid0(SALU_CYCLE_1)
	s_and_not1_b32 vcc_lo, exec_lo, s0
	s_cbranch_vccnz .LBB25_1943
; %bb.1942:
	s_wait_xcnt 0x0
	v_and_b32_e32 v1, 0xffff, v3
	global_store_b32 v[4:5], v1, off
.LBB25_1943:
	s_mov_b32 s0, 0
.LBB25_1944:
	s_delay_alu instid0(SALU_CYCLE_1)
	s_and_not1_b32 vcc_lo, exec_lo, s0
	s_cbranch_vccnz .LBB25_1953
; %bb.1945:
	s_cmp_lt_i32 s2, 6
	s_mov_b32 s0, -1
	s_cbranch_scc1 .LBB25_1951
; %bb.1946:
	s_cmp_gt_i32 s2, 6
	s_cbranch_scc0 .LBB25_1948
; %bb.1947:
	s_wait_xcnt 0x0
	v_cvt_f32_f16_e32 v1, v3
	s_mov_b32 s0, 0
	s_delay_alu instid0(VALU_DEP_1)
	v_cvt_f64_f32_e32 v[6:7], v1
	global_store_b64 v[4:5], v[6:7], off
.LBB25_1948:
	s_and_not1_b32 vcc_lo, exec_lo, s0
	s_cbranch_vccnz .LBB25_1950
; %bb.1949:
	s_wait_xcnt 0x0
	v_cvt_f32_f16_e32 v1, v3
	global_store_b32 v[4:5], v1, off
.LBB25_1950:
	s_mov_b32 s0, 0
.LBB25_1951:
	s_delay_alu instid0(SALU_CYCLE_1)
	s_and_not1_b32 vcc_lo, exec_lo, s0
	s_cbranch_vccnz .LBB25_1953
; %bb.1952:
	global_store_b16 v[4:5], v3, off
.LBB25_1953:
	s_mov_b32 s0, 0
.LBB25_1954:
	s_delay_alu instid0(SALU_CYCLE_1)
	s_and_not1_b32 vcc_lo, exec_lo, s0
	s_cbranch_vccnz .LBB25_1970
; %bb.1955:
	s_cmp_lt_i32 s2, 2
	s_mov_b32 s0, -1
	s_cbranch_scc1 .LBB25_1965
; %bb.1956:
	s_cmp_lt_i32 s2, 3
	s_cbranch_scc1 .LBB25_1962
; %bb.1957:
	s_cmp_gt_i32 s2, 3
	s_cbranch_scc0 .LBB25_1959
; %bb.1958:
	s_wait_xcnt 0x0
	v_cvt_f32_f16_e32 v1, v3
	s_mov_b32 s0, 0
	s_delay_alu instid0(VALU_DEP_1) | instskip(NEXT) | instid1(VALU_DEP_1)
	v_cvt_i32_f32_e32 v6, v1
	v_ashrrev_i32_e32 v7, 31, v6
	global_store_b64 v[4:5], v[6:7], off
.LBB25_1959:
	s_and_not1_b32 vcc_lo, exec_lo, s0
	s_cbranch_vccnz .LBB25_1961
; %bb.1960:
	s_wait_xcnt 0x0
	v_cvt_f32_f16_e32 v1, v3
	s_delay_alu instid0(VALU_DEP_1)
	v_cvt_i32_f32_e32 v1, v1
	global_store_b32 v[4:5], v1, off
.LBB25_1961:
	s_mov_b32 s0, 0
.LBB25_1962:
	s_delay_alu instid0(SALU_CYCLE_1)
	s_and_not1_b32 vcc_lo, exec_lo, s0
	s_cbranch_vccnz .LBB25_1964
; %bb.1963:
	s_wait_xcnt 0x0
	v_cvt_i16_f16_e32 v1, v3
	global_store_b16 v[4:5], v1, off
.LBB25_1964:
	s_mov_b32 s0, 0
.LBB25_1965:
	s_delay_alu instid0(SALU_CYCLE_1)
	s_and_not1_b32 vcc_lo, exec_lo, s0
	s_cbranch_vccnz .LBB25_1970
; %bb.1966:
	s_cmp_gt_i32 s2, 0
	s_mov_b32 s0, -1
	s_cbranch_scc0 .LBB25_1968
; %bb.1967:
	s_wait_xcnt 0x0
	v_cvt_i16_f16_e32 v1, v3
	s_mov_b32 s0, 0
	global_store_b8 v[4:5], v1, off
.LBB25_1968:
	s_and_not1_b32 vcc_lo, exec_lo, s0
	s_cbranch_vccnz .LBB25_1970
; %bb.1969:
	s_wait_xcnt 0x0
	v_cvt_f32_f16_e32 v1, v3
	s_delay_alu instid0(VALU_DEP_1)
	v_cvt_i32_f32_e32 v1, v1
	global_store_b8 v[4:5], v1, off
.LBB25_1970:
	s_mov_b32 s6, -1
.LBB25_1971:
	s_delay_alu instid0(SALU_CYCLE_1)
	s_and_not1_b32 vcc_lo, exec_lo, s6
	s_cbranch_vccnz .LBB25_2167
; %bb.1972:
	s_wait_xcnt 0x0
	v_mov_b32_e32 v3, 0
	s_cmp_lt_i32 s2, 11
	s_delay_alu instid0(VALU_DEP_1)
	v_add_nc_u64_e32 v[2:3], s[4:5], v[2:3]
	s_cbranch_scc1 .LBB25_2050
; %bb.1973:
	s_mov_b32 s7, -1
	s_mov_b32 s3, 0
	s_cmp_gt_i32 s2, 25
	s_mov_b32 s6, 0
	s_mov_b32 s0, 0
	s_cbranch_scc0 .LBB25_2006
; %bb.1974:
	s_cmp_gt_i32 s2, 28
	s_cbranch_scc0 .LBB25_1989
; %bb.1975:
	s_cmp_gt_i32 s2, 43
	;; [unrolled: 3-line block ×3, first 2 shown]
	s_cbranch_scc0 .LBB25_1979
; %bb.1977:
	s_mov_b32 s0, -1
	s_mov_b32 s7, 0
	s_cmp_eq_u32 s2, 46
	s_cbranch_scc0 .LBB25_1979
; %bb.1978:
	v_cvt_f32_f16_e32 v1, v12
	v_cmp_o_f16_e32 vcc_lo, v12, v12
	s_mov_b32 s0, 0
	s_mov_b32 s6, -1
	s_delay_alu instid0(VALU_DEP_2) | instskip(NEXT) | instid1(VALU_DEP_1)
	v_bfe_u32 v4, v1, 16, 1
	v_add3_u32 v1, v1, v4, 0x7fff
	s_delay_alu instid0(VALU_DEP_1) | instskip(NEXT) | instid1(VALU_DEP_1)
	v_lshrrev_b32_e32 v1, 16, v1
	v_cndmask_b32_e32 v1, 0x7fc0, v1, vcc_lo
	global_store_b32 v[2:3], v1, off
.LBB25_1979:
	s_and_b32 vcc_lo, exec_lo, s7
	s_cbranch_vccz .LBB25_1984
; %bb.1980:
	s_cmp_eq_u32 s2, 44
	s_mov_b32 s0, -1
	s_cbranch_scc0 .LBB25_1984
; %bb.1981:
	s_wait_xcnt 0x0
	v_cvt_f32_f16_e32 v1, v12
	v_mov_b32_e32 v4, 0xff
	s_mov_b32 s6, exec_lo
	s_delay_alu instid0(VALU_DEP_2) | instskip(NEXT) | instid1(VALU_DEP_1)
	v_bfe_u32 v5, v1, 23, 8
	v_cmpx_ne_u32_e32 0xff, v5
	s_cbranch_execz .LBB25_1983
; %bb.1982:
	v_and_b32_e32 v4, 0x400000, v1
	v_and_or_b32 v5, 0x3fffff, v1, v5
	v_lshrrev_b32_e32 v1, 23, v1
	s_delay_alu instid0(VALU_DEP_3) | instskip(NEXT) | instid1(VALU_DEP_3)
	v_cmp_ne_u32_e32 vcc_lo, 0, v4
	v_cmp_ne_u32_e64 s0, 0, v5
	s_and_b32 s0, vcc_lo, s0
	s_delay_alu instid0(SALU_CYCLE_1) | instskip(NEXT) | instid1(VALU_DEP_1)
	v_cndmask_b32_e64 v4, 0, 1, s0
	v_add_nc_u32_e32 v4, v1, v4
.LBB25_1983:
	s_or_b32 exec_lo, exec_lo, s6
	s_mov_b32 s0, 0
	s_mov_b32 s6, -1
	global_store_b8 v[2:3], v4, off
.LBB25_1984:
	s_mov_b32 s7, 0
.LBB25_1985:
	s_delay_alu instid0(SALU_CYCLE_1)
	s_and_b32 vcc_lo, exec_lo, s7
	s_cbranch_vccz .LBB25_1988
; %bb.1986:
	s_cmp_eq_u32 s2, 29
	s_mov_b32 s0, -1
	s_cbranch_scc0 .LBB25_1988
; %bb.1987:
	s_wait_xcnt 0x0
	v_cvt_f32_f16_e32 v1, v12
	v_mov_b32_e32 v5, 0
	s_mov_b32 s0, 0
	s_mov_b32 s6, -1
	s_delay_alu instid0(VALU_DEP_2)
	v_cvt_u32_f32_e32 v4, v1
	global_store_b64 v[2:3], v[4:5], off
.LBB25_1988:
	s_mov_b32 s7, 0
.LBB25_1989:
	s_delay_alu instid0(SALU_CYCLE_1)
	s_and_b32 vcc_lo, exec_lo, s7
	s_cbranch_vccz .LBB25_2005
; %bb.1990:
	s_cmp_lt_i32 s2, 27
	s_mov_b32 s6, -1
	s_cbranch_scc1 .LBB25_1996
; %bb.1991:
	s_cmp_gt_i32 s2, 27
	s_cbranch_scc0 .LBB25_1993
; %bb.1992:
	s_wait_xcnt 0x0
	v_cvt_f32_f16_e32 v1, v12
	s_mov_b32 s6, 0
	s_delay_alu instid0(VALU_DEP_1)
	v_cvt_u32_f32_e32 v1, v1
	global_store_b32 v[2:3], v1, off
.LBB25_1993:
	s_and_not1_b32 vcc_lo, exec_lo, s6
	s_cbranch_vccnz .LBB25_1995
; %bb.1994:
	s_wait_xcnt 0x0
	v_cvt_u16_f16_e32 v1, v12
	global_store_b16 v[2:3], v1, off
.LBB25_1995:
	s_mov_b32 s6, 0
.LBB25_1996:
	s_delay_alu instid0(SALU_CYCLE_1)
	s_and_not1_b32 vcc_lo, exec_lo, s6
	s_cbranch_vccnz .LBB25_2004
; %bb.1997:
	s_wait_xcnt 0x0
	v_cvt_f32_f16_e32 v1, v12
	v_mov_b32_e32 v5, 0x80
	s_mov_b32 s6, exec_lo
	s_delay_alu instid0(VALU_DEP_2) | instskip(NEXT) | instid1(VALU_DEP_1)
	v_and_b32_e32 v4, 0x7fffffff, v1
	v_cmpx_gt_u32_e32 0x43800000, v4
	s_cbranch_execz .LBB25_2003
; %bb.1998:
	v_cmp_lt_u32_e32 vcc_lo, 0x3bffffff, v4
	s_mov_b32 s7, 0
                                        ; implicit-def: $vgpr4
	s_and_saveexec_b32 s11, vcc_lo
	s_delay_alu instid0(SALU_CYCLE_1)
	s_xor_b32 s11, exec_lo, s11
	s_cbranch_execz .LBB25_2180
; %bb.1999:
	v_bfe_u32 v4, v1, 20, 1
	s_mov_b32 s7, exec_lo
	s_delay_alu instid0(VALU_DEP_1) | instskip(NEXT) | instid1(VALU_DEP_1)
	v_add3_u32 v4, v1, v4, 0x487ffff
	v_lshrrev_b32_e32 v4, 20, v4
	s_and_not1_saveexec_b32 s11, s11
	s_cbranch_execnz .LBB25_2181
.LBB25_2000:
	s_or_b32 exec_lo, exec_lo, s11
	v_mov_b32_e32 v5, 0
	s_and_saveexec_b32 s11, s7
.LBB25_2001:
	v_lshrrev_b32_e32 v1, 24, v1
	s_delay_alu instid0(VALU_DEP_1)
	v_and_or_b32 v5, 0x80, v1, v4
.LBB25_2002:
	s_or_b32 exec_lo, exec_lo, s11
.LBB25_2003:
	s_delay_alu instid0(SALU_CYCLE_1)
	s_or_b32 exec_lo, exec_lo, s6
	global_store_b8 v[2:3], v5, off
.LBB25_2004:
	s_mov_b32 s6, -1
.LBB25_2005:
	s_mov_b32 s7, 0
.LBB25_2006:
	s_delay_alu instid0(SALU_CYCLE_1)
	s_and_b32 vcc_lo, exec_lo, s7
	s_cbranch_vccz .LBB25_2046
; %bb.2007:
	s_cmp_gt_i32 s2, 22
	s_mov_b32 s3, -1
	s_cbranch_scc0 .LBB25_2039
; %bb.2008:
	s_cmp_lt_i32 s2, 24
	s_cbranch_scc1 .LBB25_2028
; %bb.2009:
	s_cmp_gt_i32 s2, 24
	s_cbranch_scc0 .LBB25_2017
; %bb.2010:
	s_wait_xcnt 0x0
	v_cvt_f32_f16_e32 v1, v12
	v_mov_b32_e32 v5, 0x80
	s_mov_b32 s3, exec_lo
	s_delay_alu instid0(VALU_DEP_2) | instskip(NEXT) | instid1(VALU_DEP_1)
	v_and_b32_e32 v4, 0x7fffffff, v1
	v_cmpx_gt_u32_e32 0x47800000, v4
	s_cbranch_execz .LBB25_2016
; %bb.2011:
	v_cmp_lt_u32_e32 vcc_lo, 0x37ffffff, v4
	s_mov_b32 s6, 0
                                        ; implicit-def: $vgpr4
	s_and_saveexec_b32 s7, vcc_lo
	s_delay_alu instid0(SALU_CYCLE_1)
	s_xor_b32 s7, exec_lo, s7
	s_cbranch_execz .LBB25_2183
; %bb.2012:
	v_bfe_u32 v4, v1, 21, 1
	s_mov_b32 s6, exec_lo
	s_delay_alu instid0(VALU_DEP_1) | instskip(NEXT) | instid1(VALU_DEP_1)
	v_add3_u32 v4, v1, v4, 0x88fffff
	v_lshrrev_b32_e32 v4, 21, v4
	s_and_not1_saveexec_b32 s7, s7
	s_cbranch_execnz .LBB25_2184
.LBB25_2013:
	s_or_b32 exec_lo, exec_lo, s7
	v_mov_b32_e32 v5, 0
	s_and_saveexec_b32 s7, s6
.LBB25_2014:
	v_lshrrev_b32_e32 v1, 24, v1
	s_delay_alu instid0(VALU_DEP_1)
	v_and_or_b32 v5, 0x80, v1, v4
.LBB25_2015:
	s_or_b32 exec_lo, exec_lo, s7
.LBB25_2016:
	s_delay_alu instid0(SALU_CYCLE_1)
	s_or_b32 exec_lo, exec_lo, s3
	s_mov_b32 s3, 0
	global_store_b8 v[2:3], v5, off
.LBB25_2017:
	s_and_b32 vcc_lo, exec_lo, s3
	s_cbranch_vccz .LBB25_2027
; %bb.2018:
	s_wait_xcnt 0x0
	v_cvt_f32_f16_e32 v1, v12
	s_mov_b32 s3, exec_lo
                                        ; implicit-def: $vgpr4
	s_delay_alu instid0(VALU_DEP_1) | instskip(NEXT) | instid1(VALU_DEP_1)
	v_and_b32_e32 v5, 0x7fffffff, v1
	v_cmpx_gt_u32_e32 0x43f00000, v5
	s_xor_b32 s3, exec_lo, s3
	s_cbranch_execz .LBB25_2024
; %bb.2019:
	s_mov_b32 s6, exec_lo
                                        ; implicit-def: $vgpr4
	v_cmpx_lt_u32_e32 0x3c7fffff, v5
	s_xor_b32 s6, exec_lo, s6
; %bb.2020:
	v_bfe_u32 v4, v1, 20, 1
	s_delay_alu instid0(VALU_DEP_1) | instskip(NEXT) | instid1(VALU_DEP_1)
	v_add3_u32 v4, v1, v4, 0x407ffff
	v_and_b32_e32 v5, 0xff00000, v4
	v_lshrrev_b32_e32 v4, 20, v4
	s_delay_alu instid0(VALU_DEP_2) | instskip(NEXT) | instid1(VALU_DEP_2)
	v_cmp_ne_u32_e32 vcc_lo, 0x7f00000, v5
	v_cndmask_b32_e32 v4, 0x7e, v4, vcc_lo
; %bb.2021:
	s_and_not1_saveexec_b32 s6, s6
; %bb.2022:
	v_add_f32_e64 v4, 0x46800000, |v1|
; %bb.2023:
	s_or_b32 exec_lo, exec_lo, s6
                                        ; implicit-def: $vgpr5
.LBB25_2024:
	s_and_not1_saveexec_b32 s3, s3
; %bb.2025:
	v_mov_b32_e32 v4, 0x7f
	v_cmp_lt_u32_e32 vcc_lo, 0x7f800000, v5
	s_delay_alu instid0(VALU_DEP_2)
	v_cndmask_b32_e32 v4, 0x7e, v4, vcc_lo
; %bb.2026:
	s_or_b32 exec_lo, exec_lo, s3
	v_lshrrev_b32_e32 v1, 24, v1
	s_delay_alu instid0(VALU_DEP_1)
	v_and_or_b32 v1, 0x80, v1, v4
	global_store_b8 v[2:3], v1, off
.LBB25_2027:
	s_mov_b32 s3, 0
.LBB25_2028:
	s_delay_alu instid0(SALU_CYCLE_1)
	s_and_not1_b32 vcc_lo, exec_lo, s3
	s_cbranch_vccnz .LBB25_2038
; %bb.2029:
	s_wait_xcnt 0x0
	v_cvt_f32_f16_e32 v1, v12
	s_mov_b32 s3, exec_lo
                                        ; implicit-def: $vgpr4
	s_delay_alu instid0(VALU_DEP_1) | instskip(NEXT) | instid1(VALU_DEP_1)
	v_and_b32_e32 v5, 0x7fffffff, v1
	v_cmpx_gt_u32_e32 0x47800000, v5
	s_xor_b32 s3, exec_lo, s3
	s_cbranch_execz .LBB25_2035
; %bb.2030:
	s_mov_b32 s6, exec_lo
                                        ; implicit-def: $vgpr4
	v_cmpx_lt_u32_e32 0x387fffff, v5
	s_xor_b32 s6, exec_lo, s6
; %bb.2031:
	v_bfe_u32 v4, v1, 21, 1
	s_delay_alu instid0(VALU_DEP_1) | instskip(NEXT) | instid1(VALU_DEP_1)
	v_add3_u32 v4, v1, v4, 0x80fffff
	v_lshrrev_b32_e32 v4, 21, v4
; %bb.2032:
	s_and_not1_saveexec_b32 s6, s6
; %bb.2033:
	v_add_f32_e64 v4, 0x43000000, |v1|
; %bb.2034:
	s_or_b32 exec_lo, exec_lo, s6
                                        ; implicit-def: $vgpr5
.LBB25_2035:
	s_and_not1_saveexec_b32 s3, s3
; %bb.2036:
	v_mov_b32_e32 v4, 0x7f
	v_cmp_lt_u32_e32 vcc_lo, 0x7f800000, v5
	s_delay_alu instid0(VALU_DEP_2)
	v_cndmask_b32_e32 v4, 0x7c, v4, vcc_lo
; %bb.2037:
	s_or_b32 exec_lo, exec_lo, s3
	v_lshrrev_b32_e32 v1, 24, v1
	s_delay_alu instid0(VALU_DEP_1)
	v_and_or_b32 v1, 0x80, v1, v4
	global_store_b8 v[2:3], v1, off
.LBB25_2038:
	s_mov_b32 s3, 0
	s_mov_b32 s6, -1
.LBB25_2039:
	s_and_not1_b32 vcc_lo, exec_lo, s3
	s_mov_b32 s3, 0
	s_cbranch_vccnz .LBB25_2046
; %bb.2040:
	s_cmp_gt_i32 s2, 14
	s_mov_b32 s3, -1
	s_cbranch_scc0 .LBB25_2044
; %bb.2041:
	s_cmp_eq_u32 s2, 15
	s_mov_b32 s0, -1
	s_cbranch_scc0 .LBB25_2043
; %bb.2042:
	s_wait_xcnt 0x0
	v_cvt_f32_f16_e32 v1, v12
	v_cmp_o_f16_e32 vcc_lo, v12, v12
	s_mov_b32 s0, 0
	s_mov_b32 s6, -1
	s_delay_alu instid0(VALU_DEP_2) | instskip(NEXT) | instid1(VALU_DEP_1)
	v_bfe_u32 v4, v1, 16, 1
	v_add3_u32 v1, v1, v4, 0x7fff
	s_delay_alu instid0(VALU_DEP_1) | instskip(NEXT) | instid1(VALU_DEP_1)
	v_lshrrev_b32_e32 v1, 16, v1
	v_cndmask_b32_e32 v1, 0x7fc0, v1, vcc_lo
	global_store_b16 v[2:3], v1, off
.LBB25_2043:
	s_mov_b32 s3, 0
.LBB25_2044:
	s_delay_alu instid0(SALU_CYCLE_1)
	s_and_b32 vcc_lo, exec_lo, s3
	s_mov_b32 s3, 0
	s_cbranch_vccz .LBB25_2046
; %bb.2045:
	s_cmp_lg_u32 s2, 11
	s_mov_b32 s3, -1
	s_cselect_b32 s0, -1, 0
.LBB25_2046:
	s_delay_alu instid0(SALU_CYCLE_1)
	s_and_b32 vcc_lo, exec_lo, s0
	s_cbranch_vccnz .LBB25_2182
; %bb.2047:
	s_and_not1_b32 vcc_lo, exec_lo, s3
	s_cbranch_vccnz .LBB25_2049
.LBB25_2048:
	s_wait_xcnt 0x0
	v_and_b32_e32 v1, 0x7fff, v12
	s_mov_b32 s6, -1
	s_delay_alu instid0(VALU_DEP_1)
	v_cmp_ne_u16_e32 vcc_lo, 0, v1
	v_cndmask_b32_e64 v1, 0, 1, vcc_lo
	global_store_b8 v[2:3], v1, off
.LBB25_2049:
	s_mov_b32 s0, 0
	s_branch .LBB25_2051
.LBB25_2050:
	s_mov_b32 s0, -1
	s_mov_b32 s6, 0
.LBB25_2051:
	s_and_b32 vcc_lo, exec_lo, s0
	s_cbranch_vccz .LBB25_2090
; %bb.2052:
	s_cmp_lt_i32 s2, 5
	s_mov_b32 s0, -1
	s_cbranch_scc1 .LBB25_2073
; %bb.2053:
	s_cmp_lt_i32 s2, 8
	s_cbranch_scc1 .LBB25_2063
; %bb.2054:
	s_cmp_lt_i32 s2, 9
	s_cbranch_scc1 .LBB25_2060
; %bb.2055:
	s_cmp_gt_i32 s2, 9
	s_cbranch_scc0 .LBB25_2057
; %bb.2056:
	s_wait_xcnt 0x0
	v_cvt_f32_f16_e32 v1, v12
	v_mov_b32_e32 v6, 0
	s_mov_b32 s0, 0
	s_delay_alu instid0(VALU_DEP_2) | instskip(NEXT) | instid1(VALU_DEP_2)
	v_cvt_f64_f32_e32 v[4:5], v1
	v_mov_b32_e32 v7, v6
	global_store_b128 v[2:3], v[4:7], off
.LBB25_2057:
	s_and_not1_b32 vcc_lo, exec_lo, s0
	s_cbranch_vccnz .LBB25_2059
; %bb.2058:
	s_wait_xcnt 0x0
	v_cvt_f32_f16_e32 v4, v12
	v_mov_b32_e32 v5, 0
	global_store_b64 v[2:3], v[4:5], off
.LBB25_2059:
	s_mov_b32 s0, 0
.LBB25_2060:
	s_delay_alu instid0(SALU_CYCLE_1)
	s_and_not1_b32 vcc_lo, exec_lo, s0
	s_cbranch_vccnz .LBB25_2062
; %bb.2061:
	s_wait_xcnt 0x0
	v_and_b32_e32 v1, 0xffff, v12
	global_store_b32 v[2:3], v1, off
.LBB25_2062:
	s_mov_b32 s0, 0
.LBB25_2063:
	s_delay_alu instid0(SALU_CYCLE_1)
	s_and_not1_b32 vcc_lo, exec_lo, s0
	s_cbranch_vccnz .LBB25_2072
; %bb.2064:
	s_cmp_lt_i32 s2, 6
	s_mov_b32 s0, -1
	s_cbranch_scc1 .LBB25_2070
; %bb.2065:
	s_cmp_gt_i32 s2, 6
	s_cbranch_scc0 .LBB25_2067
; %bb.2066:
	s_wait_xcnt 0x0
	v_cvt_f32_f16_e32 v1, v12
	s_mov_b32 s0, 0
	s_delay_alu instid0(VALU_DEP_1)
	v_cvt_f64_f32_e32 v[4:5], v1
	global_store_b64 v[2:3], v[4:5], off
.LBB25_2067:
	s_and_not1_b32 vcc_lo, exec_lo, s0
	s_cbranch_vccnz .LBB25_2069
; %bb.2068:
	s_wait_xcnt 0x0
	v_cvt_f32_f16_e32 v1, v12
	global_store_b32 v[2:3], v1, off
.LBB25_2069:
	s_mov_b32 s0, 0
.LBB25_2070:
	s_delay_alu instid0(SALU_CYCLE_1)
	s_and_not1_b32 vcc_lo, exec_lo, s0
	s_cbranch_vccnz .LBB25_2072
; %bb.2071:
	global_store_b16 v[2:3], v12, off
.LBB25_2072:
	s_mov_b32 s0, 0
.LBB25_2073:
	s_delay_alu instid0(SALU_CYCLE_1)
	s_and_not1_b32 vcc_lo, exec_lo, s0
	s_cbranch_vccnz .LBB25_2089
; %bb.2074:
	s_cmp_lt_i32 s2, 2
	s_mov_b32 s0, -1
	s_cbranch_scc1 .LBB25_2084
; %bb.2075:
	s_cmp_lt_i32 s2, 3
	s_cbranch_scc1 .LBB25_2081
; %bb.2076:
	s_cmp_gt_i32 s2, 3
	s_cbranch_scc0 .LBB25_2078
; %bb.2077:
	s_wait_xcnt 0x0
	v_cvt_f32_f16_e32 v1, v12
	s_mov_b32 s0, 0
	s_delay_alu instid0(VALU_DEP_1) | instskip(NEXT) | instid1(VALU_DEP_1)
	v_cvt_i32_f32_e32 v4, v1
	v_ashrrev_i32_e32 v5, 31, v4
	global_store_b64 v[2:3], v[4:5], off
.LBB25_2078:
	s_and_not1_b32 vcc_lo, exec_lo, s0
	s_cbranch_vccnz .LBB25_2080
; %bb.2079:
	s_wait_xcnt 0x0
	v_cvt_f32_f16_e32 v1, v12
	s_delay_alu instid0(VALU_DEP_1)
	v_cvt_i32_f32_e32 v1, v1
	global_store_b32 v[2:3], v1, off
.LBB25_2080:
	s_mov_b32 s0, 0
.LBB25_2081:
	s_delay_alu instid0(SALU_CYCLE_1)
	s_and_not1_b32 vcc_lo, exec_lo, s0
	s_cbranch_vccnz .LBB25_2083
; %bb.2082:
	s_wait_xcnt 0x0
	v_cvt_i16_f16_e32 v1, v12
	global_store_b16 v[2:3], v1, off
.LBB25_2083:
	s_mov_b32 s0, 0
.LBB25_2084:
	s_delay_alu instid0(SALU_CYCLE_1)
	s_and_not1_b32 vcc_lo, exec_lo, s0
	s_cbranch_vccnz .LBB25_2089
; %bb.2085:
	s_cmp_gt_i32 s2, 0
	s_mov_b32 s0, -1
	s_cbranch_scc0 .LBB25_2087
; %bb.2086:
	s_wait_xcnt 0x0
	v_cvt_i16_f16_e32 v1, v12
	s_mov_b32 s0, 0
	global_store_b8 v[2:3], v1, off
.LBB25_2087:
	s_and_not1_b32 vcc_lo, exec_lo, s0
	s_cbranch_vccnz .LBB25_2089
; %bb.2088:
	s_wait_xcnt 0x0
	v_cvt_f32_f16_e32 v1, v12
	s_delay_alu instid0(VALU_DEP_1)
	v_cvt_i32_f32_e32 v1, v1
	global_store_b8 v[2:3], v1, off
.LBB25_2089:
	s_mov_b32 s6, -1
.LBB25_2090:
	s_delay_alu instid0(SALU_CYCLE_1)
	s_and_not1_b32 vcc_lo, exec_lo, s6
	s_cbranch_vccnz .LBB25_2167
; %bb.2091:
	s_wait_xcnt 0x0
	v_mov_b32_e32 v1, 0
	s_cmp_lt_i32 s2, 11
	s_delay_alu instid0(VALU_DEP_1)
	v_add_nc_u64_e32 v[2:3], s[4:5], v[0:1]
	s_cbranch_scc1 .LBB25_2168
; %bb.2092:
	s_mov_b32 s4, -1
	s_mov_b32 s3, 0
	s_cmp_gt_i32 s2, 25
	s_mov_b32 s0, 0
	s_cbranch_scc0 .LBB25_2125
; %bb.2093:
	s_cmp_gt_i32 s2, 28
	s_cbranch_scc0 .LBB25_2109
; %bb.2094:
	s_cmp_gt_i32 s2, 43
	;; [unrolled: 3-line block ×3, first 2 shown]
	s_cbranch_scc0 .LBB25_2099
; %bb.2096:
	s_cmp_eq_u32 s2, 46
	s_mov_b32 s0, -1
	s_cbranch_scc0 .LBB25_2098
; %bb.2097:
	v_cvt_f32_f16_e32 v0, v10
	v_cmp_o_f16_e32 vcc_lo, v10, v10
	s_mov_b32 s0, 0
	s_delay_alu instid0(VALU_DEP_2) | instskip(NEXT) | instid1(VALU_DEP_1)
	v_bfe_u32 v1, v0, 16, 1
	v_add3_u32 v0, v0, v1, 0x7fff
	s_delay_alu instid0(VALU_DEP_1) | instskip(NEXT) | instid1(VALU_DEP_1)
	v_lshrrev_b32_e32 v0, 16, v0
	v_cndmask_b32_e32 v0, 0x7fc0, v0, vcc_lo
	global_store_b32 v[2:3], v0, off
.LBB25_2098:
	s_mov_b32 s4, 0
.LBB25_2099:
	s_delay_alu instid0(SALU_CYCLE_1)
	s_and_b32 vcc_lo, exec_lo, s4
	s_cbranch_vccz .LBB25_2104
; %bb.2100:
	s_cmp_eq_u32 s2, 44
	s_mov_b32 s0, -1
	s_cbranch_scc0 .LBB25_2104
; %bb.2101:
	s_wait_xcnt 0x0
	v_cvt_f32_f16_e32 v0, v10
	v_mov_b32_e32 v1, 0xff
	s_mov_b32 s4, exec_lo
	s_delay_alu instid0(VALU_DEP_2) | instskip(NEXT) | instid1(VALU_DEP_1)
	v_bfe_u32 v4, v0, 23, 8
	v_cmpx_ne_u32_e32 0xff, v4
	s_cbranch_execz .LBB25_2103
; %bb.2102:
	v_and_b32_e32 v1, 0x400000, v0
	v_and_or_b32 v4, 0x3fffff, v0, v4
	v_lshrrev_b32_e32 v0, 23, v0
	s_delay_alu instid0(VALU_DEP_3) | instskip(NEXT) | instid1(VALU_DEP_3)
	v_cmp_ne_u32_e32 vcc_lo, 0, v1
	v_cmp_ne_u32_e64 s0, 0, v4
	s_and_b32 s0, vcc_lo, s0
	s_delay_alu instid0(SALU_CYCLE_1) | instskip(NEXT) | instid1(VALU_DEP_1)
	v_cndmask_b32_e64 v1, 0, 1, s0
	v_add_nc_u32_e32 v1, v0, v1
.LBB25_2103:
	s_or_b32 exec_lo, exec_lo, s4
	s_mov_b32 s0, 0
	global_store_b8 v[2:3], v1, off
.LBB25_2104:
	s_mov_b32 s4, 0
.LBB25_2105:
	s_delay_alu instid0(SALU_CYCLE_1)
	s_and_b32 vcc_lo, exec_lo, s4
	s_cbranch_vccz .LBB25_2108
; %bb.2106:
	s_cmp_eq_u32 s2, 29
	s_mov_b32 s0, -1
	s_cbranch_scc0 .LBB25_2108
; %bb.2107:
	s_wait_xcnt 0x0
	v_cvt_f32_f16_e32 v0, v10
	v_mov_b32_e32 v1, 0
	s_mov_b32 s0, 0
	s_delay_alu instid0(VALU_DEP_2)
	v_cvt_u32_f32_e32 v0, v0
	global_store_b64 v[2:3], v[0:1], off
.LBB25_2108:
	s_mov_b32 s4, 0
.LBB25_2109:
	s_delay_alu instid0(SALU_CYCLE_1)
	s_and_b32 vcc_lo, exec_lo, s4
	s_cbranch_vccz .LBB25_2124
; %bb.2110:
	s_cmp_lt_i32 s2, 27
	s_mov_b32 s4, -1
	s_cbranch_scc1 .LBB25_2116
; %bb.2111:
	s_cmp_gt_i32 s2, 27
	s_cbranch_scc0 .LBB25_2113
; %bb.2112:
	s_wait_xcnt 0x0
	v_cvt_f32_f16_e32 v0, v10
	s_mov_b32 s4, 0
	s_delay_alu instid0(VALU_DEP_1)
	v_cvt_u32_f32_e32 v0, v0
	global_store_b32 v[2:3], v0, off
.LBB25_2113:
	s_and_not1_b32 vcc_lo, exec_lo, s4
	s_cbranch_vccnz .LBB25_2115
; %bb.2114:
	s_wait_xcnt 0x0
	v_cvt_u16_f16_e32 v0, v10
	global_store_b16 v[2:3], v0, off
.LBB25_2115:
	s_mov_b32 s4, 0
.LBB25_2116:
	s_delay_alu instid0(SALU_CYCLE_1)
	s_and_not1_b32 vcc_lo, exec_lo, s4
	s_cbranch_vccnz .LBB25_2124
; %bb.2117:
	s_wait_xcnt 0x0
	v_cvt_f32_f16_e32 v0, v10
	v_mov_b32_e32 v4, 0x80
	s_mov_b32 s4, exec_lo
	s_delay_alu instid0(VALU_DEP_2) | instskip(NEXT) | instid1(VALU_DEP_1)
	v_and_b32_e32 v1, 0x7fffffff, v0
	v_cmpx_gt_u32_e32 0x43800000, v1
	s_cbranch_execz .LBB25_2123
; %bb.2118:
	v_cmp_lt_u32_e32 vcc_lo, 0x3bffffff, v1
	s_mov_b32 s5, 0
                                        ; implicit-def: $vgpr1
	s_and_saveexec_b32 s6, vcc_lo
	s_delay_alu instid0(SALU_CYCLE_1)
	s_xor_b32 s6, exec_lo, s6
	s_cbranch_execz .LBB25_2185
; %bb.2119:
	v_bfe_u32 v1, v0, 20, 1
	s_mov_b32 s5, exec_lo
	s_delay_alu instid0(VALU_DEP_1) | instskip(NEXT) | instid1(VALU_DEP_1)
	v_add3_u32 v1, v0, v1, 0x487ffff
	v_lshrrev_b32_e32 v1, 20, v1
	s_and_not1_saveexec_b32 s6, s6
	s_cbranch_execnz .LBB25_2186
.LBB25_2120:
	s_or_b32 exec_lo, exec_lo, s6
	v_mov_b32_e32 v4, 0
	s_and_saveexec_b32 s6, s5
.LBB25_2121:
	v_lshrrev_b32_e32 v0, 24, v0
	s_delay_alu instid0(VALU_DEP_1)
	v_and_or_b32 v4, 0x80, v0, v1
.LBB25_2122:
	s_or_b32 exec_lo, exec_lo, s6
.LBB25_2123:
	s_delay_alu instid0(SALU_CYCLE_1)
	s_or_b32 exec_lo, exec_lo, s4
	global_store_b8 v[2:3], v4, off
.LBB25_2124:
	s_mov_b32 s4, 0
.LBB25_2125:
	s_delay_alu instid0(SALU_CYCLE_1)
	s_and_b32 vcc_lo, exec_lo, s4
	s_cbranch_vccz .LBB25_2165
; %bb.2126:
	s_cmp_gt_i32 s2, 22
	s_mov_b32 s3, -1
	s_cbranch_scc0 .LBB25_2158
; %bb.2127:
	s_cmp_lt_i32 s2, 24
	s_cbranch_scc1 .LBB25_2147
; %bb.2128:
	s_cmp_gt_i32 s2, 24
	s_cbranch_scc0 .LBB25_2136
; %bb.2129:
	s_wait_xcnt 0x0
	v_cvt_f32_f16_e32 v0, v10
	v_mov_b32_e32 v4, 0x80
	s_mov_b32 s3, exec_lo
	s_delay_alu instid0(VALU_DEP_2) | instskip(NEXT) | instid1(VALU_DEP_1)
	v_and_b32_e32 v1, 0x7fffffff, v0
	v_cmpx_gt_u32_e32 0x47800000, v1
	s_cbranch_execz .LBB25_2135
; %bb.2130:
	v_cmp_lt_u32_e32 vcc_lo, 0x37ffffff, v1
	s_mov_b32 s4, 0
                                        ; implicit-def: $vgpr1
	s_and_saveexec_b32 s5, vcc_lo
	s_delay_alu instid0(SALU_CYCLE_1)
	s_xor_b32 s5, exec_lo, s5
	s_cbranch_execz .LBB25_2188
; %bb.2131:
	v_bfe_u32 v1, v0, 21, 1
	s_mov_b32 s4, exec_lo
	s_delay_alu instid0(VALU_DEP_1) | instskip(NEXT) | instid1(VALU_DEP_1)
	v_add3_u32 v1, v0, v1, 0x88fffff
	v_lshrrev_b32_e32 v1, 21, v1
	s_and_not1_saveexec_b32 s5, s5
	s_cbranch_execnz .LBB25_2189
.LBB25_2132:
	s_or_b32 exec_lo, exec_lo, s5
	v_mov_b32_e32 v4, 0
	s_and_saveexec_b32 s5, s4
.LBB25_2133:
	v_lshrrev_b32_e32 v0, 24, v0
	s_delay_alu instid0(VALU_DEP_1)
	v_and_or_b32 v4, 0x80, v0, v1
.LBB25_2134:
	s_or_b32 exec_lo, exec_lo, s5
.LBB25_2135:
	s_delay_alu instid0(SALU_CYCLE_1)
	s_or_b32 exec_lo, exec_lo, s3
	s_mov_b32 s3, 0
	global_store_b8 v[2:3], v4, off
.LBB25_2136:
	s_and_b32 vcc_lo, exec_lo, s3
	s_cbranch_vccz .LBB25_2146
; %bb.2137:
	s_wait_xcnt 0x0
	v_cvt_f32_f16_e32 v0, v10
	s_mov_b32 s3, exec_lo
                                        ; implicit-def: $vgpr1
	s_delay_alu instid0(VALU_DEP_1) | instskip(NEXT) | instid1(VALU_DEP_1)
	v_and_b32_e32 v4, 0x7fffffff, v0
	v_cmpx_gt_u32_e32 0x43f00000, v4
	s_xor_b32 s3, exec_lo, s3
	s_cbranch_execz .LBB25_2143
; %bb.2138:
	s_mov_b32 s4, exec_lo
                                        ; implicit-def: $vgpr1
	v_cmpx_lt_u32_e32 0x3c7fffff, v4
	s_xor_b32 s4, exec_lo, s4
; %bb.2139:
	v_bfe_u32 v1, v0, 20, 1
	s_delay_alu instid0(VALU_DEP_1) | instskip(NEXT) | instid1(VALU_DEP_1)
	v_add3_u32 v1, v0, v1, 0x407ffff
	v_and_b32_e32 v4, 0xff00000, v1
	v_lshrrev_b32_e32 v1, 20, v1
	s_delay_alu instid0(VALU_DEP_2) | instskip(NEXT) | instid1(VALU_DEP_2)
	v_cmp_ne_u32_e32 vcc_lo, 0x7f00000, v4
	v_cndmask_b32_e32 v1, 0x7e, v1, vcc_lo
; %bb.2140:
	s_and_not1_saveexec_b32 s4, s4
; %bb.2141:
	v_add_f32_e64 v1, 0x46800000, |v0|
; %bb.2142:
	s_or_b32 exec_lo, exec_lo, s4
                                        ; implicit-def: $vgpr4
.LBB25_2143:
	s_and_not1_saveexec_b32 s3, s3
; %bb.2144:
	v_mov_b32_e32 v1, 0x7f
	v_cmp_lt_u32_e32 vcc_lo, 0x7f800000, v4
	s_delay_alu instid0(VALU_DEP_2)
	v_cndmask_b32_e32 v1, 0x7e, v1, vcc_lo
; %bb.2145:
	s_or_b32 exec_lo, exec_lo, s3
	v_lshrrev_b32_e32 v0, 24, v0
	s_delay_alu instid0(VALU_DEP_1)
	v_and_or_b32 v0, 0x80, v0, v1
	global_store_b8 v[2:3], v0, off
.LBB25_2146:
	s_mov_b32 s3, 0
.LBB25_2147:
	s_delay_alu instid0(SALU_CYCLE_1)
	s_and_not1_b32 vcc_lo, exec_lo, s3
	s_cbranch_vccnz .LBB25_2157
; %bb.2148:
	s_wait_xcnt 0x0
	v_cvt_f32_f16_e32 v0, v10
	s_mov_b32 s3, exec_lo
                                        ; implicit-def: $vgpr1
	s_delay_alu instid0(VALU_DEP_1) | instskip(NEXT) | instid1(VALU_DEP_1)
	v_and_b32_e32 v4, 0x7fffffff, v0
	v_cmpx_gt_u32_e32 0x47800000, v4
	s_xor_b32 s3, exec_lo, s3
	s_cbranch_execz .LBB25_2154
; %bb.2149:
	s_mov_b32 s4, exec_lo
                                        ; implicit-def: $vgpr1
	v_cmpx_lt_u32_e32 0x387fffff, v4
	s_xor_b32 s4, exec_lo, s4
; %bb.2150:
	v_bfe_u32 v1, v0, 21, 1
	s_delay_alu instid0(VALU_DEP_1) | instskip(NEXT) | instid1(VALU_DEP_1)
	v_add3_u32 v1, v0, v1, 0x80fffff
	v_lshrrev_b32_e32 v1, 21, v1
; %bb.2151:
	s_and_not1_saveexec_b32 s4, s4
; %bb.2152:
	v_add_f32_e64 v1, 0x43000000, |v0|
; %bb.2153:
	s_or_b32 exec_lo, exec_lo, s4
                                        ; implicit-def: $vgpr4
.LBB25_2154:
	s_and_not1_saveexec_b32 s3, s3
; %bb.2155:
	v_mov_b32_e32 v1, 0x7f
	v_cmp_lt_u32_e32 vcc_lo, 0x7f800000, v4
	s_delay_alu instid0(VALU_DEP_2)
	v_cndmask_b32_e32 v1, 0x7c, v1, vcc_lo
; %bb.2156:
	s_or_b32 exec_lo, exec_lo, s3
	v_lshrrev_b32_e32 v0, 24, v0
	s_delay_alu instid0(VALU_DEP_1)
	v_and_or_b32 v0, 0x80, v0, v1
	global_store_b8 v[2:3], v0, off
.LBB25_2157:
	s_mov_b32 s3, 0
.LBB25_2158:
	s_delay_alu instid0(SALU_CYCLE_1)
	s_and_not1_b32 vcc_lo, exec_lo, s3
	s_mov_b32 s3, 0
	s_cbranch_vccnz .LBB25_2165
; %bb.2159:
	s_cmp_gt_i32 s2, 14
	s_mov_b32 s3, -1
	s_cbranch_scc0 .LBB25_2163
; %bb.2160:
	s_cmp_eq_u32 s2, 15
	s_mov_b32 s0, -1
	s_cbranch_scc0 .LBB25_2162
; %bb.2161:
	s_wait_xcnt 0x0
	v_cvt_f32_f16_e32 v0, v10
	v_cmp_o_f16_e32 vcc_lo, v10, v10
	s_mov_b32 s0, 0
	s_delay_alu instid0(VALU_DEP_2) | instskip(NEXT) | instid1(VALU_DEP_1)
	v_bfe_u32 v1, v0, 16, 1
	v_add3_u32 v0, v0, v1, 0x7fff
	s_delay_alu instid0(VALU_DEP_1) | instskip(NEXT) | instid1(VALU_DEP_1)
	v_lshrrev_b32_e32 v0, 16, v0
	v_cndmask_b32_e32 v0, 0x7fc0, v0, vcc_lo
	global_store_b16 v[2:3], v0, off
.LBB25_2162:
	s_mov_b32 s3, 0
.LBB25_2163:
	s_delay_alu instid0(SALU_CYCLE_1)
	s_and_b32 vcc_lo, exec_lo, s3
	s_mov_b32 s3, 0
	s_cbranch_vccz .LBB25_2165
; %bb.2164:
	s_cmp_lg_u32 s2, 11
	s_mov_b32 s3, -1
	s_cselect_b32 s0, -1, 0
.LBB25_2165:
	s_delay_alu instid0(SALU_CYCLE_1)
	s_and_b32 vcc_lo, exec_lo, s0
	s_cbranch_vccnz .LBB25_2187
.LBB25_2166:
	s_mov_b32 s0, 0
	s_branch .LBB25_1768
.LBB25_2167:
	s_mov_b32 s0, 0
	s_mov_b32 s3, 0
                                        ; implicit-def: $vgpr2_vgpr3
                                        ; implicit-def: $sgpr1
	s_branch .LBB25_1768
.LBB25_2168:
	s_mov_b32 s3, 0
	s_mov_b32 s0, -1
	s_branch .LBB25_1768
.LBB25_2169:
	s_or_b32 s10, s10, exec_lo
	s_trap 2
	s_cbranch_execz .LBB25_1635
	s_branch .LBB25_1636
.LBB25_2170:
	s_and_not1_saveexec_b32 s11, s11
	s_cbranch_execz .LBB25_1717
.LBB25_2171:
	v_add_f32_e64 v8, 0x46000000, |v5|
	s_and_not1_b32 s7, s7, exec_lo
	s_delay_alu instid0(VALU_DEP_1) | instskip(NEXT) | instid1(VALU_DEP_1)
	v_and_b32_e32 v8, 0xff, v8
	v_cmp_ne_u32_e32 vcc_lo, 0, v8
	s_and_b32 s12, vcc_lo, exec_lo
	s_delay_alu instid0(SALU_CYCLE_1)
	s_or_b32 s7, s7, s12
	s_or_b32 exec_lo, exec_lo, s11
	v_mov_b32_e32 v9, 0
	s_and_saveexec_b32 s11, s7
	s_cbranch_execnz .LBB25_1718
	s_branch .LBB25_1719
.LBB25_2172:
	s_or_b32 s10, s10, exec_lo
	s_trap 2
	s_cbranch_execz .LBB25_1765
	s_branch .LBB25_1766
.LBB25_2173:
	s_and_not1_saveexec_b32 s7, s7
	s_cbranch_execz .LBB25_1730
.LBB25_2174:
	v_add_f32_e64 v8, 0x42800000, |v5|
	s_and_not1_b32 s6, s6, exec_lo
	s_delay_alu instid0(VALU_DEP_1) | instskip(NEXT) | instid1(VALU_DEP_1)
	v_and_b32_e32 v8, 0xff, v8
	v_cmp_ne_u32_e32 vcc_lo, 0, v8
	s_and_b32 s11, vcc_lo, exec_lo
	s_delay_alu instid0(SALU_CYCLE_1)
	s_or_b32 s6, s6, s11
	s_or_b32 exec_lo, exec_lo, s7
	v_mov_b32_e32 v9, 0
	s_and_saveexec_b32 s7, s6
	s_cbranch_execnz .LBB25_1731
	s_branch .LBB25_1732
.LBB25_2175:
	s_and_not1_saveexec_b32 s11, s11
	s_cbranch_execz .LBB25_1881
.LBB25_2176:
	v_add_f32_e64 v6, 0x46000000, |v1|
	s_and_not1_b32 s7, s7, exec_lo
	s_delay_alu instid0(VALU_DEP_1) | instskip(NEXT) | instid1(VALU_DEP_1)
	v_and_b32_e32 v6, 0xff, v6
	v_cmp_ne_u32_e32 vcc_lo, 0, v6
	s_and_b32 s12, vcc_lo, exec_lo
	s_delay_alu instid0(SALU_CYCLE_1)
	s_or_b32 s7, s7, s12
	s_or_b32 exec_lo, exec_lo, s11
	v_mov_b32_e32 v7, 0
	s_and_saveexec_b32 s11, s7
	s_cbranch_execnz .LBB25_1882
	s_branch .LBB25_1883
.LBB25_2177:
	s_or_b32 s10, s10, exec_lo
	s_trap 2
	s_cbranch_execz .LBB25_1929
	s_branch .LBB25_1930
.LBB25_2178:
	s_and_not1_saveexec_b32 s7, s7
	s_cbranch_execz .LBB25_1894
.LBB25_2179:
	v_add_f32_e64 v6, 0x42800000, |v1|
	s_and_not1_b32 s6, s6, exec_lo
	s_delay_alu instid0(VALU_DEP_1) | instskip(NEXT) | instid1(VALU_DEP_1)
	v_and_b32_e32 v6, 0xff, v6
	v_cmp_ne_u32_e32 vcc_lo, 0, v6
	s_and_b32 s11, vcc_lo, exec_lo
	s_delay_alu instid0(SALU_CYCLE_1)
	s_or_b32 s6, s6, s11
	s_or_b32 exec_lo, exec_lo, s7
	v_mov_b32_e32 v7, 0
	s_and_saveexec_b32 s7, s6
	s_cbranch_execnz .LBB25_1895
	s_branch .LBB25_1896
.LBB25_2180:
	s_and_not1_saveexec_b32 s11, s11
	s_cbranch_execz .LBB25_2000
.LBB25_2181:
	v_add_f32_e64 v4, 0x46000000, |v1|
	s_and_not1_b32 s7, s7, exec_lo
	s_delay_alu instid0(VALU_DEP_1) | instskip(NEXT) | instid1(VALU_DEP_1)
	v_and_b32_e32 v4, 0xff, v4
	v_cmp_ne_u32_e32 vcc_lo, 0, v4
	s_and_b32 s12, vcc_lo, exec_lo
	s_delay_alu instid0(SALU_CYCLE_1)
	s_or_b32 s7, s7, s12
	s_or_b32 exec_lo, exec_lo, s11
	v_mov_b32_e32 v5, 0
	s_and_saveexec_b32 s11, s7
	s_cbranch_execnz .LBB25_2001
	s_branch .LBB25_2002
.LBB25_2182:
	s_or_b32 s10, s10, exec_lo
	s_trap 2
	s_cbranch_execz .LBB25_2048
	s_branch .LBB25_2049
.LBB25_2183:
	s_and_not1_saveexec_b32 s7, s7
	s_cbranch_execz .LBB25_2013
.LBB25_2184:
	v_add_f32_e64 v4, 0x42800000, |v1|
	s_and_not1_b32 s6, s6, exec_lo
	s_delay_alu instid0(VALU_DEP_1) | instskip(NEXT) | instid1(VALU_DEP_1)
	v_and_b32_e32 v4, 0xff, v4
	v_cmp_ne_u32_e32 vcc_lo, 0, v4
	s_and_b32 s11, vcc_lo, exec_lo
	s_delay_alu instid0(SALU_CYCLE_1)
	s_or_b32 s6, s6, s11
	s_or_b32 exec_lo, exec_lo, s7
	v_mov_b32_e32 v5, 0
	s_and_saveexec_b32 s7, s6
	s_cbranch_execnz .LBB25_2014
	s_branch .LBB25_2015
.LBB25_2185:
	s_and_not1_saveexec_b32 s6, s6
	s_cbranch_execz .LBB25_2120
.LBB25_2186:
	v_add_f32_e64 v1, 0x46000000, |v0|
	s_and_not1_b32 s5, s5, exec_lo
	s_delay_alu instid0(VALU_DEP_1) | instskip(NEXT) | instid1(VALU_DEP_1)
	v_and_b32_e32 v1, 0xff, v1
	v_cmp_ne_u32_e32 vcc_lo, 0, v1
	s_and_b32 s7, vcc_lo, exec_lo
	s_delay_alu instid0(SALU_CYCLE_1)
	s_or_b32 s5, s5, s7
	s_or_b32 exec_lo, exec_lo, s6
	v_mov_b32_e32 v4, 0
	s_and_saveexec_b32 s6, s5
	s_cbranch_execnz .LBB25_2121
	s_branch .LBB25_2122
.LBB25_2187:
	s_mov_b32 s3, 0
	s_or_b32 s10, s10, exec_lo
	s_trap 2
	s_branch .LBB25_2166
.LBB25_2188:
	s_and_not1_saveexec_b32 s5, s5
	s_cbranch_execz .LBB25_2132
.LBB25_2189:
	v_add_f32_e64 v1, 0x42800000, |v0|
	s_and_not1_b32 s4, s4, exec_lo
	s_delay_alu instid0(VALU_DEP_1) | instskip(NEXT) | instid1(VALU_DEP_1)
	v_and_b32_e32 v1, 0xff, v1
	v_cmp_ne_u32_e32 vcc_lo, 0, v1
	s_and_b32 s6, vcc_lo, exec_lo
	s_delay_alu instid0(SALU_CYCLE_1)
	s_or_b32 s4, s4, s6
	s_or_b32 exec_lo, exec_lo, s5
	v_mov_b32_e32 v4, 0
	s_and_saveexec_b32 s5, s4
	s_cbranch_execnz .LBB25_2133
	s_branch .LBB25_2134
	.section	.rodata,"a",@progbits
	.p2align	6, 0x0
	.amdhsa_kernel _ZN2at6native32elementwise_kernel_manual_unrollILi128ELi4EZNS0_15gpu_kernel_implIZZZNS0_12_GLOBAL__N_115softplus_kernelERNS_18TensorIteratorBaseERKN3c106ScalarES9_ENKUlvE_clEvENKUlvE1_clEvEUlNS6_4HalfEE_EEvS5_RKT_EUlibE0_EEviT1_
		.amdhsa_group_segment_fixed_size 0
		.amdhsa_private_segment_fixed_size 0
		.amdhsa_kernarg_size 368
		.amdhsa_user_sgpr_count 2
		.amdhsa_user_sgpr_dispatch_ptr 0
		.amdhsa_user_sgpr_queue_ptr 0
		.amdhsa_user_sgpr_kernarg_segment_ptr 1
		.amdhsa_user_sgpr_dispatch_id 0
		.amdhsa_user_sgpr_kernarg_preload_length 0
		.amdhsa_user_sgpr_kernarg_preload_offset 0
		.amdhsa_user_sgpr_private_segment_size 0
		.amdhsa_wavefront_size32 1
		.amdhsa_uses_dynamic_stack 0
		.amdhsa_enable_private_segment 0
		.amdhsa_system_sgpr_workgroup_id_x 1
		.amdhsa_system_sgpr_workgroup_id_y 0
		.amdhsa_system_sgpr_workgroup_id_z 0
		.amdhsa_system_sgpr_workgroup_info 0
		.amdhsa_system_vgpr_workitem_id 0
		.amdhsa_next_free_vgpr 30
		.amdhsa_next_free_sgpr 68
		.amdhsa_named_barrier_count 0
		.amdhsa_reserve_vcc 1
		.amdhsa_float_round_mode_32 0
		.amdhsa_float_round_mode_16_64 0
		.amdhsa_float_denorm_mode_32 3
		.amdhsa_float_denorm_mode_16_64 3
		.amdhsa_fp16_overflow 0
		.amdhsa_memory_ordered 1
		.amdhsa_forward_progress 1
		.amdhsa_inst_pref_size 255
		.amdhsa_round_robin_scheduling 0
		.amdhsa_exception_fp_ieee_invalid_op 0
		.amdhsa_exception_fp_denorm_src 0
		.amdhsa_exception_fp_ieee_div_zero 0
		.amdhsa_exception_fp_ieee_overflow 0
		.amdhsa_exception_fp_ieee_underflow 0
		.amdhsa_exception_fp_ieee_inexact 0
		.amdhsa_exception_int_div_zero 0
	.end_amdhsa_kernel
	.section	.text._ZN2at6native32elementwise_kernel_manual_unrollILi128ELi4EZNS0_15gpu_kernel_implIZZZNS0_12_GLOBAL__N_115softplus_kernelERNS_18TensorIteratorBaseERKN3c106ScalarES9_ENKUlvE_clEvENKUlvE1_clEvEUlNS6_4HalfEE_EEvS5_RKT_EUlibE0_EEviT1_,"axG",@progbits,_ZN2at6native32elementwise_kernel_manual_unrollILi128ELi4EZNS0_15gpu_kernel_implIZZZNS0_12_GLOBAL__N_115softplus_kernelERNS_18TensorIteratorBaseERKN3c106ScalarES9_ENKUlvE_clEvENKUlvE1_clEvEUlNS6_4HalfEE_EEvS5_RKT_EUlibE0_EEviT1_,comdat
.Lfunc_end25:
	.size	_ZN2at6native32elementwise_kernel_manual_unrollILi128ELi4EZNS0_15gpu_kernel_implIZZZNS0_12_GLOBAL__N_115softplus_kernelERNS_18TensorIteratorBaseERKN3c106ScalarES9_ENKUlvE_clEvENKUlvE1_clEvEUlNS6_4HalfEE_EEvS5_RKT_EUlibE0_EEviT1_, .Lfunc_end25-_ZN2at6native32elementwise_kernel_manual_unrollILi128ELi4EZNS0_15gpu_kernel_implIZZZNS0_12_GLOBAL__N_115softplus_kernelERNS_18TensorIteratorBaseERKN3c106ScalarES9_ENKUlvE_clEvENKUlvE1_clEvEUlNS6_4HalfEE_EEvS5_RKT_EUlibE0_EEviT1_
                                        ; -- End function
	.set _ZN2at6native32elementwise_kernel_manual_unrollILi128ELi4EZNS0_15gpu_kernel_implIZZZNS0_12_GLOBAL__N_115softplus_kernelERNS_18TensorIteratorBaseERKN3c106ScalarES9_ENKUlvE_clEvENKUlvE1_clEvEUlNS6_4HalfEE_EEvS5_RKT_EUlibE0_EEviT1_.num_vgpr, 30
	.set _ZN2at6native32elementwise_kernel_manual_unrollILi128ELi4EZNS0_15gpu_kernel_implIZZZNS0_12_GLOBAL__N_115softplus_kernelERNS_18TensorIteratorBaseERKN3c106ScalarES9_ENKUlvE_clEvENKUlvE1_clEvEUlNS6_4HalfEE_EEvS5_RKT_EUlibE0_EEviT1_.num_agpr, 0
	.set _ZN2at6native32elementwise_kernel_manual_unrollILi128ELi4EZNS0_15gpu_kernel_implIZZZNS0_12_GLOBAL__N_115softplus_kernelERNS_18TensorIteratorBaseERKN3c106ScalarES9_ENKUlvE_clEvENKUlvE1_clEvEUlNS6_4HalfEE_EEvS5_RKT_EUlibE0_EEviT1_.numbered_sgpr, 68
	.set _ZN2at6native32elementwise_kernel_manual_unrollILi128ELi4EZNS0_15gpu_kernel_implIZZZNS0_12_GLOBAL__N_115softplus_kernelERNS_18TensorIteratorBaseERKN3c106ScalarES9_ENKUlvE_clEvENKUlvE1_clEvEUlNS6_4HalfEE_EEvS5_RKT_EUlibE0_EEviT1_.num_named_barrier, 0
	.set _ZN2at6native32elementwise_kernel_manual_unrollILi128ELi4EZNS0_15gpu_kernel_implIZZZNS0_12_GLOBAL__N_115softplus_kernelERNS_18TensorIteratorBaseERKN3c106ScalarES9_ENKUlvE_clEvENKUlvE1_clEvEUlNS6_4HalfEE_EEvS5_RKT_EUlibE0_EEviT1_.private_seg_size, 0
	.set _ZN2at6native32elementwise_kernel_manual_unrollILi128ELi4EZNS0_15gpu_kernel_implIZZZNS0_12_GLOBAL__N_115softplus_kernelERNS_18TensorIteratorBaseERKN3c106ScalarES9_ENKUlvE_clEvENKUlvE1_clEvEUlNS6_4HalfEE_EEvS5_RKT_EUlibE0_EEviT1_.uses_vcc, 1
	.set _ZN2at6native32elementwise_kernel_manual_unrollILi128ELi4EZNS0_15gpu_kernel_implIZZZNS0_12_GLOBAL__N_115softplus_kernelERNS_18TensorIteratorBaseERKN3c106ScalarES9_ENKUlvE_clEvENKUlvE1_clEvEUlNS6_4HalfEE_EEvS5_RKT_EUlibE0_EEviT1_.uses_flat_scratch, 0
	.set _ZN2at6native32elementwise_kernel_manual_unrollILi128ELi4EZNS0_15gpu_kernel_implIZZZNS0_12_GLOBAL__N_115softplus_kernelERNS_18TensorIteratorBaseERKN3c106ScalarES9_ENKUlvE_clEvENKUlvE1_clEvEUlNS6_4HalfEE_EEvS5_RKT_EUlibE0_EEviT1_.has_dyn_sized_stack, 0
	.set _ZN2at6native32elementwise_kernel_manual_unrollILi128ELi4EZNS0_15gpu_kernel_implIZZZNS0_12_GLOBAL__N_115softplus_kernelERNS_18TensorIteratorBaseERKN3c106ScalarES9_ENKUlvE_clEvENKUlvE1_clEvEUlNS6_4HalfEE_EEvS5_RKT_EUlibE0_EEviT1_.has_recursion, 0
	.set _ZN2at6native32elementwise_kernel_manual_unrollILi128ELi4EZNS0_15gpu_kernel_implIZZZNS0_12_GLOBAL__N_115softplus_kernelERNS_18TensorIteratorBaseERKN3c106ScalarES9_ENKUlvE_clEvENKUlvE1_clEvEUlNS6_4HalfEE_EEvS5_RKT_EUlibE0_EEviT1_.has_indirect_call, 0
	.section	.AMDGPU.csdata,"",@progbits
; Kernel info:
; codeLenInByte = 55656
; TotalNumSgprs: 70
; NumVgprs: 30
; ScratchSize: 0
; MemoryBound: 0
; FloatMode: 240
; IeeeMode: 1
; LDSByteSize: 0 bytes/workgroup (compile time only)
; SGPRBlocks: 0
; VGPRBlocks: 1
; NumSGPRsForWavesPerEU: 70
; NumVGPRsForWavesPerEU: 30
; NamedBarCnt: 0
; Occupancy: 16
; WaveLimiterHint : 1
; COMPUTE_PGM_RSRC2:SCRATCH_EN: 0
; COMPUTE_PGM_RSRC2:USER_SGPR: 2
; COMPUTE_PGM_RSRC2:TRAP_HANDLER: 0
; COMPUTE_PGM_RSRC2:TGID_X_EN: 1
; COMPUTE_PGM_RSRC2:TGID_Y_EN: 0
; COMPUTE_PGM_RSRC2:TGID_Z_EN: 0
; COMPUTE_PGM_RSRC2:TIDIG_COMP_CNT: 0
	.text
	.p2align	2                               ; -- Begin function _ZN2at6native25elementwise_kernel_helperILb0EZZZNS0_12_GLOBAL__N_115softplus_kernelERNS_18TensorIteratorBaseERKN3c106ScalarES8_ENKUlvE_clEvENKUlvE2_clEvEUlNS5_8BFloat16EE_NS0_6memory8policies11unroll_baseILi256ESt5arrayIPcLm2EE23TrivialOffsetCalculatorILi1EjESK_NSD_15LoadWithoutCastENSD_16StoreWithoutCastELi8ELi1EEEEEvT0_T1_
	.type	_ZN2at6native25elementwise_kernel_helperILb0EZZZNS0_12_GLOBAL__N_115softplus_kernelERNS_18TensorIteratorBaseERKN3c106ScalarES8_ENKUlvE_clEvENKUlvE2_clEvEUlNS5_8BFloat16EE_NS0_6memory8policies11unroll_baseILi256ESt5arrayIPcLm2EE23TrivialOffsetCalculatorILi1EjESK_NSD_15LoadWithoutCastENSD_16StoreWithoutCastELi8ELi1EEEEEvT0_T1_,@function
_ZN2at6native25elementwise_kernel_helperILb0EZZZNS0_12_GLOBAL__N_115softplus_kernelERNS_18TensorIteratorBaseERKN3c106ScalarES8_ENKUlvE_clEvENKUlvE2_clEvEUlNS5_8BFloat16EE_NS0_6memory8policies11unroll_baseILi256ESt5arrayIPcLm2EE23TrivialOffsetCalculatorILi1EjESK_NSD_15LoadWithoutCastENSD_16StoreWithoutCastELi8ELi1EEEEEvT0_T1_: ; @_ZN2at6native25elementwise_kernel_helperILb0EZZZNS0_12_GLOBAL__N_115softplus_kernelERNS_18TensorIteratorBaseERKN3c106ScalarES8_ENKUlvE_clEvENKUlvE2_clEvEUlNS5_8BFloat16EE_NS0_6memory8policies11unroll_baseILi256ESt5arrayIPcLm2EE23TrivialOffsetCalculatorILi1EjESK_NSD_15LoadWithoutCastENSD_16StoreWithoutCastELi8ELi1EEEEEvT0_T1_
; %bb.0:
	s_wait_loadcnt_dscnt 0x0
	s_wait_kmcnt 0x0
	s_bfe_u32 s0, ttmp6, 0x4000c
	s_and_b32 s1, ttmp6, 15
	s_add_co_i32 s0, s0, 1
	s_getreg_b32 s2, hwreg(HW_REG_IB_STS2, 6, 4)
	s_mul_i32 s0, ttmp9, s0
	v_and_b32_e32 v7, 0x3ff, v31
	s_add_co_i32 s1, s1, s0
	s_cmp_eq_u32 s2, 0
	v_mov_b32_e32 v17, 0
	s_cselect_b32 s0, ttmp9, s1
	v_add_nc_u32_e32 v10, 0x100, v7
	s_lshl_b32 s1, s0, 11
	v_cmp_lt_i32_e64 s0, v7, v6
	v_dual_mov_b32 v13, 0 :: v_dual_bitop2_b32 v8, s1, v7 bitop3:0x54
	v_mov_b32_e32 v18, v7
	s_and_saveexec_b32 s2, s0
	s_cbranch_execz .LBB26_2
; %bb.1:
	v_dual_mov_b32 v9, 0 :: v_dual_add_nc_u32 v18, 0x100, v7
	s_delay_alu instid0(VALU_DEP_1)
	v_lshl_add_u64 v[14:15], v[8:9], 1, v[4:5]
	flat_load_u16 v9, v[14:15]
	s_wait_loadcnt_dscnt 0x0
	v_lshlrev_b32_e32 v17, 16, v9
.LBB26_2:
	s_wait_xcnt 0x0
	s_or_b32 exec_lo, exec_lo, s2
	s_delay_alu instid0(SALU_CYCLE_1)
	s_mov_b32 s2, exec_lo
	v_cmpx_lt_i32_e64 v18, v6
	s_cbranch_execz .LBB26_4
; %bb.3:
	v_dual_mov_b32 v13, 0 :: v_dual_add_nc_u32 v12, s1, v18
	v_add_nc_u32_e32 v18, 0x100, v18
	s_delay_alu instid0(VALU_DEP_2)
	v_lshl_add_u64 v[12:13], v[12:13], 1, v[4:5]
	flat_load_u16 v9, v[12:13]
	s_wait_loadcnt_dscnt 0x0
	v_lshlrev_b32_e32 v13, 16, v9
.LBB26_4:
	s_or_b32 exec_lo, exec_lo, s2
	v_dual_mov_b32 v16, 0 :: v_dual_mov_b32 v15, 0
	s_mov_b32 s2, exec_lo
	v_cmpx_lt_i32_e64 v18, v6
	s_cbranch_execz .LBB26_6
; %bb.5:
	v_dual_mov_b32 v15, 0 :: v_dual_add_nc_u32 v14, s1, v18
	v_add_nc_u32_e32 v18, 0x100, v18
	s_delay_alu instid0(VALU_DEP_2)
	v_lshl_add_u64 v[14:15], v[14:15], 1, v[4:5]
	flat_load_u16 v9, v[14:15]
	s_wait_loadcnt_dscnt 0x0
	v_lshlrev_b32_e32 v15, 16, v9
.LBB26_6:
	s_or_b32 exec_lo, exec_lo, s2
	s_delay_alu instid0(SALU_CYCLE_1)
	s_mov_b32 s2, exec_lo
	v_cmpx_lt_i32_e64 v18, v6
	s_cbranch_execz .LBB26_8
; %bb.7:
	v_dual_mov_b32 v21, 0 :: v_dual_add_nc_u32 v20, s1, v18
	v_add_nc_u32_e32 v18, 0x100, v18
	s_delay_alu instid0(VALU_DEP_2)
	v_lshl_add_u64 v[20:21], v[20:21], 1, v[4:5]
	flat_load_u16 v9, v[20:21]
	s_wait_loadcnt_dscnt 0x0
	v_lshlrev_b32_e32 v16, 16, v9
.LBB26_8:
	s_wait_xcnt 0x0
	s_or_b32 exec_lo, exec_lo, s2
	v_dual_mov_b32 v12, 0 :: v_dual_mov_b32 v14, 0
	s_mov_b32 s2, exec_lo
	v_cmpx_lt_i32_e64 v18, v6
	s_cbranch_execz .LBB26_10
; %bb.9:
	v_dual_mov_b32 v21, 0 :: v_dual_add_nc_u32 v20, s1, v18
	v_add_nc_u32_e32 v18, 0x100, v18
	s_delay_alu instid0(VALU_DEP_2)
	v_lshl_add_u64 v[20:21], v[20:21], 1, v[4:5]
	flat_load_u16 v9, v[20:21]
	s_wait_loadcnt_dscnt 0x0
	v_lshlrev_b32_e32 v14, 16, v9
.LBB26_10:
	s_wait_xcnt 0x0
	s_or_b32 exec_lo, exec_lo, s2
	s_delay_alu instid0(SALU_CYCLE_1)
	s_mov_b32 s2, exec_lo
	v_cmpx_lt_i32_e64 v18, v6
	s_cbranch_execz .LBB26_12
; %bb.11:
	v_dual_mov_b32 v21, 0 :: v_dual_add_nc_u32 v20, s1, v18
	v_add_nc_u32_e32 v18, 0x100, v18
	s_delay_alu instid0(VALU_DEP_2)
	v_lshl_add_u64 v[20:21], v[20:21], 1, v[4:5]
	flat_load_u16 v9, v[20:21]
	s_wait_loadcnt_dscnt 0x0
	v_lshlrev_b32_e32 v12, 16, v9
.LBB26_12:
	s_wait_xcnt 0x0
	s_or_b32 exec_lo, exec_lo, s2
	v_dual_mov_b32 v9, 0 :: v_dual_mov_b32 v11, 0
	s_mov_b32 s2, exec_lo
	v_cmpx_lt_i32_e64 v18, v6
	s_cbranch_execz .LBB26_16
; %bb.13:
	v_dual_mov_b32 v21, 0 :: v_dual_add_nc_u32 v20, s1, v18
	v_add_nc_u32_e32 v18, 0x100, v18
	s_delay_alu instid0(VALU_DEP_2)
	v_lshl_add_u64 v[20:21], v[20:21], 1, v[4:5]
	flat_load_u16 v11, v[20:21]
	s_wait_loadcnt_dscnt 0x0
	v_lshlrev_b32_e32 v11, 16, v11
	s_wait_xcnt 0x0
	s_or_b32 exec_lo, exec_lo, s2
	s_delay_alu instid0(SALU_CYCLE_1)
	s_mov_b32 s2, exec_lo
	v_cmpx_lt_i32_e64 v18, v6
	s_cbranch_execnz .LBB26_17
.LBB26_14:
	s_or_b32 exec_lo, exec_lo, s2
                                        ; implicit-def: $vgpr4
	s_and_saveexec_b32 s2, s0
	s_cbranch_execnz .LBB26_18
.LBB26_15:
	s_or_b32 exec_lo, exec_lo, s2
	s_delay_alu instid0(SALU_CYCLE_1)
	s_mov_b32 s2, exec_lo
                                        ; implicit-def: $vgpr5
	v_cmpx_lt_i32_e64 v10, v6
	s_cbranch_execz .LBB26_24
	s_branch .LBB26_21
.LBB26_16:
	s_or_b32 exec_lo, exec_lo, s2
	s_delay_alu instid0(SALU_CYCLE_1)
	s_mov_b32 s2, exec_lo
	v_cmpx_lt_i32_e64 v18, v6
	s_cbranch_execz .LBB26_14
.LBB26_17:
	v_dual_mov_b32 v19, 0 :: v_dual_add_nc_u32 v18, s1, v18
	s_delay_alu instid0(VALU_DEP_1)
	v_lshl_add_u64 v[4:5], v[18:19], 1, v[4:5]
	flat_load_u16 v4, v[4:5]
	s_wait_loadcnt_dscnt 0x0
	v_lshlrev_b32_e32 v9, 16, v4
	s_wait_xcnt 0x0
	s_or_b32 exec_lo, exec_lo, s2
                                        ; implicit-def: $vgpr4
	s_and_saveexec_b32 s2, s0
	s_cbranch_execz .LBB26_15
.LBB26_18:
	v_mul_f32_e32 v4, v17, v0
	s_mov_b32 s3, exec_lo
	s_delay_alu instid0(VALU_DEP_1)
	v_cmpx_ngt_f32_e32 v4, v1
	s_cbranch_execz .LBB26_20
; %bb.19:
	v_mul_f32_e32 v5, 0x3fb8aa3b, v4
	v_cmp_ngt_f32_e32 vcc_lo, 0xc2ce8ed0, v4
	s_mov_b32 s4, 0x3e9b6dac
	s_delay_alu instid0(VALU_DEP_2) | instskip(SKIP_1) | instid1(VALU_DEP_1)
	v_rndne_f32_e32 v17, v5
	v_fma_f32 v18, 0x3fb8aa3b, v4, -v5
	v_dual_sub_f32 v5, v5, v17 :: v_dual_fmamk_f32 v18, v4, 0x32a5705f, v18
	v_cvt_i32_f32_e32 v17, v17
	s_delay_alu instid0(VALU_DEP_2) | instskip(NEXT) | instid1(VALU_DEP_1)
	v_add_f32_e32 v5, v5, v18
	v_exp_f32_e32 v5, v5
	v_nop
	s_delay_alu instid0(TRANS32_DEP_1) | instskip(NEXT) | instid1(VALU_DEP_1)
	v_ldexp_f32 v5, v5, v17
	v_cndmask_b32_e32 v5, 0, v5, vcc_lo
	v_cmp_nlt_f32_e32 vcc_lo, 0x42b17218, v4
	s_delay_alu instid0(VALU_DEP_2) | instskip(NEXT) | instid1(VALU_DEP_1)
	v_cndmask_b32_e32 v32, 0x7f800000, v5, vcc_lo
	v_add_f32_e32 v17, 1.0, v32
	s_delay_alu instid0(VALU_DEP_1) | instskip(NEXT) | instid1(VALU_DEP_1)
	v_cvt_f64_f32_e32 v[4:5], v17
	v_frexp_exp_i32_f64_e32 v4, v[4:5]
	v_frexp_mant_f32_e32 v5, v17
	s_delay_alu instid0(VALU_DEP_1) | instskip(NEXT) | instid1(VALU_DEP_3)
	v_cmp_gt_f32_e32 vcc_lo, 0x3f2aaaab, v5
	v_subrev_co_ci_u32_e64 v22, null, 0, v4, vcc_lo
	s_delay_alu instid0(VALU_DEP_1) | instskip(SKIP_1) | instid1(VALU_DEP_2)
	v_dual_add_f32 v4, -1.0, v17 :: v_dual_sub_nc_u32 v5, 0, v22
	v_cmp_neq_f32_e32 vcc_lo, 0x7f800000, v32
	v_sub_f32_e32 v18, v4, v17
	v_sub_f32_e32 v4, v32, v4
	s_delay_alu instid0(VALU_DEP_4) | instskip(NEXT) | instid1(VALU_DEP_1)
	v_ldexp_f32 v17, v17, v5
	v_dual_add_f32 v19, 1.0, v17 :: v_dual_add_f32 v18, 1.0, v18
	s_delay_alu instid0(VALU_DEP_1) | instskip(NEXT) | instid1(VALU_DEP_2)
	v_dual_add_f32 v21, -1.0, v17 :: v_dual_add_f32 v4, v4, v18
	v_add_f32_e32 v18, -1.0, v19
	s_delay_alu instid0(VALU_DEP_2) | instskip(NEXT) | instid1(VALU_DEP_2)
	v_ldexp_f32 v4, v4, v5
	v_dual_sub_f32 v5, v17, v18 :: v_dual_add_f32 v18, 1.0, v21
	s_delay_alu instid0(VALU_DEP_1) | instskip(NEXT) | instid1(VALU_DEP_1)
	v_dual_add_f32 v20, v4, v5 :: v_dual_sub_f32 v5, v17, v18
	v_dual_add_f32 v17, v19, v20 :: v_dual_add_f32 v23, v4, v5
	s_delay_alu instid0(VALU_DEP_1) | instskip(NEXT) | instid1(VALU_DEP_1)
	v_rcp_f32_e32 v24, v17
	v_dual_add_f32 v5, v21, v23 :: v_dual_sub_f32 v4, v19, v17
	s_delay_alu instid0(VALU_DEP_1) | instskip(NEXT) | instid1(TRANS32_DEP_1)
	v_sub_f32_e32 v27, v21, v5
	v_mul_f32_e32 v25, v5, v24
	s_delay_alu instid0(VALU_DEP_1) | instskip(NEXT) | instid1(VALU_DEP_1)
	v_dual_add_f32 v26, v20, v4 :: v_dual_mul_f32 v18, v17, v25
	v_fma_f32 v20, v25, v17, -v18
	s_delay_alu instid0(VALU_DEP_1) | instskip(NEXT) | instid1(VALU_DEP_1)
	v_fmac_f32_e32 v20, v25, v26
	v_add_f32_e32 v4, v18, v20
	s_delay_alu instid0(VALU_DEP_1) | instskip(NEXT) | instid1(VALU_DEP_1)
	v_dual_sub_f32 v19, v5, v4 :: v_dual_mov_b32 v21, v4
	v_pk_add_f32 v[4:5], v[4:5], v[18:19] neg_lo:[0,1] neg_hi:[0,1]
	v_add_f32_e32 v18, v23, v27
	s_delay_alu instid0(VALU_DEP_2) | instskip(NEXT) | instid1(VALU_DEP_1)
	v_pk_add_f32 v[4:5], v[4:5], v[20:21] neg_lo:[0,1] neg_hi:[0,1]
	v_add_f32_e32 v5, v18, v5
	s_delay_alu instid0(VALU_DEP_1) | instskip(NEXT) | instid1(VALU_DEP_1)
	v_add_f32_e32 v23, v4, v5
	v_add_f32_e32 v5, v19, v23
	s_delay_alu instid0(VALU_DEP_1) | instskip(NEXT) | instid1(VALU_DEP_1)
	v_mul_f32_e32 v27, v24, v5
	v_mul_f32_e32 v20, v17, v27
	s_delay_alu instid0(VALU_DEP_1) | instskip(SKIP_1) | instid1(VALU_DEP_2)
	v_fma_f32 v18, v27, v17, -v20
	v_sub_f32_e32 v17, v19, v5
	v_fmac_f32_e32 v18, v27, v26
	s_delay_alu instid0(VALU_DEP_1) | instskip(NEXT) | instid1(VALU_DEP_1)
	v_add_f32_e32 v4, v20, v18
	v_dual_sub_f32 v21, v5, v4 :: v_dual_mov_b32 v19, v4
	s_delay_alu instid0(VALU_DEP_4) | instskip(NEXT) | instid1(VALU_DEP_2)
	v_add_f32_e32 v17, v23, v17
	v_pk_add_f32 v[4:5], v[4:5], v[20:21] neg_lo:[0,1] neg_hi:[0,1]
	s_delay_alu instid0(VALU_DEP_1) | instskip(SKIP_1) | instid1(VALU_DEP_2)
	v_pk_add_f32 v[4:5], v[4:5], v[18:19] neg_lo:[0,1] neg_hi:[0,1]
	v_cvt_f32_i32_e32 v18, v22
	v_add_f32_e32 v5, v17, v5
	s_delay_alu instid0(VALU_DEP_1) | instskip(NEXT) | instid1(VALU_DEP_1)
	v_dual_add_f32 v17, v25, v27 :: v_dual_add_f32 v4, v4, v5
	v_sub_f32_e32 v5, v17, v25
	s_delay_alu instid0(VALU_DEP_1) | instskip(NEXT) | instid1(VALU_DEP_1)
	v_dual_add_f32 v4, v21, v4 :: v_dual_sub_f32 v5, v27, v5
	v_mul_f32_e32 v4, v24, v4
	s_delay_alu instid0(VALU_DEP_1) | instskip(NEXT) | instid1(VALU_DEP_1)
	v_dual_add_f32 v23, v5, v4 :: v_dual_mov_b32 v4, 0x3f317218
	v_add_f32_e32 v20, v17, v23
	s_delay_alu instid0(VALU_DEP_1) | instskip(NEXT) | instid1(VALU_DEP_1)
	v_mul_f32_e32 v5, v20, v20
	v_fmaak_f32 v21, s4, v5, 0x3ecc95a3
	v_mul_f32_e32 v19, v20, v5
	s_delay_alu instid0(VALU_DEP_2) | instskip(NEXT) | instid1(VALU_DEP_1)
	v_fmaak_f32 v5, v5, v21, 0x3f2aaada
	v_pk_mul_f32 v[4:5], v[18:19], v[4:5]
	v_ldexp_f32 v19, v20, 1
	v_sub_f32_e32 v17, v20, v17
	s_delay_alu instid0(VALU_DEP_3) | instskip(SKIP_1) | instid1(VALU_DEP_2)
	v_fma_f32 v21, 0x3f317218, v18, -v4
	v_mov_b32_e32 v22, v4
	v_fmamk_f32 v18, v18, 0xb102e308, v21
	s_delay_alu instid0(VALU_DEP_1) | instskip(NEXT) | instid1(VALU_DEP_1)
	v_pk_add_f32 v[20:21], v[4:5], v[18:19]
	v_dual_sub_f32 v19, v21, v19 :: v_dual_sub_f32 v17, v23, v17
	s_delay_alu instid0(VALU_DEP_1) | instskip(NEXT) | instid1(VALU_DEP_2)
	v_sub_f32_e32 v19, v5, v19
	v_ldexp_f32 v17, v17, 1
	s_delay_alu instid0(VALU_DEP_4) | instskip(NEXT) | instid1(VALU_DEP_2)
	v_pk_add_f32 v[4:5], v[20:21], v[4:5] neg_lo:[0,1] neg_hi:[0,1]
	v_dual_add_f32 v23, v17, v19 :: v_dual_mov_b32 v19, v20
	s_delay_alu instid0(VALU_DEP_1) | instskip(NEXT) | instid1(VALU_DEP_1)
	v_pk_add_f32 v[24:25], v[20:21], v[22:23]
	v_dual_mov_b32 v30, v21 :: v_dual_mov_b32 v5, v25
	s_delay_alu instid0(VALU_DEP_1) | instskip(SKIP_2) | instid1(VALU_DEP_3)
	v_pk_add_f32 v[26:27], v[18:19], v[4:5]
	v_mov_b32_e32 v26, v25
	v_pk_add_f32 v[4:5], v[18:19], v[4:5] neg_lo:[0,1] neg_hi:[0,1]
	v_dual_mov_b32 v22, v27 :: v_dual_mov_b32 v5, v27
	s_delay_alu instid0(VALU_DEP_1) | instskip(SKIP_1) | instid1(VALU_DEP_2)
	v_pk_add_f32 v[28:29], v[22:23], v[20:21] neg_lo:[0,1] neg_hi:[0,1]
	v_dual_mov_b32 v21, v20 :: v_dual_mov_b32 v20, v23
	v_dual_mov_b32 v17, v28 :: v_dual_mov_b32 v31, v28
	s_delay_alu instid0(VALU_DEP_1) | instskip(NEXT) | instid1(VALU_DEP_2)
	v_pk_add_f32 v[24:25], v[24:25], v[16:17] neg_lo:[0,1] neg_hi:[0,1]
	v_pk_add_f32 v[18:19], v[26:27], v[30:31] neg_lo:[0,1] neg_hi:[0,1]
	v_mov_b32_e32 v24, v4
	s_delay_alu instid0(VALU_DEP_2) | instskip(NEXT) | instid1(VALU_DEP_1)
	v_pk_add_f32 v[18:19], v[20:21], v[18:19] neg_lo:[0,1] neg_hi:[0,1]
	v_pk_add_f32 v[20:21], v[24:25], v[18:19]
	s_delay_alu instid0(VALU_DEP_1) | instskip(NEXT) | instid1(VALU_DEP_1)
	v_mov_b32_e32 v24, v21
	v_pk_add_f32 v[24:25], v[20:21], v[24:25]
	s_delay_alu instid0(VALU_DEP_1) | instskip(NEXT) | instid1(VALU_DEP_1)
	v_pk_add_f32 v[22:23], v[22:23], v[24:25]
	v_mov_b32_e32 v21, v22
	s_delay_alu instid0(VALU_DEP_1) | instskip(NEXT) | instid1(VALU_DEP_1)
	v_pk_add_f32 v[26:27], v[20:21], v[4:5] neg_lo:[0,1] neg_hi:[0,1]
	v_sub_f32_e32 v5, v20, v26
	s_delay_alu instid0(VALU_DEP_1) | instskip(SKIP_1) | instid1(VALU_DEP_1)
	v_sub_f32_e32 v4, v4, v5
	v_mov_b32_e32 v19, v24
	v_pk_add_f32 v[18:19], v[18:19], v[26:27] neg_lo:[0,1] neg_hi:[0,1]
	s_delay_alu instid0(VALU_DEP_1) | instskip(NEXT) | instid1(VALU_DEP_1)
	v_add_f32_e32 v4, v18, v4
	v_add_f32_e32 v4, v4, v19
	s_delay_alu instid0(VALU_DEP_1) | instskip(NEXT) | instid1(VALU_DEP_1)
	v_add_f32_e32 v4, v22, v4
	v_cndmask_b32_e32 v4, 0x7f800000, v4, vcc_lo
	v_cmp_gt_f32_e64 vcc_lo, 0x33800000, |v32|
	s_delay_alu instid0(VALU_DEP_2) | instskip(NEXT) | instid1(VALU_DEP_1)
	v_cndmask_b32_e32 v4, v4, v32, vcc_lo
	v_div_scale_f32 v5, null, v0, v0, v4
	s_delay_alu instid0(VALU_DEP_1) | instskip(SKIP_1) | instid1(TRANS32_DEP_1)
	v_rcp_f32_e32 v17, v5
	v_nop
	v_fma_f32 v18, -v5, v17, 1.0
	s_delay_alu instid0(VALU_DEP_1) | instskip(SKIP_1) | instid1(VALU_DEP_1)
	v_fmac_f32_e32 v17, v18, v17
	v_div_scale_f32 v18, vcc_lo, v4, v0, v4
	v_mul_f32_e32 v19, v18, v17
	s_delay_alu instid0(VALU_DEP_1) | instskip(NEXT) | instid1(VALU_DEP_1)
	v_fma_f32 v20, -v5, v19, v18
	v_fmac_f32_e32 v19, v20, v17
	s_delay_alu instid0(VALU_DEP_1) | instskip(NEXT) | instid1(VALU_DEP_1)
	v_fma_f32 v5, -v5, v19, v18
	v_div_fmas_f32 v5, v5, v17, v19
	s_delay_alu instid0(VALU_DEP_1)
	v_div_fixup_f32 v17, v5, v0, v4
.LBB26_20:
	s_or_b32 exec_lo, exec_lo, s3
	s_delay_alu instid0(VALU_DEP_1) | instskip(SKIP_1) | instid1(VALU_DEP_2)
	v_bfe_u32 v4, v17, 16, 1
	v_cmp_o_f32_e32 vcc_lo, v17, v17
	v_add3_u32 v4, v17, v4, 0x7fff
	s_delay_alu instid0(VALU_DEP_1) | instskip(NEXT) | instid1(VALU_DEP_1)
	v_lshrrev_b32_e32 v4, 16, v4
	v_cndmask_b32_e32 v4, 0x7fc0, v4, vcc_lo
	s_or_b32 exec_lo, exec_lo, s2
	s_delay_alu instid0(SALU_CYCLE_1)
	s_mov_b32 s2, exec_lo
                                        ; implicit-def: $vgpr5
	v_cmpx_lt_i32_e64 v10, v6
	s_cbranch_execz .LBB26_24
.LBB26_21:
	v_mul_f32_e32 v5, v13, v0
	s_mov_b32 s3, exec_lo
	s_delay_alu instid0(VALU_DEP_1)
	v_cmpx_ngt_f32_e32 v5, v1
	s_cbranch_execz .LBB26_23
; %bb.22:
	v_mul_f32_e32 v13, 0x3fb8aa3b, v5
	v_cmp_ngt_f32_e32 vcc_lo, 0xc2ce8ed0, v5
	s_mov_b32 s4, 0x3e9b6dac
	s_delay_alu instid0(VALU_DEP_2) | instskip(SKIP_1) | instid1(VALU_DEP_2)
	v_rndne_f32_e32 v17, v13
	v_fma_f32 v18, 0x3fb8aa3b, v5, -v13
	v_sub_f32_e32 v13, v13, v17
	s_delay_alu instid0(VALU_DEP_2) | instskip(SKIP_1) | instid1(VALU_DEP_2)
	v_fmamk_f32 v18, v5, 0x32a5705f, v18
	v_cvt_i32_f32_e32 v17, v17
	v_add_f32_e32 v13, v13, v18
	s_delay_alu instid0(VALU_DEP_1) | instskip(SKIP_1) | instid1(TRANS32_DEP_1)
	v_exp_f32_e32 v13, v13
	v_nop
	v_ldexp_f32 v13, v13, v17
	s_delay_alu instid0(VALU_DEP_1) | instskip(SKIP_1) | instid1(VALU_DEP_2)
	v_cndmask_b32_e32 v13, 0, v13, vcc_lo
	v_cmp_nlt_f32_e32 vcc_lo, 0x42b17218, v5
	v_cndmask_b32_e32 v13, 0x7f800000, v13, vcc_lo
	s_delay_alu instid0(VALU_DEP_1) | instskip(NEXT) | instid1(VALU_DEP_1)
	v_add_f32_e32 v5, 1.0, v13
	v_cvt_f64_f32_e32 v[18:19], v5
	s_delay_alu instid0(VALU_DEP_1) | instskip(SKIP_1) | instid1(VALU_DEP_1)
	v_frexp_exp_i32_f64_e32 v17, v[18:19]
	v_frexp_mant_f32_e32 v18, v5
	v_cmp_gt_f32_e32 vcc_lo, 0x3f2aaaab, v18
	v_add_f32_e32 v18, -1.0, v5
	s_delay_alu instid0(VALU_DEP_1) | instskip(NEXT) | instid1(VALU_DEP_1)
	v_sub_f32_e32 v20, v18, v5
	v_dual_add_f32 v20, 1.0, v20 :: v_dual_sub_f32 v18, v13, v18
	s_delay_alu instid0(VALU_DEP_1) | instskip(SKIP_2) | instid1(VALU_DEP_2)
	v_add_f32_e32 v18, v18, v20
	v_subrev_co_ci_u32_e64 v17, null, 0, v17, vcc_lo
	v_cmp_neq_f32_e32 vcc_lo, 0x7f800000, v13
	v_sub_nc_u32_e32 v19, 0, v17
	s_delay_alu instid0(VALU_DEP_1) | instskip(SKIP_1) | instid1(VALU_DEP_2)
	v_ldexp_f32 v5, v5, v19
	v_ldexp_f32 v18, v18, v19
	v_add_f32_e32 v21, 1.0, v5
	s_delay_alu instid0(VALU_DEP_1) | instskip(NEXT) | instid1(VALU_DEP_1)
	v_add_f32_e32 v20, -1.0, v21
	v_dual_add_f32 v23, -1.0, v5 :: v_dual_sub_f32 v19, v5, v20
	s_delay_alu instid0(VALU_DEP_1) | instskip(NEXT) | instid1(VALU_DEP_1)
	v_add_f32_e32 v22, v18, v19
	v_dual_add_f32 v20, 1.0, v23 :: v_dual_add_f32 v24, v21, v22
	s_delay_alu instid0(VALU_DEP_1) | instskip(NEXT) | instid1(VALU_DEP_1)
	v_rcp_f32_e32 v25, v24
	v_sub_f32_e32 v5, v5, v20
	s_delay_alu instid0(VALU_DEP_1) | instskip(NEXT) | instid1(VALU_DEP_1)
	v_dual_add_f32 v5, v18, v5 :: v_dual_sub_f32 v18, v21, v24
	v_add_f32_e32 v19, v23, v5
	s_delay_alu instid0(TRANS32_DEP_1) | instid1(VALU_DEP_1)
	v_mul_f32_e32 v26, v19, v25
	s_delay_alu instid0(VALU_DEP_1) | instskip(NEXT) | instid1(VALU_DEP_4)
	v_mul_f32_e32 v20, v24, v26
	v_dual_add_f32 v27, v22, v18 :: v_dual_sub_f32 v28, v23, v19
	s_delay_alu instid0(VALU_DEP_2) | instskip(NEXT) | instid1(VALU_DEP_1)
	v_fma_f32 v22, v26, v24, -v20
	v_dual_add_f32 v5, v5, v28 :: v_dual_fmac_f32 v22, v26, v27
	s_delay_alu instid0(VALU_DEP_1) | instskip(NEXT) | instid1(VALU_DEP_1)
	v_add_f32_e32 v18, v20, v22
	v_dual_sub_f32 v21, v19, v18 :: v_dual_mov_b32 v23, v18
	s_delay_alu instid0(VALU_DEP_1) | instskip(NEXT) | instid1(VALU_DEP_1)
	v_pk_add_f32 v[18:19], v[18:19], v[20:21] neg_lo:[0,1] neg_hi:[0,1]
	v_pk_add_f32 v[18:19], v[18:19], v[22:23] neg_lo:[0,1] neg_hi:[0,1]
	s_delay_alu instid0(VALU_DEP_1) | instskip(NEXT) | instid1(VALU_DEP_1)
	v_add_f32_e32 v5, v5, v19
	v_add_f32_e32 v5, v18, v5
	s_delay_alu instid0(VALU_DEP_1) | instskip(NEXT) | instid1(VALU_DEP_1)
	v_add_f32_e32 v19, v21, v5
	v_mul_f32_e32 v28, v25, v19
	s_delay_alu instid0(VALU_DEP_1) | instskip(NEXT) | instid1(VALU_DEP_1)
	v_mul_f32_e32 v22, v24, v28
	v_dual_fma_f32 v20, v28, v24, -v22 :: v_dual_sub_f32 v24, v21, v19
	s_delay_alu instid0(VALU_DEP_1) | instskip(NEXT) | instid1(VALU_DEP_1)
	v_fmac_f32_e32 v20, v28, v27
	v_add_f32_e32 v18, v22, v20
	s_delay_alu instid0(VALU_DEP_1) | instskip(NEXT) | instid1(VALU_DEP_1)
	v_dual_sub_f32 v23, v19, v18 :: v_dual_mov_b32 v21, v18
	v_pk_add_f32 v[18:19], v[18:19], v[22:23] neg_lo:[0,1] neg_hi:[0,1]
	v_add_f32_e32 v22, v26, v28
	v_add_f32_e32 v5, v5, v24
	s_delay_alu instid0(VALU_DEP_3) | instskip(SKIP_1) | instid1(VALU_DEP_2)
	v_pk_add_f32 v[18:19], v[18:19], v[20:21] neg_lo:[0,1] neg_hi:[0,1]
	v_cvt_f32_i32_e32 v20, v17
	v_add_f32_e32 v5, v5, v19
	s_delay_alu instid0(VALU_DEP_1) | instskip(NEXT) | instid1(VALU_DEP_1)
	v_add_f32_e32 v5, v18, v5
	v_dual_sub_f32 v18, v22, v26 :: v_dual_add_f32 v5, v23, v5
	s_delay_alu instid0(VALU_DEP_1) | instskip(NEXT) | instid1(VALU_DEP_1)
	v_dual_sub_f32 v18, v28, v18 :: v_dual_mul_f32 v5, v25, v5
	v_dual_add_f32 v5, v18, v5 :: v_dual_mov_b32 v18, 0x3f317218
	s_delay_alu instid0(VALU_DEP_1) | instskip(NEXT) | instid1(VALU_DEP_1)
	v_add_f32_e32 v23, v22, v5
	v_mul_f32_e32 v19, v23, v23
	s_delay_alu instid0(VALU_DEP_1) | instskip(NEXT) | instid1(VALU_DEP_1)
	v_dual_fmaak_f32 v24, s4, v19, 0x3ecc95a3 :: v_dual_mul_f32 v21, v23, v19
	v_fmaak_f32 v19, v19, v24, 0x3f2aaada
	s_delay_alu instid0(VALU_DEP_1) | instskip(NEXT) | instid1(VALU_DEP_1)
	v_pk_mul_f32 v[18:19], v[20:21], v[18:19]
	v_fma_f32 v17, 0x3f317218, v20, -v18
	v_mov_b32_e32 v24, v18
	s_delay_alu instid0(VALU_DEP_2) | instskip(SKIP_2) | instid1(VALU_DEP_2)
	v_fmamk_f32 v20, v20, 0xb102e308, v17
	v_ldexp_f32 v21, v23, 1
	v_sub_f32_e32 v17, v23, v22
	v_pk_add_f32 v[22:23], v[18:19], v[20:21]
	s_delay_alu instid0(VALU_DEP_2) | instskip(NEXT) | instid1(VALU_DEP_2)
	v_sub_f32_e32 v5, v5, v17
	v_dual_sub_f32 v17, v23, v21 :: v_dual_mov_b32 v21, v22
	s_delay_alu instid0(VALU_DEP_1) | instskip(NEXT) | instid1(VALU_DEP_3)
	v_sub_f32_e32 v17, v19, v17
	v_ldexp_f32 v5, v5, 1
	v_pk_add_f32 v[18:19], v[22:23], v[18:19] neg_lo:[0,1] neg_hi:[0,1]
	s_delay_alu instid0(VALU_DEP_2) | instskip(NEXT) | instid1(VALU_DEP_1)
	v_add_f32_e32 v25, v5, v17
	v_pk_add_f32 v[26:27], v[22:23], v[24:25]
	s_delay_alu instid0(VALU_DEP_1) | instskip(NEXT) | instid1(VALU_DEP_1)
	v_dual_mov_b32 v32, v23 :: v_dual_mov_b32 v19, v27
	v_pk_add_f32 v[28:29], v[20:21], v[18:19]
	v_mov_b32_e32 v28, v27
	v_pk_add_f32 v[18:19], v[20:21], v[18:19] neg_lo:[0,1] neg_hi:[0,1]
	s_delay_alu instid0(VALU_DEP_3) | instskip(NEXT) | instid1(VALU_DEP_1)
	v_dual_mov_b32 v24, v29 :: v_dual_mov_b32 v19, v29
	v_pk_add_f32 v[30:31], v[24:25], v[22:23] neg_lo:[0,1] neg_hi:[0,1]
	v_dual_mov_b32 v23, v22 :: v_dual_mov_b32 v22, v25
	s_delay_alu instid0(VALU_DEP_2) | instskip(NEXT) | instid1(VALU_DEP_1)
	v_dual_mov_b32 v5, v30 :: v_dual_mov_b32 v33, v30
	v_pk_add_f32 v[26:27], v[26:27], v[4:5] neg_lo:[0,1] neg_hi:[0,1]
	s_delay_alu instid0(VALU_DEP_2) | instskip(SKIP_1) | instid1(VALU_DEP_2)
	v_pk_add_f32 v[20:21], v[28:29], v[32:33] neg_lo:[0,1] neg_hi:[0,1]
	v_mov_b32_e32 v26, v18
	v_pk_add_f32 v[20:21], v[22:23], v[20:21] neg_lo:[0,1] neg_hi:[0,1]
	s_delay_alu instid0(VALU_DEP_1) | instskip(NEXT) | instid1(VALU_DEP_1)
	v_pk_add_f32 v[22:23], v[26:27], v[20:21]
	v_mov_b32_e32 v26, v23
	s_delay_alu instid0(VALU_DEP_1) | instskip(NEXT) | instid1(VALU_DEP_1)
	v_pk_add_f32 v[26:27], v[22:23], v[26:27]
	v_pk_add_f32 v[24:25], v[24:25], v[26:27]
	s_delay_alu instid0(VALU_DEP_1) | instskip(NEXT) | instid1(VALU_DEP_1)
	v_mov_b32_e32 v23, v24
	v_pk_add_f32 v[28:29], v[22:23], v[18:19] neg_lo:[0,1] neg_hi:[0,1]
	s_delay_alu instid0(VALU_DEP_1) | instskip(NEXT) | instid1(VALU_DEP_1)
	v_sub_f32_e32 v5, v22, v28
	v_sub_f32_e32 v5, v18, v5
	v_mov_b32_e32 v21, v26
	s_delay_alu instid0(VALU_DEP_1) | instskip(NEXT) | instid1(VALU_DEP_1)
	v_pk_add_f32 v[20:21], v[20:21], v[28:29] neg_lo:[0,1] neg_hi:[0,1]
	v_add_f32_e32 v5, v20, v5
	s_delay_alu instid0(VALU_DEP_1) | instskip(NEXT) | instid1(VALU_DEP_1)
	v_add_f32_e32 v5, v5, v21
	v_add_f32_e32 v5, v24, v5
	s_delay_alu instid0(VALU_DEP_1) | instskip(SKIP_1) | instid1(VALU_DEP_2)
	v_cndmask_b32_e32 v5, 0x7f800000, v5, vcc_lo
	v_cmp_gt_f32_e64 vcc_lo, 0x33800000, |v13|
	v_cndmask_b32_e32 v5, v5, v13, vcc_lo
	s_delay_alu instid0(VALU_DEP_1) | instskip(NEXT) | instid1(VALU_DEP_1)
	v_div_scale_f32 v13, null, v0, v0, v5
	v_rcp_f32_e32 v17, v13
	v_nop
	s_delay_alu instid0(TRANS32_DEP_1) | instskip(NEXT) | instid1(VALU_DEP_1)
	v_fma_f32 v18, -v13, v17, 1.0
	v_fmac_f32_e32 v17, v18, v17
	v_div_scale_f32 v18, vcc_lo, v5, v0, v5
	s_delay_alu instid0(VALU_DEP_1) | instskip(NEXT) | instid1(VALU_DEP_1)
	v_mul_f32_e32 v19, v18, v17
	v_fma_f32 v20, -v13, v19, v18
	s_delay_alu instid0(VALU_DEP_1) | instskip(NEXT) | instid1(VALU_DEP_1)
	v_fmac_f32_e32 v19, v20, v17
	v_fma_f32 v13, -v13, v19, v18
	s_delay_alu instid0(VALU_DEP_1) | instskip(NEXT) | instid1(VALU_DEP_1)
	v_div_fmas_f32 v13, v13, v17, v19
	v_div_fixup_f32 v13, v13, v0, v5
.LBB26_23:
	s_or_b32 exec_lo, exec_lo, s3
	s_delay_alu instid0(VALU_DEP_1) | instskip(SKIP_1) | instid1(VALU_DEP_2)
	v_bfe_u32 v5, v13, 16, 1
	v_cmp_o_f32_e32 vcc_lo, v13, v13
	v_add3_u32 v5, v13, v5, 0x7fff
	s_delay_alu instid0(VALU_DEP_1) | instskip(NEXT) | instid1(VALU_DEP_1)
	v_lshrrev_b32_e32 v5, 16, v5
	v_cndmask_b32_e32 v5, 0x7fc0, v5, vcc_lo
.LBB26_24:
	s_or_b32 exec_lo, exec_lo, s2
	v_add_nc_u32_e32 v13, 0x200, v7
	s_delay_alu instid0(VALU_DEP_1)
	v_cmp_lt_i32_e32 vcc_lo, v13, v6
                                        ; implicit-def: $vgpr13
	s_and_saveexec_b32 s2, vcc_lo
	s_cbranch_execz .LBB26_28
; %bb.25:
	v_mul_f32_e32 v13, v15, v0
	s_mov_b32 s3, exec_lo
	s_delay_alu instid0(VALU_DEP_1)
	v_cmpx_ngt_f32_e32 v13, v1
	s_cbranch_execz .LBB26_27
; %bb.26:
	v_mul_f32_e32 v15, 0x3fb8aa3b, v13
	v_cmp_ngt_f32_e32 vcc_lo, 0xc2ce8ed0, v13
	s_mov_b32 s4, 0x3e9b6dac
	s_delay_alu instid0(VALU_DEP_2) | instskip(SKIP_1) | instid1(VALU_DEP_1)
	v_rndne_f32_e32 v17, v15
	v_fma_f32 v18, 0x3fb8aa3b, v13, -v15
	v_dual_sub_f32 v15, v15, v17 :: v_dual_fmamk_f32 v18, v13, 0x32a5705f, v18
	v_cvt_i32_f32_e32 v17, v17
	s_delay_alu instid0(VALU_DEP_2) | instskip(NEXT) | instid1(VALU_DEP_1)
	v_add_f32_e32 v15, v15, v18
	v_exp_f32_e32 v15, v15
	v_nop
	s_delay_alu instid0(TRANS32_DEP_1) | instskip(NEXT) | instid1(VALU_DEP_1)
	v_ldexp_f32 v15, v15, v17
	v_cndmask_b32_e32 v15, 0, v15, vcc_lo
	v_cmp_nlt_f32_e32 vcc_lo, 0x42b17218, v13
	s_delay_alu instid0(VALU_DEP_2) | instskip(NEXT) | instid1(VALU_DEP_1)
	v_cndmask_b32_e32 v15, 0x7f800000, v15, vcc_lo
	v_add_f32_e32 v13, 1.0, v15
	s_delay_alu instid0(VALU_DEP_1) | instskip(NEXT) | instid1(VALU_DEP_1)
	v_cvt_f64_f32_e32 v[18:19], v13
	v_frexp_exp_i32_f64_e32 v17, v[18:19]
	v_frexp_mant_f32_e32 v18, v13
	s_delay_alu instid0(VALU_DEP_1) | instskip(SKIP_1) | instid1(VALU_DEP_1)
	v_cmp_gt_f32_e32 vcc_lo, 0x3f2aaaab, v18
	v_add_f32_e32 v18, -1.0, v13
	v_sub_f32_e32 v20, v18, v13
	s_delay_alu instid0(VALU_DEP_1) | instskip(NEXT) | instid1(VALU_DEP_1)
	v_dual_add_f32 v20, 1.0, v20 :: v_dual_sub_f32 v18, v15, v18
	v_add_f32_e32 v18, v18, v20
	v_subrev_co_ci_u32_e64 v17, null, 0, v17, vcc_lo
	v_cmp_neq_f32_e32 vcc_lo, 0x7f800000, v15
	s_delay_alu instid0(VALU_DEP_2) | instskip(NEXT) | instid1(VALU_DEP_1)
	v_sub_nc_u32_e32 v19, 0, v17
	v_ldexp_f32 v13, v13, v19
	v_ldexp_f32 v18, v18, v19
	s_delay_alu instid0(VALU_DEP_2) | instskip(NEXT) | instid1(VALU_DEP_1)
	v_add_f32_e32 v21, 1.0, v13
	v_add_f32_e32 v20, -1.0, v21
	s_delay_alu instid0(VALU_DEP_1) | instskip(NEXT) | instid1(VALU_DEP_1)
	v_dual_add_f32 v23, -1.0, v13 :: v_dual_sub_f32 v19, v13, v20
	v_add_f32_e32 v22, v18, v19
	s_delay_alu instid0(VALU_DEP_1) | instskip(NEXT) | instid1(VALU_DEP_1)
	v_dual_add_f32 v20, 1.0, v23 :: v_dual_add_f32 v24, v21, v22
	v_rcp_f32_e32 v25, v24
	s_delay_alu instid0(VALU_DEP_1) | instskip(NEXT) | instid1(VALU_DEP_1)
	v_sub_f32_e32 v13, v13, v20
	v_dual_add_f32 v13, v18, v13 :: v_dual_sub_f32 v18, v21, v24
	s_delay_alu instid0(VALU_DEP_1)
	v_add_f32_e32 v19, v23, v13
	s_delay_alu instid0(TRANS32_DEP_1) | instid1(VALU_DEP_1)
	v_mul_f32_e32 v26, v19, v25
	s_delay_alu instid0(VALU_DEP_1) | instskip(NEXT) | instid1(VALU_DEP_4)
	v_mul_f32_e32 v20, v24, v26
	v_dual_add_f32 v27, v22, v18 :: v_dual_sub_f32 v28, v23, v19
	s_delay_alu instid0(VALU_DEP_2) | instskip(NEXT) | instid1(VALU_DEP_1)
	v_fma_f32 v22, v26, v24, -v20
	v_dual_add_f32 v13, v13, v28 :: v_dual_fmac_f32 v22, v26, v27
	s_delay_alu instid0(VALU_DEP_1) | instskip(NEXT) | instid1(VALU_DEP_1)
	v_add_f32_e32 v18, v20, v22
	v_dual_sub_f32 v21, v19, v18 :: v_dual_mov_b32 v23, v18
	s_delay_alu instid0(VALU_DEP_1) | instskip(NEXT) | instid1(VALU_DEP_1)
	v_pk_add_f32 v[18:19], v[18:19], v[20:21] neg_lo:[0,1] neg_hi:[0,1]
	v_pk_add_f32 v[18:19], v[18:19], v[22:23] neg_lo:[0,1] neg_hi:[0,1]
	s_delay_alu instid0(VALU_DEP_1) | instskip(NEXT) | instid1(VALU_DEP_1)
	v_add_f32_e32 v13, v13, v19
	v_add_f32_e32 v13, v18, v13
	s_delay_alu instid0(VALU_DEP_1) | instskip(NEXT) | instid1(VALU_DEP_1)
	v_add_f32_e32 v19, v21, v13
	v_mul_f32_e32 v28, v25, v19
	s_delay_alu instid0(VALU_DEP_1) | instskip(NEXT) | instid1(VALU_DEP_1)
	v_mul_f32_e32 v22, v24, v28
	v_dual_fma_f32 v20, v28, v24, -v22 :: v_dual_sub_f32 v24, v21, v19
	s_delay_alu instid0(VALU_DEP_1) | instskip(NEXT) | instid1(VALU_DEP_1)
	v_fmac_f32_e32 v20, v28, v27
	v_add_f32_e32 v18, v22, v20
	s_delay_alu instid0(VALU_DEP_1) | instskip(NEXT) | instid1(VALU_DEP_1)
	v_dual_sub_f32 v23, v19, v18 :: v_dual_mov_b32 v21, v18
	v_pk_add_f32 v[18:19], v[18:19], v[22:23] neg_lo:[0,1] neg_hi:[0,1]
	v_add_f32_e32 v22, v26, v28
	v_add_f32_e32 v13, v13, v24
	s_delay_alu instid0(VALU_DEP_3) | instskip(SKIP_1) | instid1(VALU_DEP_2)
	v_pk_add_f32 v[18:19], v[18:19], v[20:21] neg_lo:[0,1] neg_hi:[0,1]
	v_cvt_f32_i32_e32 v20, v17
	v_add_f32_e32 v13, v13, v19
	s_delay_alu instid0(VALU_DEP_1) | instskip(NEXT) | instid1(VALU_DEP_1)
	v_add_f32_e32 v13, v18, v13
	v_dual_sub_f32 v18, v22, v26 :: v_dual_add_f32 v13, v23, v13
	s_delay_alu instid0(VALU_DEP_1) | instskip(NEXT) | instid1(VALU_DEP_1)
	v_dual_sub_f32 v18, v28, v18 :: v_dual_mul_f32 v13, v25, v13
	v_dual_add_f32 v13, v18, v13 :: v_dual_mov_b32 v18, 0x3f317218
	s_delay_alu instid0(VALU_DEP_1) | instskip(NEXT) | instid1(VALU_DEP_1)
	v_add_f32_e32 v23, v22, v13
	v_mul_f32_e32 v19, v23, v23
	s_delay_alu instid0(VALU_DEP_1) | instskip(NEXT) | instid1(VALU_DEP_1)
	v_dual_fmaak_f32 v24, s4, v19, 0x3ecc95a3 :: v_dual_mul_f32 v21, v23, v19
	v_fmaak_f32 v19, v19, v24, 0x3f2aaada
	s_delay_alu instid0(VALU_DEP_1) | instskip(NEXT) | instid1(VALU_DEP_1)
	v_pk_mul_f32 v[18:19], v[20:21], v[18:19]
	v_fma_f32 v17, 0x3f317218, v20, -v18
	v_mov_b32_e32 v24, v18
	s_delay_alu instid0(VALU_DEP_2) | instskip(SKIP_2) | instid1(VALU_DEP_2)
	v_fmamk_f32 v20, v20, 0xb102e308, v17
	v_ldexp_f32 v21, v23, 1
	v_sub_f32_e32 v17, v23, v22
	v_pk_add_f32 v[22:23], v[18:19], v[20:21]
	s_delay_alu instid0(VALU_DEP_2) | instskip(NEXT) | instid1(VALU_DEP_2)
	v_sub_f32_e32 v13, v13, v17
	v_dual_sub_f32 v17, v23, v21 :: v_dual_mov_b32 v21, v22
	s_delay_alu instid0(VALU_DEP_1) | instskip(NEXT) | instid1(VALU_DEP_3)
	v_sub_f32_e32 v17, v19, v17
	v_ldexp_f32 v13, v13, 1
	v_pk_add_f32 v[18:19], v[22:23], v[18:19] neg_lo:[0,1] neg_hi:[0,1]
	s_delay_alu instid0(VALU_DEP_2) | instskip(NEXT) | instid1(VALU_DEP_1)
	v_add_f32_e32 v25, v13, v17
	v_pk_add_f32 v[26:27], v[22:23], v[24:25]
	s_delay_alu instid0(VALU_DEP_1) | instskip(NEXT) | instid1(VALU_DEP_1)
	v_dual_mov_b32 v32, v23 :: v_dual_mov_b32 v19, v27
	v_pk_add_f32 v[28:29], v[20:21], v[18:19]
	v_mov_b32_e32 v28, v27
	v_pk_add_f32 v[18:19], v[20:21], v[18:19] neg_lo:[0,1] neg_hi:[0,1]
	s_delay_alu instid0(VALU_DEP_3) | instskip(NEXT) | instid1(VALU_DEP_1)
	v_dual_mov_b32 v24, v29 :: v_dual_mov_b32 v19, v29
	v_pk_add_f32 v[30:31], v[24:25], v[22:23] neg_lo:[0,1] neg_hi:[0,1]
	v_dual_mov_b32 v23, v22 :: v_dual_mov_b32 v22, v25
	s_delay_alu instid0(VALU_DEP_2) | instskip(NEXT) | instid1(VALU_DEP_1)
	v_dual_mov_b32 v13, v30 :: v_dual_mov_b32 v33, v30
	v_pk_add_f32 v[26:27], v[26:27], v[12:13] neg_lo:[0,1] neg_hi:[0,1]
	s_delay_alu instid0(VALU_DEP_2) | instskip(SKIP_1) | instid1(VALU_DEP_2)
	v_pk_add_f32 v[20:21], v[28:29], v[32:33] neg_lo:[0,1] neg_hi:[0,1]
	v_mov_b32_e32 v26, v18
	v_pk_add_f32 v[20:21], v[22:23], v[20:21] neg_lo:[0,1] neg_hi:[0,1]
	s_delay_alu instid0(VALU_DEP_1) | instskip(NEXT) | instid1(VALU_DEP_1)
	v_pk_add_f32 v[22:23], v[26:27], v[20:21]
	v_mov_b32_e32 v26, v23
	s_delay_alu instid0(VALU_DEP_1) | instskip(NEXT) | instid1(VALU_DEP_1)
	v_pk_add_f32 v[26:27], v[22:23], v[26:27]
	v_pk_add_f32 v[24:25], v[24:25], v[26:27]
	s_delay_alu instid0(VALU_DEP_1) | instskip(NEXT) | instid1(VALU_DEP_1)
	v_mov_b32_e32 v23, v24
	v_pk_add_f32 v[28:29], v[22:23], v[18:19] neg_lo:[0,1] neg_hi:[0,1]
	s_delay_alu instid0(VALU_DEP_1) | instskip(NEXT) | instid1(VALU_DEP_1)
	v_sub_f32_e32 v13, v22, v28
	v_sub_f32_e32 v13, v18, v13
	v_mov_b32_e32 v21, v26
	s_delay_alu instid0(VALU_DEP_1) | instskip(NEXT) | instid1(VALU_DEP_1)
	v_pk_add_f32 v[20:21], v[20:21], v[28:29] neg_lo:[0,1] neg_hi:[0,1]
	v_add_f32_e32 v13, v20, v13
	s_delay_alu instid0(VALU_DEP_1) | instskip(NEXT) | instid1(VALU_DEP_1)
	v_add_f32_e32 v13, v13, v21
	v_add_f32_e32 v13, v24, v13
	s_delay_alu instid0(VALU_DEP_1) | instskip(SKIP_1) | instid1(VALU_DEP_2)
	v_cndmask_b32_e32 v13, 0x7f800000, v13, vcc_lo
	v_cmp_gt_f32_e64 vcc_lo, 0x33800000, |v15|
	v_cndmask_b32_e32 v13, v13, v15, vcc_lo
	s_delay_alu instid0(VALU_DEP_1) | instskip(NEXT) | instid1(VALU_DEP_1)
	v_div_scale_f32 v15, null, v0, v0, v13
	v_rcp_f32_e32 v17, v15
	v_nop
	s_delay_alu instid0(TRANS32_DEP_1) | instskip(NEXT) | instid1(VALU_DEP_1)
	v_fma_f32 v18, -v15, v17, 1.0
	v_fmac_f32_e32 v17, v18, v17
	v_div_scale_f32 v18, vcc_lo, v13, v0, v13
	s_delay_alu instid0(VALU_DEP_1) | instskip(NEXT) | instid1(VALU_DEP_1)
	v_mul_f32_e32 v19, v18, v17
	v_fma_f32 v20, -v15, v19, v18
	s_delay_alu instid0(VALU_DEP_1) | instskip(NEXT) | instid1(VALU_DEP_1)
	v_fmac_f32_e32 v19, v20, v17
	v_fma_f32 v15, -v15, v19, v18
	s_delay_alu instid0(VALU_DEP_1) | instskip(NEXT) | instid1(VALU_DEP_1)
	v_div_fmas_f32 v15, v15, v17, v19
	v_div_fixup_f32 v15, v15, v0, v13
.LBB26_27:
	s_or_b32 exec_lo, exec_lo, s3
	s_delay_alu instid0(VALU_DEP_1) | instskip(SKIP_1) | instid1(VALU_DEP_2)
	v_bfe_u32 v13, v15, 16, 1
	v_cmp_o_f32_e32 vcc_lo, v15, v15
	v_add3_u32 v13, v15, v13, 0x7fff
	s_delay_alu instid0(VALU_DEP_1) | instskip(NEXT) | instid1(VALU_DEP_1)
	v_lshrrev_b32_e32 v13, 16, v13
	v_cndmask_b32_e32 v13, 0x7fc0, v13, vcc_lo
.LBB26_28:
	s_or_b32 exec_lo, exec_lo, s2
	v_add_nc_u32_e32 v15, 0x300, v7
	s_delay_alu instid0(VALU_DEP_1)
	v_cmp_lt_i32_e32 vcc_lo, v15, v6
                                        ; implicit-def: $vgpr15
	s_and_saveexec_b32 s2, vcc_lo
	s_cbranch_execz .LBB26_32
; %bb.29:
	v_mul_f32_e32 v15, v16, v0
	s_mov_b32 s3, exec_lo
	s_delay_alu instid0(VALU_DEP_1)
	v_cmpx_ngt_f32_e32 v15, v1
	s_cbranch_execz .LBB26_31
; %bb.30:
	v_mul_f32_e32 v16, 0x3fb8aa3b, v15
	v_cmp_ngt_f32_e32 vcc_lo, 0xc2ce8ed0, v15
	s_mov_b32 s4, 0x3e9b6dac
	s_delay_alu instid0(VALU_DEP_2) | instskip(SKIP_1) | instid1(VALU_DEP_2)
	v_rndne_f32_e32 v17, v16
	v_fma_f32 v18, 0x3fb8aa3b, v15, -v16
	v_sub_f32_e32 v16, v16, v17
	s_delay_alu instid0(VALU_DEP_2) | instskip(SKIP_1) | instid1(VALU_DEP_2)
	v_fmamk_f32 v18, v15, 0x32a5705f, v18
	v_cvt_i32_f32_e32 v17, v17
	v_add_f32_e32 v16, v16, v18
	s_delay_alu instid0(VALU_DEP_1) | instskip(SKIP_1) | instid1(TRANS32_DEP_1)
	v_exp_f32_e32 v16, v16
	v_nop
	v_ldexp_f32 v16, v16, v17
	s_delay_alu instid0(VALU_DEP_1) | instskip(SKIP_1) | instid1(VALU_DEP_2)
	v_cndmask_b32_e32 v16, 0, v16, vcc_lo
	v_cmp_nlt_f32_e32 vcc_lo, 0x42b17218, v15
	v_cndmask_b32_e32 v32, 0x7f800000, v16, vcc_lo
	s_delay_alu instid0(VALU_DEP_1) | instskip(NEXT) | instid1(VALU_DEP_1)
	v_add_f32_e32 v15, 1.0, v32
	v_cvt_f64_f32_e32 v[16:17], v15
	s_delay_alu instid0(VALU_DEP_1) | instskip(SKIP_1) | instid1(VALU_DEP_1)
	v_frexp_exp_i32_f64_e32 v16, v[16:17]
	v_frexp_mant_f32_e32 v17, v15
	v_cmp_gt_f32_e32 vcc_lo, 0x3f2aaaab, v17
	s_delay_alu instid0(VALU_DEP_3) | instskip(NEXT) | instid1(VALU_DEP_1)
	v_subrev_co_ci_u32_e64 v22, null, 0, v16, vcc_lo
	v_dual_add_f32 v16, -1.0, v15 :: v_dual_sub_nc_u32 v17, 0, v22
	s_delay_alu instid0(VALU_DEP_1) | instskip(NEXT) | instid1(VALU_DEP_2)
	v_sub_f32_e32 v18, v16, v15
	v_ldexp_f32 v15, v15, v17
	s_delay_alu instid0(VALU_DEP_1) | instskip(SKIP_2) | instid1(VALU_DEP_2)
	v_dual_add_f32 v18, 1.0, v18 :: v_dual_add_f32 v19, 1.0, v15
	v_dual_add_f32 v21, -1.0, v15 :: v_dual_sub_f32 v16, v32, v16
	v_cmp_neq_f32_e32 vcc_lo, 0x7f800000, v32
	v_dual_add_f32 v16, v16, v18 :: v_dual_add_f32 v18, -1.0, v19
	s_delay_alu instid0(VALU_DEP_1) | instskip(NEXT) | instid1(VALU_DEP_2)
	v_ldexp_f32 v16, v16, v17
	v_dual_sub_f32 v17, v15, v18 :: v_dual_add_f32 v18, 1.0, v21
	s_delay_alu instid0(VALU_DEP_1) | instskip(NEXT) | instid1(VALU_DEP_1)
	v_dual_add_f32 v20, v16, v17 :: v_dual_sub_f32 v15, v15, v18
	v_dual_add_f32 v23, v19, v20 :: v_dual_add_f32 v15, v16, v15
	s_delay_alu instid0(VALU_DEP_1) | instskip(NEXT) | instid1(VALU_DEP_1)
	v_rcp_f32_e32 v24, v23
	v_add_f32_e32 v17, v21, v15
	s_delay_alu instid0(TRANS32_DEP_1) | instid1(VALU_DEP_1)
	v_dual_sub_f32 v16, v19, v23 :: v_dual_mul_f32 v25, v17, v24
	s_delay_alu instid0(VALU_DEP_1) | instskip(SKIP_1) | instid1(VALU_DEP_2)
	v_dual_mul_f32 v18, v23, v25 :: v_dual_add_f32 v26, v20, v16
	v_sub_f32_e32 v27, v21, v17
	v_fma_f32 v20, v25, v23, -v18
	s_delay_alu instid0(VALU_DEP_1) | instskip(NEXT) | instid1(VALU_DEP_1)
	v_dual_add_f32 v15, v15, v27 :: v_dual_fmac_f32 v20, v25, v26
	v_add_f32_e32 v16, v18, v20
	s_delay_alu instid0(VALU_DEP_1) | instskip(NEXT) | instid1(VALU_DEP_1)
	v_dual_sub_f32 v19, v17, v16 :: v_dual_mov_b32 v21, v16
	v_pk_add_f32 v[16:17], v[16:17], v[18:19] neg_lo:[0,1] neg_hi:[0,1]
	s_delay_alu instid0(VALU_DEP_1) | instskip(NEXT) | instid1(VALU_DEP_1)
	v_pk_add_f32 v[16:17], v[16:17], v[20:21] neg_lo:[0,1] neg_hi:[0,1]
	v_add_f32_e32 v15, v15, v17
	s_delay_alu instid0(VALU_DEP_1) | instskip(NEXT) | instid1(VALU_DEP_1)
	v_add_f32_e32 v15, v16, v15
	v_add_f32_e32 v17, v19, v15
	s_delay_alu instid0(VALU_DEP_1) | instskip(NEXT) | instid1(VALU_DEP_1)
	v_mul_f32_e32 v27, v24, v17
	v_mul_f32_e32 v20, v23, v27
	s_delay_alu instid0(VALU_DEP_1) | instskip(NEXT) | instid1(VALU_DEP_1)
	v_fma_f32 v18, v27, v23, -v20
	v_fmac_f32_e32 v18, v27, v26
	s_delay_alu instid0(VALU_DEP_1) | instskip(NEXT) | instid1(VALU_DEP_1)
	v_dual_add_f32 v16, v20, v18 :: v_dual_sub_f32 v23, v19, v17
	v_dual_sub_f32 v21, v17, v16 :: v_dual_mov_b32 v19, v16
	s_delay_alu instid0(VALU_DEP_1) | instskip(SKIP_1) | instid1(VALU_DEP_4)
	v_pk_add_f32 v[16:17], v[16:17], v[20:21] neg_lo:[0,1] neg_hi:[0,1]
	v_add_f32_e32 v20, v25, v27
	v_add_f32_e32 v15, v15, v23
	s_delay_alu instid0(VALU_DEP_3) | instskip(SKIP_1) | instid1(VALU_DEP_2)
	v_pk_add_f32 v[16:17], v[16:17], v[18:19] neg_lo:[0,1] neg_hi:[0,1]
	v_cvt_f32_i32_e32 v18, v22
	v_add_f32_e32 v15, v15, v17
	s_delay_alu instid0(VALU_DEP_1) | instskip(SKIP_1) | instid1(VALU_DEP_1)
	v_add_f32_e32 v15, v16, v15
	v_sub_f32_e32 v16, v20, v25
	v_dual_sub_f32 v16, v27, v16 :: v_dual_add_f32 v15, v21, v15
	s_delay_alu instid0(VALU_DEP_1) | instskip(NEXT) | instid1(VALU_DEP_1)
	v_mul_f32_e32 v15, v24, v15
	v_dual_add_f32 v15, v16, v15 :: v_dual_mov_b32 v16, 0x3f317218
	s_delay_alu instid0(VALU_DEP_1) | instskip(NEXT) | instid1(VALU_DEP_1)
	v_add_f32_e32 v21, v20, v15
	v_mul_f32_e32 v17, v21, v21
	s_delay_alu instid0(VALU_DEP_1) | instskip(SKIP_1) | instid1(VALU_DEP_2)
	v_fmaak_f32 v23, s4, v17, 0x3ecc95a3
	v_mul_f32_e32 v19, v21, v17
	v_fmaak_f32 v17, v17, v23, 0x3f2aaada
	s_delay_alu instid0(VALU_DEP_1) | instskip(NEXT) | instid1(VALU_DEP_1)
	v_pk_mul_f32 v[16:17], v[18:19], v[16:17]
	v_fma_f32 v22, 0x3f317218, v18, -v16
	s_delay_alu instid0(VALU_DEP_1) | instskip(SKIP_1) | instid1(VALU_DEP_1)
	v_fmamk_f32 v18, v18, 0xb102e308, v22
	v_sub_f32_e32 v22, v21, v20
	v_sub_f32_e32 v15, v15, v22
	v_ldexp_f32 v19, v21, 1
	v_mov_b32_e32 v22, v16
	s_delay_alu instid0(VALU_DEP_3) | instskip(NEXT) | instid1(VALU_DEP_3)
	v_ldexp_f32 v15, v15, 1
	v_pk_add_f32 v[20:21], v[16:17], v[18:19]
	s_delay_alu instid0(VALU_DEP_1) | instskip(NEXT) | instid1(VALU_DEP_1)
	v_dual_sub_f32 v19, v21, v19 :: v_dual_mov_b32 v30, v21
	v_sub_f32_e32 v19, v17, v19
	s_delay_alu instid0(VALU_DEP_3) | instskip(NEXT) | instid1(VALU_DEP_2)
	v_pk_add_f32 v[16:17], v[20:21], v[16:17] neg_lo:[0,1] neg_hi:[0,1]
	v_dual_add_f32 v23, v15, v19 :: v_dual_mov_b32 v19, v20
	s_delay_alu instid0(VALU_DEP_1) | instskip(NEXT) | instid1(VALU_DEP_1)
	v_pk_add_f32 v[24:25], v[20:21], v[22:23]
	v_mov_b32_e32 v17, v25
	s_delay_alu instid0(VALU_DEP_1) | instskip(SKIP_2) | instid1(VALU_DEP_3)
	v_pk_add_f32 v[26:27], v[18:19], v[16:17]
	v_mov_b32_e32 v26, v25
	v_pk_add_f32 v[16:17], v[18:19], v[16:17] neg_lo:[0,1] neg_hi:[0,1]
	v_dual_mov_b32 v22, v27 :: v_dual_mov_b32 v17, v27
	s_delay_alu instid0(VALU_DEP_1) | instskip(SKIP_1) | instid1(VALU_DEP_2)
	v_pk_add_f32 v[28:29], v[22:23], v[20:21] neg_lo:[0,1] neg_hi:[0,1]
	v_dual_mov_b32 v21, v20 :: v_dual_mov_b32 v20, v23
	v_dual_mov_b32 v15, v28 :: v_dual_mov_b32 v31, v28
	s_delay_alu instid0(VALU_DEP_1) | instskip(NEXT) | instid1(VALU_DEP_2)
	v_pk_add_f32 v[24:25], v[24:25], v[14:15] neg_lo:[0,1] neg_hi:[0,1]
	v_pk_add_f32 v[18:19], v[26:27], v[30:31] neg_lo:[0,1] neg_hi:[0,1]
	v_mov_b32_e32 v24, v16
	s_delay_alu instid0(VALU_DEP_2) | instskip(NEXT) | instid1(VALU_DEP_1)
	v_pk_add_f32 v[18:19], v[20:21], v[18:19] neg_lo:[0,1] neg_hi:[0,1]
	v_pk_add_f32 v[20:21], v[24:25], v[18:19]
	s_delay_alu instid0(VALU_DEP_1) | instskip(NEXT) | instid1(VALU_DEP_1)
	v_mov_b32_e32 v24, v21
	v_pk_add_f32 v[24:25], v[20:21], v[24:25]
	s_delay_alu instid0(VALU_DEP_1) | instskip(NEXT) | instid1(VALU_DEP_1)
	v_pk_add_f32 v[22:23], v[22:23], v[24:25]
	v_mov_b32_e32 v21, v22
	s_delay_alu instid0(VALU_DEP_1) | instskip(NEXT) | instid1(VALU_DEP_1)
	v_pk_add_f32 v[26:27], v[20:21], v[16:17] neg_lo:[0,1] neg_hi:[0,1]
	v_sub_f32_e32 v15, v20, v26
	s_delay_alu instid0(VALU_DEP_1) | instskip(SKIP_1) | instid1(VALU_DEP_1)
	v_sub_f32_e32 v15, v16, v15
	v_mov_b32_e32 v19, v24
	v_pk_add_f32 v[18:19], v[18:19], v[26:27] neg_lo:[0,1] neg_hi:[0,1]
	s_delay_alu instid0(VALU_DEP_1) | instskip(NEXT) | instid1(VALU_DEP_1)
	v_add_f32_e32 v15, v18, v15
	v_add_f32_e32 v15, v15, v19
	s_delay_alu instid0(VALU_DEP_1) | instskip(NEXT) | instid1(VALU_DEP_1)
	v_add_f32_e32 v15, v22, v15
	v_cndmask_b32_e32 v15, 0x7f800000, v15, vcc_lo
	v_cmp_gt_f32_e64 vcc_lo, 0x33800000, |v32|
	s_delay_alu instid0(VALU_DEP_2) | instskip(NEXT) | instid1(VALU_DEP_1)
	v_cndmask_b32_e32 v15, v15, v32, vcc_lo
	v_div_scale_f32 v16, null, v0, v0, v15
	s_delay_alu instid0(VALU_DEP_1) | instskip(SKIP_1) | instid1(TRANS32_DEP_1)
	v_rcp_f32_e32 v17, v16
	v_nop
	v_fma_f32 v18, -v16, v17, 1.0
	s_delay_alu instid0(VALU_DEP_1) | instskip(SKIP_1) | instid1(VALU_DEP_1)
	v_fmac_f32_e32 v17, v18, v17
	v_div_scale_f32 v18, vcc_lo, v15, v0, v15
	v_mul_f32_e32 v19, v18, v17
	s_delay_alu instid0(VALU_DEP_1) | instskip(NEXT) | instid1(VALU_DEP_1)
	v_fma_f32 v20, -v16, v19, v18
	v_fmac_f32_e32 v19, v20, v17
	s_delay_alu instid0(VALU_DEP_1) | instskip(NEXT) | instid1(VALU_DEP_1)
	v_fma_f32 v16, -v16, v19, v18
	v_div_fmas_f32 v16, v16, v17, v19
	s_delay_alu instid0(VALU_DEP_1)
	v_div_fixup_f32 v16, v16, v0, v15
.LBB26_31:
	s_or_b32 exec_lo, exec_lo, s3
	s_delay_alu instid0(VALU_DEP_1) | instskip(SKIP_1) | instid1(VALU_DEP_2)
	v_bfe_u32 v15, v16, 16, 1
	v_cmp_o_f32_e32 vcc_lo, v16, v16
	v_add3_u32 v15, v16, v15, 0x7fff
	s_delay_alu instid0(VALU_DEP_1) | instskip(NEXT) | instid1(VALU_DEP_1)
	v_lshrrev_b32_e32 v15, 16, v15
	v_cndmask_b32_e32 v15, 0x7fc0, v15, vcc_lo
.LBB26_32:
	s_or_b32 exec_lo, exec_lo, s2
	v_or_b32_e32 v16, 0x400, v7
	s_delay_alu instid0(VALU_DEP_1)
	v_cmp_lt_i32_e32 vcc_lo, v16, v6
                                        ; implicit-def: $vgpr16
	s_and_saveexec_b32 s2, vcc_lo
	s_cbranch_execz .LBB26_36
; %bb.33:
	v_mul_f32_e32 v16, v14, v0
	s_mov_b32 s3, exec_lo
	s_delay_alu instid0(VALU_DEP_1)
	v_cmpx_ngt_f32_e32 v16, v1
	s_cbranch_execz .LBB26_35
; %bb.34:
	v_mul_f32_e32 v14, 0x3fb8aa3b, v16
	v_cmp_ngt_f32_e32 vcc_lo, 0xc2ce8ed0, v16
	s_mov_b32 s4, 0x3e9b6dac
	s_delay_alu instid0(VALU_DEP_2) | instskip(SKIP_1) | instid1(VALU_DEP_2)
	v_rndne_f32_e32 v17, v14
	v_fma_f32 v18, 0x3fb8aa3b, v16, -v14
	v_sub_f32_e32 v14, v14, v17
	s_delay_alu instid0(VALU_DEP_2) | instskip(SKIP_1) | instid1(VALU_DEP_2)
	v_fmamk_f32 v18, v16, 0x32a5705f, v18
	v_cvt_i32_f32_e32 v17, v17
	v_add_f32_e32 v14, v14, v18
	s_delay_alu instid0(VALU_DEP_1) | instskip(SKIP_1) | instid1(TRANS32_DEP_1)
	v_exp_f32_e32 v14, v14
	v_nop
	v_ldexp_f32 v14, v14, v17
	s_delay_alu instid0(VALU_DEP_1) | instskip(SKIP_1) | instid1(VALU_DEP_2)
	v_cndmask_b32_e32 v14, 0, v14, vcc_lo
	v_cmp_nlt_f32_e32 vcc_lo, 0x42b17218, v16
	v_cndmask_b32_e32 v32, 0x7f800000, v14, vcc_lo
	s_delay_alu instid0(VALU_DEP_1) | instskip(NEXT) | instid1(VALU_DEP_1)
	v_add_f32_e32 v14, 1.0, v32
	v_cvt_f64_f32_e32 v[16:17], v14
	s_delay_alu instid0(VALU_DEP_1) | instskip(SKIP_1) | instid1(VALU_DEP_1)
	v_frexp_exp_i32_f64_e32 v16, v[16:17]
	v_frexp_mant_f32_e32 v17, v14
	v_cmp_gt_f32_e32 vcc_lo, 0x3f2aaaab, v17
	s_delay_alu instid0(VALU_DEP_3) | instskip(SKIP_1) | instid1(VALU_DEP_2)
	v_subrev_co_ci_u32_e64 v22, null, 0, v16, vcc_lo
	v_add_f32_e32 v16, -1.0, v14
	v_sub_nc_u32_e32 v17, 0, v22
	s_delay_alu instid0(VALU_DEP_2) | instskip(NEXT) | instid1(VALU_DEP_2)
	v_sub_f32_e32 v18, v16, v14
	v_ldexp_f32 v14, v14, v17
	s_delay_alu instid0(VALU_DEP_2) | instskip(NEXT) | instid1(VALU_DEP_2)
	v_add_f32_e32 v18, 1.0, v18
	v_dual_add_f32 v19, 1.0, v14 :: v_dual_add_f32 v21, -1.0, v14
	v_sub_f32_e32 v16, v32, v16
	v_cmp_neq_f32_e32 vcc_lo, 0x7f800000, v32
	s_delay_alu instid0(VALU_DEP_2) | instskip(NEXT) | instid1(VALU_DEP_1)
	v_dual_add_f32 v16, v16, v18 :: v_dual_add_f32 v18, -1.0, v19
	v_ldexp_f32 v16, v16, v17
	s_delay_alu instid0(VALU_DEP_2) | instskip(NEXT) | instid1(VALU_DEP_1)
	v_dual_sub_f32 v17, v14, v18 :: v_dual_add_f32 v18, 1.0, v21
	v_dual_sub_f32 v14, v14, v18 :: v_dual_add_f32 v20, v16, v17
	s_delay_alu instid0(VALU_DEP_1) | instskip(NEXT) | instid1(VALU_DEP_1)
	v_dual_add_f32 v14, v16, v14 :: v_dual_add_f32 v23, v19, v20
	v_dual_add_f32 v17, v21, v14 :: v_dual_sub_f32 v16, v19, v23
	v_rcp_f32_e32 v24, v23
	s_delay_alu instid0(VALU_DEP_1)
	v_dual_sub_f32 v27, v21, v17 :: v_dual_add_f32 v26, v20, v16
	s_delay_alu instid0(TRANS32_DEP_1) | instid1(VALU_DEP_1)
	v_dual_mul_f32 v25, v17, v24 :: v_dual_add_f32 v14, v14, v27
	s_delay_alu instid0(VALU_DEP_1) | instskip(NEXT) | instid1(VALU_DEP_1)
	v_mul_f32_e32 v18, v23, v25
	v_fma_f32 v20, v25, v23, -v18
	s_delay_alu instid0(VALU_DEP_1) | instskip(NEXT) | instid1(VALU_DEP_1)
	v_fmac_f32_e32 v20, v25, v26
	v_add_f32_e32 v16, v18, v20
	s_delay_alu instid0(VALU_DEP_1) | instskip(NEXT) | instid1(VALU_DEP_1)
	v_dual_sub_f32 v19, v17, v16 :: v_dual_mov_b32 v21, v16
	v_pk_add_f32 v[16:17], v[16:17], v[18:19] neg_lo:[0,1] neg_hi:[0,1]
	s_delay_alu instid0(VALU_DEP_1) | instskip(NEXT) | instid1(VALU_DEP_1)
	v_pk_add_f32 v[16:17], v[16:17], v[20:21] neg_lo:[0,1] neg_hi:[0,1]
	v_add_f32_e32 v14, v14, v17
	s_delay_alu instid0(VALU_DEP_1) | instskip(NEXT) | instid1(VALU_DEP_1)
	v_add_f32_e32 v14, v16, v14
	v_add_f32_e32 v17, v19, v14
	s_delay_alu instid0(VALU_DEP_1) | instskip(NEXT) | instid1(VALU_DEP_1)
	v_mul_f32_e32 v27, v24, v17
	v_mul_f32_e32 v20, v23, v27
	s_delay_alu instid0(VALU_DEP_1) | instskip(SKIP_1) | instid1(VALU_DEP_2)
	v_fma_f32 v18, v27, v23, -v20
	v_sub_f32_e32 v23, v19, v17
	v_fmac_f32_e32 v18, v27, v26
	s_delay_alu instid0(VALU_DEP_1) | instskip(NEXT) | instid1(VALU_DEP_1)
	v_add_f32_e32 v16, v20, v18
	v_dual_sub_f32 v21, v17, v16 :: v_dual_mov_b32 v19, v16
	s_delay_alu instid0(VALU_DEP_1) | instskip(NEXT) | instid1(VALU_DEP_1)
	v_pk_add_f32 v[16:17], v[16:17], v[20:21] neg_lo:[0,1] neg_hi:[0,1]
	v_pk_add_f32 v[16:17], v[16:17], v[18:19] neg_lo:[0,1] neg_hi:[0,1]
	v_add_f32_e32 v20, v25, v27
	v_add_f32_e32 v14, v14, v23
	v_cvt_f32_i32_e32 v18, v22
	s_delay_alu instid0(VALU_DEP_2) | instskip(NEXT) | instid1(VALU_DEP_1)
	v_add_f32_e32 v14, v14, v17
	v_add_f32_e32 v14, v16, v14
	s_delay_alu instid0(VALU_DEP_1) | instskip(NEXT) | instid1(VALU_DEP_1)
	v_dual_sub_f32 v16, v20, v25 :: v_dual_add_f32 v14, v21, v14
	v_dual_sub_f32 v16, v27, v16 :: v_dual_mul_f32 v14, v24, v14
	s_delay_alu instid0(VALU_DEP_1) | instskip(NEXT) | instid1(VALU_DEP_1)
	v_add_f32_e32 v14, v16, v14
	v_dual_mov_b32 v16, 0x3f317218 :: v_dual_add_f32 v21, v20, v14
	s_delay_alu instid0(VALU_DEP_1) | instskip(NEXT) | instid1(VALU_DEP_1)
	v_mul_f32_e32 v17, v21, v21
	v_fmaak_f32 v23, s4, v17, 0x3ecc95a3
	v_mul_f32_e32 v19, v21, v17
	s_delay_alu instid0(VALU_DEP_2) | instskip(NEXT) | instid1(VALU_DEP_1)
	v_fmaak_f32 v17, v17, v23, 0x3f2aaada
	v_pk_mul_f32 v[16:17], v[18:19], v[16:17]
	v_ldexp_f32 v19, v21, 1
	s_delay_alu instid0(VALU_DEP_2) | instskip(NEXT) | instid1(VALU_DEP_1)
	v_fma_f32 v22, 0x3f317218, v18, -v16
	v_fmamk_f32 v18, v18, 0xb102e308, v22
	v_sub_f32_e32 v22, v21, v20
	s_delay_alu instid0(VALU_DEP_2) | instskip(NEXT) | instid1(VALU_DEP_1)
	v_pk_add_f32 v[20:21], v[16:17], v[18:19]
	v_dual_sub_f32 v19, v21, v19 :: v_dual_sub_f32 v14, v14, v22
	s_delay_alu instid0(VALU_DEP_1) | instskip(NEXT) | instid1(VALU_DEP_2)
	v_dual_mov_b32 v22, v16 :: v_dual_sub_f32 v19, v17, v19
	v_ldexp_f32 v14, v14, 1
	s_delay_alu instid0(VALU_DEP_4) | instskip(NEXT) | instid1(VALU_DEP_2)
	v_pk_add_f32 v[16:17], v[20:21], v[16:17] neg_lo:[0,1] neg_hi:[0,1]
	v_dual_add_f32 v23, v14, v19 :: v_dual_mov_b32 v19, v20
	s_delay_alu instid0(VALU_DEP_1) | instskip(NEXT) | instid1(VALU_DEP_1)
	v_pk_add_f32 v[24:25], v[20:21], v[22:23]
	v_dual_mov_b32 v30, v21 :: v_dual_mov_b32 v17, v25
	s_delay_alu instid0(VALU_DEP_1) | instskip(NEXT) | instid1(VALU_DEP_1)
	v_pk_add_f32 v[26:27], v[18:19], v[16:17]
	v_dual_mov_b32 v26, v25 :: v_dual_mov_b32 v14, v27
	v_pk_add_f32 v[16:17], v[18:19], v[16:17] neg_lo:[0,1] neg_hi:[0,1]
	v_mov_b32_e32 v17, v27
	s_delay_alu instid0(VALU_DEP_3) | instskip(SKIP_1) | instid1(VALU_DEP_2)
	v_pk_add_f32 v[28:29], v[14:15], v[20:21] neg_lo:[0,1] neg_hi:[0,1]
	v_dual_mov_b32 v21, v20 :: v_dual_mov_b32 v20, v23
	v_dual_mov_b32 v23, v28 :: v_dual_mov_b32 v31, v28
	s_delay_alu instid0(VALU_DEP_1) | instskip(NEXT) | instid1(VALU_DEP_2)
	v_pk_add_f32 v[22:23], v[24:25], v[22:23] neg_lo:[0,1] neg_hi:[0,1]
	v_pk_add_f32 v[18:19], v[26:27], v[30:31] neg_lo:[0,1] neg_hi:[0,1]
	v_mov_b32_e32 v22, v16
	s_delay_alu instid0(VALU_DEP_2) | instskip(NEXT) | instid1(VALU_DEP_1)
	v_pk_add_f32 v[18:19], v[20:21], v[18:19] neg_lo:[0,1] neg_hi:[0,1]
	v_pk_add_f32 v[20:21], v[22:23], v[18:19]
	s_delay_alu instid0(VALU_DEP_1) | instskip(NEXT) | instid1(VALU_DEP_1)
	v_mov_b32_e32 v22, v21
	v_pk_add_f32 v[22:23], v[20:21], v[22:23]
	s_delay_alu instid0(VALU_DEP_1) | instskip(NEXT) | instid1(VALU_DEP_1)
	v_pk_add_f32 v[24:25], v[14:15], v[22:23]
	v_mov_b32_e32 v21, v24
	s_delay_alu instid0(VALU_DEP_1) | instskip(NEXT) | instid1(VALU_DEP_1)
	v_pk_add_f32 v[26:27], v[20:21], v[16:17] neg_lo:[0,1] neg_hi:[0,1]
	v_dual_mov_b32 v19, v22 :: v_dual_sub_f32 v14, v20, v26
	s_delay_alu instid0(VALU_DEP_1) | instskip(NEXT) | instid1(VALU_DEP_2)
	v_pk_add_f32 v[18:19], v[18:19], v[26:27] neg_lo:[0,1] neg_hi:[0,1]
	v_sub_f32_e32 v14, v16, v14
	s_delay_alu instid0(VALU_DEP_1) | instskip(NEXT) | instid1(VALU_DEP_1)
	v_add_f32_e32 v14, v18, v14
	v_add_f32_e32 v14, v14, v19
	s_delay_alu instid0(VALU_DEP_1) | instskip(NEXT) | instid1(VALU_DEP_1)
	v_add_f32_e32 v14, v24, v14
	v_cndmask_b32_e32 v14, 0x7f800000, v14, vcc_lo
	v_cmp_gt_f32_e64 vcc_lo, 0x33800000, |v32|
	s_delay_alu instid0(VALU_DEP_2) | instskip(NEXT) | instid1(VALU_DEP_1)
	v_cndmask_b32_e32 v14, v14, v32, vcc_lo
	v_div_scale_f32 v16, null, v0, v0, v14
	s_delay_alu instid0(VALU_DEP_1) | instskip(SKIP_1) | instid1(TRANS32_DEP_1)
	v_rcp_f32_e32 v17, v16
	v_nop
	v_fma_f32 v18, -v16, v17, 1.0
	s_delay_alu instid0(VALU_DEP_1) | instskip(SKIP_1) | instid1(VALU_DEP_1)
	v_fmac_f32_e32 v17, v18, v17
	v_div_scale_f32 v18, vcc_lo, v14, v0, v14
	v_mul_f32_e32 v19, v18, v17
	s_delay_alu instid0(VALU_DEP_1) | instskip(NEXT) | instid1(VALU_DEP_1)
	v_fma_f32 v20, -v16, v19, v18
	v_fmac_f32_e32 v19, v20, v17
	s_delay_alu instid0(VALU_DEP_1) | instskip(NEXT) | instid1(VALU_DEP_1)
	v_fma_f32 v16, -v16, v19, v18
	v_div_fmas_f32 v16, v16, v17, v19
	s_delay_alu instid0(VALU_DEP_1)
	v_div_fixup_f32 v14, v16, v0, v14
.LBB26_35:
	s_or_b32 exec_lo, exec_lo, s3
	s_delay_alu instid0(VALU_DEP_1) | instskip(SKIP_1) | instid1(VALU_DEP_2)
	v_bfe_u32 v16, v14, 16, 1
	v_cmp_o_f32_e32 vcc_lo, v14, v14
	v_add3_u32 v16, v14, v16, 0x7fff
	s_delay_alu instid0(VALU_DEP_1) | instskip(NEXT) | instid1(VALU_DEP_1)
	v_lshrrev_b32_e32 v16, 16, v16
	v_cndmask_b32_e32 v16, 0x7fc0, v16, vcc_lo
.LBB26_36:
	s_or_b32 exec_lo, exec_lo, s2
	v_add_nc_u32_e32 v14, 0x500, v7
	s_delay_alu instid0(VALU_DEP_1)
	v_cmp_lt_i32_e32 vcc_lo, v14, v6
                                        ; implicit-def: $vgpr14
	s_and_saveexec_b32 s2, vcc_lo
	s_cbranch_execz .LBB26_40
; %bb.37:
	v_mul_f32_e32 v14, v12, v0
	s_mov_b32 s3, exec_lo
	s_delay_alu instid0(VALU_DEP_1)
	v_cmpx_ngt_f32_e32 v14, v1
	s_cbranch_execz .LBB26_39
; %bb.38:
	v_mul_f32_e32 v12, 0x3fb8aa3b, v14
	v_cmp_ngt_f32_e32 vcc_lo, 0xc2ce8ed0, v14
	s_mov_b32 s4, 0x3e9b6dac
	s_delay_alu instid0(VALU_DEP_2) | instskip(SKIP_1) | instid1(VALU_DEP_2)
	v_rndne_f32_e32 v17, v12
	v_fma_f32 v18, 0x3fb8aa3b, v14, -v12
	v_sub_f32_e32 v12, v12, v17
	s_delay_alu instid0(VALU_DEP_2) | instskip(SKIP_1) | instid1(VALU_DEP_2)
	v_fmamk_f32 v18, v14, 0x32a5705f, v18
	v_cvt_i32_f32_e32 v17, v17
	v_add_f32_e32 v12, v12, v18
	s_delay_alu instid0(VALU_DEP_1) | instskip(SKIP_1) | instid1(TRANS32_DEP_1)
	v_exp_f32_e32 v12, v12
	v_nop
	v_ldexp_f32 v12, v12, v17
	s_delay_alu instid0(VALU_DEP_1) | instskip(SKIP_1) | instid1(VALU_DEP_2)
	v_cndmask_b32_e32 v12, 0, v12, vcc_lo
	v_cmp_nlt_f32_e32 vcc_lo, 0x42b17218, v14
	v_cndmask_b32_e32 v34, 0x7f800000, v12, vcc_lo
	s_delay_alu instid0(VALU_DEP_1) | instskip(NEXT) | instid1(VALU_DEP_1)
	v_add_f32_e32 v12, 1.0, v34
	v_cvt_f64_f32_e32 v[18:19], v12
	v_frexp_mant_f32_e32 v17, v12
	s_delay_alu instid0(VALU_DEP_1) | instskip(SKIP_1) | instid1(VALU_DEP_4)
	v_cmp_gt_f32_e32 vcc_lo, 0x3f2aaaab, v17
	v_add_f32_e32 v17, -1.0, v12
	v_frexp_exp_i32_f64_e32 v14, v[18:19]
	s_delay_alu instid0(VALU_DEP_2) | instskip(NEXT) | instid1(VALU_DEP_1)
	v_dual_sub_f32 v19, v17, v12 :: v_dual_sub_f32 v17, v34, v17
	v_add_f32_e32 v19, 1.0, v19
	s_delay_alu instid0(VALU_DEP_1) | instskip(NEXT) | instid1(VALU_DEP_4)
	v_add_f32_e32 v17, v17, v19
	v_subrev_co_ci_u32_e64 v14, null, 0, v14, vcc_lo
	v_cmp_neq_f32_e32 vcc_lo, 0x7f800000, v34
	s_delay_alu instid0(VALU_DEP_2) | instskip(NEXT) | instid1(VALU_DEP_1)
	v_sub_nc_u32_e32 v18, 0, v14
	v_ldexp_f32 v12, v12, v18
	v_ldexp_f32 v17, v17, v18
	s_delay_alu instid0(VALU_DEP_2) | instskip(NEXT) | instid1(VALU_DEP_1)
	v_dual_add_f32 v20, 1.0, v12 :: v_dual_add_f32 v23, -1.0, v12
	v_add_f32_e32 v19, -1.0, v20
	s_delay_alu instid0(VALU_DEP_1) | instskip(NEXT) | instid1(VALU_DEP_3)
	v_sub_f32_e32 v18, v12, v19
	v_add_f32_e32 v19, 1.0, v23
	s_delay_alu instid0(VALU_DEP_1) | instskip(NEXT) | instid1(VALU_DEP_1)
	v_dual_sub_f32 v12, v12, v19 :: v_dual_add_f32 v18, v17, v18
	v_dual_add_f32 v12, v17, v12 :: v_dual_add_f32 v24, v20, v18
	s_delay_alu instid0(VALU_DEP_1) | instskip(NEXT) | instid1(VALU_DEP_2)
	v_add_f32_e32 v19, v23, v12
	v_rcp_f32_e32 v17, v24
	v_nop
	s_delay_alu instid0(TRANS32_DEP_1) | instskip(NEXT) | instid1(VALU_DEP_1)
	v_dual_sub_f32 v21, v20, v24 :: v_dual_mul_f32 v25, v19, v17
	v_mul_f32_e32 v20, v24, v25
	s_delay_alu instid0(VALU_DEP_2) | instskip(NEXT) | instid1(VALU_DEP_1)
	v_dual_add_f32 v26, v18, v21 :: v_dual_sub_f32 v27, v23, v19
	v_dual_fma_f32 v22, v25, v24, -v20 :: v_dual_add_f32 v12, v12, v27
	s_delay_alu instid0(VALU_DEP_1) | instskip(NEXT) | instid1(VALU_DEP_1)
	v_fmac_f32_e32 v22, v25, v26
	v_add_f32_e32 v18, v20, v22
	s_delay_alu instid0(VALU_DEP_1) | instskip(NEXT) | instid1(VALU_DEP_1)
	v_dual_sub_f32 v21, v19, v18 :: v_dual_mov_b32 v23, v18
	v_pk_add_f32 v[18:19], v[18:19], v[20:21] neg_lo:[0,1] neg_hi:[0,1]
	s_delay_alu instid0(VALU_DEP_1) | instskip(NEXT) | instid1(VALU_DEP_1)
	v_pk_add_f32 v[18:19], v[18:19], v[22:23] neg_lo:[0,1] neg_hi:[0,1]
	v_add_f32_e32 v12, v12, v19
	s_delay_alu instid0(VALU_DEP_1) | instskip(NEXT) | instid1(VALU_DEP_1)
	v_add_f32_e32 v12, v18, v12
	v_add_f32_e32 v19, v21, v12
	s_delay_alu instid0(VALU_DEP_1) | instskip(NEXT) | instid1(VALU_DEP_1)
	v_mul_f32_e32 v27, v17, v19
	v_mul_f32_e32 v22, v24, v27
	s_delay_alu instid0(VALU_DEP_1) | instskip(NEXT) | instid1(VALU_DEP_1)
	v_dual_fma_f32 v20, v27, v24, -v22 :: v_dual_sub_f32 v24, v21, v19
	v_dual_fmac_f32 v20, v27, v26 :: v_dual_add_f32 v12, v12, v24
	s_delay_alu instid0(VALU_DEP_1) | instskip(NEXT) | instid1(VALU_DEP_1)
	v_add_f32_e32 v18, v22, v20
	v_dual_sub_f32 v23, v19, v18 :: v_dual_mov_b32 v21, v18
	s_delay_alu instid0(VALU_DEP_1) | instskip(SKIP_1) | instid1(VALU_DEP_2)
	v_pk_add_f32 v[18:19], v[18:19], v[22:23] neg_lo:[0,1] neg_hi:[0,1]
	v_add_f32_e32 v22, v25, v27
	v_pk_add_f32 v[18:19], v[18:19], v[20:21] neg_lo:[0,1] neg_hi:[0,1]
	v_cvt_f32_i32_e32 v20, v14
	s_delay_alu instid0(VALU_DEP_2) | instskip(NEXT) | instid1(VALU_DEP_1)
	v_add_f32_e32 v12, v12, v19
	v_add_f32_e32 v12, v18, v12
	v_sub_f32_e32 v18, v22, v25
	s_delay_alu instid0(VALU_DEP_1) | instskip(NEXT) | instid1(VALU_DEP_3)
	v_sub_f32_e32 v18, v27, v18
	v_add_f32_e32 v12, v23, v12
	s_delay_alu instid0(VALU_DEP_1) | instskip(NEXT) | instid1(VALU_DEP_1)
	v_mul_f32_e32 v12, v17, v12
	v_add_f32_e32 v12, v18, v12
	s_delay_alu instid0(VALU_DEP_1) | instskip(NEXT) | instid1(VALU_DEP_1)
	v_dual_mov_b32 v18, 0x3f317218 :: v_dual_add_f32 v17, v22, v12
	v_mul_f32_e32 v19, v17, v17
	s_delay_alu instid0(VALU_DEP_1) | instskip(SKIP_1) | instid1(VALU_DEP_2)
	v_fmaak_f32 v23, s4, v19, 0x3ecc95a3
	v_mul_f32_e32 v21, v17, v19
	v_fmaak_f32 v19, v19, v23, 0x3f2aaada
	s_delay_alu instid0(VALU_DEP_1) | instskip(SKIP_1) | instid1(VALU_DEP_2)
	v_pk_mul_f32 v[18:19], v[20:21], v[18:19]
	v_ldexp_f32 v21, v17, 1
	v_fma_f32 v14, 0x3f317218, v20, -v18
	v_mov_b32_e32 v24, v18
	s_delay_alu instid0(VALU_DEP_2) | instskip(SKIP_1) | instid1(VALU_DEP_2)
	v_fmamk_f32 v20, v20, 0xb102e308, v14
	v_sub_f32_e32 v14, v17, v22
	v_pk_add_f32 v[22:23], v[18:19], v[20:21]
	s_delay_alu instid0(VALU_DEP_1) | instskip(NEXT) | instid1(VALU_DEP_1)
	v_dual_sub_f32 v12, v12, v14 :: v_dual_sub_f32 v14, v23, v21
	v_ldexp_f32 v12, v12, 1
	s_delay_alu instid0(VALU_DEP_2) | instskip(SKIP_1) | instid1(VALU_DEP_2)
	v_dual_mov_b32 v21, v22 :: v_dual_sub_f32 v14, v19, v14
	v_pk_add_f32 v[18:19], v[22:23], v[18:19] neg_lo:[0,1] neg_hi:[0,1]
	v_add_f32_e32 v25, v12, v14
	s_delay_alu instid0(VALU_DEP_1) | instskip(NEXT) | instid1(VALU_DEP_1)
	v_pk_add_f32 v[26:27], v[22:23], v[24:25]
	v_dual_mov_b32 v32, v23 :: v_dual_mov_b32 v19, v27
	s_delay_alu instid0(VALU_DEP_1) | instskip(NEXT) | instid1(VALU_DEP_1)
	v_pk_add_f32 v[28:29], v[20:21], v[18:19]
	v_dual_mov_b32 v28, v27 :: v_dual_mov_b32 v12, v29
	v_pk_add_f32 v[18:19], v[20:21], v[18:19] neg_lo:[0,1] neg_hi:[0,1]
	s_delay_alu instid0(VALU_DEP_2) | instskip(SKIP_1) | instid1(VALU_DEP_2)
	v_pk_add_f32 v[30:31], v[12:13], v[22:23] neg_lo:[0,1] neg_hi:[0,1]
	v_dual_mov_b32 v23, v22 :: v_dual_mov_b32 v22, v25
	v_dual_mov_b32 v17, v30 :: v_dual_mov_b32 v33, v30
	s_delay_alu instid0(VALU_DEP_1) | instskip(NEXT) | instid1(VALU_DEP_2)
	v_pk_add_f32 v[24:25], v[26:27], v[16:17] neg_lo:[0,1] neg_hi:[0,1]
	v_pk_add_f32 v[20:21], v[28:29], v[32:33] neg_lo:[0,1] neg_hi:[0,1]
	v_mov_b32_e32 v24, v18
	s_delay_alu instid0(VALU_DEP_2) | instskip(NEXT) | instid1(VALU_DEP_1)
	v_pk_add_f32 v[20:21], v[22:23], v[20:21] neg_lo:[0,1] neg_hi:[0,1]
	v_pk_add_f32 v[22:23], v[24:25], v[20:21]
	s_delay_alu instid0(VALU_DEP_1) | instskip(NEXT) | instid1(VALU_DEP_1)
	v_mov_b32_e32 v14, v23
	v_pk_add_f32 v[24:25], v[22:23], v[14:15]
	s_delay_alu instid0(VALU_DEP_1) | instskip(NEXT) | instid1(VALU_DEP_1)
	v_pk_add_f32 v[26:27], v[12:13], v[24:25]
	v_dual_mov_b32 v19, v29 :: v_dual_mov_b32 v23, v26
	s_delay_alu instid0(VALU_DEP_1) | instskip(NEXT) | instid1(VALU_DEP_1)
	v_pk_add_f32 v[28:29], v[22:23], v[18:19] neg_lo:[0,1] neg_hi:[0,1]
	v_dual_mov_b32 v21, v24 :: v_dual_sub_f32 v12, v22, v28
	s_delay_alu instid0(VALU_DEP_1) | instskip(NEXT) | instid1(VALU_DEP_2)
	v_pk_add_f32 v[20:21], v[20:21], v[28:29] neg_lo:[0,1] neg_hi:[0,1]
	v_sub_f32_e32 v12, v18, v12
	s_delay_alu instid0(VALU_DEP_1) | instskip(NEXT) | instid1(VALU_DEP_1)
	v_add_f32_e32 v12, v20, v12
	v_add_f32_e32 v12, v12, v21
	s_delay_alu instid0(VALU_DEP_1) | instskip(NEXT) | instid1(VALU_DEP_1)
	v_add_f32_e32 v12, v26, v12
	v_cndmask_b32_e32 v12, 0x7f800000, v12, vcc_lo
	v_cmp_gt_f32_e64 vcc_lo, 0x33800000, |v34|
	s_delay_alu instid0(VALU_DEP_2) | instskip(NEXT) | instid1(VALU_DEP_1)
	v_cndmask_b32_e32 v12, v12, v34, vcc_lo
	v_div_scale_f32 v14, null, v0, v0, v12
	s_delay_alu instid0(VALU_DEP_1) | instskip(SKIP_1) | instid1(TRANS32_DEP_1)
	v_rcp_f32_e32 v17, v14
	v_nop
	v_fma_f32 v18, -v14, v17, 1.0
	s_delay_alu instid0(VALU_DEP_1) | instskip(SKIP_1) | instid1(VALU_DEP_1)
	v_fmac_f32_e32 v17, v18, v17
	v_div_scale_f32 v18, vcc_lo, v12, v0, v12
	v_mul_f32_e32 v19, v18, v17
	s_delay_alu instid0(VALU_DEP_1) | instskip(NEXT) | instid1(VALU_DEP_1)
	v_fma_f32 v20, -v14, v19, v18
	v_fmac_f32_e32 v19, v20, v17
	s_delay_alu instid0(VALU_DEP_1) | instskip(NEXT) | instid1(VALU_DEP_1)
	v_fma_f32 v14, -v14, v19, v18
	v_div_fmas_f32 v14, v14, v17, v19
	s_delay_alu instid0(VALU_DEP_1)
	v_div_fixup_f32 v12, v14, v0, v12
.LBB26_39:
	s_or_b32 exec_lo, exec_lo, s3
	s_delay_alu instid0(VALU_DEP_1) | instskip(SKIP_1) | instid1(VALU_DEP_2)
	v_bfe_u32 v14, v12, 16, 1
	v_cmp_o_f32_e32 vcc_lo, v12, v12
	v_add3_u32 v14, v12, v14, 0x7fff
	s_delay_alu instid0(VALU_DEP_1) | instskip(NEXT) | instid1(VALU_DEP_1)
	v_lshrrev_b32_e32 v14, 16, v14
	v_cndmask_b32_e32 v14, 0x7fc0, v14, vcc_lo
.LBB26_40:
	s_or_b32 exec_lo, exec_lo, s2
	v_add_nc_u32_e32 v12, 0x600, v7
	s_delay_alu instid0(VALU_DEP_1)
	v_cmp_lt_i32_e32 vcc_lo, v12, v6
                                        ; implicit-def: $vgpr12
	s_and_saveexec_b32 s2, vcc_lo
	s_cbranch_execz .LBB26_44
; %bb.41:
	v_mul_f32_e32 v12, v11, v0
	s_mov_b32 s3, exec_lo
	s_delay_alu instid0(VALU_DEP_1)
	v_cmpx_ngt_f32_e32 v12, v1
	s_cbranch_execz .LBB26_43
; %bb.42:
	v_mul_f32_e32 v11, 0x3fb8aa3b, v12
	v_cmp_ngt_f32_e32 vcc_lo, 0xc2ce8ed0, v12
	s_mov_b32 s4, 0x3e9b6dac
	s_delay_alu instid0(VALU_DEP_2) | instskip(SKIP_1) | instid1(VALU_DEP_1)
	v_rndne_f32_e32 v17, v11
	v_fma_f32 v18, 0x3fb8aa3b, v12, -v11
	v_dual_sub_f32 v11, v11, v17 :: v_dual_fmamk_f32 v18, v12, 0x32a5705f, v18
	v_cvt_i32_f32_e32 v17, v17
	s_delay_alu instid0(VALU_DEP_2) | instskip(NEXT) | instid1(VALU_DEP_1)
	v_add_f32_e32 v11, v11, v18
	v_exp_f32_e32 v11, v11
	v_nop
	s_delay_alu instid0(TRANS32_DEP_1) | instskip(NEXT) | instid1(VALU_DEP_1)
	v_ldexp_f32 v11, v11, v17
	v_cndmask_b32_e32 v11, 0, v11, vcc_lo
	v_cmp_nlt_f32_e32 vcc_lo, 0x42b17218, v12
	s_delay_alu instid0(VALU_DEP_2) | instskip(NEXT) | instid1(VALU_DEP_1)
	v_cndmask_b32_e32 v17, 0x7f800000, v11, vcc_lo
	v_add_f32_e32 v11, 1.0, v17
	s_delay_alu instid0(VALU_DEP_1) | instskip(NEXT) | instid1(VALU_DEP_1)
	v_cvt_f64_f32_e32 v[18:19], v11
	v_frexp_exp_i32_f64_e32 v12, v[18:19]
	v_frexp_mant_f32_e32 v18, v11
	s_delay_alu instid0(VALU_DEP_1) | instskip(SKIP_1) | instid1(VALU_DEP_1)
	v_cmp_gt_f32_e32 vcc_lo, 0x3f2aaaab, v18
	v_add_f32_e32 v18, -1.0, v11
	v_dual_sub_f32 v20, v18, v11 :: v_dual_sub_f32 v18, v17, v18
	s_delay_alu instid0(VALU_DEP_1) | instskip(NEXT) | instid1(VALU_DEP_1)
	v_add_f32_e32 v20, 1.0, v20
	v_add_f32_e32 v18, v18, v20
	v_subrev_co_ci_u32_e64 v12, null, 0, v12, vcc_lo
	v_cmp_neq_f32_e32 vcc_lo, 0x7f800000, v17
	s_delay_alu instid0(VALU_DEP_2) | instskip(NEXT) | instid1(VALU_DEP_1)
	v_sub_nc_u32_e32 v19, 0, v12
	v_ldexp_f32 v11, v11, v19
	v_ldexp_f32 v18, v18, v19
	s_delay_alu instid0(VALU_DEP_2) | instskip(NEXT) | instid1(VALU_DEP_1)
	v_dual_add_f32 v21, 1.0, v11 :: v_dual_add_f32 v23, -1.0, v11
	v_add_f32_e32 v20, -1.0, v21
	s_delay_alu instid0(VALU_DEP_1) | instskip(NEXT) | instid1(VALU_DEP_1)
	v_dual_sub_f32 v19, v11, v20 :: v_dual_add_f32 v20, 1.0, v23
	v_dual_add_f32 v22, v18, v19 :: v_dual_sub_f32 v11, v11, v20
	s_delay_alu instid0(VALU_DEP_1) | instskip(NEXT) | instid1(VALU_DEP_1)
	v_dual_add_f32 v24, v21, v22 :: v_dual_add_f32 v11, v18, v11
	v_rcp_f32_e32 v25, v24
	s_delay_alu instid0(VALU_DEP_1) | instskip(NEXT) | instid1(VALU_DEP_1)
	v_dual_add_f32 v19, v23, v11 :: v_dual_sub_f32 v18, v21, v24
	v_sub_f32_e32 v28, v23, v19
	s_delay_alu instid0(TRANS32_DEP_1) | instid1(VALU_DEP_2)
	v_dual_mul_f32 v26, v19, v25 :: v_dual_add_f32 v27, v22, v18
	s_delay_alu instid0(VALU_DEP_1) | instskip(NEXT) | instid1(VALU_DEP_1)
	v_dual_add_f32 v11, v11, v28 :: v_dual_mul_f32 v20, v24, v26
	v_fma_f32 v22, v26, v24, -v20
	s_delay_alu instid0(VALU_DEP_1) | instskip(NEXT) | instid1(VALU_DEP_1)
	v_fmac_f32_e32 v22, v26, v27
	v_add_f32_e32 v18, v20, v22
	s_delay_alu instid0(VALU_DEP_1) | instskip(NEXT) | instid1(VALU_DEP_1)
	v_dual_sub_f32 v21, v19, v18 :: v_dual_mov_b32 v23, v18
	v_pk_add_f32 v[18:19], v[18:19], v[20:21] neg_lo:[0,1] neg_hi:[0,1]
	s_delay_alu instid0(VALU_DEP_1) | instskip(NEXT) | instid1(VALU_DEP_1)
	v_pk_add_f32 v[18:19], v[18:19], v[22:23] neg_lo:[0,1] neg_hi:[0,1]
	v_add_f32_e32 v11, v11, v19
	s_delay_alu instid0(VALU_DEP_1) | instskip(NEXT) | instid1(VALU_DEP_1)
	v_add_f32_e32 v11, v18, v11
	v_add_f32_e32 v19, v21, v11
	s_delay_alu instid0(VALU_DEP_1) | instskip(NEXT) | instid1(VALU_DEP_1)
	v_mul_f32_e32 v28, v25, v19
	v_mul_f32_e32 v22, v24, v28
	s_delay_alu instid0(VALU_DEP_1) | instskip(NEXT) | instid1(VALU_DEP_1)
	v_dual_fma_f32 v20, v28, v24, -v22 :: v_dual_sub_f32 v24, v21, v19
	v_dual_fmac_f32 v20, v28, v27 :: v_dual_add_f32 v11, v11, v24
	s_delay_alu instid0(VALU_DEP_1) | instskip(NEXT) | instid1(VALU_DEP_1)
	v_add_f32_e32 v18, v22, v20
	v_dual_sub_f32 v23, v19, v18 :: v_dual_mov_b32 v21, v18
	s_delay_alu instid0(VALU_DEP_1) | instskip(SKIP_1) | instid1(VALU_DEP_2)
	v_pk_add_f32 v[18:19], v[18:19], v[22:23] neg_lo:[0,1] neg_hi:[0,1]
	v_add_f32_e32 v22, v26, v28
	v_pk_add_f32 v[18:19], v[18:19], v[20:21] neg_lo:[0,1] neg_hi:[0,1]
	v_cvt_f32_i32_e32 v20, v12
	s_delay_alu instid0(VALU_DEP_2) | instskip(NEXT) | instid1(VALU_DEP_1)
	v_add_f32_e32 v11, v11, v19
	v_add_f32_e32 v11, v18, v11
	v_sub_f32_e32 v18, v22, v26
	s_delay_alu instid0(VALU_DEP_1) | instskip(NEXT) | instid1(VALU_DEP_1)
	v_dual_sub_f32 v18, v28, v18 :: v_dual_add_f32 v11, v23, v11
	v_mul_f32_e32 v11, v25, v11
	s_delay_alu instid0(VALU_DEP_1) | instskip(NEXT) | instid1(VALU_DEP_1)
	v_dual_add_f32 v11, v18, v11 :: v_dual_mov_b32 v18, 0x3f317218
	v_add_f32_e32 v23, v22, v11
	s_delay_alu instid0(VALU_DEP_1) | instskip(NEXT) | instid1(VALU_DEP_1)
	v_mul_f32_e32 v19, v23, v23
	v_dual_fmaak_f32 v24, s4, v19, 0x3ecc95a3 :: v_dual_mul_f32 v21, v23, v19
	s_delay_alu instid0(VALU_DEP_1) | instskip(NEXT) | instid1(VALU_DEP_1)
	v_fmaak_f32 v19, v19, v24, 0x3f2aaada
	v_pk_mul_f32 v[18:19], v[20:21], v[18:19]
	s_delay_alu instid0(VALU_DEP_1) | instskip(SKIP_1) | instid1(VALU_DEP_2)
	v_fma_f32 v12, 0x3f317218, v20, -v18
	v_mov_b32_e32 v24, v18
	v_fmamk_f32 v20, v20, 0xb102e308, v12
	v_sub_f32_e32 v12, v23, v22
	s_delay_alu instid0(VALU_DEP_1) | instskip(SKIP_1) | instid1(VALU_DEP_2)
	v_sub_f32_e32 v11, v11, v12
	v_ldexp_f32 v21, v23, 1
	v_ldexp_f32 v11, v11, 1
	s_delay_alu instid0(VALU_DEP_2) | instskip(NEXT) | instid1(VALU_DEP_1)
	v_pk_add_f32 v[22:23], v[18:19], v[20:21]
	v_dual_sub_f32 v12, v23, v21 :: v_dual_mov_b32 v21, v22
	v_mov_b32_e32 v32, v23
	s_delay_alu instid0(VALU_DEP_2) | instskip(SKIP_1) | instid1(VALU_DEP_2)
	v_sub_f32_e32 v12, v19, v12
	v_pk_add_f32 v[18:19], v[22:23], v[18:19] neg_lo:[0,1] neg_hi:[0,1]
	v_add_f32_e32 v25, v11, v12
	s_delay_alu instid0(VALU_DEP_1) | instskip(NEXT) | instid1(VALU_DEP_1)
	v_pk_add_f32 v[26:27], v[22:23], v[24:25]
	v_mov_b32_e32 v19, v27
	s_delay_alu instid0(VALU_DEP_1) | instskip(SKIP_2) | instid1(VALU_DEP_3)
	v_pk_add_f32 v[28:29], v[20:21], v[18:19]
	v_mov_b32_e32 v28, v27
	v_pk_add_f32 v[18:19], v[20:21], v[18:19] neg_lo:[0,1] neg_hi:[0,1]
	v_dual_mov_b32 v12, v29 :: v_dual_mov_b32 v19, v29
	s_delay_alu instid0(VALU_DEP_1) | instskip(SKIP_1) | instid1(VALU_DEP_2)
	v_pk_add_f32 v[30:31], v[12:13], v[22:23] neg_lo:[0,1] neg_hi:[0,1]
	v_dual_mov_b32 v23, v22 :: v_dual_mov_b32 v22, v25
	v_dual_mov_b32 v11, v30 :: v_dual_mov_b32 v33, v30
	s_delay_alu instid0(VALU_DEP_1) | instskip(NEXT) | instid1(VALU_DEP_2)
	v_pk_add_f32 v[24:25], v[26:27], v[10:11] neg_lo:[0,1] neg_hi:[0,1]
	v_pk_add_f32 v[20:21], v[28:29], v[32:33] neg_lo:[0,1] neg_hi:[0,1]
	v_mov_b32_e32 v24, v18
	s_delay_alu instid0(VALU_DEP_2) | instskip(NEXT) | instid1(VALU_DEP_1)
	v_pk_add_f32 v[20:21], v[22:23], v[20:21] neg_lo:[0,1] neg_hi:[0,1]
	v_pk_add_f32 v[22:23], v[24:25], v[20:21]
	s_delay_alu instid0(VALU_DEP_1) | instskip(NEXT) | instid1(VALU_DEP_1)
	v_mov_b32_e32 v24, v23
	v_pk_add_f32 v[24:25], v[22:23], v[24:25]
	s_delay_alu instid0(VALU_DEP_1) | instskip(NEXT) | instid1(VALU_DEP_1)
	v_pk_add_f32 v[26:27], v[12:13], v[24:25]
	v_mov_b32_e32 v23, v26
	s_delay_alu instid0(VALU_DEP_1) | instskip(NEXT) | instid1(VALU_DEP_1)
	v_pk_add_f32 v[28:29], v[22:23], v[18:19] neg_lo:[0,1] neg_hi:[0,1]
	v_dual_mov_b32 v21, v24 :: v_dual_sub_f32 v11, v22, v28
	s_delay_alu instid0(VALU_DEP_1) | instskip(NEXT) | instid1(VALU_DEP_2)
	v_pk_add_f32 v[20:21], v[20:21], v[28:29] neg_lo:[0,1] neg_hi:[0,1]
	v_sub_f32_e32 v11, v18, v11
	s_delay_alu instid0(VALU_DEP_1) | instskip(NEXT) | instid1(VALU_DEP_1)
	v_add_f32_e32 v11, v20, v11
	v_add_f32_e32 v11, v11, v21
	s_delay_alu instid0(VALU_DEP_1) | instskip(NEXT) | instid1(VALU_DEP_1)
	v_add_f32_e32 v11, v26, v11
	v_cndmask_b32_e32 v11, 0x7f800000, v11, vcc_lo
	v_cmp_gt_f32_e64 vcc_lo, 0x33800000, |v17|
	s_delay_alu instid0(VALU_DEP_2) | instskip(NEXT) | instid1(VALU_DEP_1)
	v_cndmask_b32_e32 v11, v11, v17, vcc_lo
	v_div_scale_f32 v12, null, v0, v0, v11
	s_delay_alu instid0(VALU_DEP_1) | instskip(SKIP_1) | instid1(TRANS32_DEP_1)
	v_rcp_f32_e32 v17, v12
	v_nop
	v_fma_f32 v18, -v12, v17, 1.0
	s_delay_alu instid0(VALU_DEP_1) | instskip(SKIP_1) | instid1(VALU_DEP_1)
	v_fmac_f32_e32 v17, v18, v17
	v_div_scale_f32 v18, vcc_lo, v11, v0, v11
	v_mul_f32_e32 v19, v18, v17
	s_delay_alu instid0(VALU_DEP_1) | instskip(NEXT) | instid1(VALU_DEP_1)
	v_fma_f32 v20, -v12, v19, v18
	v_fmac_f32_e32 v19, v20, v17
	s_delay_alu instid0(VALU_DEP_1) | instskip(NEXT) | instid1(VALU_DEP_1)
	v_fma_f32 v12, -v12, v19, v18
	v_div_fmas_f32 v12, v12, v17, v19
	s_delay_alu instid0(VALU_DEP_1)
	v_div_fixup_f32 v11, v12, v0, v11
.LBB26_43:
	s_or_b32 exec_lo, exec_lo, s3
	s_delay_alu instid0(VALU_DEP_1) | instskip(SKIP_1) | instid1(VALU_DEP_2)
	v_bfe_u32 v12, v11, 16, 1
	v_cmp_o_f32_e32 vcc_lo, v11, v11
	v_add3_u32 v12, v11, v12, 0x7fff
	s_delay_alu instid0(VALU_DEP_1) | instskip(NEXT) | instid1(VALU_DEP_1)
	v_lshrrev_b32_e32 v12, 16, v12
	v_cndmask_b32_e32 v12, 0x7fc0, v12, vcc_lo
.LBB26_44:
	s_or_b32 exec_lo, exec_lo, s2
	v_add_nc_u32_e32 v11, 0x700, v7
	s_delay_alu instid0(VALU_DEP_1)
	v_cmp_lt_i32_e32 vcc_lo, v11, v6
                                        ; implicit-def: $vgpr11
	s_and_saveexec_b32 s2, vcc_lo
	s_cbranch_execz .LBB26_56
; %bb.45:
	v_mul_f32_e32 v11, v9, v0
	s_mov_b32 s3, exec_lo
	s_delay_alu instid0(VALU_DEP_1)
	v_cmpx_ngt_f32_e32 v11, v1
	s_cbranch_execz .LBB26_47
; %bb.46:
	v_mul_f32_e32 v1, 0x3fb8aa3b, v11
	v_cmp_ngt_f32_e32 vcc_lo, 0xc2ce8ed0, v11
	s_mov_b32 s4, 0x3e9b6dac
	s_delay_alu instid0(VALU_DEP_2) | instskip(SKIP_1) | instid1(VALU_DEP_2)
	v_rndne_f32_e32 v9, v1
	v_fma_f32 v17, 0x3fb8aa3b, v11, -v1
	v_sub_f32_e32 v1, v1, v9
	s_delay_alu instid0(VALU_DEP_2) | instskip(SKIP_1) | instid1(VALU_DEP_2)
	v_fmamk_f32 v17, v11, 0x32a5705f, v17
	v_cvt_i32_f32_e32 v9, v9
	v_add_f32_e32 v1, v1, v17
	s_delay_alu instid0(VALU_DEP_1) | instskip(SKIP_1) | instid1(TRANS32_DEP_1)
	v_exp_f32_e32 v1, v1
	v_nop
	v_ldexp_f32 v1, v1, v9
	s_delay_alu instid0(VALU_DEP_1) | instskip(SKIP_1) | instid1(VALU_DEP_2)
	v_cndmask_b32_e32 v1, 0, v1, vcc_lo
	v_cmp_nlt_f32_e32 vcc_lo, 0x42b17218, v11
	v_cndmask_b32_e32 v9, 0x7f800000, v1, vcc_lo
	s_delay_alu instid0(VALU_DEP_1) | instskip(NEXT) | instid1(VALU_DEP_1)
	v_add_f32_e32 v1, 1.0, v9
	v_cvt_f64_f32_e32 v[18:19], v1
	v_frexp_mant_f32_e32 v17, v1
	s_delay_alu instid0(VALU_DEP_1) | instskip(SKIP_1) | instid1(VALU_DEP_4)
	v_cmp_gt_f32_e32 vcc_lo, 0x3f2aaaab, v17
	v_add_f32_e32 v17, -1.0, v1
	v_frexp_exp_i32_f64_e32 v11, v[18:19]
	s_delay_alu instid0(VALU_DEP_2) | instskip(NEXT) | instid1(VALU_DEP_1)
	v_sub_f32_e32 v19, v17, v1
	v_add_f32_e32 v19, 1.0, v19
	s_delay_alu instid0(VALU_DEP_3) | instskip(NEXT) | instid1(VALU_DEP_1)
	v_subrev_co_ci_u32_e64 v11, null, 0, v11, vcc_lo
	v_sub_nc_u32_e32 v18, 0, v11
	s_delay_alu instid0(VALU_DEP_1) | instskip(NEXT) | instid1(VALU_DEP_1)
	v_ldexp_f32 v1, v1, v18
	v_dual_add_f32 v20, 1.0, v1 :: v_dual_add_f32 v23, -1.0, v1
	v_sub_f32_e32 v17, v9, v17
	s_delay_alu instid0(VALU_DEP_1) | instskip(NEXT) | instid1(VALU_DEP_1)
	v_dual_add_f32 v17, v17, v19 :: v_dual_add_f32 v19, -1.0, v20
	v_ldexp_f32 v17, v17, v18
	s_delay_alu instid0(VALU_DEP_2) | instskip(SKIP_2) | instid1(VALU_DEP_3)
	v_sub_f32_e32 v18, v1, v19
	v_add_f32_e32 v19, 1.0, v23
	v_cmp_neq_f32_e32 vcc_lo, 0x7f800000, v9
	v_add_f32_e32 v18, v17, v18
	s_delay_alu instid0(VALU_DEP_1) | instskip(NEXT) | instid1(VALU_DEP_1)
	v_dual_sub_f32 v1, v1, v19 :: v_dual_add_f32 v24, v20, v18
	v_dual_add_f32 v1, v17, v1 :: v_dual_sub_f32 v21, v20, v24
	v_rcp_f32_e32 v17, v24
	s_delay_alu instid0(VALU_DEP_1) | instskip(NEXT) | instid1(VALU_DEP_2)
	v_add_f32_e32 v19, v23, v1
	v_add_f32_e32 v26, v18, v21
	s_delay_alu instid0(TRANS32_DEP_1) | instid1(VALU_DEP_2)
	v_mul_f32_e32 v25, v19, v17
	s_delay_alu instid0(VALU_DEP_1) | instskip(NEXT) | instid1(VALU_DEP_1)
	v_mul_f32_e32 v20, v24, v25
	v_dual_fma_f32 v22, v25, v24, -v20 :: v_dual_sub_f32 v27, v23, v19
	s_delay_alu instid0(VALU_DEP_1) | instskip(NEXT) | instid1(VALU_DEP_1)
	v_fmac_f32_e32 v22, v25, v26
	v_dual_add_f32 v1, v1, v27 :: v_dual_add_f32 v18, v20, v22
	s_delay_alu instid0(VALU_DEP_1) | instskip(NEXT) | instid1(VALU_DEP_1)
	v_dual_sub_f32 v21, v19, v18 :: v_dual_mov_b32 v23, v18
	v_pk_add_f32 v[18:19], v[18:19], v[20:21] neg_lo:[0,1] neg_hi:[0,1]
	s_delay_alu instid0(VALU_DEP_1) | instskip(NEXT) | instid1(VALU_DEP_1)
	v_pk_add_f32 v[18:19], v[18:19], v[22:23] neg_lo:[0,1] neg_hi:[0,1]
	v_add_f32_e32 v1, v1, v19
	s_delay_alu instid0(VALU_DEP_1) | instskip(NEXT) | instid1(VALU_DEP_1)
	v_add_f32_e32 v1, v18, v1
	v_add_f32_e32 v19, v21, v1
	s_delay_alu instid0(VALU_DEP_1) | instskip(NEXT) | instid1(VALU_DEP_1)
	v_mul_f32_e32 v27, v17, v19
	v_mul_f32_e32 v22, v24, v27
	s_delay_alu instid0(VALU_DEP_1) | instskip(NEXT) | instid1(VALU_DEP_1)
	v_dual_fma_f32 v20, v27, v24, -v22 :: v_dual_sub_f32 v24, v21, v19
	v_dual_fmac_f32 v20, v27, v26 :: v_dual_add_f32 v1, v1, v24
	s_delay_alu instid0(VALU_DEP_1) | instskip(NEXT) | instid1(VALU_DEP_1)
	v_add_f32_e32 v18, v22, v20
	v_dual_sub_f32 v23, v19, v18 :: v_dual_mov_b32 v21, v18
	s_delay_alu instid0(VALU_DEP_1) | instskip(NEXT) | instid1(VALU_DEP_1)
	v_pk_add_f32 v[18:19], v[18:19], v[22:23] neg_lo:[0,1] neg_hi:[0,1]
	v_pk_add_f32 v[18:19], v[18:19], v[20:21] neg_lo:[0,1] neg_hi:[0,1]
	v_cvt_f32_i32_e32 v20, v11
	s_delay_alu instid0(VALU_DEP_2) | instskip(NEXT) | instid1(VALU_DEP_1)
	v_add_f32_e32 v1, v1, v19
	v_dual_add_f32 v22, v25, v27 :: v_dual_add_f32 v1, v18, v1
	s_delay_alu instid0(VALU_DEP_1) | instskip(NEXT) | instid1(VALU_DEP_2)
	v_sub_f32_e32 v18, v22, v25
	v_add_f32_e32 v1, v23, v1
	s_delay_alu instid0(VALU_DEP_1) | instskip(NEXT) | instid1(VALU_DEP_1)
	v_dual_sub_f32 v18, v27, v18 :: v_dual_mul_f32 v1, v17, v1
	v_dual_add_f32 v1, v18, v1 :: v_dual_mov_b32 v18, 0x3f317218
	s_delay_alu instid0(VALU_DEP_1) | instskip(NEXT) | instid1(VALU_DEP_1)
	v_add_f32_e32 v17, v22, v1
	v_mul_f32_e32 v19, v17, v17
	s_delay_alu instid0(VALU_DEP_1) | instskip(SKIP_1) | instid1(VALU_DEP_2)
	v_fmaak_f32 v23, s4, v19, 0x3ecc95a3
	v_mul_f32_e32 v21, v17, v19
	v_fmaak_f32 v19, v19, v23, 0x3f2aaada
	s_delay_alu instid0(VALU_DEP_1) | instskip(NEXT) | instid1(VALU_DEP_1)
	v_pk_mul_f32 v[18:19], v[20:21], v[18:19]
	v_fma_f32 v11, 0x3f317218, v20, -v18
	v_mov_b32_e32 v24, v18
	s_delay_alu instid0(VALU_DEP_2) | instskip(SKIP_2) | instid1(VALU_DEP_2)
	v_fmamk_f32 v20, v20, 0xb102e308, v11
	v_ldexp_f32 v21, v17, 1
	v_sub_f32_e32 v11, v17, v22
	v_pk_add_f32 v[22:23], v[18:19], v[20:21]
	s_delay_alu instid0(VALU_DEP_1) | instskip(NEXT) | instid1(VALU_DEP_1)
	v_dual_sub_f32 v1, v1, v11 :: v_dual_sub_f32 v11, v23, v21
	v_ldexp_f32 v1, v1, 1
	s_delay_alu instid0(VALU_DEP_2) | instskip(SKIP_1) | instid1(VALU_DEP_2)
	v_dual_mov_b32 v21, v22 :: v_dual_sub_f32 v11, v19, v11
	v_pk_add_f32 v[18:19], v[22:23], v[18:19] neg_lo:[0,1] neg_hi:[0,1]
	v_add_f32_e32 v25, v1, v11
	s_delay_alu instid0(VALU_DEP_1) | instskip(NEXT) | instid1(VALU_DEP_1)
	v_pk_add_f32 v[26:27], v[22:23], v[24:25]
	v_dual_mov_b32 v32, v23 :: v_dual_mov_b32 v19, v27
	s_delay_alu instid0(VALU_DEP_1) | instskip(SKIP_2) | instid1(VALU_DEP_3)
	v_pk_add_f32 v[28:29], v[20:21], v[18:19]
	v_mov_b32_e32 v28, v27
	v_pk_add_f32 v[18:19], v[20:21], v[18:19] neg_lo:[0,1] neg_hi:[0,1]
	v_dual_mov_b32 v24, v29 :: v_dual_mov_b32 v19, v29
	s_delay_alu instid0(VALU_DEP_1) | instskip(SKIP_1) | instid1(VALU_DEP_2)
	v_pk_add_f32 v[30:31], v[24:25], v[22:23] neg_lo:[0,1] neg_hi:[0,1]
	v_dual_mov_b32 v23, v22 :: v_dual_mov_b32 v22, v25
	v_dual_mov_b32 v1, v30 :: v_dual_mov_b32 v33, v30
	s_delay_alu instid0(VALU_DEP_1) | instskip(NEXT) | instid1(VALU_DEP_2)
	v_pk_add_f32 v[26:27], v[26:27], v[0:1] neg_lo:[0,1] neg_hi:[0,1]
	v_pk_add_f32 v[20:21], v[28:29], v[32:33] neg_lo:[0,1] neg_hi:[0,1]
	v_mov_b32_e32 v26, v18
	s_delay_alu instid0(VALU_DEP_2) | instskip(NEXT) | instid1(VALU_DEP_1)
	v_pk_add_f32 v[20:21], v[22:23], v[20:21] neg_lo:[0,1] neg_hi:[0,1]
	v_pk_add_f32 v[22:23], v[26:27], v[20:21]
	s_delay_alu instid0(VALU_DEP_1) | instskip(NEXT) | instid1(VALU_DEP_1)
	v_mov_b32_e32 v26, v23
	v_pk_add_f32 v[26:27], v[22:23], v[26:27]
	s_delay_alu instid0(VALU_DEP_1) | instskip(NEXT) | instid1(VALU_DEP_1)
	v_pk_add_f32 v[24:25], v[24:25], v[26:27]
	v_mov_b32_e32 v23, v24
	s_delay_alu instid0(VALU_DEP_1) | instskip(NEXT) | instid1(VALU_DEP_1)
	v_pk_add_f32 v[28:29], v[22:23], v[18:19] neg_lo:[0,1] neg_hi:[0,1]
	v_sub_f32_e32 v1, v22, v28
	s_delay_alu instid0(VALU_DEP_1) | instskip(SKIP_1) | instid1(VALU_DEP_1)
	v_sub_f32_e32 v1, v18, v1
	v_mov_b32_e32 v21, v26
	v_pk_add_f32 v[20:21], v[20:21], v[28:29] neg_lo:[0,1] neg_hi:[0,1]
	s_delay_alu instid0(VALU_DEP_1) | instskip(NEXT) | instid1(VALU_DEP_1)
	v_add_f32_e32 v1, v20, v1
	v_add_f32_e32 v1, v1, v21
	s_delay_alu instid0(VALU_DEP_1) | instskip(NEXT) | instid1(VALU_DEP_1)
	v_add_f32_e32 v1, v24, v1
	v_cndmask_b32_e32 v1, 0x7f800000, v1, vcc_lo
	v_cmp_gt_f32_e64 vcc_lo, 0x33800000, |v9|
	s_delay_alu instid0(VALU_DEP_2) | instskip(NEXT) | instid1(VALU_DEP_1)
	v_cndmask_b32_e32 v1, v1, v9, vcc_lo
	v_div_scale_f32 v9, null, v0, v0, v1
	s_delay_alu instid0(VALU_DEP_1) | instskip(SKIP_1) | instid1(TRANS32_DEP_1)
	v_rcp_f32_e32 v11, v9
	v_nop
	v_fma_f32 v17, -v9, v11, 1.0
	s_delay_alu instid0(VALU_DEP_1) | instskip(SKIP_1) | instid1(VALU_DEP_1)
	v_fmac_f32_e32 v11, v17, v11
	v_div_scale_f32 v17, vcc_lo, v1, v0, v1
	v_mul_f32_e32 v18, v17, v11
	s_delay_alu instid0(VALU_DEP_1) | instskip(NEXT) | instid1(VALU_DEP_1)
	v_fma_f32 v19, -v9, v18, v17
	v_fmac_f32_e32 v18, v19, v11
	s_delay_alu instid0(VALU_DEP_1) | instskip(NEXT) | instid1(VALU_DEP_1)
	v_fma_f32 v9, -v9, v18, v17
	v_div_fmas_f32 v9, v9, v11, v18
	s_delay_alu instid0(VALU_DEP_1)
	v_div_fixup_f32 v9, v9, v0, v1
.LBB26_47:
	s_or_b32 exec_lo, exec_lo, s3
	s_delay_alu instid0(VALU_DEP_1) | instskip(SKIP_1) | instid1(VALU_DEP_2)
	v_bfe_u32 v0, v9, 16, 1
	v_cmp_o_f32_e32 vcc_lo, v9, v9
	v_add3_u32 v0, v9, v0, 0x7fff
	s_delay_alu instid0(VALU_DEP_1) | instskip(NEXT) | instid1(VALU_DEP_1)
	v_lshrrev_b32_e32 v0, 16, v0
	v_cndmask_b32_e32 v11, 0x7fc0, v0, vcc_lo
	s_or_b32 exec_lo, exec_lo, s2
	s_and_saveexec_b32 s2, s0
	s_delay_alu instid0(SALU_CYCLE_1)
	s_xor_b32 s0, exec_lo, s2
	s_cbranch_execnz .LBB26_57
.LBB26_48:
	s_or_b32 exec_lo, exec_lo, s0
	s_delay_alu instid0(SALU_CYCLE_1)
	s_mov_b32 s0, exec_lo
	v_cmpx_lt_i32_e64 v7, v6
	s_cbranch_execz .LBB26_58
.LBB26_49:
	v_dual_mov_b32 v1, 0 :: v_dual_add_nc_u32 v0, s1, v7
	v_add_nc_u32_e32 v7, 0x100, v7
	s_delay_alu instid0(VALU_DEP_2) | instskip(SKIP_3) | instid1(SALU_CYCLE_1)
	v_lshl_add_u64 v[0:1], v[0:1], 1, v[2:3]
	flat_store_b16 v[0:1], v5
	s_wait_xcnt 0x0
	s_or_b32 exec_lo, exec_lo, s0
	s_mov_b32 s0, exec_lo
	v_cmpx_lt_i32_e64 v7, v6
	s_cbranch_execnz .LBB26_59
.LBB26_50:
	s_or_b32 exec_lo, exec_lo, s0
	s_delay_alu instid0(SALU_CYCLE_1)
	s_mov_b32 s0, exec_lo
	v_cmpx_lt_i32_e64 v7, v6
	s_cbranch_execz .LBB26_60
.LBB26_51:
	v_dual_mov_b32 v1, 0 :: v_dual_add_nc_u32 v0, s1, v7
	v_add_nc_u32_e32 v7, 0x100, v7
	s_delay_alu instid0(VALU_DEP_2) | instskip(SKIP_3) | instid1(SALU_CYCLE_1)
	v_lshl_add_u64 v[0:1], v[0:1], 1, v[2:3]
	flat_store_b16 v[0:1], v15
	s_wait_xcnt 0x0
	s_or_b32 exec_lo, exec_lo, s0
	s_mov_b32 s0, exec_lo
	v_cmpx_lt_i32_e64 v7, v6
	s_cbranch_execnz .LBB26_61
.LBB26_52:
	s_or_b32 exec_lo, exec_lo, s0
	s_delay_alu instid0(SALU_CYCLE_1)
	s_mov_b32 s0, exec_lo
	v_cmpx_lt_i32_e64 v7, v6
	s_cbranch_execz .LBB26_62
.LBB26_53:
	v_dual_mov_b32 v1, 0 :: v_dual_add_nc_u32 v0, s1, v7
	v_add_nc_u32_e32 v7, 0x100, v7
	s_delay_alu instid0(VALU_DEP_2) | instskip(SKIP_3) | instid1(SALU_CYCLE_1)
	v_lshl_add_u64 v[0:1], v[0:1], 1, v[2:3]
	flat_store_b16 v[0:1], v14
	s_wait_xcnt 0x0
	s_or_b32 exec_lo, exec_lo, s0
	s_mov_b32 s0, exec_lo
	v_cmpx_lt_i32_e64 v7, v6
	s_cbranch_execnz .LBB26_63
.LBB26_54:
	s_or_b32 exec_lo, exec_lo, s0
	s_delay_alu instid0(SALU_CYCLE_1)
	s_mov_b32 s0, exec_lo
	v_cmpx_lt_i32_e64 v7, v6
	s_cbranch_execz .LBB26_64
.LBB26_55:
	v_dual_mov_b32 v1, 0 :: v_dual_add_nc_u32 v0, s1, v7
	s_delay_alu instid0(VALU_DEP_1)
	v_lshl_add_u64 v[0:1], v[0:1], 1, v[2:3]
	flat_store_b16 v[0:1], v11
	s_wait_xcnt 0x0
	s_or_b32 exec_lo, exec_lo, s0
	s_wait_dscnt 0x0
	s_set_pc_i64 s[30:31]
.LBB26_56:
	s_or_b32 exec_lo, exec_lo, s2
	s_and_saveexec_b32 s2, s0
	s_delay_alu instid0(SALU_CYCLE_1)
	s_xor_b32 s0, exec_lo, s2
	s_cbranch_execz .LBB26_48
.LBB26_57:
	v_dual_mov_b32 v9, 0 :: v_dual_mov_b32 v7, v10
	s_delay_alu instid0(VALU_DEP_1) | instskip(SKIP_3) | instid1(SALU_CYCLE_1)
	v_lshl_add_u64 v[0:1], v[8:9], 1, v[2:3]
	flat_store_b16 v[0:1], v4
	s_wait_xcnt 0x0
	s_or_b32 exec_lo, exec_lo, s0
	s_mov_b32 s0, exec_lo
	v_cmpx_lt_i32_e64 v7, v6
	s_cbranch_execnz .LBB26_49
.LBB26_58:
	s_or_b32 exec_lo, exec_lo, s0
	s_delay_alu instid0(SALU_CYCLE_1)
	s_mov_b32 s0, exec_lo
	v_cmpx_lt_i32_e64 v7, v6
	s_cbranch_execz .LBB26_50
.LBB26_59:
	v_dual_mov_b32 v1, 0 :: v_dual_add_nc_u32 v0, s1, v7
	v_add_nc_u32_e32 v7, 0x100, v7
	s_delay_alu instid0(VALU_DEP_2) | instskip(SKIP_3) | instid1(SALU_CYCLE_1)
	v_lshl_add_u64 v[0:1], v[0:1], 1, v[2:3]
	flat_store_b16 v[0:1], v13
	s_wait_xcnt 0x0
	s_or_b32 exec_lo, exec_lo, s0
	s_mov_b32 s0, exec_lo
	v_cmpx_lt_i32_e64 v7, v6
	s_cbranch_execnz .LBB26_51
.LBB26_60:
	s_or_b32 exec_lo, exec_lo, s0
	s_delay_alu instid0(SALU_CYCLE_1)
	s_mov_b32 s0, exec_lo
	v_cmpx_lt_i32_e64 v7, v6
	s_cbranch_execz .LBB26_52
.LBB26_61:
	v_dual_mov_b32 v1, 0 :: v_dual_add_nc_u32 v0, s1, v7
	v_add_nc_u32_e32 v7, 0x100, v7
	s_delay_alu instid0(VALU_DEP_2) | instskip(SKIP_3) | instid1(SALU_CYCLE_1)
	v_lshl_add_u64 v[0:1], v[0:1], 1, v[2:3]
	flat_store_b16 v[0:1], v16
	s_wait_xcnt 0x0
	s_or_b32 exec_lo, exec_lo, s0
	s_mov_b32 s0, exec_lo
	v_cmpx_lt_i32_e64 v7, v6
	s_cbranch_execnz .LBB26_53
.LBB26_62:
	s_or_b32 exec_lo, exec_lo, s0
	s_delay_alu instid0(SALU_CYCLE_1)
	s_mov_b32 s0, exec_lo
	v_cmpx_lt_i32_e64 v7, v6
	s_cbranch_execz .LBB26_54
.LBB26_63:
	v_dual_mov_b32 v1, 0 :: v_dual_add_nc_u32 v0, s1, v7
	v_add_nc_u32_e32 v7, 0x100, v7
	s_delay_alu instid0(VALU_DEP_2) | instskip(SKIP_3) | instid1(SALU_CYCLE_1)
	v_lshl_add_u64 v[0:1], v[0:1], 1, v[2:3]
	flat_store_b16 v[0:1], v12
	s_wait_xcnt 0x0
	s_or_b32 exec_lo, exec_lo, s0
	s_mov_b32 s0, exec_lo
	v_cmpx_lt_i32_e64 v7, v6
	s_cbranch_execnz .LBB26_55
.LBB26_64:
	s_or_b32 exec_lo, exec_lo, s0
	s_wait_dscnt 0x0
	s_set_pc_i64 s[30:31]
.Lfunc_end26:
	.size	_ZN2at6native25elementwise_kernel_helperILb0EZZZNS0_12_GLOBAL__N_115softplus_kernelERNS_18TensorIteratorBaseERKN3c106ScalarES8_ENKUlvE_clEvENKUlvE2_clEvEUlNS5_8BFloat16EE_NS0_6memory8policies11unroll_baseILi256ESt5arrayIPcLm2EE23TrivialOffsetCalculatorILi1EjESK_NSD_15LoadWithoutCastENSD_16StoreWithoutCastELi8ELi1EEEEEvT0_T1_, .Lfunc_end26-_ZN2at6native25elementwise_kernel_helperILb0EZZZNS0_12_GLOBAL__N_115softplus_kernelERNS_18TensorIteratorBaseERKN3c106ScalarES8_ENKUlvE_clEvENKUlvE2_clEvEUlNS5_8BFloat16EE_NS0_6memory8policies11unroll_baseILi256ESt5arrayIPcLm2EE23TrivialOffsetCalculatorILi1EjESK_NSD_15LoadWithoutCastENSD_16StoreWithoutCastELi8ELi1EEEEEvT0_T1_
                                        ; -- End function
	.set .L_ZN2at6native25elementwise_kernel_helperILb0EZZZNS0_12_GLOBAL__N_115softplus_kernelERNS_18TensorIteratorBaseERKN3c106ScalarES8_ENKUlvE_clEvENKUlvE2_clEvEUlNS5_8BFloat16EE_NS0_6memory8policies11unroll_baseILi256ESt5arrayIPcLm2EE23TrivialOffsetCalculatorILi1EjESK_NSD_15LoadWithoutCastENSD_16StoreWithoutCastELi8ELi1EEEEEvT0_T1_.num_vgpr, 35
	.set .L_ZN2at6native25elementwise_kernel_helperILb0EZZZNS0_12_GLOBAL__N_115softplus_kernelERNS_18TensorIteratorBaseERKN3c106ScalarES8_ENKUlvE_clEvENKUlvE2_clEvEUlNS5_8BFloat16EE_NS0_6memory8policies11unroll_baseILi256ESt5arrayIPcLm2EE23TrivialOffsetCalculatorILi1EjESK_NSD_15LoadWithoutCastENSD_16StoreWithoutCastELi8ELi1EEEEEvT0_T1_.num_agpr, 0
	.set .L_ZN2at6native25elementwise_kernel_helperILb0EZZZNS0_12_GLOBAL__N_115softplus_kernelERNS_18TensorIteratorBaseERKN3c106ScalarES8_ENKUlvE_clEvENKUlvE2_clEvEUlNS5_8BFloat16EE_NS0_6memory8policies11unroll_baseILi256ESt5arrayIPcLm2EE23TrivialOffsetCalculatorILi1EjESK_NSD_15LoadWithoutCastENSD_16StoreWithoutCastELi8ELi1EEEEEvT0_T1_.numbered_sgpr, 32
	.set .L_ZN2at6native25elementwise_kernel_helperILb0EZZZNS0_12_GLOBAL__N_115softplus_kernelERNS_18TensorIteratorBaseERKN3c106ScalarES8_ENKUlvE_clEvENKUlvE2_clEvEUlNS5_8BFloat16EE_NS0_6memory8policies11unroll_baseILi256ESt5arrayIPcLm2EE23TrivialOffsetCalculatorILi1EjESK_NSD_15LoadWithoutCastENSD_16StoreWithoutCastELi8ELi1EEEEEvT0_T1_.num_named_barrier, 0
	.set .L_ZN2at6native25elementwise_kernel_helperILb0EZZZNS0_12_GLOBAL__N_115softplus_kernelERNS_18TensorIteratorBaseERKN3c106ScalarES8_ENKUlvE_clEvENKUlvE2_clEvEUlNS5_8BFloat16EE_NS0_6memory8policies11unroll_baseILi256ESt5arrayIPcLm2EE23TrivialOffsetCalculatorILi1EjESK_NSD_15LoadWithoutCastENSD_16StoreWithoutCastELi8ELi1EEEEEvT0_T1_.private_seg_size, 0
	.set .L_ZN2at6native25elementwise_kernel_helperILb0EZZZNS0_12_GLOBAL__N_115softplus_kernelERNS_18TensorIteratorBaseERKN3c106ScalarES8_ENKUlvE_clEvENKUlvE2_clEvEUlNS5_8BFloat16EE_NS0_6memory8policies11unroll_baseILi256ESt5arrayIPcLm2EE23TrivialOffsetCalculatorILi1EjESK_NSD_15LoadWithoutCastENSD_16StoreWithoutCastELi8ELi1EEEEEvT0_T1_.uses_vcc, 1
	.set .L_ZN2at6native25elementwise_kernel_helperILb0EZZZNS0_12_GLOBAL__N_115softplus_kernelERNS_18TensorIteratorBaseERKN3c106ScalarES8_ENKUlvE_clEvENKUlvE2_clEvEUlNS5_8BFloat16EE_NS0_6memory8policies11unroll_baseILi256ESt5arrayIPcLm2EE23TrivialOffsetCalculatorILi1EjESK_NSD_15LoadWithoutCastENSD_16StoreWithoutCastELi8ELi1EEEEEvT0_T1_.uses_flat_scratch, 0
	.set .L_ZN2at6native25elementwise_kernel_helperILb0EZZZNS0_12_GLOBAL__N_115softplus_kernelERNS_18TensorIteratorBaseERKN3c106ScalarES8_ENKUlvE_clEvENKUlvE2_clEvEUlNS5_8BFloat16EE_NS0_6memory8policies11unroll_baseILi256ESt5arrayIPcLm2EE23TrivialOffsetCalculatorILi1EjESK_NSD_15LoadWithoutCastENSD_16StoreWithoutCastELi8ELi1EEEEEvT0_T1_.has_dyn_sized_stack, 0
	.set .L_ZN2at6native25elementwise_kernel_helperILb0EZZZNS0_12_GLOBAL__N_115softplus_kernelERNS_18TensorIteratorBaseERKN3c106ScalarES8_ENKUlvE_clEvENKUlvE2_clEvEUlNS5_8BFloat16EE_NS0_6memory8policies11unroll_baseILi256ESt5arrayIPcLm2EE23TrivialOffsetCalculatorILi1EjESK_NSD_15LoadWithoutCastENSD_16StoreWithoutCastELi8ELi1EEEEEvT0_T1_.has_recursion, 0
	.set .L_ZN2at6native25elementwise_kernel_helperILb0EZZZNS0_12_GLOBAL__N_115softplus_kernelERNS_18TensorIteratorBaseERKN3c106ScalarES8_ENKUlvE_clEvENKUlvE2_clEvEUlNS5_8BFloat16EE_NS0_6memory8policies11unroll_baseILi256ESt5arrayIPcLm2EE23TrivialOffsetCalculatorILi1EjESK_NSD_15LoadWithoutCastENSD_16StoreWithoutCastELi8ELi1EEEEEvT0_T1_.has_indirect_call, 0
	.section	.AMDGPU.csdata,"",@progbits
; Function info:
; codeLenInByte = 10264
; TotalNumSgprs: 34
; NumVgprs: 35
; ScratchSize: 0
; MemoryBound: 0
	.text
	.p2align	2                               ; -- Begin function _ZN2at6native25elementwise_kernel_helperILb0EZZZNS0_12_GLOBAL__N_115softplus_kernelERNS_18TensorIteratorBaseERKN3c106ScalarES8_ENKUlvE_clEvENKUlvE2_clEvEUlNS5_8BFloat16EE_NS0_6memory8policies10vectorizedILi8ESt5arrayIPcLm2EELi8EEEEEvT0_T1_
	.type	_ZN2at6native25elementwise_kernel_helperILb0EZZZNS0_12_GLOBAL__N_115softplus_kernelERNS_18TensorIteratorBaseERKN3c106ScalarES8_ENKUlvE_clEvENKUlvE2_clEvEUlNS5_8BFloat16EE_NS0_6memory8policies10vectorizedILi8ESt5arrayIPcLm2EELi8EEEEEvT0_T1_,@function
_ZN2at6native25elementwise_kernel_helperILb0EZZZNS0_12_GLOBAL__N_115softplus_kernelERNS_18TensorIteratorBaseERKN3c106ScalarES8_ENKUlvE_clEvENKUlvE2_clEvEUlNS5_8BFloat16EE_NS0_6memory8policies10vectorizedILi8ESt5arrayIPcLm2EELi8EEEEEvT0_T1_: ; @_ZN2at6native25elementwise_kernel_helperILb0EZZZNS0_12_GLOBAL__N_115softplus_kernelERNS_18TensorIteratorBaseERKN3c106ScalarES8_ENKUlvE_clEvENKUlvE2_clEvEUlNS5_8BFloat16EE_NS0_6memory8policies10vectorizedILi8ESt5arrayIPcLm2EELi8EEEEEvT0_T1_
; %bb.0:
	s_wait_loadcnt_dscnt 0x0
	s_wait_kmcnt 0x0
	s_bfe_u32 s0, ttmp6, 0x4000c
	s_and_b32 s1, ttmp6, 15
	s_add_co_i32 s0, s0, 1
	s_getreg_b32 s2, hwreg(HW_REG_IB_STS2, 6, 4)
	s_mul_i32 s0, ttmp9, s0
	v_and_b32_e32 v6, 0x3ff, v31
	s_add_co_i32 s1, s1, s0
	s_cmp_eq_u32 s2, 0
	v_mov_b32_e32 v9, 0
	s_cselect_b32 s0, ttmp9, s1
	v_lshlrev_b32_e32 v8, 4, v6
	s_lshl_b32 s0, s0, 11
	s_mov_b32 s2, exec_lo
	s_ashr_i32 s1, s0, 31
	s_delay_alu instid0(SALU_CYCLE_1) | instskip(NEXT) | instid1(VALU_DEP_1)
	v_lshl_add_u64 v[4:5], s[0:1], 1, v[4:5]
	v_add_nc_u64_e32 v[4:5], v[4:5], v[8:9]
	flat_load_b128 v[4:7], v[4:5]
	s_wait_loadcnt_dscnt 0x0
	v_lshlrev_b32_e32 v10, 16, v4
	s_delay_alu instid0(VALU_DEP_1) | instskip(SKIP_1) | instid1(VALU_DEP_1)
	v_mul_f32_e32 v9, v0, v10
	s_wait_xcnt 0x0
	v_cmpx_ngt_f32_e32 v9, v1
	s_cbranch_execz .LBB27_2
; %bb.1:
	v_mul_f32_e32 v10, 0x3fb8aa3b, v9
	v_cmp_ngt_f32_e32 vcc_lo, 0xc2ce8ed0, v9
	s_mov_b32 s3, 0x3e9b6dac
	s_delay_alu instid0(VALU_DEP_2) | instskip(SKIP_1) | instid1(VALU_DEP_2)
	v_rndne_f32_e32 v11, v10
	v_fma_f32 v12, 0x3fb8aa3b, v9, -v10
	v_sub_f32_e32 v10, v10, v11
	s_delay_alu instid0(VALU_DEP_2) | instskip(SKIP_1) | instid1(VALU_DEP_2)
	v_fmamk_f32 v12, v9, 0x32a5705f, v12
	v_cvt_i32_f32_e32 v11, v11
	v_add_f32_e32 v10, v10, v12
	s_delay_alu instid0(VALU_DEP_1) | instskip(SKIP_1) | instid1(TRANS32_DEP_1)
	v_exp_f32_e32 v10, v10
	v_nop
	v_ldexp_f32 v10, v10, v11
	s_delay_alu instid0(VALU_DEP_1) | instskip(SKIP_1) | instid1(VALU_DEP_2)
	v_cndmask_b32_e32 v10, 0, v10, vcc_lo
	v_cmp_nlt_f32_e32 vcc_lo, 0x42b17218, v9
	v_cndmask_b32_e32 v26, 0x7f800000, v10, vcc_lo
	s_delay_alu instid0(VALU_DEP_1) | instskip(NEXT) | instid1(VALU_DEP_1)
	v_add_f32_e32 v9, 1.0, v26
	v_cvt_f64_f32_e32 v[10:11], v9
	s_delay_alu instid0(VALU_DEP_1) | instskip(SKIP_1) | instid1(VALU_DEP_1)
	v_frexp_exp_i32_f64_e32 v10, v[10:11]
	v_frexp_mant_f32_e32 v11, v9
	v_cmp_gt_f32_e32 vcc_lo, 0x3f2aaaab, v11
	s_delay_alu instid0(VALU_DEP_3) | instskip(NEXT) | instid1(VALU_DEP_1)
	v_subrev_co_ci_u32_e64 v16, null, 0, v10, vcc_lo
	v_dual_add_f32 v10, -1.0, v9 :: v_dual_sub_nc_u32 v11, 0, v16
	s_delay_alu instid0(VALU_DEP_1) | instskip(NEXT) | instid1(VALU_DEP_2)
	v_sub_f32_e32 v12, v10, v9
	v_ldexp_f32 v9, v9, v11
	s_delay_alu instid0(VALU_DEP_1) | instskip(SKIP_2) | instid1(VALU_DEP_2)
	v_dual_add_f32 v12, 1.0, v12 :: v_dual_add_f32 v13, 1.0, v9
	v_dual_add_f32 v15, -1.0, v9 :: v_dual_sub_f32 v10, v26, v10
	v_cmp_neq_f32_e32 vcc_lo, 0x7f800000, v26
	v_dual_add_f32 v10, v10, v12 :: v_dual_add_f32 v12, -1.0, v13
	s_delay_alu instid0(VALU_DEP_1) | instskip(NEXT) | instid1(VALU_DEP_2)
	v_ldexp_f32 v10, v10, v11
	v_dual_sub_f32 v11, v9, v12 :: v_dual_add_f32 v12, 1.0, v15
	s_delay_alu instid0(VALU_DEP_1) | instskip(NEXT) | instid1(VALU_DEP_1)
	v_dual_add_f32 v14, v10, v11 :: v_dual_sub_f32 v9, v9, v12
	v_dual_add_f32 v17, v13, v14 :: v_dual_add_f32 v9, v10, v9
	s_delay_alu instid0(VALU_DEP_1) | instskip(NEXT) | instid1(VALU_DEP_1)
	v_rcp_f32_e32 v18, v17
	v_add_f32_e32 v11, v15, v9
	s_delay_alu instid0(TRANS32_DEP_1) | instid1(VALU_DEP_1)
	v_dual_sub_f32 v10, v13, v17 :: v_dual_mul_f32 v19, v11, v18
	s_delay_alu instid0(VALU_DEP_1) | instskip(SKIP_1) | instid1(VALU_DEP_2)
	v_dual_mul_f32 v12, v17, v19 :: v_dual_add_f32 v20, v14, v10
	v_sub_f32_e32 v21, v15, v11
	v_fma_f32 v14, v19, v17, -v12
	s_delay_alu instid0(VALU_DEP_1) | instskip(NEXT) | instid1(VALU_DEP_1)
	v_dual_add_f32 v9, v9, v21 :: v_dual_fmac_f32 v14, v19, v20
	v_add_f32_e32 v10, v12, v14
	s_delay_alu instid0(VALU_DEP_1) | instskip(NEXT) | instid1(VALU_DEP_1)
	v_dual_sub_f32 v13, v11, v10 :: v_dual_mov_b32 v15, v10
	v_pk_add_f32 v[10:11], v[10:11], v[12:13] neg_lo:[0,1] neg_hi:[0,1]
	s_delay_alu instid0(VALU_DEP_1) | instskip(NEXT) | instid1(VALU_DEP_1)
	v_pk_add_f32 v[10:11], v[10:11], v[14:15] neg_lo:[0,1] neg_hi:[0,1]
	v_add_f32_e32 v9, v9, v11
	s_delay_alu instid0(VALU_DEP_1) | instskip(NEXT) | instid1(VALU_DEP_1)
	v_add_f32_e32 v9, v10, v9
	v_add_f32_e32 v11, v13, v9
	s_delay_alu instid0(VALU_DEP_1) | instskip(NEXT) | instid1(VALU_DEP_1)
	v_mul_f32_e32 v21, v18, v11
	v_mul_f32_e32 v14, v17, v21
	s_delay_alu instid0(VALU_DEP_1) | instskip(NEXT) | instid1(VALU_DEP_1)
	v_fma_f32 v12, v21, v17, -v14
	v_fmac_f32_e32 v12, v21, v20
	s_delay_alu instid0(VALU_DEP_1) | instskip(NEXT) | instid1(VALU_DEP_1)
	v_dual_add_f32 v10, v14, v12 :: v_dual_sub_f32 v17, v13, v11
	v_dual_sub_f32 v15, v11, v10 :: v_dual_mov_b32 v13, v10
	s_delay_alu instid0(VALU_DEP_1) | instskip(SKIP_1) | instid1(VALU_DEP_4)
	v_pk_add_f32 v[10:11], v[10:11], v[14:15] neg_lo:[0,1] neg_hi:[0,1]
	v_add_f32_e32 v14, v19, v21
	v_add_f32_e32 v9, v9, v17
	s_delay_alu instid0(VALU_DEP_3) | instskip(SKIP_1) | instid1(VALU_DEP_2)
	v_pk_add_f32 v[10:11], v[10:11], v[12:13] neg_lo:[0,1] neg_hi:[0,1]
	v_cvt_f32_i32_e32 v12, v16
	v_add_f32_e32 v9, v9, v11
	s_delay_alu instid0(VALU_DEP_1) | instskip(SKIP_1) | instid1(VALU_DEP_1)
	v_add_f32_e32 v9, v10, v9
	v_sub_f32_e32 v10, v14, v19
	v_dual_sub_f32 v10, v21, v10 :: v_dual_add_f32 v9, v15, v9
	s_delay_alu instid0(VALU_DEP_1) | instskip(NEXT) | instid1(VALU_DEP_1)
	v_mul_f32_e32 v9, v18, v9
	v_dual_add_f32 v9, v10, v9 :: v_dual_mov_b32 v10, 0x3f317218
	s_delay_alu instid0(VALU_DEP_1) | instskip(NEXT) | instid1(VALU_DEP_1)
	v_add_f32_e32 v15, v14, v9
	v_mul_f32_e32 v11, v15, v15
	s_delay_alu instid0(VALU_DEP_1) | instskip(SKIP_1) | instid1(VALU_DEP_2)
	v_fmaak_f32 v17, s3, v11, 0x3ecc95a3
	v_mul_f32_e32 v13, v15, v11
	v_fmaak_f32 v11, v11, v17, 0x3f2aaada
	s_delay_alu instid0(VALU_DEP_1) | instskip(NEXT) | instid1(VALU_DEP_1)
	v_pk_mul_f32 v[10:11], v[12:13], v[10:11]
	v_fma_f32 v16, 0x3f317218, v12, -v10
	s_delay_alu instid0(VALU_DEP_1) | instskip(SKIP_1) | instid1(VALU_DEP_1)
	v_fmamk_f32 v12, v12, 0xb102e308, v16
	v_sub_f32_e32 v16, v15, v14
	v_sub_f32_e32 v9, v9, v16
	v_ldexp_f32 v13, v15, 1
	v_mov_b32_e32 v16, v10
	s_delay_alu instid0(VALU_DEP_3) | instskip(NEXT) | instid1(VALU_DEP_3)
	v_ldexp_f32 v9, v9, 1
	v_pk_add_f32 v[14:15], v[10:11], v[12:13]
	s_delay_alu instid0(VALU_DEP_1) | instskip(NEXT) | instid1(VALU_DEP_1)
	v_dual_sub_f32 v13, v15, v13 :: v_dual_mov_b32 v24, v15
	v_sub_f32_e32 v13, v11, v13
	s_delay_alu instid0(VALU_DEP_3) | instskip(NEXT) | instid1(VALU_DEP_2)
	v_pk_add_f32 v[10:11], v[14:15], v[10:11] neg_lo:[0,1] neg_hi:[0,1]
	v_dual_add_f32 v17, v9, v13 :: v_dual_mov_b32 v13, v14
	s_delay_alu instid0(VALU_DEP_1) | instskip(NEXT) | instid1(VALU_DEP_1)
	v_pk_add_f32 v[18:19], v[14:15], v[16:17]
	v_mov_b32_e32 v11, v19
	s_delay_alu instid0(VALU_DEP_1) | instskip(SKIP_2) | instid1(VALU_DEP_3)
	v_pk_add_f32 v[20:21], v[12:13], v[10:11]
	v_mov_b32_e32 v20, v19
	v_pk_add_f32 v[10:11], v[12:13], v[10:11] neg_lo:[0,1] neg_hi:[0,1]
	v_dual_mov_b32 v16, v21 :: v_dual_mov_b32 v11, v21
	s_delay_alu instid0(VALU_DEP_1) | instskip(SKIP_1) | instid1(VALU_DEP_2)
	v_pk_add_f32 v[22:23], v[16:17], v[14:15] neg_lo:[0,1] neg_hi:[0,1]
	v_dual_mov_b32 v15, v14 :: v_dual_mov_b32 v14, v17
	v_dual_mov_b32 v9, v22 :: v_dual_mov_b32 v25, v22
	s_delay_alu instid0(VALU_DEP_1) | instskip(NEXT) | instid1(VALU_DEP_2)
	v_pk_add_f32 v[18:19], v[18:19], v[8:9] neg_lo:[0,1] neg_hi:[0,1]
	v_pk_add_f32 v[12:13], v[20:21], v[24:25] neg_lo:[0,1] neg_hi:[0,1]
	v_mov_b32_e32 v18, v10
	s_delay_alu instid0(VALU_DEP_2) | instskip(NEXT) | instid1(VALU_DEP_1)
	v_pk_add_f32 v[12:13], v[14:15], v[12:13] neg_lo:[0,1] neg_hi:[0,1]
	v_pk_add_f32 v[14:15], v[18:19], v[12:13]
	s_delay_alu instid0(VALU_DEP_1) | instskip(NEXT) | instid1(VALU_DEP_1)
	v_mov_b32_e32 v18, v15
	v_pk_add_f32 v[18:19], v[14:15], v[18:19]
	s_delay_alu instid0(VALU_DEP_1) | instskip(NEXT) | instid1(VALU_DEP_1)
	v_pk_add_f32 v[16:17], v[16:17], v[18:19]
	v_mov_b32_e32 v15, v16
	s_delay_alu instid0(VALU_DEP_1) | instskip(NEXT) | instid1(VALU_DEP_1)
	v_pk_add_f32 v[20:21], v[14:15], v[10:11] neg_lo:[0,1] neg_hi:[0,1]
	v_sub_f32_e32 v9, v14, v20
	s_delay_alu instid0(VALU_DEP_1) | instskip(SKIP_1) | instid1(VALU_DEP_1)
	v_sub_f32_e32 v9, v10, v9
	v_mov_b32_e32 v13, v18
	v_pk_add_f32 v[12:13], v[12:13], v[20:21] neg_lo:[0,1] neg_hi:[0,1]
	s_delay_alu instid0(VALU_DEP_1) | instskip(NEXT) | instid1(VALU_DEP_1)
	v_add_f32_e32 v9, v12, v9
	v_add_f32_e32 v9, v9, v13
	s_delay_alu instid0(VALU_DEP_1) | instskip(NEXT) | instid1(VALU_DEP_1)
	v_add_f32_e32 v9, v16, v9
	v_cndmask_b32_e32 v9, 0x7f800000, v9, vcc_lo
	v_cmp_gt_f32_e64 vcc_lo, 0x33800000, |v26|
	s_delay_alu instid0(VALU_DEP_2) | instskip(NEXT) | instid1(VALU_DEP_1)
	v_cndmask_b32_e32 v9, v9, v26, vcc_lo
	v_div_scale_f32 v10, null, v0, v0, v9
	s_delay_alu instid0(VALU_DEP_1) | instskip(SKIP_1) | instid1(TRANS32_DEP_1)
	v_rcp_f32_e32 v11, v10
	v_nop
	v_fma_f32 v12, -v10, v11, 1.0
	s_delay_alu instid0(VALU_DEP_1) | instskip(SKIP_1) | instid1(VALU_DEP_1)
	v_fmac_f32_e32 v11, v12, v11
	v_div_scale_f32 v12, vcc_lo, v9, v0, v9
	v_mul_f32_e32 v13, v12, v11
	s_delay_alu instid0(VALU_DEP_1) | instskip(NEXT) | instid1(VALU_DEP_1)
	v_fma_f32 v14, -v10, v13, v12
	v_fmac_f32_e32 v13, v14, v11
	s_delay_alu instid0(VALU_DEP_1) | instskip(NEXT) | instid1(VALU_DEP_1)
	v_fma_f32 v10, -v10, v13, v12
	v_div_fmas_f32 v10, v10, v11, v13
	s_delay_alu instid0(VALU_DEP_1)
	v_div_fixup_f32 v10, v10, v0, v9
.LBB27_2:
	s_or_b32 exec_lo, exec_lo, s2
	v_and_b32_e32 v4, 0xffff0000, v4
	s_mov_b32 s2, exec_lo
	s_delay_alu instid0(VALU_DEP_1) | instskip(NEXT) | instid1(VALU_DEP_1)
	v_mul_f32_e32 v9, v0, v4
	v_cmpx_ngt_f32_e32 v9, v1
	s_cbranch_execz .LBB27_4
; %bb.3:
	v_mul_f32_e32 v4, 0x3fb8aa3b, v9
	v_cmp_ngt_f32_e32 vcc_lo, 0xc2ce8ed0, v9
	s_mov_b32 s3, 0x3e9b6dac
	s_delay_alu instid0(VALU_DEP_2) | instskip(SKIP_1) | instid1(VALU_DEP_2)
	v_rndne_f32_e32 v11, v4
	v_fma_f32 v12, 0x3fb8aa3b, v9, -v4
	v_sub_f32_e32 v4, v4, v11
	s_delay_alu instid0(VALU_DEP_2) | instskip(SKIP_1) | instid1(VALU_DEP_2)
	v_fmamk_f32 v12, v9, 0x32a5705f, v12
	v_cvt_i32_f32_e32 v11, v11
	v_add_f32_e32 v4, v4, v12
	s_delay_alu instid0(VALU_DEP_1) | instskip(SKIP_1) | instid1(TRANS32_DEP_1)
	v_exp_f32_e32 v4, v4
	v_nop
	v_ldexp_f32 v4, v4, v11
	s_delay_alu instid0(VALU_DEP_1) | instskip(SKIP_1) | instid1(VALU_DEP_2)
	v_cndmask_b32_e32 v4, 0, v4, vcc_lo
	v_cmp_nlt_f32_e32 vcc_lo, 0x42b17218, v9
	v_cndmask_b32_e32 v11, 0x7f800000, v4, vcc_lo
	s_delay_alu instid0(VALU_DEP_1) | instskip(NEXT) | instid1(VALU_DEP_1)
	v_add_f32_e32 v4, 1.0, v11
	v_cvt_f64_f32_e32 v[12:13], v4
	s_delay_alu instid0(VALU_DEP_1) | instskip(SKIP_1) | instid1(VALU_DEP_1)
	v_frexp_exp_i32_f64_e32 v9, v[12:13]
	v_frexp_mant_f32_e32 v12, v4
	v_cmp_gt_f32_e32 vcc_lo, 0x3f2aaaab, v12
	v_add_f32_e32 v12, -1.0, v4
	s_delay_alu instid0(VALU_DEP_1) | instskip(SKIP_3) | instid1(VALU_DEP_2)
	v_sub_f32_e32 v14, v12, v4
	v_sub_f32_e32 v12, v11, v12
	v_subrev_co_ci_u32_e64 v9, null, 0, v9, vcc_lo
	v_cmp_neq_f32_e32 vcc_lo, 0x7f800000, v11
	v_sub_nc_u32_e32 v13, 0, v9
	s_delay_alu instid0(VALU_DEP_1) | instskip(NEXT) | instid1(VALU_DEP_1)
	v_ldexp_f32 v4, v4, v13
	v_dual_add_f32 v17, -1.0, v4 :: v_dual_add_f32 v14, 1.0, v14
	s_delay_alu instid0(VALU_DEP_1) | instskip(NEXT) | instid1(VALU_DEP_1)
	v_dual_add_f32 v15, 1.0, v4 :: v_dual_add_f32 v12, v12, v14
	v_ldexp_f32 v12, v12, v13
	s_delay_alu instid0(VALU_DEP_2) | instskip(NEXT) | instid1(VALU_DEP_1)
	v_add_f32_e32 v14, -1.0, v15
	v_dual_sub_f32 v13, v4, v14 :: v_dual_add_f32 v14, 1.0, v17
	s_delay_alu instid0(VALU_DEP_1) | instskip(NEXT) | instid1(VALU_DEP_1)
	v_sub_f32_e32 v4, v4, v14
	v_dual_add_f32 v16, v12, v13 :: v_dual_add_f32 v4, v12, v4
	s_delay_alu instid0(VALU_DEP_1) | instskip(NEXT) | instid1(VALU_DEP_2)
	v_add_f32_e32 v13, v17, v4
	v_add_f32_e32 v18, v15, v16
	s_delay_alu instid0(VALU_DEP_1) | instskip(SKIP_1) | instid1(TRANS32_DEP_1)
	v_rcp_f32_e32 v19, v18
	v_nop
	v_dual_mul_f32 v20, v13, v19 :: v_dual_sub_f32 v12, v15, v18
	s_delay_alu instid0(VALU_DEP_1) | instskip(NEXT) | instid1(VALU_DEP_2)
	v_add_f32_e32 v21, v16, v12
	v_mul_f32_e32 v14, v18, v20
	s_delay_alu instid0(VALU_DEP_1) | instskip(NEXT) | instid1(VALU_DEP_1)
	v_dual_fma_f32 v16, v20, v18, -v14 :: v_dual_sub_f32 v22, v17, v13
	v_fmac_f32_e32 v16, v20, v21
	s_delay_alu instid0(VALU_DEP_1) | instskip(NEXT) | instid1(VALU_DEP_1)
	v_dual_add_f32 v4, v4, v22 :: v_dual_add_f32 v12, v14, v16
	v_dual_sub_f32 v15, v13, v12 :: v_dual_mov_b32 v17, v12
	s_delay_alu instid0(VALU_DEP_1) | instskip(NEXT) | instid1(VALU_DEP_1)
	v_pk_add_f32 v[12:13], v[12:13], v[14:15] neg_lo:[0,1] neg_hi:[0,1]
	v_pk_add_f32 v[12:13], v[12:13], v[16:17] neg_lo:[0,1] neg_hi:[0,1]
	s_delay_alu instid0(VALU_DEP_1) | instskip(NEXT) | instid1(VALU_DEP_1)
	v_add_f32_e32 v4, v4, v13
	v_add_f32_e32 v4, v12, v4
	s_delay_alu instid0(VALU_DEP_1) | instskip(NEXT) | instid1(VALU_DEP_1)
	v_add_f32_e32 v13, v15, v4
	v_mul_f32_e32 v22, v19, v13
	s_delay_alu instid0(VALU_DEP_1) | instskip(NEXT) | instid1(VALU_DEP_1)
	v_mul_f32_e32 v16, v18, v22
	v_dual_fma_f32 v14, v22, v18, -v16 :: v_dual_sub_f32 v18, v15, v13
	s_delay_alu instid0(VALU_DEP_1) | instskip(NEXT) | instid1(VALU_DEP_1)
	v_dual_fmac_f32 v14, v22, v21 :: v_dual_add_f32 v4, v4, v18
	v_add_f32_e32 v12, v16, v14
	s_delay_alu instid0(VALU_DEP_1) | instskip(NEXT) | instid1(VALU_DEP_1)
	v_dual_sub_f32 v17, v13, v12 :: v_dual_mov_b32 v15, v12
	v_pk_add_f32 v[12:13], v[12:13], v[16:17] neg_lo:[0,1] neg_hi:[0,1]
	s_delay_alu instid0(VALU_DEP_1) | instskip(SKIP_1) | instid1(VALU_DEP_2)
	v_pk_add_f32 v[12:13], v[12:13], v[14:15] neg_lo:[0,1] neg_hi:[0,1]
	v_cvt_f32_i32_e32 v14, v9
	v_add_f32_e32 v4, v4, v13
	s_delay_alu instid0(VALU_DEP_1) | instskip(NEXT) | instid1(VALU_DEP_1)
	v_add_f32_e32 v4, v12, v4
	v_dual_add_f32 v16, v20, v22 :: v_dual_add_f32 v4, v17, v4
	s_delay_alu instid0(VALU_DEP_1) | instskip(NEXT) | instid1(VALU_DEP_2)
	v_sub_f32_e32 v12, v16, v20
	v_mul_f32_e32 v4, v19, v4
	s_delay_alu instid0(VALU_DEP_2) | instskip(NEXT) | instid1(VALU_DEP_1)
	v_sub_f32_e32 v12, v22, v12
	v_add_f32_e32 v4, v12, v4
	s_delay_alu instid0(VALU_DEP_1) | instskip(NEXT) | instid1(VALU_DEP_1)
	v_add_f32_e32 v17, v16, v4
	v_mul_f32_e32 v13, v17, v17
	s_delay_alu instid0(VALU_DEP_1) | instskip(SKIP_1) | instid1(VALU_DEP_2)
	v_fmaak_f32 v18, s3, v13, 0x3ecc95a3
	v_dual_mov_b32 v12, 0x3f317218 :: v_dual_mul_f32 v15, v17, v13
	v_fmaak_f32 v13, v13, v18, 0x3f2aaada
	s_delay_alu instid0(VALU_DEP_1) | instskip(SKIP_1) | instid1(VALU_DEP_2)
	v_pk_mul_f32 v[12:13], v[14:15], v[12:13]
	v_ldexp_f32 v15, v17, 1
	v_fma_f32 v9, 0x3f317218, v14, -v12
	s_delay_alu instid0(VALU_DEP_1) | instskip(NEXT) | instid1(VALU_DEP_1)
	v_dual_fmamk_f32 v14, v14, 0xb102e308, v9 :: v_dual_sub_f32 v9, v17, v16
	v_pk_add_f32 v[16:17], v[12:13], v[14:15]
	s_delay_alu instid0(VALU_DEP_2) | instskip(NEXT) | instid1(VALU_DEP_2)
	v_sub_f32_e32 v4, v4, v9
	v_dual_mov_b32 v18, v12 :: v_dual_sub_f32 v9, v17, v15
	s_delay_alu instid0(VALU_DEP_2) | instskip(NEXT) | instid1(VALU_DEP_2)
	v_ldexp_f32 v4, v4, 1
	v_dual_mov_b32 v15, v16 :: v_dual_sub_f32 v9, v13, v9
	v_pk_add_f32 v[12:13], v[16:17], v[12:13] neg_lo:[0,1] neg_hi:[0,1]
	s_delay_alu instid0(VALU_DEP_2) | instskip(NEXT) | instid1(VALU_DEP_1)
	v_add_f32_e32 v19, v4, v9
	v_pk_add_f32 v[20:21], v[16:17], v[18:19]
	s_delay_alu instid0(VALU_DEP_1) | instskip(NEXT) | instid1(VALU_DEP_1)
	v_dual_mov_b32 v26, v17 :: v_dual_mov_b32 v13, v21
	v_pk_add_f32 v[22:23], v[14:15], v[12:13]
	v_mov_b32_e32 v22, v21
	v_pk_add_f32 v[12:13], v[14:15], v[12:13] neg_lo:[0,1] neg_hi:[0,1]
	s_delay_alu instid0(VALU_DEP_3) | instskip(NEXT) | instid1(VALU_DEP_1)
	v_dual_mov_b32 v4, v23 :: v_dual_mov_b32 v13, v23
	v_pk_add_f32 v[24:25], v[4:5], v[16:17] neg_lo:[0,1] neg_hi:[0,1]
	v_dual_mov_b32 v17, v16 :: v_dual_mov_b32 v16, v19
	s_delay_alu instid0(VALU_DEP_2) | instskip(NEXT) | instid1(VALU_DEP_1)
	v_dual_mov_b32 v9, v24 :: v_dual_mov_b32 v27, v24
	v_pk_add_f32 v[18:19], v[20:21], v[8:9] neg_lo:[0,1] neg_hi:[0,1]
	s_delay_alu instid0(VALU_DEP_2) | instskip(SKIP_1) | instid1(VALU_DEP_2)
	v_pk_add_f32 v[14:15], v[22:23], v[26:27] neg_lo:[0,1] neg_hi:[0,1]
	v_mov_b32_e32 v18, v12
	v_pk_add_f32 v[14:15], v[16:17], v[14:15] neg_lo:[0,1] neg_hi:[0,1]
	s_delay_alu instid0(VALU_DEP_1) | instskip(NEXT) | instid1(VALU_DEP_1)
	v_pk_add_f32 v[16:17], v[18:19], v[14:15]
	v_mov_b32_e32 v18, v17
	s_delay_alu instid0(VALU_DEP_1) | instskip(NEXT) | instid1(VALU_DEP_1)
	v_pk_add_f32 v[18:19], v[16:17], v[18:19]
	v_pk_add_f32 v[20:21], v[4:5], v[18:19]
	s_delay_alu instid0(VALU_DEP_1) | instskip(NEXT) | instid1(VALU_DEP_1)
	v_mov_b32_e32 v17, v20
	v_pk_add_f32 v[22:23], v[16:17], v[12:13] neg_lo:[0,1] neg_hi:[0,1]
	s_delay_alu instid0(VALU_DEP_1) | instskip(NEXT) | instid1(VALU_DEP_1)
	v_dual_mov_b32 v15, v18 :: v_dual_sub_f32 v4, v16, v22
	v_pk_add_f32 v[14:15], v[14:15], v[22:23] neg_lo:[0,1] neg_hi:[0,1]
	s_delay_alu instid0(VALU_DEP_2) | instskip(NEXT) | instid1(VALU_DEP_1)
	v_sub_f32_e32 v4, v12, v4
	v_add_f32_e32 v4, v14, v4
	s_delay_alu instid0(VALU_DEP_1) | instskip(NEXT) | instid1(VALU_DEP_1)
	v_add_f32_e32 v4, v4, v15
	v_add_f32_e32 v4, v20, v4
	s_delay_alu instid0(VALU_DEP_1) | instskip(SKIP_1) | instid1(VALU_DEP_2)
	v_cndmask_b32_e32 v4, 0x7f800000, v4, vcc_lo
	v_cmp_gt_f32_e64 vcc_lo, 0x33800000, |v11|
	v_cndmask_b32_e32 v4, v4, v11, vcc_lo
	s_delay_alu instid0(VALU_DEP_1) | instskip(NEXT) | instid1(VALU_DEP_1)
	v_div_scale_f32 v9, null, v0, v0, v4
	v_rcp_f32_e32 v11, v9
	v_nop
	s_delay_alu instid0(TRANS32_DEP_1) | instskip(NEXT) | instid1(VALU_DEP_1)
	v_fma_f32 v12, -v9, v11, 1.0
	v_fmac_f32_e32 v11, v12, v11
	v_div_scale_f32 v12, vcc_lo, v4, v0, v4
	s_delay_alu instid0(VALU_DEP_1) | instskip(NEXT) | instid1(VALU_DEP_1)
	v_mul_f32_e32 v13, v12, v11
	v_fma_f32 v14, -v9, v13, v12
	s_delay_alu instid0(VALU_DEP_1) | instskip(NEXT) | instid1(VALU_DEP_1)
	v_fmac_f32_e32 v13, v14, v11
	v_fma_f32 v9, -v9, v13, v12
	s_delay_alu instid0(VALU_DEP_1) | instskip(NEXT) | instid1(VALU_DEP_1)
	v_div_fmas_f32 v9, v9, v11, v13
	v_div_fixup_f32 v4, v9, v0, v4
.LBB27_4:
	s_or_b32 exec_lo, exec_lo, s2
	v_lshlrev_b32_e32 v11, 16, v5
	s_mov_b32 s2, exec_lo
	s_delay_alu instid0(VALU_DEP_1) | instskip(NEXT) | instid1(VALU_DEP_1)
	v_mul_f32_e32 v9, v0, v11
	v_cmpx_ngt_f32_e32 v9, v1
	s_cbranch_execz .LBB27_6
; %bb.5:
	v_mul_f32_e32 v11, 0x3fb8aa3b, v9
	v_cmp_ngt_f32_e32 vcc_lo, 0xc2ce8ed0, v9
	s_mov_b32 s3, 0x3e9b6dac
	s_delay_alu instid0(VALU_DEP_2) | instskip(SKIP_1) | instid1(VALU_DEP_2)
	v_rndne_f32_e32 v12, v11
	v_fma_f32 v13, 0x3fb8aa3b, v9, -v11
	v_sub_f32_e32 v11, v11, v12
	s_delay_alu instid0(VALU_DEP_2) | instskip(SKIP_1) | instid1(VALU_DEP_2)
	v_fmamk_f32 v13, v9, 0x32a5705f, v13
	v_cvt_i32_f32_e32 v12, v12
	v_add_f32_e32 v11, v11, v13
	s_delay_alu instid0(VALU_DEP_1) | instskip(SKIP_1) | instid1(TRANS32_DEP_1)
	v_exp_f32_e32 v11, v11
	v_nop
	v_ldexp_f32 v11, v11, v12
	s_delay_alu instid0(VALU_DEP_1) | instskip(SKIP_1) | instid1(VALU_DEP_2)
	v_cndmask_b32_e32 v11, 0, v11, vcc_lo
	v_cmp_nlt_f32_e32 vcc_lo, 0x42b17218, v9
	v_cndmask_b32_e32 v11, 0x7f800000, v11, vcc_lo
	s_delay_alu instid0(VALU_DEP_1) | instskip(NEXT) | instid1(VALU_DEP_1)
	v_add_f32_e32 v9, 1.0, v11
	v_cvt_f64_f32_e32 v[12:13], v9
	s_delay_alu instid0(VALU_DEP_1) | instskip(SKIP_1) | instid1(VALU_DEP_1)
	v_frexp_exp_i32_f64_e32 v12, v[12:13]
	v_frexp_mant_f32_e32 v13, v9
	v_cmp_gt_f32_e32 vcc_lo, 0x3f2aaaab, v13
	s_delay_alu instid0(VALU_DEP_3) | instskip(NEXT) | instid1(VALU_DEP_1)
	v_subrev_co_ci_u32_e64 v18, null, 0, v12, vcc_lo
	v_dual_add_f32 v12, -1.0, v9 :: v_dual_sub_nc_u32 v13, 0, v18
	s_delay_alu instid0(VALU_DEP_1) | instskip(NEXT) | instid1(VALU_DEP_2)
	v_dual_sub_f32 v14, v12, v9 :: v_dual_sub_f32 v12, v11, v12
	v_ldexp_f32 v9, v9, v13
	s_delay_alu instid0(VALU_DEP_1) | instskip(NEXT) | instid1(VALU_DEP_1)
	v_dual_add_f32 v14, 1.0, v14 :: v_dual_add_f32 v15, 1.0, v9
	v_dual_add_f32 v17, -1.0, v9 :: v_dual_add_f32 v12, v12, v14
	v_cmp_neq_f32_e32 vcc_lo, 0x7f800000, v11
	s_delay_alu instid0(VALU_DEP_3) | instskip(NEXT) | instid1(VALU_DEP_3)
	v_add_f32_e32 v14, -1.0, v15
	v_ldexp_f32 v12, v12, v13
	s_delay_alu instid0(VALU_DEP_2) | instskip(NEXT) | instid1(VALU_DEP_1)
	v_dual_sub_f32 v13, v9, v14 :: v_dual_add_f32 v14, 1.0, v17
	v_dual_add_f32 v16, v12, v13 :: v_dual_sub_f32 v9, v9, v14
	s_delay_alu instid0(VALU_DEP_1) | instskip(NEXT) | instid1(VALU_DEP_1)
	v_dual_add_f32 v19, v15, v16 :: v_dual_add_f32 v9, v12, v9
	v_rcp_f32_e32 v20, v19
	s_delay_alu instid0(VALU_DEP_1) | instskip(NEXT) | instid1(VALU_DEP_1)
	v_dual_add_f32 v13, v17, v9 :: v_dual_sub_f32 v12, v15, v19
	v_sub_f32_e32 v23, v17, v13
	s_delay_alu instid0(TRANS32_DEP_1) | instskip(NEXT) | instid1(VALU_DEP_2)
	v_mul_f32_e32 v21, v13, v20
	v_dual_add_f32 v22, v16, v12 :: v_dual_add_f32 v9, v9, v23
	s_delay_alu instid0(VALU_DEP_2) | instskip(NEXT) | instid1(VALU_DEP_1)
	v_mul_f32_e32 v14, v19, v21
	v_fma_f32 v16, v21, v19, -v14
	s_delay_alu instid0(VALU_DEP_1) | instskip(NEXT) | instid1(VALU_DEP_1)
	v_fmac_f32_e32 v16, v21, v22
	v_add_f32_e32 v12, v14, v16
	s_delay_alu instid0(VALU_DEP_1) | instskip(NEXT) | instid1(VALU_DEP_1)
	v_dual_sub_f32 v15, v13, v12 :: v_dual_mov_b32 v17, v12
	v_pk_add_f32 v[12:13], v[12:13], v[14:15] neg_lo:[0,1] neg_hi:[0,1]
	s_delay_alu instid0(VALU_DEP_1) | instskip(NEXT) | instid1(VALU_DEP_1)
	v_pk_add_f32 v[12:13], v[12:13], v[16:17] neg_lo:[0,1] neg_hi:[0,1]
	v_add_f32_e32 v9, v9, v13
	s_delay_alu instid0(VALU_DEP_1) | instskip(NEXT) | instid1(VALU_DEP_1)
	v_add_f32_e32 v9, v12, v9
	v_add_f32_e32 v13, v15, v9
	s_delay_alu instid0(VALU_DEP_1) | instskip(NEXT) | instid1(VALU_DEP_1)
	v_mul_f32_e32 v23, v20, v13
	v_mul_f32_e32 v16, v19, v23
	s_delay_alu instid0(VALU_DEP_1) | instskip(SKIP_1) | instid1(VALU_DEP_1)
	v_fma_f32 v14, v23, v19, -v16
	v_sub_f32_e32 v19, v15, v13
	v_dual_fmac_f32 v14, v23, v22 :: v_dual_add_f32 v9, v9, v19
	s_delay_alu instid0(VALU_DEP_1) | instskip(NEXT) | instid1(VALU_DEP_1)
	v_add_f32_e32 v12, v16, v14
	v_dual_sub_f32 v17, v13, v12 :: v_dual_mov_b32 v15, v12
	s_delay_alu instid0(VALU_DEP_1) | instskip(NEXT) | instid1(VALU_DEP_1)
	v_pk_add_f32 v[12:13], v[12:13], v[16:17] neg_lo:[0,1] neg_hi:[0,1]
	v_pk_add_f32 v[12:13], v[12:13], v[14:15] neg_lo:[0,1] neg_hi:[0,1]
	v_cvt_f32_i32_e32 v14, v18
	s_delay_alu instid0(VALU_DEP_2) | instskip(NEXT) | instid1(VALU_DEP_1)
	v_add_f32_e32 v9, v9, v13
	v_dual_add_f32 v16, v21, v23 :: v_dual_add_f32 v9, v12, v9
	s_delay_alu instid0(VALU_DEP_1) | instskip(NEXT) | instid1(VALU_DEP_1)
	v_sub_f32_e32 v12, v16, v21
	v_dual_add_f32 v9, v17, v9 :: v_dual_sub_f32 v12, v23, v12
	s_delay_alu instid0(VALU_DEP_1) | instskip(NEXT) | instid1(VALU_DEP_1)
	v_mul_f32_e32 v9, v20, v9
	v_dual_add_f32 v9, v12, v9 :: v_dual_mov_b32 v12, 0x3f317218
	s_delay_alu instid0(VALU_DEP_1) | instskip(NEXT) | instid1(VALU_DEP_1)
	v_add_f32_e32 v17, v16, v9
	v_mul_f32_e32 v13, v17, v17
	s_delay_alu instid0(VALU_DEP_1) | instskip(SKIP_1) | instid1(VALU_DEP_2)
	v_fmaak_f32 v19, s3, v13, 0x3ecc95a3
	v_mul_f32_e32 v15, v17, v13
	v_fmaak_f32 v13, v13, v19, 0x3f2aaada
	s_delay_alu instid0(VALU_DEP_1) | instskip(NEXT) | instid1(VALU_DEP_1)
	v_pk_mul_f32 v[12:13], v[14:15], v[12:13]
	v_fma_f32 v18, 0x3f317218, v14, -v12
	s_delay_alu instid0(VALU_DEP_1) | instskip(SKIP_1) | instid1(VALU_DEP_1)
	v_fmamk_f32 v14, v14, 0xb102e308, v18
	v_sub_f32_e32 v18, v17, v16
	v_sub_f32_e32 v9, v9, v18
	v_ldexp_f32 v15, v17, 1
	v_mov_b32_e32 v18, v12
	s_delay_alu instid0(VALU_DEP_3) | instskip(NEXT) | instid1(VALU_DEP_3)
	v_ldexp_f32 v9, v9, 1
	v_pk_add_f32 v[16:17], v[12:13], v[14:15]
	s_delay_alu instid0(VALU_DEP_1) | instskip(NEXT) | instid1(VALU_DEP_1)
	v_dual_sub_f32 v15, v17, v15 :: v_dual_mov_b32 v26, v17
	v_sub_f32_e32 v15, v13, v15
	s_delay_alu instid0(VALU_DEP_3) | instskip(NEXT) | instid1(VALU_DEP_2)
	v_pk_add_f32 v[12:13], v[16:17], v[12:13] neg_lo:[0,1] neg_hi:[0,1]
	v_dual_add_f32 v19, v9, v15 :: v_dual_mov_b32 v15, v16
	s_delay_alu instid0(VALU_DEP_1) | instskip(NEXT) | instid1(VALU_DEP_1)
	v_pk_add_f32 v[20:21], v[16:17], v[18:19]
	v_mov_b32_e32 v13, v21
	s_delay_alu instid0(VALU_DEP_1) | instskip(SKIP_2) | instid1(VALU_DEP_3)
	v_pk_add_f32 v[22:23], v[14:15], v[12:13]
	v_mov_b32_e32 v22, v21
	v_pk_add_f32 v[12:13], v[14:15], v[12:13] neg_lo:[0,1] neg_hi:[0,1]
	v_dual_mov_b32 v18, v23 :: v_dual_mov_b32 v13, v23
	s_delay_alu instid0(VALU_DEP_1) | instskip(SKIP_1) | instid1(VALU_DEP_2)
	v_pk_add_f32 v[24:25], v[18:19], v[16:17] neg_lo:[0,1] neg_hi:[0,1]
	v_dual_mov_b32 v17, v16 :: v_dual_mov_b32 v16, v19
	v_dual_mov_b32 v9, v24 :: v_dual_mov_b32 v27, v24
	s_delay_alu instid0(VALU_DEP_1) | instskip(NEXT) | instid1(VALU_DEP_2)
	v_pk_add_f32 v[20:21], v[20:21], v[8:9] neg_lo:[0,1] neg_hi:[0,1]
	v_pk_add_f32 v[14:15], v[22:23], v[26:27] neg_lo:[0,1] neg_hi:[0,1]
	v_mov_b32_e32 v20, v12
	s_delay_alu instid0(VALU_DEP_2) | instskip(NEXT) | instid1(VALU_DEP_1)
	v_pk_add_f32 v[14:15], v[16:17], v[14:15] neg_lo:[0,1] neg_hi:[0,1]
	v_pk_add_f32 v[16:17], v[20:21], v[14:15]
	s_delay_alu instid0(VALU_DEP_1) | instskip(NEXT) | instid1(VALU_DEP_1)
	v_mov_b32_e32 v20, v17
	v_pk_add_f32 v[20:21], v[16:17], v[20:21]
	s_delay_alu instid0(VALU_DEP_1) | instskip(NEXT) | instid1(VALU_DEP_1)
	v_pk_add_f32 v[18:19], v[18:19], v[20:21]
	v_mov_b32_e32 v17, v18
	s_delay_alu instid0(VALU_DEP_1) | instskip(NEXT) | instid1(VALU_DEP_1)
	v_pk_add_f32 v[22:23], v[16:17], v[12:13] neg_lo:[0,1] neg_hi:[0,1]
	v_sub_f32_e32 v9, v16, v22
	s_delay_alu instid0(VALU_DEP_1) | instskip(SKIP_1) | instid1(VALU_DEP_1)
	v_sub_f32_e32 v9, v12, v9
	v_mov_b32_e32 v15, v20
	v_pk_add_f32 v[14:15], v[14:15], v[22:23] neg_lo:[0,1] neg_hi:[0,1]
	s_delay_alu instid0(VALU_DEP_1) | instskip(NEXT) | instid1(VALU_DEP_1)
	v_add_f32_e32 v9, v14, v9
	v_add_f32_e32 v9, v9, v15
	s_delay_alu instid0(VALU_DEP_1) | instskip(NEXT) | instid1(VALU_DEP_1)
	v_add_f32_e32 v9, v18, v9
	v_cndmask_b32_e32 v9, 0x7f800000, v9, vcc_lo
	v_cmp_gt_f32_e64 vcc_lo, 0x33800000, |v11|
	s_delay_alu instid0(VALU_DEP_2) | instskip(NEXT) | instid1(VALU_DEP_1)
	v_cndmask_b32_e32 v9, v9, v11, vcc_lo
	v_div_scale_f32 v11, null, v0, v0, v9
	s_delay_alu instid0(VALU_DEP_1) | instskip(SKIP_1) | instid1(TRANS32_DEP_1)
	v_rcp_f32_e32 v12, v11
	v_nop
	v_fma_f32 v13, -v11, v12, 1.0
	s_delay_alu instid0(VALU_DEP_1) | instskip(SKIP_1) | instid1(VALU_DEP_1)
	v_fmac_f32_e32 v12, v13, v12
	v_div_scale_f32 v13, vcc_lo, v9, v0, v9
	v_mul_f32_e32 v14, v13, v12
	s_delay_alu instid0(VALU_DEP_1) | instskip(NEXT) | instid1(VALU_DEP_1)
	v_fma_f32 v15, -v11, v14, v13
	v_fmac_f32_e32 v14, v15, v12
	s_delay_alu instid0(VALU_DEP_1) | instskip(NEXT) | instid1(VALU_DEP_1)
	v_fma_f32 v11, -v11, v14, v13
	v_div_fmas_f32 v11, v11, v12, v14
	s_delay_alu instid0(VALU_DEP_1)
	v_div_fixup_f32 v11, v11, v0, v9
.LBB27_6:
	s_or_b32 exec_lo, exec_lo, s2
	v_and_b32_e32 v5, 0xffff0000, v5
	s_mov_b32 s2, exec_lo
	s_delay_alu instid0(VALU_DEP_1) | instskip(NEXT) | instid1(VALU_DEP_1)
	v_mul_f32_e32 v9, v0, v5
	v_cmpx_ngt_f32_e32 v9, v1
	s_cbranch_execz .LBB27_8
; %bb.7:
	v_mul_f32_e32 v5, 0x3fb8aa3b, v9
	v_cmp_ngt_f32_e32 vcc_lo, 0xc2ce8ed0, v9
	s_mov_b32 s3, 0x3e9b6dac
	s_delay_alu instid0(VALU_DEP_2) | instskip(SKIP_1) | instid1(VALU_DEP_2)
	v_rndne_f32_e32 v12, v5
	v_fma_f32 v13, 0x3fb8aa3b, v9, -v5
	v_sub_f32_e32 v5, v5, v12
	s_delay_alu instid0(VALU_DEP_2) | instskip(SKIP_1) | instid1(VALU_DEP_2)
	v_fmamk_f32 v13, v9, 0x32a5705f, v13
	v_cvt_i32_f32_e32 v12, v12
	v_add_f32_e32 v5, v5, v13
	s_delay_alu instid0(VALU_DEP_1) | instskip(SKIP_1) | instid1(TRANS32_DEP_1)
	v_exp_f32_e32 v5, v5
	v_nop
	v_ldexp_f32 v5, v5, v12
	s_delay_alu instid0(VALU_DEP_1) | instskip(SKIP_1) | instid1(VALU_DEP_2)
	v_cndmask_b32_e32 v5, 0, v5, vcc_lo
	v_cmp_nlt_f32_e32 vcc_lo, 0x42b17218, v9
	v_cndmask_b32_e32 v9, 0x7f800000, v5, vcc_lo
	s_delay_alu instid0(VALU_DEP_1) | instskip(NEXT) | instid1(VALU_DEP_1)
	v_add_f32_e32 v5, 1.0, v9
	v_cvt_f64_f32_e32 v[12:13], v5
	s_delay_alu instid0(VALU_DEP_1) | instskip(SKIP_1) | instid1(VALU_DEP_1)
	v_frexp_exp_i32_f64_e32 v12, v[12:13]
	v_frexp_mant_f32_e32 v13, v5
	v_cmp_gt_f32_e32 vcc_lo, 0x3f2aaaab, v13
	s_delay_alu instid0(VALU_DEP_3) | instskip(NEXT) | instid1(VALU_DEP_1)
	v_subrev_co_ci_u32_e64 v18, null, 0, v12, vcc_lo
	v_dual_add_f32 v12, -1.0, v5 :: v_dual_sub_nc_u32 v13, 0, v18
	s_delay_alu instid0(VALU_DEP_1) | instskip(SKIP_1) | instid1(VALU_DEP_3)
	v_dual_sub_f32 v14, v12, v5 :: v_dual_sub_f32 v12, v9, v12
	v_cmp_neq_f32_e32 vcc_lo, 0x7f800000, v9
	v_ldexp_f32 v5, v5, v13
	s_delay_alu instid0(VALU_DEP_1) | instskip(NEXT) | instid1(VALU_DEP_1)
	v_dual_add_f32 v14, 1.0, v14 :: v_dual_add_f32 v15, 1.0, v5
	v_dual_add_f32 v17, -1.0, v5 :: v_dual_add_f32 v12, v12, v14
	s_delay_alu instid0(VALU_DEP_2) | instskip(NEXT) | instid1(VALU_DEP_2)
	v_add_f32_e32 v14, -1.0, v15
	v_ldexp_f32 v12, v12, v13
	s_delay_alu instid0(VALU_DEP_2) | instskip(NEXT) | instid1(VALU_DEP_1)
	v_dual_sub_f32 v13, v5, v14 :: v_dual_add_f32 v14, 1.0, v17
	v_dual_add_f32 v16, v12, v13 :: v_dual_sub_f32 v5, v5, v14
	s_delay_alu instid0(VALU_DEP_1) | instskip(NEXT) | instid1(VALU_DEP_1)
	v_dual_add_f32 v19, v15, v16 :: v_dual_add_f32 v5, v12, v5
	v_rcp_f32_e32 v20, v19
	s_delay_alu instid0(VALU_DEP_1) | instskip(NEXT) | instid1(VALU_DEP_1)
	v_dual_add_f32 v13, v17, v5 :: v_dual_sub_f32 v12, v15, v19
	v_sub_f32_e32 v23, v17, v13
	s_delay_alu instid0(TRANS32_DEP_1) | instskip(NEXT) | instid1(VALU_DEP_2)
	v_mul_f32_e32 v21, v13, v20
	v_dual_add_f32 v22, v16, v12 :: v_dual_add_f32 v5, v5, v23
	s_delay_alu instid0(VALU_DEP_2) | instskip(NEXT) | instid1(VALU_DEP_1)
	v_mul_f32_e32 v14, v19, v21
	v_fma_f32 v16, v21, v19, -v14
	s_delay_alu instid0(VALU_DEP_1) | instskip(NEXT) | instid1(VALU_DEP_1)
	v_fmac_f32_e32 v16, v21, v22
	v_add_f32_e32 v12, v14, v16
	s_delay_alu instid0(VALU_DEP_1) | instskip(NEXT) | instid1(VALU_DEP_1)
	v_dual_sub_f32 v15, v13, v12 :: v_dual_mov_b32 v17, v12
	v_pk_add_f32 v[12:13], v[12:13], v[14:15] neg_lo:[0,1] neg_hi:[0,1]
	s_delay_alu instid0(VALU_DEP_1) | instskip(NEXT) | instid1(VALU_DEP_1)
	v_pk_add_f32 v[12:13], v[12:13], v[16:17] neg_lo:[0,1] neg_hi:[0,1]
	v_add_f32_e32 v5, v5, v13
	s_delay_alu instid0(VALU_DEP_1) | instskip(NEXT) | instid1(VALU_DEP_1)
	v_add_f32_e32 v5, v12, v5
	v_add_f32_e32 v13, v15, v5
	s_delay_alu instid0(VALU_DEP_1) | instskip(NEXT) | instid1(VALU_DEP_1)
	v_mul_f32_e32 v23, v20, v13
	v_mul_f32_e32 v16, v19, v23
	s_delay_alu instid0(VALU_DEP_1) | instskip(SKIP_1) | instid1(VALU_DEP_1)
	v_fma_f32 v14, v23, v19, -v16
	v_sub_f32_e32 v19, v15, v13
	v_dual_fmac_f32 v14, v23, v22 :: v_dual_add_f32 v5, v5, v19
	s_delay_alu instid0(VALU_DEP_1) | instskip(NEXT) | instid1(VALU_DEP_1)
	v_add_f32_e32 v12, v16, v14
	v_dual_sub_f32 v17, v13, v12 :: v_dual_mov_b32 v15, v12
	s_delay_alu instid0(VALU_DEP_1) | instskip(NEXT) | instid1(VALU_DEP_1)
	v_pk_add_f32 v[12:13], v[12:13], v[16:17] neg_lo:[0,1] neg_hi:[0,1]
	v_pk_add_f32 v[12:13], v[12:13], v[14:15] neg_lo:[0,1] neg_hi:[0,1]
	v_cvt_f32_i32_e32 v14, v18
	s_delay_alu instid0(VALU_DEP_2) | instskip(NEXT) | instid1(VALU_DEP_1)
	v_add_f32_e32 v5, v5, v13
	v_dual_add_f32 v16, v21, v23 :: v_dual_add_f32 v5, v12, v5
	s_delay_alu instid0(VALU_DEP_1) | instskip(NEXT) | instid1(VALU_DEP_1)
	v_sub_f32_e32 v12, v16, v21
	v_dual_add_f32 v5, v17, v5 :: v_dual_sub_f32 v12, v23, v12
	s_delay_alu instid0(VALU_DEP_1) | instskip(NEXT) | instid1(VALU_DEP_1)
	v_mul_f32_e32 v5, v20, v5
	v_dual_add_f32 v5, v12, v5 :: v_dual_mov_b32 v12, 0x3f317218
	s_delay_alu instid0(VALU_DEP_1) | instskip(NEXT) | instid1(VALU_DEP_1)
	v_add_f32_e32 v17, v16, v5
	v_mul_f32_e32 v13, v17, v17
	s_delay_alu instid0(VALU_DEP_1) | instskip(SKIP_1) | instid1(VALU_DEP_2)
	v_fmaak_f32 v19, s3, v13, 0x3ecc95a3
	v_mul_f32_e32 v15, v17, v13
	v_fmaak_f32 v13, v13, v19, 0x3f2aaada
	s_delay_alu instid0(VALU_DEP_1) | instskip(NEXT) | instid1(VALU_DEP_1)
	v_pk_mul_f32 v[12:13], v[14:15], v[12:13]
	v_fma_f32 v18, 0x3f317218, v14, -v12
	s_delay_alu instid0(VALU_DEP_1) | instskip(SKIP_1) | instid1(VALU_DEP_1)
	v_fmamk_f32 v14, v14, 0xb102e308, v18
	v_sub_f32_e32 v18, v17, v16
	v_sub_f32_e32 v5, v5, v18
	v_ldexp_f32 v15, v17, 1
	v_mov_b32_e32 v18, v12
	s_delay_alu instid0(VALU_DEP_3) | instskip(NEXT) | instid1(VALU_DEP_3)
	v_ldexp_f32 v5, v5, 1
	v_pk_add_f32 v[16:17], v[12:13], v[14:15]
	s_delay_alu instid0(VALU_DEP_1) | instskip(NEXT) | instid1(VALU_DEP_1)
	v_dual_sub_f32 v15, v17, v15 :: v_dual_mov_b32 v26, v17
	v_sub_f32_e32 v15, v13, v15
	s_delay_alu instid0(VALU_DEP_3) | instskip(NEXT) | instid1(VALU_DEP_2)
	v_pk_add_f32 v[12:13], v[16:17], v[12:13] neg_lo:[0,1] neg_hi:[0,1]
	v_dual_add_f32 v19, v5, v15 :: v_dual_mov_b32 v15, v16
	s_delay_alu instid0(VALU_DEP_1) | instskip(NEXT) | instid1(VALU_DEP_1)
	v_pk_add_f32 v[20:21], v[16:17], v[18:19]
	v_mov_b32_e32 v13, v21
	s_delay_alu instid0(VALU_DEP_1) | instskip(SKIP_2) | instid1(VALU_DEP_3)
	v_pk_add_f32 v[22:23], v[14:15], v[12:13]
	v_mov_b32_e32 v22, v21
	v_pk_add_f32 v[12:13], v[14:15], v[12:13] neg_lo:[0,1] neg_hi:[0,1]
	v_dual_mov_b32 v18, v23 :: v_dual_mov_b32 v13, v23
	s_delay_alu instid0(VALU_DEP_1) | instskip(SKIP_1) | instid1(VALU_DEP_2)
	v_pk_add_f32 v[24:25], v[18:19], v[16:17] neg_lo:[0,1] neg_hi:[0,1]
	v_dual_mov_b32 v17, v16 :: v_dual_mov_b32 v16, v19
	v_dual_mov_b32 v5, v24 :: v_dual_mov_b32 v27, v24
	s_delay_alu instid0(VALU_DEP_1) | instskip(NEXT) | instid1(VALU_DEP_2)
	v_pk_add_f32 v[20:21], v[20:21], v[4:5] neg_lo:[0,1] neg_hi:[0,1]
	v_pk_add_f32 v[14:15], v[22:23], v[26:27] neg_lo:[0,1] neg_hi:[0,1]
	v_mov_b32_e32 v20, v12
	s_delay_alu instid0(VALU_DEP_2) | instskip(NEXT) | instid1(VALU_DEP_1)
	v_pk_add_f32 v[14:15], v[16:17], v[14:15] neg_lo:[0,1] neg_hi:[0,1]
	v_pk_add_f32 v[16:17], v[20:21], v[14:15]
	s_delay_alu instid0(VALU_DEP_1) | instskip(NEXT) | instid1(VALU_DEP_1)
	v_mov_b32_e32 v20, v17
	v_pk_add_f32 v[20:21], v[16:17], v[20:21]
	s_delay_alu instid0(VALU_DEP_1) | instskip(NEXT) | instid1(VALU_DEP_1)
	v_pk_add_f32 v[18:19], v[18:19], v[20:21]
	v_mov_b32_e32 v17, v18
	s_delay_alu instid0(VALU_DEP_1) | instskip(NEXT) | instid1(VALU_DEP_1)
	v_pk_add_f32 v[22:23], v[16:17], v[12:13] neg_lo:[0,1] neg_hi:[0,1]
	v_sub_f32_e32 v5, v16, v22
	s_delay_alu instid0(VALU_DEP_1) | instskip(SKIP_1) | instid1(VALU_DEP_1)
	v_sub_f32_e32 v5, v12, v5
	v_mov_b32_e32 v15, v20
	v_pk_add_f32 v[14:15], v[14:15], v[22:23] neg_lo:[0,1] neg_hi:[0,1]
	s_delay_alu instid0(VALU_DEP_1) | instskip(NEXT) | instid1(VALU_DEP_1)
	v_add_f32_e32 v5, v14, v5
	v_add_f32_e32 v5, v5, v15
	s_delay_alu instid0(VALU_DEP_1) | instskip(NEXT) | instid1(VALU_DEP_1)
	v_add_f32_e32 v5, v18, v5
	v_cndmask_b32_e32 v5, 0x7f800000, v5, vcc_lo
	v_cmp_gt_f32_e64 vcc_lo, 0x33800000, |v9|
	s_delay_alu instid0(VALU_DEP_2) | instskip(NEXT) | instid1(VALU_DEP_1)
	v_cndmask_b32_e32 v5, v5, v9, vcc_lo
	v_div_scale_f32 v9, null, v0, v0, v5
	s_delay_alu instid0(VALU_DEP_1) | instskip(SKIP_1) | instid1(TRANS32_DEP_1)
	v_rcp_f32_e32 v12, v9
	v_nop
	v_fma_f32 v13, -v9, v12, 1.0
	s_delay_alu instid0(VALU_DEP_1) | instskip(SKIP_1) | instid1(VALU_DEP_1)
	v_fmac_f32_e32 v12, v13, v12
	v_div_scale_f32 v13, vcc_lo, v5, v0, v5
	v_mul_f32_e32 v14, v13, v12
	s_delay_alu instid0(VALU_DEP_1) | instskip(NEXT) | instid1(VALU_DEP_1)
	v_fma_f32 v15, -v9, v14, v13
	v_fmac_f32_e32 v14, v15, v12
	s_delay_alu instid0(VALU_DEP_1) | instskip(NEXT) | instid1(VALU_DEP_1)
	v_fma_f32 v9, -v9, v14, v13
	v_div_fmas_f32 v9, v9, v12, v14
	s_delay_alu instid0(VALU_DEP_1)
	v_div_fixup_f32 v5, v9, v0, v5
.LBB27_8:
	s_or_b32 exec_lo, exec_lo, s2
	v_lshlrev_b32_e32 v12, 16, v6
	s_mov_b32 s2, exec_lo
	s_delay_alu instid0(VALU_DEP_1) | instskip(NEXT) | instid1(VALU_DEP_1)
	v_mul_f32_e32 v9, v0, v12
	v_cmpx_ngt_f32_e32 v9, v1
	s_cbranch_execz .LBB27_10
; %bb.9:
	v_mul_f32_e32 v12, 0x3fb8aa3b, v9
	v_cmp_ngt_f32_e32 vcc_lo, 0xc2ce8ed0, v9
	s_mov_b32 s3, 0x3e9b6dac
	s_delay_alu instid0(VALU_DEP_2) | instskip(SKIP_1) | instid1(VALU_DEP_2)
	v_rndne_f32_e32 v13, v12
	v_fma_f32 v14, 0x3fb8aa3b, v9, -v12
	v_sub_f32_e32 v12, v12, v13
	s_delay_alu instid0(VALU_DEP_2) | instskip(SKIP_1) | instid1(VALU_DEP_2)
	v_fmamk_f32 v14, v9, 0x32a5705f, v14
	v_cvt_i32_f32_e32 v13, v13
	v_add_f32_e32 v12, v12, v14
	s_delay_alu instid0(VALU_DEP_1) | instskip(SKIP_1) | instid1(TRANS32_DEP_1)
	v_exp_f32_e32 v12, v12
	v_nop
	v_ldexp_f32 v12, v12, v13
	s_delay_alu instid0(VALU_DEP_1) | instskip(SKIP_1) | instid1(VALU_DEP_2)
	v_cndmask_b32_e32 v12, 0, v12, vcc_lo
	v_cmp_nlt_f32_e32 vcc_lo, 0x42b17218, v9
	v_cndmask_b32_e32 v28, 0x7f800000, v12, vcc_lo
	s_delay_alu instid0(VALU_DEP_1) | instskip(NEXT) | instid1(VALU_DEP_1)
	v_add_f32_e32 v9, 1.0, v28
	v_cvt_f64_f32_e32 v[12:13], v9
	s_delay_alu instid0(VALU_DEP_1) | instskip(SKIP_1) | instid1(VALU_DEP_1)
	v_frexp_exp_i32_f64_e32 v12, v[12:13]
	v_frexp_mant_f32_e32 v13, v9
	v_cmp_gt_f32_e32 vcc_lo, 0x3f2aaaab, v13
	s_delay_alu instid0(VALU_DEP_3) | instskip(NEXT) | instid1(VALU_DEP_1)
	v_subrev_co_ci_u32_e64 v18, null, 0, v12, vcc_lo
	v_dual_add_f32 v12, -1.0, v9 :: v_dual_sub_nc_u32 v13, 0, v18
	s_delay_alu instid0(VALU_DEP_1) | instskip(NEXT) | instid1(VALU_DEP_2)
	v_sub_f32_e32 v14, v12, v9
	v_ldexp_f32 v9, v9, v13
	s_delay_alu instid0(VALU_DEP_1) | instskip(SKIP_2) | instid1(VALU_DEP_2)
	v_dual_add_f32 v14, 1.0, v14 :: v_dual_add_f32 v15, 1.0, v9
	v_dual_add_f32 v17, -1.0, v9 :: v_dual_sub_f32 v12, v28, v12
	v_cmp_neq_f32_e32 vcc_lo, 0x7f800000, v28
	v_dual_add_f32 v12, v12, v14 :: v_dual_add_f32 v14, -1.0, v15
	s_delay_alu instid0(VALU_DEP_1) | instskip(NEXT) | instid1(VALU_DEP_2)
	v_ldexp_f32 v12, v12, v13
	v_dual_sub_f32 v13, v9, v14 :: v_dual_add_f32 v14, 1.0, v17
	s_delay_alu instid0(VALU_DEP_1) | instskip(NEXT) | instid1(VALU_DEP_1)
	v_dual_add_f32 v16, v12, v13 :: v_dual_sub_f32 v9, v9, v14
	v_dual_add_f32 v19, v15, v16 :: v_dual_add_f32 v9, v12, v9
	s_delay_alu instid0(VALU_DEP_1) | instskip(SKIP_1) | instid1(VALU_DEP_2)
	v_sub_f32_e32 v12, v15, v19
	v_rcp_f32_e32 v20, v19
	v_add_f32_e32 v13, v17, v9
	s_delay_alu instid0(TRANS32_DEP_1) | instid1(VALU_DEP_1)
	v_mul_f32_e32 v21, v13, v20
	s_delay_alu instid0(VALU_DEP_3) | instskip(NEXT) | instid1(VALU_DEP_1)
	v_dual_add_f32 v22, v16, v12 :: v_dual_sub_f32 v23, v17, v13
	v_dual_mul_f32 v14, v19, v21 :: v_dual_add_f32 v9, v9, v23
	s_delay_alu instid0(VALU_DEP_1) | instskip(NEXT) | instid1(VALU_DEP_1)
	v_fma_f32 v16, v21, v19, -v14
	v_fmac_f32_e32 v16, v21, v22
	s_delay_alu instid0(VALU_DEP_1) | instskip(NEXT) | instid1(VALU_DEP_1)
	v_add_f32_e32 v12, v14, v16
	v_dual_sub_f32 v15, v13, v12 :: v_dual_mov_b32 v17, v12
	s_delay_alu instid0(VALU_DEP_1) | instskip(NEXT) | instid1(VALU_DEP_1)
	v_pk_add_f32 v[12:13], v[12:13], v[14:15] neg_lo:[0,1] neg_hi:[0,1]
	v_pk_add_f32 v[12:13], v[12:13], v[16:17] neg_lo:[0,1] neg_hi:[0,1]
	s_delay_alu instid0(VALU_DEP_1) | instskip(NEXT) | instid1(VALU_DEP_1)
	v_add_f32_e32 v9, v9, v13
	v_add_f32_e32 v9, v12, v9
	s_delay_alu instid0(VALU_DEP_1) | instskip(NEXT) | instid1(VALU_DEP_1)
	v_add_f32_e32 v13, v15, v9
	v_mul_f32_e32 v23, v20, v13
	s_delay_alu instid0(VALU_DEP_1) | instskip(NEXT) | instid1(VALU_DEP_1)
	v_mul_f32_e32 v16, v19, v23
	v_fma_f32 v14, v23, v19, -v16
	s_delay_alu instid0(VALU_DEP_1) | instskip(NEXT) | instid1(VALU_DEP_1)
	v_fmac_f32_e32 v14, v23, v22
	v_dual_add_f32 v12, v16, v14 :: v_dual_sub_f32 v19, v15, v13
	s_delay_alu instid0(VALU_DEP_1) | instskip(NEXT) | instid1(VALU_DEP_1)
	v_dual_sub_f32 v17, v13, v12 :: v_dual_mov_b32 v15, v12
	v_pk_add_f32 v[12:13], v[12:13], v[16:17] neg_lo:[0,1] neg_hi:[0,1]
	s_delay_alu instid0(VALU_DEP_1) | instskip(SKIP_3) | instid1(VALU_DEP_2)
	v_pk_add_f32 v[12:13], v[12:13], v[14:15] neg_lo:[0,1] neg_hi:[0,1]
	v_add_f32_e32 v16, v21, v23
	v_add_f32_e32 v9, v9, v19
	v_cvt_f32_i32_e32 v14, v18
	v_add_f32_e32 v9, v9, v13
	s_delay_alu instid0(VALU_DEP_1) | instskip(SKIP_1) | instid1(VALU_DEP_1)
	v_add_f32_e32 v9, v12, v9
	v_sub_f32_e32 v12, v16, v21
	v_dual_add_f32 v9, v17, v9 :: v_dual_sub_f32 v12, v23, v12
	s_delay_alu instid0(VALU_DEP_1) | instskip(NEXT) | instid1(VALU_DEP_1)
	v_mul_f32_e32 v9, v20, v9
	v_dual_add_f32 v9, v12, v9 :: v_dual_mov_b32 v12, 0x3f317218
	s_delay_alu instid0(VALU_DEP_1) | instskip(NEXT) | instid1(VALU_DEP_1)
	v_add_f32_e32 v17, v16, v9
	v_mul_f32_e32 v13, v17, v17
	s_delay_alu instid0(VALU_DEP_1) | instskip(SKIP_1) | instid1(VALU_DEP_2)
	v_fmaak_f32 v19, s3, v13, 0x3ecc95a3
	v_mul_f32_e32 v15, v17, v13
	v_fmaak_f32 v13, v13, v19, 0x3f2aaada
	s_delay_alu instid0(VALU_DEP_1) | instskip(NEXT) | instid1(VALU_DEP_1)
	v_pk_mul_f32 v[12:13], v[14:15], v[12:13]
	v_fma_f32 v18, 0x3f317218, v14, -v12
	s_delay_alu instid0(VALU_DEP_1) | instskip(SKIP_1) | instid1(VALU_DEP_1)
	v_fmamk_f32 v14, v14, 0xb102e308, v18
	v_sub_f32_e32 v18, v17, v16
	v_sub_f32_e32 v9, v9, v18
	v_ldexp_f32 v15, v17, 1
	v_mov_b32_e32 v18, v12
	s_delay_alu instid0(VALU_DEP_3) | instskip(NEXT) | instid1(VALU_DEP_3)
	v_ldexp_f32 v9, v9, 1
	v_pk_add_f32 v[16:17], v[12:13], v[14:15]
	s_delay_alu instid0(VALU_DEP_1) | instskip(NEXT) | instid1(VALU_DEP_1)
	v_dual_sub_f32 v15, v17, v15 :: v_dual_mov_b32 v26, v17
	v_sub_f32_e32 v15, v13, v15
	s_delay_alu instid0(VALU_DEP_3) | instskip(NEXT) | instid1(VALU_DEP_2)
	v_pk_add_f32 v[12:13], v[16:17], v[12:13] neg_lo:[0,1] neg_hi:[0,1]
	v_dual_add_f32 v19, v9, v15 :: v_dual_mov_b32 v15, v16
	s_delay_alu instid0(VALU_DEP_1) | instskip(NEXT) | instid1(VALU_DEP_1)
	v_pk_add_f32 v[20:21], v[16:17], v[18:19]
	v_mov_b32_e32 v13, v21
	s_delay_alu instid0(VALU_DEP_1) | instskip(SKIP_2) | instid1(VALU_DEP_3)
	v_pk_add_f32 v[22:23], v[14:15], v[12:13]
	v_mov_b32_e32 v22, v21
	v_pk_add_f32 v[12:13], v[14:15], v[12:13] neg_lo:[0,1] neg_hi:[0,1]
	v_dual_mov_b32 v18, v23 :: v_dual_mov_b32 v13, v23
	s_delay_alu instid0(VALU_DEP_1) | instskip(SKIP_1) | instid1(VALU_DEP_2)
	v_pk_add_f32 v[24:25], v[18:19], v[16:17] neg_lo:[0,1] neg_hi:[0,1]
	v_dual_mov_b32 v17, v16 :: v_dual_mov_b32 v16, v19
	v_dual_mov_b32 v27, v24 :: v_dual_mov_b32 v9, v24
	s_delay_alu instid0(VALU_DEP_1) | instskip(NEXT) | instid1(VALU_DEP_2)
	v_pk_add_f32 v[14:15], v[22:23], v[26:27] neg_lo:[0,1] neg_hi:[0,1]
	v_pk_add_f32 v[20:21], v[20:21], v[8:9] neg_lo:[0,1] neg_hi:[0,1]
	v_mov_b32_e32 v20, v12
	s_delay_alu instid0(VALU_DEP_3) | instskip(NEXT) | instid1(VALU_DEP_1)
	v_pk_add_f32 v[14:15], v[16:17], v[14:15] neg_lo:[0,1] neg_hi:[0,1]
	v_pk_add_f32 v[16:17], v[20:21], v[14:15]
	s_delay_alu instid0(VALU_DEP_1) | instskip(NEXT) | instid1(VALU_DEP_1)
	v_mov_b32_e32 v20, v17
	v_pk_add_f32 v[20:21], v[16:17], v[20:21]
	s_delay_alu instid0(VALU_DEP_1) | instskip(NEXT) | instid1(VALU_DEP_1)
	v_pk_add_f32 v[18:19], v[18:19], v[20:21]
	v_mov_b32_e32 v17, v18
	s_delay_alu instid0(VALU_DEP_1) | instskip(NEXT) | instid1(VALU_DEP_1)
	v_pk_add_f32 v[22:23], v[16:17], v[12:13] neg_lo:[0,1] neg_hi:[0,1]
	v_sub_f32_e32 v9, v16, v22
	s_delay_alu instid0(VALU_DEP_1) | instskip(SKIP_1) | instid1(VALU_DEP_1)
	v_sub_f32_e32 v9, v12, v9
	v_mov_b32_e32 v15, v20
	v_pk_add_f32 v[14:15], v[14:15], v[22:23] neg_lo:[0,1] neg_hi:[0,1]
	s_delay_alu instid0(VALU_DEP_1) | instskip(NEXT) | instid1(VALU_DEP_1)
	v_add_f32_e32 v9, v14, v9
	v_add_f32_e32 v9, v9, v15
	s_delay_alu instid0(VALU_DEP_1) | instskip(NEXT) | instid1(VALU_DEP_1)
	v_add_f32_e32 v9, v18, v9
	v_cndmask_b32_e32 v9, 0x7f800000, v9, vcc_lo
	v_cmp_gt_f32_e64 vcc_lo, 0x33800000, |v28|
	s_delay_alu instid0(VALU_DEP_2) | instskip(NEXT) | instid1(VALU_DEP_1)
	v_cndmask_b32_e32 v9, v9, v28, vcc_lo
	v_div_scale_f32 v12, null, v0, v0, v9
	s_delay_alu instid0(VALU_DEP_1) | instskip(SKIP_1) | instid1(TRANS32_DEP_1)
	v_rcp_f32_e32 v13, v12
	v_nop
	v_fma_f32 v14, -v12, v13, 1.0
	s_delay_alu instid0(VALU_DEP_1) | instskip(SKIP_1) | instid1(VALU_DEP_1)
	v_fmac_f32_e32 v13, v14, v13
	v_div_scale_f32 v14, vcc_lo, v9, v0, v9
	v_mul_f32_e32 v15, v14, v13
	s_delay_alu instid0(VALU_DEP_1) | instskip(NEXT) | instid1(VALU_DEP_1)
	v_fma_f32 v16, -v12, v15, v14
	v_fmac_f32_e32 v15, v16, v13
	s_delay_alu instid0(VALU_DEP_1) | instskip(NEXT) | instid1(VALU_DEP_1)
	v_fma_f32 v12, -v12, v15, v14
	v_div_fmas_f32 v12, v12, v13, v15
	s_delay_alu instid0(VALU_DEP_1)
	v_div_fixup_f32 v12, v12, v0, v9
.LBB27_10:
	s_or_b32 exec_lo, exec_lo, s2
	v_and_b32_e32 v6, 0xffff0000, v6
	s_mov_b32 s2, exec_lo
	s_delay_alu instid0(VALU_DEP_1) | instskip(NEXT) | instid1(VALU_DEP_1)
	v_mul_f32_e32 v9, v0, v6
	v_cmpx_ngt_f32_e32 v9, v1
	s_cbranch_execz .LBB27_12
; %bb.11:
	v_mul_f32_e32 v6, 0x3fb8aa3b, v9
	v_cmp_ngt_f32_e32 vcc_lo, 0xc2ce8ed0, v9
	s_mov_b32 s3, 0x3e9b6dac
	s_delay_alu instid0(VALU_DEP_2) | instskip(SKIP_1) | instid1(VALU_DEP_2)
	v_rndne_f32_e32 v13, v6
	v_fma_f32 v14, 0x3fb8aa3b, v9, -v6
	v_sub_f32_e32 v6, v6, v13
	s_delay_alu instid0(VALU_DEP_2) | instskip(SKIP_1) | instid1(VALU_DEP_2)
	v_fmamk_f32 v14, v9, 0x32a5705f, v14
	v_cvt_i32_f32_e32 v13, v13
	v_add_f32_e32 v6, v6, v14
	s_delay_alu instid0(VALU_DEP_1) | instskip(SKIP_1) | instid1(TRANS32_DEP_1)
	v_exp_f32_e32 v6, v6
	v_nop
	v_ldexp_f32 v6, v6, v13
	s_delay_alu instid0(VALU_DEP_1) | instskip(SKIP_1) | instid1(VALU_DEP_2)
	v_cndmask_b32_e32 v6, 0, v6, vcc_lo
	v_cmp_nlt_f32_e32 vcc_lo, 0x42b17218, v9
	v_cndmask_b32_e32 v13, 0x7f800000, v6, vcc_lo
	s_delay_alu instid0(VALU_DEP_1) | instskip(NEXT) | instid1(VALU_DEP_1)
	v_add_f32_e32 v6, 1.0, v13
	v_cvt_f64_f32_e32 v[14:15], v6
	s_delay_alu instid0(VALU_DEP_1) | instskip(SKIP_1) | instid1(VALU_DEP_1)
	v_frexp_exp_i32_f64_e32 v9, v[14:15]
	v_frexp_mant_f32_e32 v14, v6
	v_cmp_gt_f32_e32 vcc_lo, 0x3f2aaaab, v14
	v_add_f32_e32 v14, -1.0, v6
	s_delay_alu instid0(VALU_DEP_1) | instskip(SKIP_3) | instid1(VALU_DEP_2)
	v_sub_f32_e32 v16, v14, v6
	v_sub_f32_e32 v14, v13, v14
	v_subrev_co_ci_u32_e64 v9, null, 0, v9, vcc_lo
	v_cmp_neq_f32_e32 vcc_lo, 0x7f800000, v13
	v_sub_nc_u32_e32 v15, 0, v9
	s_delay_alu instid0(VALU_DEP_1) | instskip(NEXT) | instid1(VALU_DEP_1)
	v_ldexp_f32 v6, v6, v15
	v_dual_add_f32 v19, -1.0, v6 :: v_dual_add_f32 v16, 1.0, v16
	s_delay_alu instid0(VALU_DEP_1) | instskip(NEXT) | instid1(VALU_DEP_1)
	v_dual_add_f32 v17, 1.0, v6 :: v_dual_add_f32 v14, v14, v16
	v_ldexp_f32 v14, v14, v15
	s_delay_alu instid0(VALU_DEP_2) | instskip(NEXT) | instid1(VALU_DEP_1)
	v_add_f32_e32 v16, -1.0, v17
	v_dual_sub_f32 v15, v6, v16 :: v_dual_add_f32 v16, 1.0, v19
	s_delay_alu instid0(VALU_DEP_1) | instskip(NEXT) | instid1(VALU_DEP_1)
	v_sub_f32_e32 v6, v6, v16
	v_dual_add_f32 v18, v14, v15 :: v_dual_add_f32 v6, v14, v6
	s_delay_alu instid0(VALU_DEP_1) | instskip(NEXT) | instid1(VALU_DEP_2)
	v_add_f32_e32 v15, v19, v6
	v_add_f32_e32 v20, v17, v18
	s_delay_alu instid0(VALU_DEP_1) | instskip(SKIP_1) | instid1(TRANS32_DEP_1)
	v_rcp_f32_e32 v21, v20
	v_nop
	v_dual_mul_f32 v22, v15, v21 :: v_dual_sub_f32 v14, v17, v20
	s_delay_alu instid0(VALU_DEP_1) | instskip(NEXT) | instid1(VALU_DEP_2)
	v_add_f32_e32 v23, v18, v14
	v_mul_f32_e32 v16, v20, v22
	s_delay_alu instid0(VALU_DEP_1) | instskip(NEXT) | instid1(VALU_DEP_1)
	v_dual_fma_f32 v18, v22, v20, -v16 :: v_dual_sub_f32 v24, v19, v15
	v_fmac_f32_e32 v18, v22, v23
	s_delay_alu instid0(VALU_DEP_1) | instskip(NEXT) | instid1(VALU_DEP_1)
	v_dual_add_f32 v6, v6, v24 :: v_dual_add_f32 v14, v16, v18
	v_dual_sub_f32 v17, v15, v14 :: v_dual_mov_b32 v19, v14
	s_delay_alu instid0(VALU_DEP_1) | instskip(NEXT) | instid1(VALU_DEP_1)
	v_pk_add_f32 v[14:15], v[14:15], v[16:17] neg_lo:[0,1] neg_hi:[0,1]
	v_pk_add_f32 v[14:15], v[14:15], v[18:19] neg_lo:[0,1] neg_hi:[0,1]
	s_delay_alu instid0(VALU_DEP_1) | instskip(NEXT) | instid1(VALU_DEP_1)
	v_add_f32_e32 v6, v6, v15
	v_add_f32_e32 v6, v14, v6
	s_delay_alu instid0(VALU_DEP_1) | instskip(NEXT) | instid1(VALU_DEP_1)
	v_add_f32_e32 v15, v17, v6
	v_mul_f32_e32 v24, v21, v15
	s_delay_alu instid0(VALU_DEP_1) | instskip(NEXT) | instid1(VALU_DEP_1)
	v_mul_f32_e32 v18, v20, v24
	v_dual_fma_f32 v16, v24, v20, -v18 :: v_dual_sub_f32 v20, v17, v15
	s_delay_alu instid0(VALU_DEP_1) | instskip(NEXT) | instid1(VALU_DEP_1)
	v_dual_fmac_f32 v16, v24, v23 :: v_dual_add_f32 v6, v6, v20
	v_add_f32_e32 v14, v18, v16
	s_delay_alu instid0(VALU_DEP_1) | instskip(NEXT) | instid1(VALU_DEP_1)
	v_dual_sub_f32 v19, v15, v14 :: v_dual_mov_b32 v17, v14
	v_pk_add_f32 v[14:15], v[14:15], v[18:19] neg_lo:[0,1] neg_hi:[0,1]
	s_delay_alu instid0(VALU_DEP_1) | instskip(SKIP_1) | instid1(VALU_DEP_2)
	v_pk_add_f32 v[14:15], v[14:15], v[16:17] neg_lo:[0,1] neg_hi:[0,1]
	v_cvt_f32_i32_e32 v16, v9
	v_add_f32_e32 v6, v6, v15
	s_delay_alu instid0(VALU_DEP_1) | instskip(NEXT) | instid1(VALU_DEP_1)
	v_add_f32_e32 v6, v14, v6
	v_dual_add_f32 v18, v22, v24 :: v_dual_add_f32 v6, v19, v6
	s_delay_alu instid0(VALU_DEP_1) | instskip(NEXT) | instid1(VALU_DEP_2)
	v_sub_f32_e32 v14, v18, v22
	v_mul_f32_e32 v6, v21, v6
	s_delay_alu instid0(VALU_DEP_2) | instskip(NEXT) | instid1(VALU_DEP_1)
	v_sub_f32_e32 v14, v24, v14
	v_add_f32_e32 v6, v14, v6
	s_delay_alu instid0(VALU_DEP_1) | instskip(NEXT) | instid1(VALU_DEP_1)
	v_add_f32_e32 v19, v18, v6
	v_mul_f32_e32 v15, v19, v19
	s_delay_alu instid0(VALU_DEP_1) | instskip(SKIP_1) | instid1(VALU_DEP_2)
	v_fmaak_f32 v20, s3, v15, 0x3ecc95a3
	v_dual_mov_b32 v14, 0x3f317218 :: v_dual_mul_f32 v17, v19, v15
	v_fmaak_f32 v15, v15, v20, 0x3f2aaada
	s_delay_alu instid0(VALU_DEP_1) | instskip(SKIP_1) | instid1(VALU_DEP_2)
	v_pk_mul_f32 v[14:15], v[16:17], v[14:15]
	v_ldexp_f32 v17, v19, 1
	v_fma_f32 v9, 0x3f317218, v16, -v14
	s_delay_alu instid0(VALU_DEP_1) | instskip(NEXT) | instid1(VALU_DEP_1)
	v_dual_fmamk_f32 v16, v16, 0xb102e308, v9 :: v_dual_sub_f32 v9, v19, v18
	v_pk_add_f32 v[18:19], v[14:15], v[16:17]
	s_delay_alu instid0(VALU_DEP_2) | instskip(NEXT) | instid1(VALU_DEP_2)
	v_sub_f32_e32 v6, v6, v9
	v_dual_mov_b32 v20, v14 :: v_dual_sub_f32 v9, v19, v17
	s_delay_alu instid0(VALU_DEP_2) | instskip(NEXT) | instid1(VALU_DEP_2)
	v_ldexp_f32 v6, v6, 1
	v_dual_mov_b32 v17, v18 :: v_dual_sub_f32 v9, v15, v9
	v_pk_add_f32 v[14:15], v[18:19], v[14:15] neg_lo:[0,1] neg_hi:[0,1]
	s_delay_alu instid0(VALU_DEP_2) | instskip(NEXT) | instid1(VALU_DEP_1)
	v_add_f32_e32 v21, v6, v9
	v_pk_add_f32 v[22:23], v[18:19], v[20:21]
	s_delay_alu instid0(VALU_DEP_1) | instskip(NEXT) | instid1(VALU_DEP_1)
	v_dual_mov_b32 v28, v19 :: v_dual_mov_b32 v15, v23
	v_pk_add_f32 v[24:25], v[16:17], v[14:15]
	v_mov_b32_e32 v24, v23
	v_pk_add_f32 v[14:15], v[16:17], v[14:15] neg_lo:[0,1] neg_hi:[0,1]
	s_delay_alu instid0(VALU_DEP_3) | instskip(NEXT) | instid1(VALU_DEP_1)
	v_dual_mov_b32 v6, v25 :: v_dual_mov_b32 v15, v25
	v_pk_add_f32 v[26:27], v[6:7], v[18:19] neg_lo:[0,1] neg_hi:[0,1]
	v_dual_mov_b32 v19, v18 :: v_dual_mov_b32 v18, v21
	s_delay_alu instid0(VALU_DEP_2) | instskip(NEXT) | instid1(VALU_DEP_1)
	v_dual_mov_b32 v9, v26 :: v_dual_mov_b32 v29, v26
	v_pk_add_f32 v[20:21], v[22:23], v[8:9] neg_lo:[0,1] neg_hi:[0,1]
	s_delay_alu instid0(VALU_DEP_2) | instskip(SKIP_1) | instid1(VALU_DEP_2)
	v_pk_add_f32 v[16:17], v[24:25], v[28:29] neg_lo:[0,1] neg_hi:[0,1]
	v_mov_b32_e32 v20, v14
	v_pk_add_f32 v[16:17], v[18:19], v[16:17] neg_lo:[0,1] neg_hi:[0,1]
	s_delay_alu instid0(VALU_DEP_1) | instskip(NEXT) | instid1(VALU_DEP_1)
	v_pk_add_f32 v[18:19], v[20:21], v[16:17]
	v_mov_b32_e32 v20, v19
	s_delay_alu instid0(VALU_DEP_1) | instskip(NEXT) | instid1(VALU_DEP_1)
	v_pk_add_f32 v[20:21], v[18:19], v[20:21]
	v_pk_add_f32 v[22:23], v[6:7], v[20:21]
	s_delay_alu instid0(VALU_DEP_1) | instskip(NEXT) | instid1(VALU_DEP_1)
	v_mov_b32_e32 v19, v22
	v_pk_add_f32 v[24:25], v[18:19], v[14:15] neg_lo:[0,1] neg_hi:[0,1]
	s_delay_alu instid0(VALU_DEP_1) | instskip(NEXT) | instid1(VALU_DEP_1)
	v_dual_mov_b32 v17, v20 :: v_dual_sub_f32 v6, v18, v24
	v_pk_add_f32 v[16:17], v[16:17], v[24:25] neg_lo:[0,1] neg_hi:[0,1]
	s_delay_alu instid0(VALU_DEP_2) | instskip(NEXT) | instid1(VALU_DEP_1)
	v_sub_f32_e32 v6, v14, v6
	v_add_f32_e32 v6, v16, v6
	s_delay_alu instid0(VALU_DEP_1) | instskip(NEXT) | instid1(VALU_DEP_1)
	v_add_f32_e32 v6, v6, v17
	v_add_f32_e32 v6, v22, v6
	s_delay_alu instid0(VALU_DEP_1) | instskip(SKIP_1) | instid1(VALU_DEP_2)
	v_cndmask_b32_e32 v6, 0x7f800000, v6, vcc_lo
	v_cmp_gt_f32_e64 vcc_lo, 0x33800000, |v13|
	v_cndmask_b32_e32 v6, v6, v13, vcc_lo
	s_delay_alu instid0(VALU_DEP_1) | instskip(NEXT) | instid1(VALU_DEP_1)
	v_div_scale_f32 v9, null, v0, v0, v6
	v_rcp_f32_e32 v13, v9
	v_nop
	s_delay_alu instid0(TRANS32_DEP_1) | instskip(NEXT) | instid1(VALU_DEP_1)
	v_fma_f32 v14, -v9, v13, 1.0
	v_fmac_f32_e32 v13, v14, v13
	v_div_scale_f32 v14, vcc_lo, v6, v0, v6
	s_delay_alu instid0(VALU_DEP_1) | instskip(NEXT) | instid1(VALU_DEP_1)
	v_mul_f32_e32 v15, v14, v13
	v_fma_f32 v16, -v9, v15, v14
	s_delay_alu instid0(VALU_DEP_1) | instskip(NEXT) | instid1(VALU_DEP_1)
	v_fmac_f32_e32 v15, v16, v13
	v_fma_f32 v9, -v9, v15, v14
	s_delay_alu instid0(VALU_DEP_1) | instskip(NEXT) | instid1(VALU_DEP_1)
	v_div_fmas_f32 v9, v9, v13, v15
	v_div_fixup_f32 v6, v9, v0, v6
.LBB27_12:
	s_or_b32 exec_lo, exec_lo, s2
	v_lshlrev_b32_e32 v13, 16, v7
	s_mov_b32 s2, exec_lo
	s_delay_alu instid0(VALU_DEP_1) | instskip(NEXT) | instid1(VALU_DEP_1)
	v_mul_f32_e32 v9, v0, v13
	v_cmpx_ngt_f32_e32 v9, v1
	s_cbranch_execz .LBB27_14
; %bb.13:
	v_mul_f32_e32 v13, 0x3fb8aa3b, v9
	v_cmp_ngt_f32_e32 vcc_lo, 0xc2ce8ed0, v9
	s_mov_b32 s3, 0x3e9b6dac
	s_delay_alu instid0(VALU_DEP_2) | instskip(SKIP_1) | instid1(VALU_DEP_2)
	v_rndne_f32_e32 v14, v13
	v_fma_f32 v15, 0x3fb8aa3b, v9, -v13
	v_sub_f32_e32 v13, v13, v14
	s_delay_alu instid0(VALU_DEP_2) | instskip(SKIP_1) | instid1(VALU_DEP_2)
	v_fmamk_f32 v15, v9, 0x32a5705f, v15
	v_cvt_i32_f32_e32 v14, v14
	v_add_f32_e32 v13, v13, v15
	s_delay_alu instid0(VALU_DEP_1) | instskip(SKIP_1) | instid1(TRANS32_DEP_1)
	v_exp_f32_e32 v13, v13
	v_nop
	v_ldexp_f32 v13, v13, v14
	s_delay_alu instid0(VALU_DEP_1) | instskip(SKIP_1) | instid1(VALU_DEP_2)
	v_cndmask_b32_e32 v13, 0, v13, vcc_lo
	v_cmp_nlt_f32_e32 vcc_lo, 0x42b17218, v9
	v_cndmask_b32_e32 v13, 0x7f800000, v13, vcc_lo
	s_delay_alu instid0(VALU_DEP_1) | instskip(NEXT) | instid1(VALU_DEP_1)
	v_add_f32_e32 v9, 1.0, v13
	v_cvt_f64_f32_e32 v[14:15], v9
	s_delay_alu instid0(VALU_DEP_1) | instskip(SKIP_1) | instid1(VALU_DEP_1)
	v_frexp_exp_i32_f64_e32 v14, v[14:15]
	v_frexp_mant_f32_e32 v15, v9
	v_cmp_gt_f32_e32 vcc_lo, 0x3f2aaaab, v15
	s_delay_alu instid0(VALU_DEP_3) | instskip(NEXT) | instid1(VALU_DEP_1)
	v_subrev_co_ci_u32_e64 v20, null, 0, v14, vcc_lo
	v_dual_add_f32 v14, -1.0, v9 :: v_dual_sub_nc_u32 v15, 0, v20
	s_delay_alu instid0(VALU_DEP_1) | instskip(NEXT) | instid1(VALU_DEP_2)
	v_dual_sub_f32 v16, v14, v9 :: v_dual_sub_f32 v14, v13, v14
	v_ldexp_f32 v9, v9, v15
	s_delay_alu instid0(VALU_DEP_1) | instskip(NEXT) | instid1(VALU_DEP_1)
	v_dual_add_f32 v16, 1.0, v16 :: v_dual_add_f32 v17, 1.0, v9
	v_dual_add_f32 v19, -1.0, v9 :: v_dual_add_f32 v14, v14, v16
	s_delay_alu instid0(VALU_DEP_1) | instskip(NEXT) | instid1(VALU_DEP_3)
	v_ldexp_f32 v14, v14, v15
	v_add_f32_e32 v16, -1.0, v17
	s_delay_alu instid0(VALU_DEP_1) | instskip(SKIP_1) | instid1(VALU_DEP_2)
	v_dual_sub_f32 v15, v9, v16 :: v_dual_add_f32 v16, 1.0, v19
	v_cmp_neq_f32_e32 vcc_lo, 0x7f800000, v13
	v_dual_sub_f32 v9, v9, v16 :: v_dual_add_f32 v18, v14, v15
	s_delay_alu instid0(VALU_DEP_1) | instskip(NEXT) | instid1(VALU_DEP_1)
	v_dual_add_f32 v9, v14, v9 :: v_dual_add_f32 v21, v17, v18
	v_add_f32_e32 v15, v19, v9
	s_delay_alu instid0(VALU_DEP_2) | instskip(SKIP_1) | instid1(TRANS32_DEP_1)
	v_rcp_f32_e32 v22, v21
	v_nop
	v_dual_sub_f32 v14, v17, v21 :: v_dual_mul_f32 v23, v15, v22
	s_delay_alu instid0(VALU_DEP_1) | instskip(SKIP_1) | instid1(VALU_DEP_2)
	v_dual_mul_f32 v16, v21, v23 :: v_dual_add_f32 v24, v18, v14
	v_sub_f32_e32 v25, v19, v15
	v_fma_f32 v18, v23, v21, -v16
	s_delay_alu instid0(VALU_DEP_1) | instskip(NEXT) | instid1(VALU_DEP_1)
	v_dual_add_f32 v9, v9, v25 :: v_dual_fmac_f32 v18, v23, v24
	v_add_f32_e32 v14, v16, v18
	s_delay_alu instid0(VALU_DEP_1) | instskip(NEXT) | instid1(VALU_DEP_1)
	v_dual_sub_f32 v17, v15, v14 :: v_dual_mov_b32 v19, v14
	v_pk_add_f32 v[14:15], v[14:15], v[16:17] neg_lo:[0,1] neg_hi:[0,1]
	s_delay_alu instid0(VALU_DEP_1) | instskip(NEXT) | instid1(VALU_DEP_1)
	v_pk_add_f32 v[14:15], v[14:15], v[18:19] neg_lo:[0,1] neg_hi:[0,1]
	v_add_f32_e32 v9, v9, v15
	s_delay_alu instid0(VALU_DEP_1) | instskip(NEXT) | instid1(VALU_DEP_1)
	v_add_f32_e32 v9, v14, v9
	v_add_f32_e32 v15, v17, v9
	s_delay_alu instid0(VALU_DEP_1) | instskip(NEXT) | instid1(VALU_DEP_1)
	v_mul_f32_e32 v25, v22, v15
	v_mul_f32_e32 v18, v21, v25
	s_delay_alu instid0(VALU_DEP_1) | instskip(NEXT) | instid1(VALU_DEP_1)
	v_fma_f32 v16, v25, v21, -v18
	v_fmac_f32_e32 v16, v25, v24
	s_delay_alu instid0(VALU_DEP_1) | instskip(NEXT) | instid1(VALU_DEP_1)
	v_dual_add_f32 v14, v18, v16 :: v_dual_sub_f32 v21, v17, v15
	v_dual_sub_f32 v19, v15, v14 :: v_dual_mov_b32 v17, v14
	s_delay_alu instid0(VALU_DEP_1) | instskip(SKIP_1) | instid1(VALU_DEP_4)
	v_pk_add_f32 v[14:15], v[14:15], v[18:19] neg_lo:[0,1] neg_hi:[0,1]
	v_add_f32_e32 v18, v23, v25
	v_add_f32_e32 v9, v9, v21
	s_delay_alu instid0(VALU_DEP_3) | instskip(SKIP_1) | instid1(VALU_DEP_2)
	v_pk_add_f32 v[14:15], v[14:15], v[16:17] neg_lo:[0,1] neg_hi:[0,1]
	v_cvt_f32_i32_e32 v16, v20
	v_add_f32_e32 v9, v9, v15
	s_delay_alu instid0(VALU_DEP_1) | instskip(SKIP_1) | instid1(VALU_DEP_1)
	v_add_f32_e32 v9, v14, v9
	v_sub_f32_e32 v14, v18, v23
	v_dual_sub_f32 v14, v25, v14 :: v_dual_add_f32 v9, v19, v9
	s_delay_alu instid0(VALU_DEP_1) | instskip(NEXT) | instid1(VALU_DEP_1)
	v_mul_f32_e32 v9, v22, v9
	v_dual_add_f32 v9, v14, v9 :: v_dual_mov_b32 v14, 0x3f317218
	s_delay_alu instid0(VALU_DEP_1) | instskip(NEXT) | instid1(VALU_DEP_1)
	v_add_f32_e32 v19, v18, v9
	v_mul_f32_e32 v15, v19, v19
	s_delay_alu instid0(VALU_DEP_1) | instskip(SKIP_1) | instid1(VALU_DEP_2)
	v_fmaak_f32 v21, s3, v15, 0x3ecc95a3
	v_mul_f32_e32 v17, v19, v15
	v_fmaak_f32 v15, v15, v21, 0x3f2aaada
	s_delay_alu instid0(VALU_DEP_1) | instskip(NEXT) | instid1(VALU_DEP_1)
	v_pk_mul_f32 v[14:15], v[16:17], v[14:15]
	v_fma_f32 v20, 0x3f317218, v16, -v14
	s_delay_alu instid0(VALU_DEP_1) | instskip(SKIP_1) | instid1(VALU_DEP_1)
	v_fmamk_f32 v16, v16, 0xb102e308, v20
	v_sub_f32_e32 v20, v19, v18
	v_sub_f32_e32 v9, v9, v20
	v_ldexp_f32 v17, v19, 1
	v_mov_b32_e32 v20, v14
	s_delay_alu instid0(VALU_DEP_3) | instskip(NEXT) | instid1(VALU_DEP_3)
	v_ldexp_f32 v9, v9, 1
	v_pk_add_f32 v[18:19], v[14:15], v[16:17]
	s_delay_alu instid0(VALU_DEP_1) | instskip(NEXT) | instid1(VALU_DEP_1)
	v_dual_sub_f32 v17, v19, v17 :: v_dual_mov_b32 v28, v19
	v_sub_f32_e32 v17, v15, v17
	s_delay_alu instid0(VALU_DEP_3) | instskip(NEXT) | instid1(VALU_DEP_2)
	v_pk_add_f32 v[14:15], v[18:19], v[14:15] neg_lo:[0,1] neg_hi:[0,1]
	v_dual_add_f32 v21, v9, v17 :: v_dual_mov_b32 v17, v18
	s_delay_alu instid0(VALU_DEP_1) | instskip(NEXT) | instid1(VALU_DEP_1)
	v_pk_add_f32 v[22:23], v[18:19], v[20:21]
	v_mov_b32_e32 v15, v23
	s_delay_alu instid0(VALU_DEP_1) | instskip(SKIP_2) | instid1(VALU_DEP_3)
	v_pk_add_f32 v[24:25], v[16:17], v[14:15]
	v_mov_b32_e32 v24, v23
	v_pk_add_f32 v[14:15], v[16:17], v[14:15] neg_lo:[0,1] neg_hi:[0,1]
	v_dual_mov_b32 v20, v25 :: v_dual_mov_b32 v15, v25
	s_delay_alu instid0(VALU_DEP_1) | instskip(SKIP_1) | instid1(VALU_DEP_2)
	v_pk_add_f32 v[26:27], v[20:21], v[18:19] neg_lo:[0,1] neg_hi:[0,1]
	v_dual_mov_b32 v19, v18 :: v_dual_mov_b32 v18, v21
	v_dual_mov_b32 v9, v26 :: v_dual_mov_b32 v29, v26
	s_delay_alu instid0(VALU_DEP_1) | instskip(NEXT) | instid1(VALU_DEP_2)
	v_pk_add_f32 v[22:23], v[22:23], v[8:9] neg_lo:[0,1] neg_hi:[0,1]
	v_pk_add_f32 v[16:17], v[24:25], v[28:29] neg_lo:[0,1] neg_hi:[0,1]
	v_mov_b32_e32 v22, v14
	s_delay_alu instid0(VALU_DEP_2) | instskip(NEXT) | instid1(VALU_DEP_1)
	v_pk_add_f32 v[16:17], v[18:19], v[16:17] neg_lo:[0,1] neg_hi:[0,1]
	v_pk_add_f32 v[18:19], v[22:23], v[16:17]
	s_delay_alu instid0(VALU_DEP_1) | instskip(NEXT) | instid1(VALU_DEP_1)
	v_mov_b32_e32 v22, v19
	v_pk_add_f32 v[22:23], v[18:19], v[22:23]
	s_delay_alu instid0(VALU_DEP_1) | instskip(NEXT) | instid1(VALU_DEP_1)
	v_pk_add_f32 v[20:21], v[20:21], v[22:23]
	v_mov_b32_e32 v19, v20
	s_delay_alu instid0(VALU_DEP_1) | instskip(NEXT) | instid1(VALU_DEP_1)
	v_pk_add_f32 v[24:25], v[18:19], v[14:15] neg_lo:[0,1] neg_hi:[0,1]
	v_sub_f32_e32 v9, v18, v24
	s_delay_alu instid0(VALU_DEP_1) | instskip(SKIP_1) | instid1(VALU_DEP_1)
	v_sub_f32_e32 v9, v14, v9
	v_mov_b32_e32 v17, v22
	v_pk_add_f32 v[16:17], v[16:17], v[24:25] neg_lo:[0,1] neg_hi:[0,1]
	s_delay_alu instid0(VALU_DEP_1) | instskip(NEXT) | instid1(VALU_DEP_1)
	v_add_f32_e32 v9, v16, v9
	v_add_f32_e32 v9, v9, v17
	s_delay_alu instid0(VALU_DEP_1) | instskip(NEXT) | instid1(VALU_DEP_1)
	v_add_f32_e32 v9, v20, v9
	v_cndmask_b32_e32 v9, 0x7f800000, v9, vcc_lo
	v_cmp_gt_f32_e64 vcc_lo, 0x33800000, |v13|
	s_delay_alu instid0(VALU_DEP_2) | instskip(NEXT) | instid1(VALU_DEP_1)
	v_cndmask_b32_e32 v9, v9, v13, vcc_lo
	v_div_scale_f32 v13, null, v0, v0, v9
	s_delay_alu instid0(VALU_DEP_1) | instskip(SKIP_1) | instid1(TRANS32_DEP_1)
	v_rcp_f32_e32 v14, v13
	v_nop
	v_fma_f32 v15, -v13, v14, 1.0
	s_delay_alu instid0(VALU_DEP_1) | instskip(SKIP_1) | instid1(VALU_DEP_1)
	v_fmac_f32_e32 v14, v15, v14
	v_div_scale_f32 v15, vcc_lo, v9, v0, v9
	v_mul_f32_e32 v16, v15, v14
	s_delay_alu instid0(VALU_DEP_1) | instskip(NEXT) | instid1(VALU_DEP_1)
	v_fma_f32 v17, -v13, v16, v15
	v_fmac_f32_e32 v16, v17, v14
	s_delay_alu instid0(VALU_DEP_1) | instskip(NEXT) | instid1(VALU_DEP_1)
	v_fma_f32 v13, -v13, v16, v15
	v_div_fmas_f32 v13, v13, v14, v16
	s_delay_alu instid0(VALU_DEP_1)
	v_div_fixup_f32 v13, v13, v0, v9
.LBB27_14:
	s_or_b32 exec_lo, exec_lo, s2
	v_and_b32_e32 v7, 0xffff0000, v7
	s_mov_b32 s2, exec_lo
	s_delay_alu instid0(VALU_DEP_1) | instskip(NEXT) | instid1(VALU_DEP_1)
	v_mul_f32_e32 v9, v0, v7
	v_cmpx_ngt_f32_e32 v9, v1
	s_cbranch_execz .LBB27_16
; %bb.15:
	v_mul_f32_e32 v1, 0x3fb8aa3b, v9
	v_cmp_ngt_f32_e32 vcc_lo, 0xc2ce8ed0, v9
	s_mov_b32 s3, 0x3e9b6dac
	s_delay_alu instid0(VALU_DEP_2) | instskip(SKIP_1) | instid1(VALU_DEP_2)
	v_rndne_f32_e32 v7, v1
	v_fma_f32 v14, 0x3fb8aa3b, v9, -v1
	v_sub_f32_e32 v1, v1, v7
	s_delay_alu instid0(VALU_DEP_2) | instskip(SKIP_1) | instid1(VALU_DEP_2)
	v_fmamk_f32 v14, v9, 0x32a5705f, v14
	v_cvt_i32_f32_e32 v7, v7
	v_add_f32_e32 v1, v1, v14
	s_delay_alu instid0(VALU_DEP_1) | instskip(SKIP_1) | instid1(TRANS32_DEP_1)
	v_exp_f32_e32 v1, v1
	v_nop
	v_ldexp_f32 v1, v1, v7
	s_delay_alu instid0(VALU_DEP_1) | instskip(SKIP_1) | instid1(VALU_DEP_2)
	v_cndmask_b32_e32 v1, 0, v1, vcc_lo
	v_cmp_nlt_f32_e32 vcc_lo, 0x42b17218, v9
	v_cndmask_b32_e32 v7, 0x7f800000, v1, vcc_lo
	s_delay_alu instid0(VALU_DEP_1) | instskip(NEXT) | instid1(VALU_DEP_1)
	v_add_f32_e32 v1, 1.0, v7
	v_cvt_f64_f32_e32 v[14:15], v1
	s_delay_alu instid0(VALU_DEP_1) | instskip(SKIP_1) | instid1(VALU_DEP_1)
	v_frexp_exp_i32_f64_e32 v9, v[14:15]
	v_frexp_mant_f32_e32 v14, v1
	v_cmp_gt_f32_e32 vcc_lo, 0x3f2aaaab, v14
	v_add_f32_e32 v14, -1.0, v1
	s_delay_alu instid0(VALU_DEP_1) | instskip(NEXT) | instid1(VALU_DEP_1)
	v_dual_sub_f32 v16, v14, v1 :: v_dual_sub_f32 v14, v7, v14
	v_add_f32_e32 v16, 1.0, v16
	s_delay_alu instid0(VALU_DEP_1) | instskip(SKIP_2) | instid1(VALU_DEP_2)
	v_add_f32_e32 v14, v14, v16
	v_subrev_co_ci_u32_e64 v9, null, 0, v9, vcc_lo
	v_cmp_neq_f32_e32 vcc_lo, 0x7f800000, v7
	v_sub_nc_u32_e32 v15, 0, v9
	s_delay_alu instid0(VALU_DEP_1) | instskip(SKIP_1) | instid1(VALU_DEP_2)
	v_ldexp_f32 v1, v1, v15
	v_ldexp_f32 v14, v14, v15
	v_add_f32_e32 v17, 1.0, v1
	s_delay_alu instid0(VALU_DEP_1) | instskip(NEXT) | instid1(VALU_DEP_1)
	v_add_f32_e32 v16, -1.0, v17
	v_dual_add_f32 v19, -1.0, v1 :: v_dual_sub_f32 v15, v1, v16
	s_delay_alu instid0(VALU_DEP_1) | instskip(NEXT) | instid1(VALU_DEP_1)
	v_add_f32_e32 v18, v14, v15
	v_dual_add_f32 v16, 1.0, v19 :: v_dual_add_f32 v20, v17, v18
	s_delay_alu instid0(VALU_DEP_1) | instskip(NEXT) | instid1(VALU_DEP_1)
	v_rcp_f32_e32 v21, v20
	v_sub_f32_e32 v1, v1, v16
	s_delay_alu instid0(VALU_DEP_1) | instskip(NEXT) | instid1(VALU_DEP_1)
	v_dual_add_f32 v1, v14, v1 :: v_dual_sub_f32 v14, v17, v20
	v_add_f32_e32 v15, v19, v1
	s_delay_alu instid0(TRANS32_DEP_1) | instid1(VALU_DEP_1)
	v_mul_f32_e32 v22, v15, v21
	s_delay_alu instid0(VALU_DEP_1) | instskip(NEXT) | instid1(VALU_DEP_4)
	v_mul_f32_e32 v16, v20, v22
	v_dual_add_f32 v23, v18, v14 :: v_dual_sub_f32 v24, v19, v15
	s_delay_alu instid0(VALU_DEP_2) | instskip(NEXT) | instid1(VALU_DEP_1)
	v_fma_f32 v18, v22, v20, -v16
	v_dual_add_f32 v1, v1, v24 :: v_dual_fmac_f32 v18, v22, v23
	s_delay_alu instid0(VALU_DEP_1) | instskip(NEXT) | instid1(VALU_DEP_1)
	v_add_f32_e32 v14, v16, v18
	v_dual_sub_f32 v17, v15, v14 :: v_dual_mov_b32 v19, v14
	s_delay_alu instid0(VALU_DEP_1) | instskip(NEXT) | instid1(VALU_DEP_1)
	v_pk_add_f32 v[14:15], v[14:15], v[16:17] neg_lo:[0,1] neg_hi:[0,1]
	v_pk_add_f32 v[14:15], v[14:15], v[18:19] neg_lo:[0,1] neg_hi:[0,1]
	s_delay_alu instid0(VALU_DEP_1) | instskip(NEXT) | instid1(VALU_DEP_1)
	v_add_f32_e32 v1, v1, v15
	v_add_f32_e32 v1, v14, v1
	s_delay_alu instid0(VALU_DEP_1) | instskip(NEXT) | instid1(VALU_DEP_1)
	v_add_f32_e32 v15, v17, v1
	v_mul_f32_e32 v24, v21, v15
	s_delay_alu instid0(VALU_DEP_1) | instskip(NEXT) | instid1(VALU_DEP_1)
	v_mul_f32_e32 v18, v20, v24
	v_dual_fma_f32 v16, v24, v20, -v18 :: v_dual_sub_f32 v20, v17, v15
	s_delay_alu instid0(VALU_DEP_1) | instskip(NEXT) | instid1(VALU_DEP_1)
	v_fmac_f32_e32 v16, v24, v23
	v_add_f32_e32 v14, v18, v16
	s_delay_alu instid0(VALU_DEP_1) | instskip(NEXT) | instid1(VALU_DEP_1)
	v_dual_sub_f32 v19, v15, v14 :: v_dual_mov_b32 v17, v14
	v_pk_add_f32 v[14:15], v[14:15], v[18:19] neg_lo:[0,1] neg_hi:[0,1]
	v_add_f32_e32 v18, v22, v24
	v_add_f32_e32 v1, v1, v20
	s_delay_alu instid0(VALU_DEP_3) | instskip(SKIP_1) | instid1(VALU_DEP_2)
	v_pk_add_f32 v[14:15], v[14:15], v[16:17] neg_lo:[0,1] neg_hi:[0,1]
	v_cvt_f32_i32_e32 v16, v9
	v_add_f32_e32 v1, v1, v15
	s_delay_alu instid0(VALU_DEP_1) | instskip(NEXT) | instid1(VALU_DEP_1)
	v_add_f32_e32 v1, v14, v1
	v_dual_sub_f32 v14, v18, v22 :: v_dual_add_f32 v1, v19, v1
	s_delay_alu instid0(VALU_DEP_1) | instskip(NEXT) | instid1(VALU_DEP_1)
	v_dual_sub_f32 v14, v24, v14 :: v_dual_mul_f32 v1, v21, v1
	v_dual_add_f32 v1, v14, v1 :: v_dual_mov_b32 v14, 0x3f317218
	s_delay_alu instid0(VALU_DEP_1) | instskip(NEXT) | instid1(VALU_DEP_1)
	v_add_f32_e32 v19, v18, v1
	v_mul_f32_e32 v15, v19, v19
	s_delay_alu instid0(VALU_DEP_1) | instskip(NEXT) | instid1(VALU_DEP_1)
	v_dual_fmaak_f32 v20, s3, v15, 0x3ecc95a3 :: v_dual_mul_f32 v17, v19, v15
	v_fmaak_f32 v15, v15, v20, 0x3f2aaada
	s_delay_alu instid0(VALU_DEP_1) | instskip(NEXT) | instid1(VALU_DEP_1)
	v_pk_mul_f32 v[14:15], v[16:17], v[14:15]
	v_fma_f32 v9, 0x3f317218, v16, -v14
	v_mov_b32_e32 v20, v14
	s_delay_alu instid0(VALU_DEP_2) | instskip(SKIP_2) | instid1(VALU_DEP_2)
	v_fmamk_f32 v16, v16, 0xb102e308, v9
	v_ldexp_f32 v17, v19, 1
	v_sub_f32_e32 v9, v19, v18
	v_pk_add_f32 v[18:19], v[14:15], v[16:17]
	s_delay_alu instid0(VALU_DEP_2) | instskip(NEXT) | instid1(VALU_DEP_2)
	v_sub_f32_e32 v1, v1, v9
	v_dual_sub_f32 v9, v19, v17 :: v_dual_mov_b32 v17, v18
	s_delay_alu instid0(VALU_DEP_1) | instskip(NEXT) | instid1(VALU_DEP_3)
	v_sub_f32_e32 v9, v15, v9
	v_ldexp_f32 v1, v1, 1
	v_pk_add_f32 v[14:15], v[18:19], v[14:15] neg_lo:[0,1] neg_hi:[0,1]
	s_delay_alu instid0(VALU_DEP_2) | instskip(NEXT) | instid1(VALU_DEP_1)
	v_add_f32_e32 v21, v1, v9
	v_pk_add_f32 v[22:23], v[18:19], v[20:21]
	s_delay_alu instid0(VALU_DEP_1) | instskip(NEXT) | instid1(VALU_DEP_1)
	v_dual_mov_b32 v28, v19 :: v_dual_mov_b32 v15, v23
	v_pk_add_f32 v[24:25], v[16:17], v[14:15]
	v_mov_b32_e32 v24, v23
	v_pk_add_f32 v[14:15], v[16:17], v[14:15] neg_lo:[0,1] neg_hi:[0,1]
	s_delay_alu instid0(VALU_DEP_3) | instskip(NEXT) | instid1(VALU_DEP_1)
	v_dual_mov_b32 v20, v25 :: v_dual_mov_b32 v15, v25
	v_pk_add_f32 v[26:27], v[20:21], v[18:19] neg_lo:[0,1] neg_hi:[0,1]
	v_dual_mov_b32 v19, v18 :: v_dual_mov_b32 v18, v21
	s_delay_alu instid0(VALU_DEP_2) | instskip(NEXT) | instid1(VALU_DEP_1)
	v_dual_mov_b32 v1, v26 :: v_dual_mov_b32 v29, v26
	v_pk_add_f32 v[22:23], v[22:23], v[0:1] neg_lo:[0,1] neg_hi:[0,1]
	s_delay_alu instid0(VALU_DEP_2) | instskip(SKIP_1) | instid1(VALU_DEP_2)
	v_pk_add_f32 v[16:17], v[24:25], v[28:29] neg_lo:[0,1] neg_hi:[0,1]
	v_mov_b32_e32 v22, v14
	v_pk_add_f32 v[16:17], v[18:19], v[16:17] neg_lo:[0,1] neg_hi:[0,1]
	s_delay_alu instid0(VALU_DEP_1) | instskip(NEXT) | instid1(VALU_DEP_1)
	v_pk_add_f32 v[18:19], v[22:23], v[16:17]
	v_mov_b32_e32 v22, v19
	s_delay_alu instid0(VALU_DEP_1) | instskip(NEXT) | instid1(VALU_DEP_1)
	v_pk_add_f32 v[22:23], v[18:19], v[22:23]
	v_pk_add_f32 v[20:21], v[20:21], v[22:23]
	s_delay_alu instid0(VALU_DEP_1) | instskip(NEXT) | instid1(VALU_DEP_1)
	v_mov_b32_e32 v19, v20
	v_pk_add_f32 v[24:25], v[18:19], v[14:15] neg_lo:[0,1] neg_hi:[0,1]
	s_delay_alu instid0(VALU_DEP_1) | instskip(NEXT) | instid1(VALU_DEP_1)
	v_sub_f32_e32 v1, v18, v24
	v_sub_f32_e32 v1, v14, v1
	v_mov_b32_e32 v17, v22
	s_delay_alu instid0(VALU_DEP_1) | instskip(NEXT) | instid1(VALU_DEP_1)
	v_pk_add_f32 v[16:17], v[16:17], v[24:25] neg_lo:[0,1] neg_hi:[0,1]
	v_add_f32_e32 v1, v16, v1
	s_delay_alu instid0(VALU_DEP_1) | instskip(NEXT) | instid1(VALU_DEP_1)
	v_add_f32_e32 v1, v1, v17
	v_add_f32_e32 v1, v20, v1
	s_delay_alu instid0(VALU_DEP_1) | instskip(SKIP_1) | instid1(VALU_DEP_2)
	v_cndmask_b32_e32 v1, 0x7f800000, v1, vcc_lo
	v_cmp_gt_f32_e64 vcc_lo, 0x33800000, |v7|
	v_cndmask_b32_e32 v1, v1, v7, vcc_lo
	s_delay_alu instid0(VALU_DEP_1) | instskip(NEXT) | instid1(VALU_DEP_1)
	v_div_scale_f32 v7, null, v0, v0, v1
	v_rcp_f32_e32 v9, v7
	v_nop
	s_delay_alu instid0(TRANS32_DEP_1) | instskip(NEXT) | instid1(VALU_DEP_1)
	v_fma_f32 v14, -v7, v9, 1.0
	v_fmac_f32_e32 v9, v14, v9
	v_div_scale_f32 v14, vcc_lo, v1, v0, v1
	s_delay_alu instid0(VALU_DEP_1) | instskip(NEXT) | instid1(VALU_DEP_1)
	v_mul_f32_e32 v15, v14, v9
	v_fma_f32 v16, -v7, v15, v14
	s_delay_alu instid0(VALU_DEP_1) | instskip(NEXT) | instid1(VALU_DEP_1)
	v_fmac_f32_e32 v15, v16, v9
	v_fma_f32 v7, -v7, v15, v14
	s_delay_alu instid0(VALU_DEP_1) | instskip(NEXT) | instid1(VALU_DEP_1)
	v_div_fmas_f32 v7, v7, v9, v15
	v_div_fixup_f32 v7, v7, v0, v1
.LBB27_16:
	s_or_b32 exec_lo, exec_lo, s2
	v_bfe_u32 v9, v10, 16, 1
	v_bfe_u32 v14, v4, 16, 1
	;; [unrolled: 1-line block ×4, first 2 shown]
	v_lshl_add_u64 v[0:1], s[0:1], 1, v[2:3]
	v_add3_u32 v2, v10, v9, 0x7fff
	v_add3_u32 v3, v4, v14, 0x7fff
	;; [unrolled: 1-line block ×4, first 2 shown]
	s_delay_alu instid0(VALU_DEP_4) | instskip(SKIP_1) | instid1(VALU_DEP_4)
	v_dual_mov_b32 v9, 0 :: v_dual_lshrrev_b32 v2, 16, v2
	v_cmp_o_f32_e32 vcc_lo, v10, v10
	v_dual_lshrrev_b32 v3, 16, v3 :: v_dual_lshrrev_b32 v14, 16, v14
	s_delay_alu instid0(VALU_DEP_4)
	v_lshrrev_b32_e32 v15, 16, v15
	v_bfe_u32 v16, v7, 16, 1
	v_cndmask_b32_e32 v10, 0x7fc0, v2, vcc_lo
	v_bfe_u32 v2, v12, 16, 1
	v_cmp_o_f32_e32 vcc_lo, v11, v11
	v_bfe_u32 v17, v6, 16, 1
	v_bfe_u32 v18, v13, 16, 1
	s_delay_alu instid0(VALU_DEP_4)
	v_add3_u32 v2, v12, v2, 0x7fff
	v_cndmask_b32_e32 v11, 0x7fc0, v14, vcc_lo
	v_cmp_o_f32_e32 vcc_lo, v5, v5
	v_add3_u32 v14, v7, v16, 0x7fff
	v_add3_u32 v16, v6, v17, 0x7fff
	v_add3_u32 v17, v13, v18, 0x7fff
	v_dual_cndmask_b32 v15, 0x7fc0, v15 :: v_dual_lshrrev_b32 v2, 16, v2
	v_cmp_o_f32_e32 vcc_lo, v12, v12
	s_delay_alu instid0(VALU_DEP_4) | instskip(NEXT) | instid1(VALU_DEP_4)
	v_dual_lshrrev_b32 v5, 16, v16 :: v_dual_lshrrev_b32 v14, 16, v14
	v_lshrrev_b32_e32 v16, 16, v17
	s_delay_alu instid0(VALU_DEP_4) | instskip(SKIP_1) | instid1(VALU_DEP_3)
	v_cndmask_b32_e32 v2, 0x7fc0, v2, vcc_lo
	v_cmp_o_f32_e32 vcc_lo, v13, v13
	v_cndmask_b32_e32 v12, 0x7fc0, v16, vcc_lo
	v_cmp_o_f32_e32 vcc_lo, v7, v7
	;; [unrolled: 2-line block ×4, first 2 shown]
	v_add_nc_u64_e32 v[4:5], v[0:1], v[8:9]
	v_perm_b32 v1, v15, v11, 0x5040100
	s_delay_alu instid0(VALU_DEP_4) | instskip(SKIP_2) | instid1(VALU_DEP_2)
	v_perm_b32 v2, v6, v2, 0x5040100
	v_cndmask_b32_e32 v13, 0x7fc0, v3, vcc_lo
	v_perm_b32 v3, v7, v12, 0x5040100
	v_perm_b32 v0, v13, v10, 0x5040100
	flat_store_b128 v[4:5], v[0:3]
	s_wait_dscnt 0x0
	s_set_pc_i64 s[30:31]
.Lfunc_end27:
	.size	_ZN2at6native25elementwise_kernel_helperILb0EZZZNS0_12_GLOBAL__N_115softplus_kernelERNS_18TensorIteratorBaseERKN3c106ScalarES8_ENKUlvE_clEvENKUlvE2_clEvEUlNS5_8BFloat16EE_NS0_6memory8policies10vectorizedILi8ESt5arrayIPcLm2EELi8EEEEEvT0_T1_, .Lfunc_end27-_ZN2at6native25elementwise_kernel_helperILb0EZZZNS0_12_GLOBAL__N_115softplus_kernelERNS_18TensorIteratorBaseERKN3c106ScalarES8_ENKUlvE_clEvENKUlvE2_clEvEUlNS5_8BFloat16EE_NS0_6memory8policies10vectorizedILi8ESt5arrayIPcLm2EELi8EEEEEvT0_T1_
                                        ; -- End function
	.set .L_ZN2at6native25elementwise_kernel_helperILb0EZZZNS0_12_GLOBAL__N_115softplus_kernelERNS_18TensorIteratorBaseERKN3c106ScalarES8_ENKUlvE_clEvENKUlvE2_clEvEUlNS5_8BFloat16EE_NS0_6memory8policies10vectorizedILi8ESt5arrayIPcLm2EELi8EEEEEvT0_T1_.num_vgpr, 32
	.set .L_ZN2at6native25elementwise_kernel_helperILb0EZZZNS0_12_GLOBAL__N_115softplus_kernelERNS_18TensorIteratorBaseERKN3c106ScalarES8_ENKUlvE_clEvENKUlvE2_clEvEUlNS5_8BFloat16EE_NS0_6memory8policies10vectorizedILi8ESt5arrayIPcLm2EELi8EEEEEvT0_T1_.num_agpr, 0
	.set .L_ZN2at6native25elementwise_kernel_helperILb0EZZZNS0_12_GLOBAL__N_115softplus_kernelERNS_18TensorIteratorBaseERKN3c106ScalarES8_ENKUlvE_clEvENKUlvE2_clEvEUlNS5_8BFloat16EE_NS0_6memory8policies10vectorizedILi8ESt5arrayIPcLm2EELi8EEEEEvT0_T1_.numbered_sgpr, 32
	.set .L_ZN2at6native25elementwise_kernel_helperILb0EZZZNS0_12_GLOBAL__N_115softplus_kernelERNS_18TensorIteratorBaseERKN3c106ScalarES8_ENKUlvE_clEvENKUlvE2_clEvEUlNS5_8BFloat16EE_NS0_6memory8policies10vectorizedILi8ESt5arrayIPcLm2EELi8EEEEEvT0_T1_.num_named_barrier, 0
	.set .L_ZN2at6native25elementwise_kernel_helperILb0EZZZNS0_12_GLOBAL__N_115softplus_kernelERNS_18TensorIteratorBaseERKN3c106ScalarES8_ENKUlvE_clEvENKUlvE2_clEvEUlNS5_8BFloat16EE_NS0_6memory8policies10vectorizedILi8ESt5arrayIPcLm2EELi8EEEEEvT0_T1_.private_seg_size, 0
	.set .L_ZN2at6native25elementwise_kernel_helperILb0EZZZNS0_12_GLOBAL__N_115softplus_kernelERNS_18TensorIteratorBaseERKN3c106ScalarES8_ENKUlvE_clEvENKUlvE2_clEvEUlNS5_8BFloat16EE_NS0_6memory8policies10vectorizedILi8ESt5arrayIPcLm2EELi8EEEEEvT0_T1_.uses_vcc, 1
	.set .L_ZN2at6native25elementwise_kernel_helperILb0EZZZNS0_12_GLOBAL__N_115softplus_kernelERNS_18TensorIteratorBaseERKN3c106ScalarES8_ENKUlvE_clEvENKUlvE2_clEvEUlNS5_8BFloat16EE_NS0_6memory8policies10vectorizedILi8ESt5arrayIPcLm2EELi8EEEEEvT0_T1_.uses_flat_scratch, 0
	.set .L_ZN2at6native25elementwise_kernel_helperILb0EZZZNS0_12_GLOBAL__N_115softplus_kernelERNS_18TensorIteratorBaseERKN3c106ScalarES8_ENKUlvE_clEvENKUlvE2_clEvEUlNS5_8BFloat16EE_NS0_6memory8policies10vectorizedILi8ESt5arrayIPcLm2EELi8EEEEEvT0_T1_.has_dyn_sized_stack, 0
	.set .L_ZN2at6native25elementwise_kernel_helperILb0EZZZNS0_12_GLOBAL__N_115softplus_kernelERNS_18TensorIteratorBaseERKN3c106ScalarES8_ENKUlvE_clEvENKUlvE2_clEvEUlNS5_8BFloat16EE_NS0_6memory8policies10vectorizedILi8ESt5arrayIPcLm2EELi8EEEEEvT0_T1_.has_recursion, 0
	.set .L_ZN2at6native25elementwise_kernel_helperILb0EZZZNS0_12_GLOBAL__N_115softplus_kernelERNS_18TensorIteratorBaseERKN3c106ScalarES8_ENKUlvE_clEvENKUlvE2_clEvEUlNS5_8BFloat16EE_NS0_6memory8policies10vectorizedILi8ESt5arrayIPcLm2EELi8EEEEEvT0_T1_.has_indirect_call, 0
	.section	.AMDGPU.csdata,"",@progbits
; Function info:
; codeLenInByte = 8804
; TotalNumSgprs: 34
; NumVgprs: 32
; ScratchSize: 0
; MemoryBound: 0
	.section	.text._ZN2at6native29vectorized_elementwise_kernelILi16EZZZNS0_12_GLOBAL__N_115softplus_kernelERNS_18TensorIteratorBaseERKN3c106ScalarES8_ENKUlvE_clEvENKUlvE2_clEvEUlNS5_8BFloat16EE_St5arrayIPcLm2EEEEviT0_T1_,"axG",@progbits,_ZN2at6native29vectorized_elementwise_kernelILi16EZZZNS0_12_GLOBAL__N_115softplus_kernelERNS_18TensorIteratorBaseERKN3c106ScalarES8_ENKUlvE_clEvENKUlvE2_clEvEUlNS5_8BFloat16EE_St5arrayIPcLm2EEEEviT0_T1_,comdat
	.globl	_ZN2at6native29vectorized_elementwise_kernelILi16EZZZNS0_12_GLOBAL__N_115softplus_kernelERNS_18TensorIteratorBaseERKN3c106ScalarES8_ENKUlvE_clEvENKUlvE2_clEvEUlNS5_8BFloat16EE_St5arrayIPcLm2EEEEviT0_T1_ ; -- Begin function _ZN2at6native29vectorized_elementwise_kernelILi16EZZZNS0_12_GLOBAL__N_115softplus_kernelERNS_18TensorIteratorBaseERKN3c106ScalarES8_ENKUlvE_clEvENKUlvE2_clEvEUlNS5_8BFloat16EE_St5arrayIPcLm2EEEEviT0_T1_
	.p2align	8
	.type	_ZN2at6native29vectorized_elementwise_kernelILi16EZZZNS0_12_GLOBAL__N_115softplus_kernelERNS_18TensorIteratorBaseERKN3c106ScalarES8_ENKUlvE_clEvENKUlvE2_clEvEUlNS5_8BFloat16EE_St5arrayIPcLm2EEEEviT0_T1_,@function
_ZN2at6native29vectorized_elementwise_kernelILi16EZZZNS0_12_GLOBAL__N_115softplus_kernelERNS_18TensorIteratorBaseERKN3c106ScalarES8_ENKUlvE_clEvENKUlvE2_clEvEUlNS5_8BFloat16EE_St5arrayIPcLm2EEEEviT0_T1_: ; @_ZN2at6native29vectorized_elementwise_kernelILi16EZZZNS0_12_GLOBAL__N_115softplus_kernelERNS_18TensorIteratorBaseERKN3c106ScalarES8_ENKUlvE_clEvENKUlvE2_clEvEUlNS5_8BFloat16EE_St5arrayIPcLm2EEEEviT0_T1_
; %bb.0:
	s_clause 0x1
	s_load_b96 s[8:10], s[0:1], 0x0
	s_load_b128 s[4:7], s[0:1], 0x10
	s_wait_xcnt 0x0
	s_bfe_u32 s0, ttmp6, 0x4000c
	s_and_b32 s1, ttmp6, 15
	s_add_co_i32 s0, s0, 1
	s_getreg_b32 s2, hwreg(HW_REG_IB_STS2, 6, 4)
	s_mul_i32 s0, ttmp9, s0
	v_mov_b32_e32 v31, v0
	s_add_co_i32 s1, s1, s0
	s_cmp_eq_u32 s2, 0
	s_mov_b32 s32, 0
	s_cselect_b32 s0, ttmp9, s1
	s_delay_alu instid0(SALU_CYCLE_1)
	s_lshl_b32 s0, s0, 11
	s_wait_kmcnt 0x0
	s_sub_co_i32 s8, s8, s0
	s_mov_b32 s0, -1
	s_cmp_gt_i32 s8, 0x7ff
	s_cbranch_scc1 .LBB28_3
; %bb.1:
	s_and_not1_b32 vcc_lo, exec_lo, s0
	s_cbranch_vccz .LBB28_4
.LBB28_2:
	s_endpgm
.LBB28_3:
	v_dual_mov_b32 v0, s9 :: v_dual_mov_b32 v1, s10
	v_dual_mov_b32 v2, s4 :: v_dual_mov_b32 v3, s5
	;; [unrolled: 1-line block ×3, first 2 shown]
	s_get_pc_i64 s[0:1]
	s_add_nc_u64 s[0:1], s[0:1], _ZN2at6native25elementwise_kernel_helperILb0EZZZNS0_12_GLOBAL__N_115softplus_kernelERNS_18TensorIteratorBaseERKN3c106ScalarES8_ENKUlvE_clEvENKUlvE2_clEvEUlNS5_8BFloat16EE_NS0_6memory8policies10vectorizedILi8ESt5arrayIPcLm2EELi8EEEEEvT0_T1_@rel64+4
	s_delay_alu instid0(SALU_CYCLE_1)
	s_swap_pc_i64 s[30:31], s[0:1]
	s_cbranch_execnz .LBB28_2
.LBB28_4:
	v_dual_mov_b32 v0, s9 :: v_dual_mov_b32 v1, s10
	v_dual_mov_b32 v2, s4 :: v_dual_mov_b32 v3, s5
	v_dual_mov_b32 v4, s6 :: v_dual_mov_b32 v5, s7
	v_mov_b32_e32 v6, s8
	s_get_pc_i64 s[0:1]
	s_add_nc_u64 s[0:1], s[0:1], _ZN2at6native25elementwise_kernel_helperILb0EZZZNS0_12_GLOBAL__N_115softplus_kernelERNS_18TensorIteratorBaseERKN3c106ScalarES8_ENKUlvE_clEvENKUlvE2_clEvEUlNS5_8BFloat16EE_NS0_6memory8policies11unroll_baseILi256ESt5arrayIPcLm2EE23TrivialOffsetCalculatorILi1EjESK_NSD_15LoadWithoutCastENSD_16StoreWithoutCastELi8ELi1EEEEEvT0_T1_@rel64+4
	s_delay_alu instid0(SALU_CYCLE_1)
	s_swap_pc_i64 s[30:31], s[0:1]
	s_endpgm
	.section	.rodata,"a",@progbits
	.p2align	6, 0x0
	.amdhsa_kernel _ZN2at6native29vectorized_elementwise_kernelILi16EZZZNS0_12_GLOBAL__N_115softplus_kernelERNS_18TensorIteratorBaseERKN3c106ScalarES8_ENKUlvE_clEvENKUlvE2_clEvEUlNS5_8BFloat16EE_St5arrayIPcLm2EEEEviT0_T1_
		.amdhsa_group_segment_fixed_size 0
		.amdhsa_private_segment_fixed_size 0
		.amdhsa_kernarg_size 32
		.amdhsa_user_sgpr_count 2
		.amdhsa_user_sgpr_dispatch_ptr 0
		.amdhsa_user_sgpr_queue_ptr 0
		.amdhsa_user_sgpr_kernarg_segment_ptr 1
		.amdhsa_user_sgpr_dispatch_id 0
		.amdhsa_user_sgpr_kernarg_preload_length 0
		.amdhsa_user_sgpr_kernarg_preload_offset 0
		.amdhsa_user_sgpr_private_segment_size 0
		.amdhsa_wavefront_size32 1
		.amdhsa_uses_dynamic_stack 0
		.amdhsa_enable_private_segment 0
		.amdhsa_system_sgpr_workgroup_id_x 1
		.amdhsa_system_sgpr_workgroup_id_y 0
		.amdhsa_system_sgpr_workgroup_id_z 0
		.amdhsa_system_sgpr_workgroup_info 0
		.amdhsa_system_vgpr_workitem_id 0
		.amdhsa_next_free_vgpr 35
		.amdhsa_next_free_sgpr 33
		.amdhsa_named_barrier_count 0
		.amdhsa_reserve_vcc 1
		.amdhsa_float_round_mode_32 0
		.amdhsa_float_round_mode_16_64 0
		.amdhsa_float_denorm_mode_32 3
		.amdhsa_float_denorm_mode_16_64 3
		.amdhsa_fp16_overflow 0
		.amdhsa_memory_ordered 1
		.amdhsa_forward_progress 1
		.amdhsa_inst_pref_size 2
		.amdhsa_round_robin_scheduling 0
		.amdhsa_exception_fp_ieee_invalid_op 0
		.amdhsa_exception_fp_denorm_src 0
		.amdhsa_exception_fp_ieee_div_zero 0
		.amdhsa_exception_fp_ieee_overflow 0
		.amdhsa_exception_fp_ieee_underflow 0
		.amdhsa_exception_fp_ieee_inexact 0
		.amdhsa_exception_int_div_zero 0
	.end_amdhsa_kernel
	.section	.text._ZN2at6native29vectorized_elementwise_kernelILi16EZZZNS0_12_GLOBAL__N_115softplus_kernelERNS_18TensorIteratorBaseERKN3c106ScalarES8_ENKUlvE_clEvENKUlvE2_clEvEUlNS5_8BFloat16EE_St5arrayIPcLm2EEEEviT0_T1_,"axG",@progbits,_ZN2at6native29vectorized_elementwise_kernelILi16EZZZNS0_12_GLOBAL__N_115softplus_kernelERNS_18TensorIteratorBaseERKN3c106ScalarES8_ENKUlvE_clEvENKUlvE2_clEvEUlNS5_8BFloat16EE_St5arrayIPcLm2EEEEviT0_T1_,comdat
.Lfunc_end28:
	.size	_ZN2at6native29vectorized_elementwise_kernelILi16EZZZNS0_12_GLOBAL__N_115softplus_kernelERNS_18TensorIteratorBaseERKN3c106ScalarES8_ENKUlvE_clEvENKUlvE2_clEvEUlNS5_8BFloat16EE_St5arrayIPcLm2EEEEviT0_T1_, .Lfunc_end28-_ZN2at6native29vectorized_elementwise_kernelILi16EZZZNS0_12_GLOBAL__N_115softplus_kernelERNS_18TensorIteratorBaseERKN3c106ScalarES8_ENKUlvE_clEvENKUlvE2_clEvEUlNS5_8BFloat16EE_St5arrayIPcLm2EEEEviT0_T1_
                                        ; -- End function
	.set _ZN2at6native29vectorized_elementwise_kernelILi16EZZZNS0_12_GLOBAL__N_115softplus_kernelERNS_18TensorIteratorBaseERKN3c106ScalarES8_ENKUlvE_clEvENKUlvE2_clEvEUlNS5_8BFloat16EE_St5arrayIPcLm2EEEEviT0_T1_.num_vgpr, max(32, .L_ZN2at6native25elementwise_kernel_helperILb0EZZZNS0_12_GLOBAL__N_115softplus_kernelERNS_18TensorIteratorBaseERKN3c106ScalarES8_ENKUlvE_clEvENKUlvE2_clEvEUlNS5_8BFloat16EE_NS0_6memory8policies10vectorizedILi8ESt5arrayIPcLm2EELi8EEEEEvT0_T1_.num_vgpr, .L_ZN2at6native25elementwise_kernel_helperILb0EZZZNS0_12_GLOBAL__N_115softplus_kernelERNS_18TensorIteratorBaseERKN3c106ScalarES8_ENKUlvE_clEvENKUlvE2_clEvEUlNS5_8BFloat16EE_NS0_6memory8policies11unroll_baseILi256ESt5arrayIPcLm2EE23TrivialOffsetCalculatorILi1EjESK_NSD_15LoadWithoutCastENSD_16StoreWithoutCastELi8ELi1EEEEEvT0_T1_.num_vgpr)
	.set _ZN2at6native29vectorized_elementwise_kernelILi16EZZZNS0_12_GLOBAL__N_115softplus_kernelERNS_18TensorIteratorBaseERKN3c106ScalarES8_ENKUlvE_clEvENKUlvE2_clEvEUlNS5_8BFloat16EE_St5arrayIPcLm2EEEEviT0_T1_.num_agpr, max(0, .L_ZN2at6native25elementwise_kernel_helperILb0EZZZNS0_12_GLOBAL__N_115softplus_kernelERNS_18TensorIteratorBaseERKN3c106ScalarES8_ENKUlvE_clEvENKUlvE2_clEvEUlNS5_8BFloat16EE_NS0_6memory8policies10vectorizedILi8ESt5arrayIPcLm2EELi8EEEEEvT0_T1_.num_agpr, .L_ZN2at6native25elementwise_kernel_helperILb0EZZZNS0_12_GLOBAL__N_115softplus_kernelERNS_18TensorIteratorBaseERKN3c106ScalarES8_ENKUlvE_clEvENKUlvE2_clEvEUlNS5_8BFloat16EE_NS0_6memory8policies11unroll_baseILi256ESt5arrayIPcLm2EE23TrivialOffsetCalculatorILi1EjESK_NSD_15LoadWithoutCastENSD_16StoreWithoutCastELi8ELi1EEEEEvT0_T1_.num_agpr)
	.set _ZN2at6native29vectorized_elementwise_kernelILi16EZZZNS0_12_GLOBAL__N_115softplus_kernelERNS_18TensorIteratorBaseERKN3c106ScalarES8_ENKUlvE_clEvENKUlvE2_clEvEUlNS5_8BFloat16EE_St5arrayIPcLm2EEEEviT0_T1_.numbered_sgpr, max(33, .L_ZN2at6native25elementwise_kernel_helperILb0EZZZNS0_12_GLOBAL__N_115softplus_kernelERNS_18TensorIteratorBaseERKN3c106ScalarES8_ENKUlvE_clEvENKUlvE2_clEvEUlNS5_8BFloat16EE_NS0_6memory8policies10vectorizedILi8ESt5arrayIPcLm2EELi8EEEEEvT0_T1_.numbered_sgpr, .L_ZN2at6native25elementwise_kernel_helperILb0EZZZNS0_12_GLOBAL__N_115softplus_kernelERNS_18TensorIteratorBaseERKN3c106ScalarES8_ENKUlvE_clEvENKUlvE2_clEvEUlNS5_8BFloat16EE_NS0_6memory8policies11unroll_baseILi256ESt5arrayIPcLm2EE23TrivialOffsetCalculatorILi1EjESK_NSD_15LoadWithoutCastENSD_16StoreWithoutCastELi8ELi1EEEEEvT0_T1_.numbered_sgpr)
	.set _ZN2at6native29vectorized_elementwise_kernelILi16EZZZNS0_12_GLOBAL__N_115softplus_kernelERNS_18TensorIteratorBaseERKN3c106ScalarES8_ENKUlvE_clEvENKUlvE2_clEvEUlNS5_8BFloat16EE_St5arrayIPcLm2EEEEviT0_T1_.num_named_barrier, max(0, .L_ZN2at6native25elementwise_kernel_helperILb0EZZZNS0_12_GLOBAL__N_115softplus_kernelERNS_18TensorIteratorBaseERKN3c106ScalarES8_ENKUlvE_clEvENKUlvE2_clEvEUlNS5_8BFloat16EE_NS0_6memory8policies10vectorizedILi8ESt5arrayIPcLm2EELi8EEEEEvT0_T1_.num_named_barrier, .L_ZN2at6native25elementwise_kernel_helperILb0EZZZNS0_12_GLOBAL__N_115softplus_kernelERNS_18TensorIteratorBaseERKN3c106ScalarES8_ENKUlvE_clEvENKUlvE2_clEvEUlNS5_8BFloat16EE_NS0_6memory8policies11unroll_baseILi256ESt5arrayIPcLm2EE23TrivialOffsetCalculatorILi1EjESK_NSD_15LoadWithoutCastENSD_16StoreWithoutCastELi8ELi1EEEEEvT0_T1_.num_named_barrier)
	.set _ZN2at6native29vectorized_elementwise_kernelILi16EZZZNS0_12_GLOBAL__N_115softplus_kernelERNS_18TensorIteratorBaseERKN3c106ScalarES8_ENKUlvE_clEvENKUlvE2_clEvEUlNS5_8BFloat16EE_St5arrayIPcLm2EEEEviT0_T1_.private_seg_size, 0+max(.L_ZN2at6native25elementwise_kernel_helperILb0EZZZNS0_12_GLOBAL__N_115softplus_kernelERNS_18TensorIteratorBaseERKN3c106ScalarES8_ENKUlvE_clEvENKUlvE2_clEvEUlNS5_8BFloat16EE_NS0_6memory8policies10vectorizedILi8ESt5arrayIPcLm2EELi8EEEEEvT0_T1_.private_seg_size, .L_ZN2at6native25elementwise_kernel_helperILb0EZZZNS0_12_GLOBAL__N_115softplus_kernelERNS_18TensorIteratorBaseERKN3c106ScalarES8_ENKUlvE_clEvENKUlvE2_clEvEUlNS5_8BFloat16EE_NS0_6memory8policies11unroll_baseILi256ESt5arrayIPcLm2EE23TrivialOffsetCalculatorILi1EjESK_NSD_15LoadWithoutCastENSD_16StoreWithoutCastELi8ELi1EEEEEvT0_T1_.private_seg_size)
	.set _ZN2at6native29vectorized_elementwise_kernelILi16EZZZNS0_12_GLOBAL__N_115softplus_kernelERNS_18TensorIteratorBaseERKN3c106ScalarES8_ENKUlvE_clEvENKUlvE2_clEvEUlNS5_8BFloat16EE_St5arrayIPcLm2EEEEviT0_T1_.uses_vcc, or(1, .L_ZN2at6native25elementwise_kernel_helperILb0EZZZNS0_12_GLOBAL__N_115softplus_kernelERNS_18TensorIteratorBaseERKN3c106ScalarES8_ENKUlvE_clEvENKUlvE2_clEvEUlNS5_8BFloat16EE_NS0_6memory8policies10vectorizedILi8ESt5arrayIPcLm2EELi8EEEEEvT0_T1_.uses_vcc, .L_ZN2at6native25elementwise_kernel_helperILb0EZZZNS0_12_GLOBAL__N_115softplus_kernelERNS_18TensorIteratorBaseERKN3c106ScalarES8_ENKUlvE_clEvENKUlvE2_clEvEUlNS5_8BFloat16EE_NS0_6memory8policies11unroll_baseILi256ESt5arrayIPcLm2EE23TrivialOffsetCalculatorILi1EjESK_NSD_15LoadWithoutCastENSD_16StoreWithoutCastELi8ELi1EEEEEvT0_T1_.uses_vcc)
	.set _ZN2at6native29vectorized_elementwise_kernelILi16EZZZNS0_12_GLOBAL__N_115softplus_kernelERNS_18TensorIteratorBaseERKN3c106ScalarES8_ENKUlvE_clEvENKUlvE2_clEvEUlNS5_8BFloat16EE_St5arrayIPcLm2EEEEviT0_T1_.uses_flat_scratch, or(0, .L_ZN2at6native25elementwise_kernel_helperILb0EZZZNS0_12_GLOBAL__N_115softplus_kernelERNS_18TensorIteratorBaseERKN3c106ScalarES8_ENKUlvE_clEvENKUlvE2_clEvEUlNS5_8BFloat16EE_NS0_6memory8policies10vectorizedILi8ESt5arrayIPcLm2EELi8EEEEEvT0_T1_.uses_flat_scratch, .L_ZN2at6native25elementwise_kernel_helperILb0EZZZNS0_12_GLOBAL__N_115softplus_kernelERNS_18TensorIteratorBaseERKN3c106ScalarES8_ENKUlvE_clEvENKUlvE2_clEvEUlNS5_8BFloat16EE_NS0_6memory8policies11unroll_baseILi256ESt5arrayIPcLm2EE23TrivialOffsetCalculatorILi1EjESK_NSD_15LoadWithoutCastENSD_16StoreWithoutCastELi8ELi1EEEEEvT0_T1_.uses_flat_scratch)
	.set _ZN2at6native29vectorized_elementwise_kernelILi16EZZZNS0_12_GLOBAL__N_115softplus_kernelERNS_18TensorIteratorBaseERKN3c106ScalarES8_ENKUlvE_clEvENKUlvE2_clEvEUlNS5_8BFloat16EE_St5arrayIPcLm2EEEEviT0_T1_.has_dyn_sized_stack, or(0, .L_ZN2at6native25elementwise_kernel_helperILb0EZZZNS0_12_GLOBAL__N_115softplus_kernelERNS_18TensorIteratorBaseERKN3c106ScalarES8_ENKUlvE_clEvENKUlvE2_clEvEUlNS5_8BFloat16EE_NS0_6memory8policies10vectorizedILi8ESt5arrayIPcLm2EELi8EEEEEvT0_T1_.has_dyn_sized_stack, .L_ZN2at6native25elementwise_kernel_helperILb0EZZZNS0_12_GLOBAL__N_115softplus_kernelERNS_18TensorIteratorBaseERKN3c106ScalarES8_ENKUlvE_clEvENKUlvE2_clEvEUlNS5_8BFloat16EE_NS0_6memory8policies11unroll_baseILi256ESt5arrayIPcLm2EE23TrivialOffsetCalculatorILi1EjESK_NSD_15LoadWithoutCastENSD_16StoreWithoutCastELi8ELi1EEEEEvT0_T1_.has_dyn_sized_stack)
	.set _ZN2at6native29vectorized_elementwise_kernelILi16EZZZNS0_12_GLOBAL__N_115softplus_kernelERNS_18TensorIteratorBaseERKN3c106ScalarES8_ENKUlvE_clEvENKUlvE2_clEvEUlNS5_8BFloat16EE_St5arrayIPcLm2EEEEviT0_T1_.has_recursion, or(0, .L_ZN2at6native25elementwise_kernel_helperILb0EZZZNS0_12_GLOBAL__N_115softplus_kernelERNS_18TensorIteratorBaseERKN3c106ScalarES8_ENKUlvE_clEvENKUlvE2_clEvEUlNS5_8BFloat16EE_NS0_6memory8policies10vectorizedILi8ESt5arrayIPcLm2EELi8EEEEEvT0_T1_.has_recursion, .L_ZN2at6native25elementwise_kernel_helperILb0EZZZNS0_12_GLOBAL__N_115softplus_kernelERNS_18TensorIteratorBaseERKN3c106ScalarES8_ENKUlvE_clEvENKUlvE2_clEvEUlNS5_8BFloat16EE_NS0_6memory8policies11unroll_baseILi256ESt5arrayIPcLm2EE23TrivialOffsetCalculatorILi1EjESK_NSD_15LoadWithoutCastENSD_16StoreWithoutCastELi8ELi1EEEEEvT0_T1_.has_recursion)
	.set _ZN2at6native29vectorized_elementwise_kernelILi16EZZZNS0_12_GLOBAL__N_115softplus_kernelERNS_18TensorIteratorBaseERKN3c106ScalarES8_ENKUlvE_clEvENKUlvE2_clEvEUlNS5_8BFloat16EE_St5arrayIPcLm2EEEEviT0_T1_.has_indirect_call, or(0, .L_ZN2at6native25elementwise_kernel_helperILb0EZZZNS0_12_GLOBAL__N_115softplus_kernelERNS_18TensorIteratorBaseERKN3c106ScalarES8_ENKUlvE_clEvENKUlvE2_clEvEUlNS5_8BFloat16EE_NS0_6memory8policies10vectorizedILi8ESt5arrayIPcLm2EELi8EEEEEvT0_T1_.has_indirect_call, .L_ZN2at6native25elementwise_kernel_helperILb0EZZZNS0_12_GLOBAL__N_115softplus_kernelERNS_18TensorIteratorBaseERKN3c106ScalarES8_ENKUlvE_clEvENKUlvE2_clEvEUlNS5_8BFloat16EE_NS0_6memory8policies11unroll_baseILi256ESt5arrayIPcLm2EE23TrivialOffsetCalculatorILi1EjESK_NSD_15LoadWithoutCastENSD_16StoreWithoutCastELi8ELi1EEEEEvT0_T1_.has_indirect_call)
	.section	.AMDGPU.csdata,"",@progbits
; Kernel info:
; codeLenInByte = 220
; TotalNumSgprs: 35
; NumVgprs: 35
; ScratchSize: 0
; MemoryBound: 0
; FloatMode: 240
; IeeeMode: 1
; LDSByteSize: 0 bytes/workgroup (compile time only)
; SGPRBlocks: 0
; VGPRBlocks: 2
; NumSGPRsForWavesPerEU: 35
; NumVGPRsForWavesPerEU: 35
; NamedBarCnt: 0
; Occupancy: 16
; WaveLimiterHint : 0
; COMPUTE_PGM_RSRC2:SCRATCH_EN: 0
; COMPUTE_PGM_RSRC2:USER_SGPR: 2
; COMPUTE_PGM_RSRC2:TRAP_HANDLER: 0
; COMPUTE_PGM_RSRC2:TGID_X_EN: 1
; COMPUTE_PGM_RSRC2:TGID_Y_EN: 0
; COMPUTE_PGM_RSRC2:TGID_Z_EN: 0
; COMPUTE_PGM_RSRC2:TIDIG_COMP_CNT: 0
	.section	.text._ZN2at6native29vectorized_elementwise_kernelILi8EZZZNS0_12_GLOBAL__N_115softplus_kernelERNS_18TensorIteratorBaseERKN3c106ScalarES8_ENKUlvE_clEvENKUlvE2_clEvEUlNS5_8BFloat16EE_St5arrayIPcLm2EEEEviT0_T1_,"axG",@progbits,_ZN2at6native29vectorized_elementwise_kernelILi8EZZZNS0_12_GLOBAL__N_115softplus_kernelERNS_18TensorIteratorBaseERKN3c106ScalarES8_ENKUlvE_clEvENKUlvE2_clEvEUlNS5_8BFloat16EE_St5arrayIPcLm2EEEEviT0_T1_,comdat
	.globl	_ZN2at6native29vectorized_elementwise_kernelILi8EZZZNS0_12_GLOBAL__N_115softplus_kernelERNS_18TensorIteratorBaseERKN3c106ScalarES8_ENKUlvE_clEvENKUlvE2_clEvEUlNS5_8BFloat16EE_St5arrayIPcLm2EEEEviT0_T1_ ; -- Begin function _ZN2at6native29vectorized_elementwise_kernelILi8EZZZNS0_12_GLOBAL__N_115softplus_kernelERNS_18TensorIteratorBaseERKN3c106ScalarES8_ENKUlvE_clEvENKUlvE2_clEvEUlNS5_8BFloat16EE_St5arrayIPcLm2EEEEviT0_T1_
	.p2align	8
	.type	_ZN2at6native29vectorized_elementwise_kernelILi8EZZZNS0_12_GLOBAL__N_115softplus_kernelERNS_18TensorIteratorBaseERKN3c106ScalarES8_ENKUlvE_clEvENKUlvE2_clEvEUlNS5_8BFloat16EE_St5arrayIPcLm2EEEEviT0_T1_,@function
_ZN2at6native29vectorized_elementwise_kernelILi8EZZZNS0_12_GLOBAL__N_115softplus_kernelERNS_18TensorIteratorBaseERKN3c106ScalarES8_ENKUlvE_clEvENKUlvE2_clEvEUlNS5_8BFloat16EE_St5arrayIPcLm2EEEEviT0_T1_: ; @_ZN2at6native29vectorized_elementwise_kernelILi8EZZZNS0_12_GLOBAL__N_115softplus_kernelERNS_18TensorIteratorBaseERKN3c106ScalarES8_ENKUlvE_clEvENKUlvE2_clEvEUlNS5_8BFloat16EE_St5arrayIPcLm2EEEEviT0_T1_
; %bb.0:
	s_clause 0x1
	s_load_b96 s[8:10], s[0:1], 0x0
	s_load_b128 s[4:7], s[0:1], 0x10
	s_wait_xcnt 0x0
	s_bfe_u32 s0, ttmp6, 0x4000c
	s_and_b32 s1, ttmp6, 15
	s_add_co_i32 s0, s0, 1
	s_getreg_b32 s2, hwreg(HW_REG_IB_STS2, 6, 4)
	s_mul_i32 s0, ttmp9, s0
	v_mov_b32_e32 v31, v0
	s_add_co_i32 s1, s1, s0
	s_cmp_eq_u32 s2, 0
	s_mov_b32 s32, 0
	s_cselect_b32 s0, ttmp9, s1
	s_delay_alu instid0(SALU_CYCLE_1)
	s_lshl_b32 s0, s0, 11
	s_wait_kmcnt 0x0
	s_sub_co_i32 s8, s8, s0
	s_mov_b32 s0, -1
	s_cmp_gt_i32 s8, 0x7ff
	s_cbranch_scc1 .LBB29_3
; %bb.1:
	s_and_not1_b32 vcc_lo, exec_lo, s0
	s_cbranch_vccz .LBB29_4
.LBB29_2:
	s_endpgm
.LBB29_3:
	v_dual_mov_b32 v0, s9 :: v_dual_mov_b32 v1, s10
	v_dual_mov_b32 v2, s4 :: v_dual_mov_b32 v3, s5
	v_dual_mov_b32 v4, s6 :: v_dual_mov_b32 v5, s7
	s_get_pc_i64 s[0:1]
	s_add_nc_u64 s[0:1], s[0:1], _ZN2at6native25elementwise_kernel_helperILb0EZZZNS0_12_GLOBAL__N_115softplus_kernelERNS_18TensorIteratorBaseERKN3c106ScalarES8_ENKUlvE_clEvENKUlvE2_clEvEUlNS5_8BFloat16EE_NS0_6memory8policies10vectorizedILi8ESt5arrayIPcLm2EELi8EEEEEvT0_T1_@rel64+4
	s_delay_alu instid0(SALU_CYCLE_1)
	s_swap_pc_i64 s[30:31], s[0:1]
	s_cbranch_execnz .LBB29_2
.LBB29_4:
	v_dual_mov_b32 v0, s9 :: v_dual_mov_b32 v1, s10
	v_dual_mov_b32 v2, s4 :: v_dual_mov_b32 v3, s5
	;; [unrolled: 1-line block ×3, first 2 shown]
	v_mov_b32_e32 v6, s8
	s_get_pc_i64 s[0:1]
	s_add_nc_u64 s[0:1], s[0:1], _ZN2at6native25elementwise_kernel_helperILb0EZZZNS0_12_GLOBAL__N_115softplus_kernelERNS_18TensorIteratorBaseERKN3c106ScalarES8_ENKUlvE_clEvENKUlvE2_clEvEUlNS5_8BFloat16EE_NS0_6memory8policies11unroll_baseILi256ESt5arrayIPcLm2EE23TrivialOffsetCalculatorILi1EjESK_NSD_15LoadWithoutCastENSD_16StoreWithoutCastELi8ELi1EEEEEvT0_T1_@rel64+4
	s_delay_alu instid0(SALU_CYCLE_1)
	s_swap_pc_i64 s[30:31], s[0:1]
	s_endpgm
	.section	.rodata,"a",@progbits
	.p2align	6, 0x0
	.amdhsa_kernel _ZN2at6native29vectorized_elementwise_kernelILi8EZZZNS0_12_GLOBAL__N_115softplus_kernelERNS_18TensorIteratorBaseERKN3c106ScalarES8_ENKUlvE_clEvENKUlvE2_clEvEUlNS5_8BFloat16EE_St5arrayIPcLm2EEEEviT0_T1_
		.amdhsa_group_segment_fixed_size 0
		.amdhsa_private_segment_fixed_size 0
		.amdhsa_kernarg_size 32
		.amdhsa_user_sgpr_count 2
		.amdhsa_user_sgpr_dispatch_ptr 0
		.amdhsa_user_sgpr_queue_ptr 0
		.amdhsa_user_sgpr_kernarg_segment_ptr 1
		.amdhsa_user_sgpr_dispatch_id 0
		.amdhsa_user_sgpr_kernarg_preload_length 0
		.amdhsa_user_sgpr_kernarg_preload_offset 0
		.amdhsa_user_sgpr_private_segment_size 0
		.amdhsa_wavefront_size32 1
		.amdhsa_uses_dynamic_stack 0
		.amdhsa_enable_private_segment 0
		.amdhsa_system_sgpr_workgroup_id_x 1
		.amdhsa_system_sgpr_workgroup_id_y 0
		.amdhsa_system_sgpr_workgroup_id_z 0
		.amdhsa_system_sgpr_workgroup_info 0
		.amdhsa_system_vgpr_workitem_id 0
		.amdhsa_next_free_vgpr 35
		.amdhsa_next_free_sgpr 33
		.amdhsa_named_barrier_count 0
		.amdhsa_reserve_vcc 1
		.amdhsa_float_round_mode_32 0
		.amdhsa_float_round_mode_16_64 0
		.amdhsa_float_denorm_mode_32 3
		.amdhsa_float_denorm_mode_16_64 3
		.amdhsa_fp16_overflow 0
		.amdhsa_memory_ordered 1
		.amdhsa_forward_progress 1
		.amdhsa_inst_pref_size 2
		.amdhsa_round_robin_scheduling 0
		.amdhsa_exception_fp_ieee_invalid_op 0
		.amdhsa_exception_fp_denorm_src 0
		.amdhsa_exception_fp_ieee_div_zero 0
		.amdhsa_exception_fp_ieee_overflow 0
		.amdhsa_exception_fp_ieee_underflow 0
		.amdhsa_exception_fp_ieee_inexact 0
		.amdhsa_exception_int_div_zero 0
	.end_amdhsa_kernel
	.section	.text._ZN2at6native29vectorized_elementwise_kernelILi8EZZZNS0_12_GLOBAL__N_115softplus_kernelERNS_18TensorIteratorBaseERKN3c106ScalarES8_ENKUlvE_clEvENKUlvE2_clEvEUlNS5_8BFloat16EE_St5arrayIPcLm2EEEEviT0_T1_,"axG",@progbits,_ZN2at6native29vectorized_elementwise_kernelILi8EZZZNS0_12_GLOBAL__N_115softplus_kernelERNS_18TensorIteratorBaseERKN3c106ScalarES8_ENKUlvE_clEvENKUlvE2_clEvEUlNS5_8BFloat16EE_St5arrayIPcLm2EEEEviT0_T1_,comdat
.Lfunc_end29:
	.size	_ZN2at6native29vectorized_elementwise_kernelILi8EZZZNS0_12_GLOBAL__N_115softplus_kernelERNS_18TensorIteratorBaseERKN3c106ScalarES8_ENKUlvE_clEvENKUlvE2_clEvEUlNS5_8BFloat16EE_St5arrayIPcLm2EEEEviT0_T1_, .Lfunc_end29-_ZN2at6native29vectorized_elementwise_kernelILi8EZZZNS0_12_GLOBAL__N_115softplus_kernelERNS_18TensorIteratorBaseERKN3c106ScalarES8_ENKUlvE_clEvENKUlvE2_clEvEUlNS5_8BFloat16EE_St5arrayIPcLm2EEEEviT0_T1_
                                        ; -- End function
	.set _ZN2at6native29vectorized_elementwise_kernelILi8EZZZNS0_12_GLOBAL__N_115softplus_kernelERNS_18TensorIteratorBaseERKN3c106ScalarES8_ENKUlvE_clEvENKUlvE2_clEvEUlNS5_8BFloat16EE_St5arrayIPcLm2EEEEviT0_T1_.num_vgpr, max(32, .L_ZN2at6native25elementwise_kernel_helperILb0EZZZNS0_12_GLOBAL__N_115softplus_kernelERNS_18TensorIteratorBaseERKN3c106ScalarES8_ENKUlvE_clEvENKUlvE2_clEvEUlNS5_8BFloat16EE_NS0_6memory8policies10vectorizedILi8ESt5arrayIPcLm2EELi8EEEEEvT0_T1_.num_vgpr, .L_ZN2at6native25elementwise_kernel_helperILb0EZZZNS0_12_GLOBAL__N_115softplus_kernelERNS_18TensorIteratorBaseERKN3c106ScalarES8_ENKUlvE_clEvENKUlvE2_clEvEUlNS5_8BFloat16EE_NS0_6memory8policies11unroll_baseILi256ESt5arrayIPcLm2EE23TrivialOffsetCalculatorILi1EjESK_NSD_15LoadWithoutCastENSD_16StoreWithoutCastELi8ELi1EEEEEvT0_T1_.num_vgpr)
	.set _ZN2at6native29vectorized_elementwise_kernelILi8EZZZNS0_12_GLOBAL__N_115softplus_kernelERNS_18TensorIteratorBaseERKN3c106ScalarES8_ENKUlvE_clEvENKUlvE2_clEvEUlNS5_8BFloat16EE_St5arrayIPcLm2EEEEviT0_T1_.num_agpr, max(0, .L_ZN2at6native25elementwise_kernel_helperILb0EZZZNS0_12_GLOBAL__N_115softplus_kernelERNS_18TensorIteratorBaseERKN3c106ScalarES8_ENKUlvE_clEvENKUlvE2_clEvEUlNS5_8BFloat16EE_NS0_6memory8policies10vectorizedILi8ESt5arrayIPcLm2EELi8EEEEEvT0_T1_.num_agpr, .L_ZN2at6native25elementwise_kernel_helperILb0EZZZNS0_12_GLOBAL__N_115softplus_kernelERNS_18TensorIteratorBaseERKN3c106ScalarES8_ENKUlvE_clEvENKUlvE2_clEvEUlNS5_8BFloat16EE_NS0_6memory8policies11unroll_baseILi256ESt5arrayIPcLm2EE23TrivialOffsetCalculatorILi1EjESK_NSD_15LoadWithoutCastENSD_16StoreWithoutCastELi8ELi1EEEEEvT0_T1_.num_agpr)
	.set _ZN2at6native29vectorized_elementwise_kernelILi8EZZZNS0_12_GLOBAL__N_115softplus_kernelERNS_18TensorIteratorBaseERKN3c106ScalarES8_ENKUlvE_clEvENKUlvE2_clEvEUlNS5_8BFloat16EE_St5arrayIPcLm2EEEEviT0_T1_.numbered_sgpr, max(33, .L_ZN2at6native25elementwise_kernel_helperILb0EZZZNS0_12_GLOBAL__N_115softplus_kernelERNS_18TensorIteratorBaseERKN3c106ScalarES8_ENKUlvE_clEvENKUlvE2_clEvEUlNS5_8BFloat16EE_NS0_6memory8policies10vectorizedILi8ESt5arrayIPcLm2EELi8EEEEEvT0_T1_.numbered_sgpr, .L_ZN2at6native25elementwise_kernel_helperILb0EZZZNS0_12_GLOBAL__N_115softplus_kernelERNS_18TensorIteratorBaseERKN3c106ScalarES8_ENKUlvE_clEvENKUlvE2_clEvEUlNS5_8BFloat16EE_NS0_6memory8policies11unroll_baseILi256ESt5arrayIPcLm2EE23TrivialOffsetCalculatorILi1EjESK_NSD_15LoadWithoutCastENSD_16StoreWithoutCastELi8ELi1EEEEEvT0_T1_.numbered_sgpr)
	.set _ZN2at6native29vectorized_elementwise_kernelILi8EZZZNS0_12_GLOBAL__N_115softplus_kernelERNS_18TensorIteratorBaseERKN3c106ScalarES8_ENKUlvE_clEvENKUlvE2_clEvEUlNS5_8BFloat16EE_St5arrayIPcLm2EEEEviT0_T1_.num_named_barrier, max(0, .L_ZN2at6native25elementwise_kernel_helperILb0EZZZNS0_12_GLOBAL__N_115softplus_kernelERNS_18TensorIteratorBaseERKN3c106ScalarES8_ENKUlvE_clEvENKUlvE2_clEvEUlNS5_8BFloat16EE_NS0_6memory8policies10vectorizedILi8ESt5arrayIPcLm2EELi8EEEEEvT0_T1_.num_named_barrier, .L_ZN2at6native25elementwise_kernel_helperILb0EZZZNS0_12_GLOBAL__N_115softplus_kernelERNS_18TensorIteratorBaseERKN3c106ScalarES8_ENKUlvE_clEvENKUlvE2_clEvEUlNS5_8BFloat16EE_NS0_6memory8policies11unroll_baseILi256ESt5arrayIPcLm2EE23TrivialOffsetCalculatorILi1EjESK_NSD_15LoadWithoutCastENSD_16StoreWithoutCastELi8ELi1EEEEEvT0_T1_.num_named_barrier)
	.set _ZN2at6native29vectorized_elementwise_kernelILi8EZZZNS0_12_GLOBAL__N_115softplus_kernelERNS_18TensorIteratorBaseERKN3c106ScalarES8_ENKUlvE_clEvENKUlvE2_clEvEUlNS5_8BFloat16EE_St5arrayIPcLm2EEEEviT0_T1_.private_seg_size, 0+max(.L_ZN2at6native25elementwise_kernel_helperILb0EZZZNS0_12_GLOBAL__N_115softplus_kernelERNS_18TensorIteratorBaseERKN3c106ScalarES8_ENKUlvE_clEvENKUlvE2_clEvEUlNS5_8BFloat16EE_NS0_6memory8policies10vectorizedILi8ESt5arrayIPcLm2EELi8EEEEEvT0_T1_.private_seg_size, .L_ZN2at6native25elementwise_kernel_helperILb0EZZZNS0_12_GLOBAL__N_115softplus_kernelERNS_18TensorIteratorBaseERKN3c106ScalarES8_ENKUlvE_clEvENKUlvE2_clEvEUlNS5_8BFloat16EE_NS0_6memory8policies11unroll_baseILi256ESt5arrayIPcLm2EE23TrivialOffsetCalculatorILi1EjESK_NSD_15LoadWithoutCastENSD_16StoreWithoutCastELi8ELi1EEEEEvT0_T1_.private_seg_size)
	.set _ZN2at6native29vectorized_elementwise_kernelILi8EZZZNS0_12_GLOBAL__N_115softplus_kernelERNS_18TensorIteratorBaseERKN3c106ScalarES8_ENKUlvE_clEvENKUlvE2_clEvEUlNS5_8BFloat16EE_St5arrayIPcLm2EEEEviT0_T1_.uses_vcc, or(1, .L_ZN2at6native25elementwise_kernel_helperILb0EZZZNS0_12_GLOBAL__N_115softplus_kernelERNS_18TensorIteratorBaseERKN3c106ScalarES8_ENKUlvE_clEvENKUlvE2_clEvEUlNS5_8BFloat16EE_NS0_6memory8policies10vectorizedILi8ESt5arrayIPcLm2EELi8EEEEEvT0_T1_.uses_vcc, .L_ZN2at6native25elementwise_kernel_helperILb0EZZZNS0_12_GLOBAL__N_115softplus_kernelERNS_18TensorIteratorBaseERKN3c106ScalarES8_ENKUlvE_clEvENKUlvE2_clEvEUlNS5_8BFloat16EE_NS0_6memory8policies11unroll_baseILi256ESt5arrayIPcLm2EE23TrivialOffsetCalculatorILi1EjESK_NSD_15LoadWithoutCastENSD_16StoreWithoutCastELi8ELi1EEEEEvT0_T1_.uses_vcc)
	.set _ZN2at6native29vectorized_elementwise_kernelILi8EZZZNS0_12_GLOBAL__N_115softplus_kernelERNS_18TensorIteratorBaseERKN3c106ScalarES8_ENKUlvE_clEvENKUlvE2_clEvEUlNS5_8BFloat16EE_St5arrayIPcLm2EEEEviT0_T1_.uses_flat_scratch, or(0, .L_ZN2at6native25elementwise_kernel_helperILb0EZZZNS0_12_GLOBAL__N_115softplus_kernelERNS_18TensorIteratorBaseERKN3c106ScalarES8_ENKUlvE_clEvENKUlvE2_clEvEUlNS5_8BFloat16EE_NS0_6memory8policies10vectorizedILi8ESt5arrayIPcLm2EELi8EEEEEvT0_T1_.uses_flat_scratch, .L_ZN2at6native25elementwise_kernel_helperILb0EZZZNS0_12_GLOBAL__N_115softplus_kernelERNS_18TensorIteratorBaseERKN3c106ScalarES8_ENKUlvE_clEvENKUlvE2_clEvEUlNS5_8BFloat16EE_NS0_6memory8policies11unroll_baseILi256ESt5arrayIPcLm2EE23TrivialOffsetCalculatorILi1EjESK_NSD_15LoadWithoutCastENSD_16StoreWithoutCastELi8ELi1EEEEEvT0_T1_.uses_flat_scratch)
	.set _ZN2at6native29vectorized_elementwise_kernelILi8EZZZNS0_12_GLOBAL__N_115softplus_kernelERNS_18TensorIteratorBaseERKN3c106ScalarES8_ENKUlvE_clEvENKUlvE2_clEvEUlNS5_8BFloat16EE_St5arrayIPcLm2EEEEviT0_T1_.has_dyn_sized_stack, or(0, .L_ZN2at6native25elementwise_kernel_helperILb0EZZZNS0_12_GLOBAL__N_115softplus_kernelERNS_18TensorIteratorBaseERKN3c106ScalarES8_ENKUlvE_clEvENKUlvE2_clEvEUlNS5_8BFloat16EE_NS0_6memory8policies10vectorizedILi8ESt5arrayIPcLm2EELi8EEEEEvT0_T1_.has_dyn_sized_stack, .L_ZN2at6native25elementwise_kernel_helperILb0EZZZNS0_12_GLOBAL__N_115softplus_kernelERNS_18TensorIteratorBaseERKN3c106ScalarES8_ENKUlvE_clEvENKUlvE2_clEvEUlNS5_8BFloat16EE_NS0_6memory8policies11unroll_baseILi256ESt5arrayIPcLm2EE23TrivialOffsetCalculatorILi1EjESK_NSD_15LoadWithoutCastENSD_16StoreWithoutCastELi8ELi1EEEEEvT0_T1_.has_dyn_sized_stack)
	.set _ZN2at6native29vectorized_elementwise_kernelILi8EZZZNS0_12_GLOBAL__N_115softplus_kernelERNS_18TensorIteratorBaseERKN3c106ScalarES8_ENKUlvE_clEvENKUlvE2_clEvEUlNS5_8BFloat16EE_St5arrayIPcLm2EEEEviT0_T1_.has_recursion, or(0, .L_ZN2at6native25elementwise_kernel_helperILb0EZZZNS0_12_GLOBAL__N_115softplus_kernelERNS_18TensorIteratorBaseERKN3c106ScalarES8_ENKUlvE_clEvENKUlvE2_clEvEUlNS5_8BFloat16EE_NS0_6memory8policies10vectorizedILi8ESt5arrayIPcLm2EELi8EEEEEvT0_T1_.has_recursion, .L_ZN2at6native25elementwise_kernel_helperILb0EZZZNS0_12_GLOBAL__N_115softplus_kernelERNS_18TensorIteratorBaseERKN3c106ScalarES8_ENKUlvE_clEvENKUlvE2_clEvEUlNS5_8BFloat16EE_NS0_6memory8policies11unroll_baseILi256ESt5arrayIPcLm2EE23TrivialOffsetCalculatorILi1EjESK_NSD_15LoadWithoutCastENSD_16StoreWithoutCastELi8ELi1EEEEEvT0_T1_.has_recursion)
	.set _ZN2at6native29vectorized_elementwise_kernelILi8EZZZNS0_12_GLOBAL__N_115softplus_kernelERNS_18TensorIteratorBaseERKN3c106ScalarES8_ENKUlvE_clEvENKUlvE2_clEvEUlNS5_8BFloat16EE_St5arrayIPcLm2EEEEviT0_T1_.has_indirect_call, or(0, .L_ZN2at6native25elementwise_kernel_helperILb0EZZZNS0_12_GLOBAL__N_115softplus_kernelERNS_18TensorIteratorBaseERKN3c106ScalarES8_ENKUlvE_clEvENKUlvE2_clEvEUlNS5_8BFloat16EE_NS0_6memory8policies10vectorizedILi8ESt5arrayIPcLm2EELi8EEEEEvT0_T1_.has_indirect_call, .L_ZN2at6native25elementwise_kernel_helperILb0EZZZNS0_12_GLOBAL__N_115softplus_kernelERNS_18TensorIteratorBaseERKN3c106ScalarES8_ENKUlvE_clEvENKUlvE2_clEvEUlNS5_8BFloat16EE_NS0_6memory8policies11unroll_baseILi256ESt5arrayIPcLm2EE23TrivialOffsetCalculatorILi1EjESK_NSD_15LoadWithoutCastENSD_16StoreWithoutCastELi8ELi1EEEEEvT0_T1_.has_indirect_call)
	.section	.AMDGPU.csdata,"",@progbits
; Kernel info:
; codeLenInByte = 220
; TotalNumSgprs: 35
; NumVgprs: 35
; ScratchSize: 0
; MemoryBound: 0
; FloatMode: 240
; IeeeMode: 1
; LDSByteSize: 0 bytes/workgroup (compile time only)
; SGPRBlocks: 0
; VGPRBlocks: 2
; NumSGPRsForWavesPerEU: 35
; NumVGPRsForWavesPerEU: 35
; NamedBarCnt: 0
; Occupancy: 16
; WaveLimiterHint : 0
; COMPUTE_PGM_RSRC2:SCRATCH_EN: 0
; COMPUTE_PGM_RSRC2:USER_SGPR: 2
; COMPUTE_PGM_RSRC2:TRAP_HANDLER: 0
; COMPUTE_PGM_RSRC2:TGID_X_EN: 1
; COMPUTE_PGM_RSRC2:TGID_Y_EN: 0
; COMPUTE_PGM_RSRC2:TGID_Z_EN: 0
; COMPUTE_PGM_RSRC2:TIDIG_COMP_CNT: 0
	.section	.text._ZN2at6native29vectorized_elementwise_kernelILi4EZZZNS0_12_GLOBAL__N_115softplus_kernelERNS_18TensorIteratorBaseERKN3c106ScalarES8_ENKUlvE_clEvENKUlvE2_clEvEUlNS5_8BFloat16EE_St5arrayIPcLm2EEEEviT0_T1_,"axG",@progbits,_ZN2at6native29vectorized_elementwise_kernelILi4EZZZNS0_12_GLOBAL__N_115softplus_kernelERNS_18TensorIteratorBaseERKN3c106ScalarES8_ENKUlvE_clEvENKUlvE2_clEvEUlNS5_8BFloat16EE_St5arrayIPcLm2EEEEviT0_T1_,comdat
	.globl	_ZN2at6native29vectorized_elementwise_kernelILi4EZZZNS0_12_GLOBAL__N_115softplus_kernelERNS_18TensorIteratorBaseERKN3c106ScalarES8_ENKUlvE_clEvENKUlvE2_clEvEUlNS5_8BFloat16EE_St5arrayIPcLm2EEEEviT0_T1_ ; -- Begin function _ZN2at6native29vectorized_elementwise_kernelILi4EZZZNS0_12_GLOBAL__N_115softplus_kernelERNS_18TensorIteratorBaseERKN3c106ScalarES8_ENKUlvE_clEvENKUlvE2_clEvEUlNS5_8BFloat16EE_St5arrayIPcLm2EEEEviT0_T1_
	.p2align	8
	.type	_ZN2at6native29vectorized_elementwise_kernelILi4EZZZNS0_12_GLOBAL__N_115softplus_kernelERNS_18TensorIteratorBaseERKN3c106ScalarES8_ENKUlvE_clEvENKUlvE2_clEvEUlNS5_8BFloat16EE_St5arrayIPcLm2EEEEviT0_T1_,@function
_ZN2at6native29vectorized_elementwise_kernelILi4EZZZNS0_12_GLOBAL__N_115softplus_kernelERNS_18TensorIteratorBaseERKN3c106ScalarES8_ENKUlvE_clEvENKUlvE2_clEvEUlNS5_8BFloat16EE_St5arrayIPcLm2EEEEviT0_T1_: ; @_ZN2at6native29vectorized_elementwise_kernelILi4EZZZNS0_12_GLOBAL__N_115softplus_kernelERNS_18TensorIteratorBaseERKN3c106ScalarES8_ENKUlvE_clEvENKUlvE2_clEvEUlNS5_8BFloat16EE_St5arrayIPcLm2EEEEviT0_T1_
; %bb.0:
	s_clause 0x1
	s_load_b96 s[8:10], s[0:1], 0x0
	s_load_b128 s[4:7], s[0:1], 0x10
	s_wait_xcnt 0x0
	s_bfe_u32 s0, ttmp6, 0x4000c
	s_and_b32 s1, ttmp6, 15
	s_add_co_i32 s0, s0, 1
	s_getreg_b32 s2, hwreg(HW_REG_IB_STS2, 6, 4)
	s_mul_i32 s0, ttmp9, s0
	s_mov_b32 s32, 0
	s_add_co_i32 s1, s1, s0
	s_cmp_eq_u32 s2, 0
	s_cselect_b32 s0, ttmp9, s1
	s_mov_b32 s1, -1
	s_lshl_b32 s0, s0, 11
	s_wait_kmcnt 0x0
	s_sub_co_i32 s2, s8, s0
	s_delay_alu instid0(SALU_CYCLE_1)
	s_cmp_gt_i32 s2, 0x7ff
	s_cbranch_scc1 .LBB30_3
; %bb.1:
	s_and_b32 vcc_lo, exec_lo, s1
	s_cbranch_vccnz .LBB30_20
.LBB30_2:
	s_sendmsg sendmsg(MSG_DEALLOC_VGPRS)
	s_endpgm
.LBB30_3:
	s_ashr_i32 s1, s0, 31
	s_mov_b32 s3, exec_lo
	s_lshl_b64 s[0:1], s[0:1], 1
	s_delay_alu instid0(SALU_CYCLE_1)
	s_add_nc_u64 s[12:13], s[6:7], s[0:1]
	s_clause 0x1
	global_load_b64 v[4:5], v0, s[12:13] scale_offset
	global_load_b64 v[2:3], v0, s[12:13] offset:2048 scale_offset
	s_wait_loadcnt 0x1
	v_lshlrev_b32_e32 v1, 16, v4
	s_delay_alu instid0(VALU_DEP_1) | instskip(SKIP_1) | instid1(VALU_DEP_1)
	v_mul_f32_e32 v6, s9, v1
	s_wait_xcnt 0x0
	v_cmpx_nlt_f32_e32 s10, v6
	s_cbranch_execz .LBB30_5
; %bb.4:
	v_mul_f32_e32 v1, 0x3fb8aa3b, v6
	v_cmp_ngt_f32_e32 vcc_lo, 0xc2ce8ed0, v6
	s_mov_b32 s8, 0x3e9b6dac
	s_delay_alu instid0(VALU_DEP_2) | instskip(SKIP_1) | instid1(VALU_DEP_1)
	v_rndne_f32_e32 v7, v1
	v_fma_f32 v8, 0x3fb8aa3b, v6, -v1
	v_dual_sub_f32 v1, v1, v7 :: v_dual_fmamk_f32 v8, v6, 0x32a5705f, v8
	v_cvt_i32_f32_e32 v7, v7
	s_delay_alu instid0(VALU_DEP_2) | instskip(NEXT) | instid1(VALU_DEP_1)
	v_add_f32_e32 v1, v1, v8
	v_exp_f32_e32 v1, v1
	v_nop
	s_delay_alu instid0(TRANS32_DEP_1) | instskip(NEXT) | instid1(VALU_DEP_1)
	v_ldexp_f32 v1, v1, v7
	v_cndmask_b32_e32 v1, 0, v1, vcc_lo
	v_cmp_nlt_f32_e32 vcc_lo, 0x42b17218, v6
	s_delay_alu instid0(VALU_DEP_2) | instskip(NEXT) | instid1(VALU_DEP_1)
	v_cndmask_b32_e32 v22, 0x7f800000, v1, vcc_lo
	v_add_f32_e32 v1, 1.0, v22
	s_delay_alu instid0(VALU_DEP_1) | instskip(NEXT) | instid1(VALU_DEP_1)
	v_cvt_f64_f32_e32 v[6:7], v1
	v_frexp_exp_i32_f64_e32 v6, v[6:7]
	v_frexp_mant_f32_e32 v7, v1
	s_delay_alu instid0(VALU_DEP_1) | instskip(NEXT) | instid1(VALU_DEP_3)
	v_cmp_gt_f32_e32 vcc_lo, 0x3f2aaaab, v7
	v_subrev_co_ci_u32_e64 v12, null, 0, v6, vcc_lo
	s_delay_alu instid0(VALU_DEP_1) | instskip(NEXT) | instid1(VALU_DEP_1)
	v_dual_add_f32 v6, -1.0, v1 :: v_dual_sub_nc_u32 v7, 0, v12
	v_sub_f32_e32 v8, v6, v1
	s_delay_alu instid0(VALU_DEP_2) | instskip(NEXT) | instid1(VALU_DEP_1)
	v_ldexp_f32 v1, v1, v7
	v_dual_add_f32 v8, 1.0, v8 :: v_dual_add_f32 v9, 1.0, v1
	v_dual_add_f32 v11, -1.0, v1 :: v_dual_sub_f32 v6, v22, v6
	v_cmp_neq_f32_e32 vcc_lo, 0x7f800000, v22
	s_delay_alu instid0(VALU_DEP_2) | instskip(NEXT) | instid1(VALU_DEP_1)
	v_dual_add_f32 v6, v6, v8 :: v_dual_add_f32 v8, -1.0, v9
	v_ldexp_f32 v6, v6, v7
	s_delay_alu instid0(VALU_DEP_2) | instskip(NEXT) | instid1(VALU_DEP_1)
	v_dual_sub_f32 v7, v1, v8 :: v_dual_add_f32 v8, 1.0, v11
	v_add_f32_e32 v10, v6, v7
	s_delay_alu instid0(VALU_DEP_1) | instskip(NEXT) | instid1(VALU_DEP_1)
	v_add_f32_e32 v13, v9, v10
	v_rcp_f32_e32 v14, v13
	s_delay_alu instid0(VALU_DEP_3) | instskip(NEXT) | instid1(VALU_DEP_1)
	v_sub_f32_e32 v1, v1, v8
	v_add_f32_e32 v1, v6, v1
	v_sub_f32_e32 v6, v9, v13
	s_delay_alu instid0(VALU_DEP_1)
	v_dual_add_f32 v7, v11, v1 :: v_dual_add_f32 v16, v10, v6
	s_delay_alu instid0(TRANS32_DEP_1) | instid1(VALU_DEP_1)
	v_mul_f32_e32 v15, v7, v14
	v_sub_f32_e32 v17, v11, v7
	s_delay_alu instid0(VALU_DEP_2) | instskip(NEXT) | instid1(VALU_DEP_2)
	v_mul_f32_e32 v8, v13, v15
	v_add_f32_e32 v1, v1, v17
	s_delay_alu instid0(VALU_DEP_2) | instskip(NEXT) | instid1(VALU_DEP_1)
	v_fma_f32 v10, v15, v13, -v8
	v_fmac_f32_e32 v10, v15, v16
	s_delay_alu instid0(VALU_DEP_1) | instskip(NEXT) | instid1(VALU_DEP_1)
	v_add_f32_e32 v6, v8, v10
	v_dual_sub_f32 v9, v7, v6 :: v_dual_mov_b32 v11, v6
	s_delay_alu instid0(VALU_DEP_1) | instskip(NEXT) | instid1(VALU_DEP_1)
	v_pk_add_f32 v[6:7], v[6:7], v[8:9] neg_lo:[0,1] neg_hi:[0,1]
	v_pk_add_f32 v[6:7], v[6:7], v[10:11] neg_lo:[0,1] neg_hi:[0,1]
	s_delay_alu instid0(VALU_DEP_1) | instskip(NEXT) | instid1(VALU_DEP_1)
	v_add_f32_e32 v1, v1, v7
	v_add_f32_e32 v1, v6, v1
	s_delay_alu instid0(VALU_DEP_1) | instskip(NEXT) | instid1(VALU_DEP_1)
	v_add_f32_e32 v7, v9, v1
	v_mul_f32_e32 v17, v14, v7
	s_delay_alu instid0(VALU_DEP_1) | instskip(NEXT) | instid1(VALU_DEP_1)
	v_mul_f32_e32 v10, v13, v17
	v_fma_f32 v8, v17, v13, -v10
	s_delay_alu instid0(VALU_DEP_1) | instskip(NEXT) | instid1(VALU_DEP_1)
	v_fmac_f32_e32 v8, v17, v16
	v_dual_add_f32 v6, v10, v8 :: v_dual_sub_f32 v13, v9, v7
	s_delay_alu instid0(VALU_DEP_1) | instskip(NEXT) | instid1(VALU_DEP_1)
	v_dual_sub_f32 v11, v7, v6 :: v_dual_mov_b32 v9, v6
	v_pk_add_f32 v[6:7], v[6:7], v[10:11] neg_lo:[0,1] neg_hi:[0,1]
	v_add_f32_e32 v10, v15, v17
	s_delay_alu instid0(VALU_DEP_4) | instskip(NEXT) | instid1(VALU_DEP_3)
	v_add_f32_e32 v1, v1, v13
	v_pk_add_f32 v[6:7], v[6:7], v[8:9] neg_lo:[0,1] neg_hi:[0,1]
	v_cvt_f32_i32_e32 v8, v12
	s_delay_alu instid0(VALU_DEP_2) | instskip(NEXT) | instid1(VALU_DEP_1)
	v_add_f32_e32 v1, v1, v7
	v_add_f32_e32 v1, v6, v1
	v_sub_f32_e32 v6, v10, v15
	s_delay_alu instid0(VALU_DEP_1) | instskip(NEXT) | instid1(VALU_DEP_1)
	v_dual_sub_f32 v6, v17, v6 :: v_dual_add_f32 v1, v11, v1
	v_mul_f32_e32 v1, v14, v1
	s_delay_alu instid0(VALU_DEP_1) | instskip(NEXT) | instid1(VALU_DEP_1)
	v_dual_add_f32 v1, v6, v1 :: v_dual_mov_b32 v6, 0x3f317218
	v_add_f32_e32 v11, v10, v1
	s_delay_alu instid0(VALU_DEP_1) | instskip(NEXT) | instid1(VALU_DEP_1)
	v_mul_f32_e32 v7, v11, v11
	v_fmaak_f32 v13, s8, v7, 0x3ecc95a3
	v_mul_f32_e32 v9, v11, v7
	s_delay_alu instid0(VALU_DEP_2) | instskip(NEXT) | instid1(VALU_DEP_1)
	v_fmaak_f32 v7, v7, v13, 0x3f2aaada
	v_pk_mul_f32 v[6:7], v[8:9], v[6:7]
	s_delay_alu instid0(VALU_DEP_1) | instskip(NEXT) | instid1(VALU_DEP_1)
	v_fma_f32 v12, 0x3f317218, v8, -v6
	v_fmamk_f32 v8, v8, 0xb102e308, v12
	v_sub_f32_e32 v12, v11, v10
	s_delay_alu instid0(VALU_DEP_1) | instskip(SKIP_2) | instid1(VALU_DEP_3)
	v_sub_f32_e32 v1, v1, v12
	v_ldexp_f32 v9, v11, 1
	v_mov_b32_e32 v12, v6
	v_ldexp_f32 v1, v1, 1
	s_delay_alu instid0(VALU_DEP_3) | instskip(NEXT) | instid1(VALU_DEP_1)
	v_pk_add_f32 v[10:11], v[6:7], v[8:9]
	v_dual_sub_f32 v9, v11, v9 :: v_dual_mov_b32 v20, v11
	s_delay_alu instid0(VALU_DEP_1) | instskip(NEXT) | instid1(VALU_DEP_3)
	v_sub_f32_e32 v9, v7, v9
	v_pk_add_f32 v[6:7], v[10:11], v[6:7] neg_lo:[0,1] neg_hi:[0,1]
	s_delay_alu instid0(VALU_DEP_2) | instskip(NEXT) | instid1(VALU_DEP_1)
	v_dual_add_f32 v13, v1, v9 :: v_dual_mov_b32 v9, v10
	v_pk_add_f32 v[14:15], v[10:11], v[12:13]
	s_delay_alu instid0(VALU_DEP_1) | instskip(NEXT) | instid1(VALU_DEP_1)
	v_mov_b32_e32 v7, v15
	v_pk_add_f32 v[16:17], v[8:9], v[6:7]
	v_mov_b32_e32 v16, v15
	v_pk_add_f32 v[6:7], v[8:9], v[6:7] neg_lo:[0,1] neg_hi:[0,1]
	s_delay_alu instid0(VALU_DEP_3) | instskip(NEXT) | instid1(VALU_DEP_1)
	v_dual_mov_b32 v12, v17 :: v_dual_mov_b32 v7, v17
	v_pk_add_f32 v[18:19], v[12:13], v[10:11] neg_lo:[0,1] neg_hi:[0,1]
	v_dual_mov_b32 v11, v10 :: v_dual_mov_b32 v10, v13
	s_delay_alu instid0(VALU_DEP_2) | instskip(NEXT) | instid1(VALU_DEP_1)
	v_dual_mov_b32 v1, v18 :: v_dual_mov_b32 v21, v18
	v_pk_add_f32 v[14:15], v[14:15], v[0:1] neg_lo:[0,1] neg_hi:[0,1]
	s_delay_alu instid0(VALU_DEP_2) | instskip(SKIP_1) | instid1(VALU_DEP_2)
	v_pk_add_f32 v[8:9], v[16:17], v[20:21] neg_lo:[0,1] neg_hi:[0,1]
	v_mov_b32_e32 v14, v6
	v_pk_add_f32 v[8:9], v[10:11], v[8:9] neg_lo:[0,1] neg_hi:[0,1]
	s_delay_alu instid0(VALU_DEP_1) | instskip(NEXT) | instid1(VALU_DEP_1)
	v_pk_add_f32 v[10:11], v[14:15], v[8:9]
	v_mov_b32_e32 v14, v11
	s_delay_alu instid0(VALU_DEP_1) | instskip(NEXT) | instid1(VALU_DEP_1)
	v_pk_add_f32 v[14:15], v[10:11], v[14:15]
	v_pk_add_f32 v[12:13], v[12:13], v[14:15]
	s_delay_alu instid0(VALU_DEP_1) | instskip(NEXT) | instid1(VALU_DEP_1)
	v_mov_b32_e32 v11, v12
	v_pk_add_f32 v[16:17], v[10:11], v[6:7] neg_lo:[0,1] neg_hi:[0,1]
	s_delay_alu instid0(VALU_DEP_1) | instskip(NEXT) | instid1(VALU_DEP_1)
	v_sub_f32_e32 v1, v10, v16
	v_sub_f32_e32 v1, v6, v1
	v_mov_b32_e32 v9, v14
	s_delay_alu instid0(VALU_DEP_1) | instskip(NEXT) | instid1(VALU_DEP_1)
	v_pk_add_f32 v[8:9], v[8:9], v[16:17] neg_lo:[0,1] neg_hi:[0,1]
	v_add_f32_e32 v1, v8, v1
	s_delay_alu instid0(VALU_DEP_1) | instskip(NEXT) | instid1(VALU_DEP_1)
	v_add_f32_e32 v1, v1, v9
	v_add_f32_e32 v1, v12, v1
	s_delay_alu instid0(VALU_DEP_1) | instskip(SKIP_1) | instid1(VALU_DEP_2)
	v_cndmask_b32_e32 v1, 0x7f800000, v1, vcc_lo
	v_cmp_gt_f32_e64 vcc_lo, 0x33800000, |v22|
	v_cndmask_b32_e32 v1, v1, v22, vcc_lo
	s_delay_alu instid0(VALU_DEP_1) | instskip(NEXT) | instid1(VALU_DEP_1)
	v_div_scale_f32 v6, null, s9, s9, v1
	v_rcp_f32_e32 v7, v6
	v_nop
	s_delay_alu instid0(TRANS32_DEP_1) | instskip(NEXT) | instid1(VALU_DEP_1)
	v_fma_f32 v8, -v6, v7, 1.0
	v_fmac_f32_e32 v7, v8, v7
	v_div_scale_f32 v8, vcc_lo, v1, s9, v1
	s_delay_alu instid0(VALU_DEP_1) | instskip(NEXT) | instid1(VALU_DEP_1)
	v_mul_f32_e32 v9, v8, v7
	v_fma_f32 v10, -v6, v9, v8
	s_delay_alu instid0(VALU_DEP_1) | instskip(NEXT) | instid1(VALU_DEP_1)
	v_fmac_f32_e32 v9, v10, v7
	v_fma_f32 v6, -v6, v9, v8
	s_delay_alu instid0(VALU_DEP_1) | instskip(NEXT) | instid1(VALU_DEP_1)
	v_div_fmas_f32 v6, v6, v7, v9
	v_div_fixup_f32 v1, v6, s9, v1
.LBB30_5:
	s_or_b32 exec_lo, exec_lo, s3
	v_and_b32_e32 v4, 0xffff0000, v4
	s_mov_b32 s3, exec_lo
	s_delay_alu instid0(VALU_DEP_1) | instskip(NEXT) | instid1(VALU_DEP_1)
	v_mul_f32_e32 v6, s9, v4
	v_cmpx_nlt_f32_e32 s10, v6
	s_cbranch_execz .LBB30_7
; %bb.6:
	v_mul_f32_e32 v4, 0x3fb8aa3b, v6
	v_cmp_ngt_f32_e32 vcc_lo, 0xc2ce8ed0, v6
	s_mov_b32 s8, 0x3e9b6dac
	s_delay_alu instid0(VALU_DEP_2) | instskip(SKIP_1) | instid1(VALU_DEP_2)
	v_rndne_f32_e32 v7, v4
	v_fma_f32 v8, 0x3fb8aa3b, v6, -v4
	v_sub_f32_e32 v4, v4, v7
	s_delay_alu instid0(VALU_DEP_2) | instskip(SKIP_1) | instid1(VALU_DEP_2)
	v_fmamk_f32 v8, v6, 0x32a5705f, v8
	v_cvt_i32_f32_e32 v7, v7
	v_add_f32_e32 v4, v4, v8
	s_delay_alu instid0(VALU_DEP_1) | instskip(SKIP_1) | instid1(TRANS32_DEP_1)
	v_exp_f32_e32 v4, v4
	v_nop
	v_ldexp_f32 v4, v4, v7
	s_delay_alu instid0(VALU_DEP_1) | instskip(SKIP_1) | instid1(VALU_DEP_2)
	v_cndmask_b32_e32 v4, 0, v4, vcc_lo
	v_cmp_nlt_f32_e32 vcc_lo, 0x42b17218, v6
	v_cndmask_b32_e32 v22, 0x7f800000, v4, vcc_lo
	s_delay_alu instid0(VALU_DEP_1) | instskip(NEXT) | instid1(VALU_DEP_1)
	v_add_f32_e32 v4, 1.0, v22
	v_cvt_f64_f32_e32 v[6:7], v4
	s_delay_alu instid0(VALU_DEP_1) | instskip(SKIP_1) | instid1(VALU_DEP_1)
	v_frexp_exp_i32_f64_e32 v6, v[6:7]
	v_frexp_mant_f32_e32 v7, v4
	v_cmp_gt_f32_e32 vcc_lo, 0x3f2aaaab, v7
	s_delay_alu instid0(VALU_DEP_3) | instskip(SKIP_1) | instid1(VALU_DEP_2)
	v_subrev_co_ci_u32_e64 v12, null, 0, v6, vcc_lo
	v_add_f32_e32 v6, -1.0, v4
	v_sub_nc_u32_e32 v7, 0, v12
	s_delay_alu instid0(VALU_DEP_2) | instskip(NEXT) | instid1(VALU_DEP_2)
	v_sub_f32_e32 v8, v6, v4
	v_ldexp_f32 v4, v4, v7
	s_delay_alu instid0(VALU_DEP_2) | instskip(NEXT) | instid1(VALU_DEP_2)
	v_add_f32_e32 v8, 1.0, v8
	v_dual_add_f32 v9, 1.0, v4 :: v_dual_add_f32 v11, -1.0, v4
	v_sub_f32_e32 v6, v22, v6
	v_cmp_neq_f32_e32 vcc_lo, 0x7f800000, v22
	s_delay_alu instid0(VALU_DEP_2) | instskip(NEXT) | instid1(VALU_DEP_1)
	v_dual_add_f32 v6, v6, v8 :: v_dual_add_f32 v8, -1.0, v9
	v_ldexp_f32 v6, v6, v7
	s_delay_alu instid0(VALU_DEP_2) | instskip(NEXT) | instid1(VALU_DEP_1)
	v_dual_sub_f32 v7, v4, v8 :: v_dual_add_f32 v8, 1.0, v11
	v_dual_sub_f32 v4, v4, v8 :: v_dual_add_f32 v10, v6, v7
	s_delay_alu instid0(VALU_DEP_1) | instskip(NEXT) | instid1(VALU_DEP_1)
	v_dual_add_f32 v4, v6, v4 :: v_dual_add_f32 v13, v9, v10
	v_dual_add_f32 v7, v11, v4 :: v_dual_sub_f32 v6, v9, v13
	v_rcp_f32_e32 v14, v13
	s_delay_alu instid0(VALU_DEP_1)
	v_dual_sub_f32 v17, v11, v7 :: v_dual_add_f32 v16, v10, v6
	s_delay_alu instid0(TRANS32_DEP_1) | instid1(VALU_DEP_1)
	v_dual_mul_f32 v15, v7, v14 :: v_dual_add_f32 v4, v4, v17
	s_delay_alu instid0(VALU_DEP_1) | instskip(NEXT) | instid1(VALU_DEP_1)
	v_mul_f32_e32 v8, v13, v15
	v_fma_f32 v10, v15, v13, -v8
	s_delay_alu instid0(VALU_DEP_1) | instskip(NEXT) | instid1(VALU_DEP_1)
	v_fmac_f32_e32 v10, v15, v16
	v_add_f32_e32 v6, v8, v10
	s_delay_alu instid0(VALU_DEP_1) | instskip(NEXT) | instid1(VALU_DEP_1)
	v_dual_sub_f32 v9, v7, v6 :: v_dual_mov_b32 v11, v6
	v_pk_add_f32 v[6:7], v[6:7], v[8:9] neg_lo:[0,1] neg_hi:[0,1]
	s_delay_alu instid0(VALU_DEP_1) | instskip(NEXT) | instid1(VALU_DEP_1)
	v_pk_add_f32 v[6:7], v[6:7], v[10:11] neg_lo:[0,1] neg_hi:[0,1]
	v_add_f32_e32 v4, v4, v7
	s_delay_alu instid0(VALU_DEP_1) | instskip(NEXT) | instid1(VALU_DEP_1)
	v_add_f32_e32 v4, v6, v4
	v_add_f32_e32 v7, v9, v4
	s_delay_alu instid0(VALU_DEP_1) | instskip(NEXT) | instid1(VALU_DEP_1)
	v_mul_f32_e32 v17, v14, v7
	v_mul_f32_e32 v10, v13, v17
	s_delay_alu instid0(VALU_DEP_1) | instskip(SKIP_1) | instid1(VALU_DEP_2)
	v_fma_f32 v8, v17, v13, -v10
	v_sub_f32_e32 v13, v9, v7
	v_fmac_f32_e32 v8, v17, v16
	s_delay_alu instid0(VALU_DEP_1) | instskip(NEXT) | instid1(VALU_DEP_1)
	v_add_f32_e32 v6, v10, v8
	v_dual_sub_f32 v11, v7, v6 :: v_dual_mov_b32 v9, v6
	s_delay_alu instid0(VALU_DEP_1) | instskip(NEXT) | instid1(VALU_DEP_1)
	v_pk_add_f32 v[6:7], v[6:7], v[10:11] neg_lo:[0,1] neg_hi:[0,1]
	v_pk_add_f32 v[6:7], v[6:7], v[8:9] neg_lo:[0,1] neg_hi:[0,1]
	v_add_f32_e32 v10, v15, v17
	v_add_f32_e32 v4, v4, v13
	v_cvt_f32_i32_e32 v8, v12
	s_delay_alu instid0(VALU_DEP_2) | instskip(NEXT) | instid1(VALU_DEP_1)
	v_add_f32_e32 v4, v4, v7
	v_add_f32_e32 v4, v6, v4
	s_delay_alu instid0(VALU_DEP_1) | instskip(NEXT) | instid1(VALU_DEP_1)
	v_dual_sub_f32 v6, v10, v15 :: v_dual_add_f32 v4, v11, v4
	v_dual_sub_f32 v6, v17, v6 :: v_dual_mul_f32 v4, v14, v4
	s_delay_alu instid0(VALU_DEP_1) | instskip(NEXT) | instid1(VALU_DEP_1)
	v_add_f32_e32 v4, v6, v4
	v_dual_mov_b32 v6, 0x3f317218 :: v_dual_add_f32 v11, v10, v4
	s_delay_alu instid0(VALU_DEP_1) | instskip(NEXT) | instid1(VALU_DEP_1)
	v_mul_f32_e32 v7, v11, v11
	v_fmaak_f32 v13, s8, v7, 0x3ecc95a3
	v_mul_f32_e32 v9, v11, v7
	s_delay_alu instid0(VALU_DEP_2) | instskip(NEXT) | instid1(VALU_DEP_1)
	v_fmaak_f32 v7, v7, v13, 0x3f2aaada
	v_pk_mul_f32 v[6:7], v[8:9], v[6:7]
	v_ldexp_f32 v9, v11, 1
	s_delay_alu instid0(VALU_DEP_2) | instskip(NEXT) | instid1(VALU_DEP_1)
	v_fma_f32 v12, 0x3f317218, v8, -v6
	v_fmamk_f32 v8, v8, 0xb102e308, v12
	v_sub_f32_e32 v12, v11, v10
	s_delay_alu instid0(VALU_DEP_2) | instskip(NEXT) | instid1(VALU_DEP_1)
	v_pk_add_f32 v[10:11], v[6:7], v[8:9]
	v_dual_sub_f32 v9, v11, v9 :: v_dual_sub_f32 v4, v4, v12
	s_delay_alu instid0(VALU_DEP_1) | instskip(NEXT) | instid1(VALU_DEP_2)
	v_dual_mov_b32 v12, v6 :: v_dual_sub_f32 v9, v7, v9
	v_ldexp_f32 v4, v4, 1
	s_delay_alu instid0(VALU_DEP_4) | instskip(NEXT) | instid1(VALU_DEP_2)
	v_pk_add_f32 v[6:7], v[10:11], v[6:7] neg_lo:[0,1] neg_hi:[0,1]
	v_dual_add_f32 v13, v4, v9 :: v_dual_mov_b32 v9, v10
	s_delay_alu instid0(VALU_DEP_1) | instskip(NEXT) | instid1(VALU_DEP_1)
	v_pk_add_f32 v[14:15], v[10:11], v[12:13]
	v_dual_mov_b32 v20, v11 :: v_dual_mov_b32 v7, v15
	s_delay_alu instid0(VALU_DEP_1) | instskip(NEXT) | instid1(VALU_DEP_1)
	v_pk_add_f32 v[16:17], v[8:9], v[6:7]
	v_dual_mov_b32 v16, v15 :: v_dual_mov_b32 v4, v17
	v_pk_add_f32 v[6:7], v[8:9], v[6:7] neg_lo:[0,1] neg_hi:[0,1]
	v_mov_b32_e32 v7, v17
	s_delay_alu instid0(VALU_DEP_3) | instskip(SKIP_1) | instid1(VALU_DEP_2)
	v_pk_add_f32 v[18:19], v[4:5], v[10:11] neg_lo:[0,1] neg_hi:[0,1]
	v_dual_mov_b32 v11, v10 :: v_dual_mov_b32 v10, v13
	v_dual_mov_b32 v13, v18 :: v_dual_mov_b32 v21, v18
	s_delay_alu instid0(VALU_DEP_1) | instskip(NEXT) | instid1(VALU_DEP_2)
	v_pk_add_f32 v[12:13], v[14:15], v[12:13] neg_lo:[0,1] neg_hi:[0,1]
	v_pk_add_f32 v[8:9], v[16:17], v[20:21] neg_lo:[0,1] neg_hi:[0,1]
	v_mov_b32_e32 v12, v6
	s_delay_alu instid0(VALU_DEP_2) | instskip(NEXT) | instid1(VALU_DEP_1)
	v_pk_add_f32 v[8:9], v[10:11], v[8:9] neg_lo:[0,1] neg_hi:[0,1]
	v_pk_add_f32 v[10:11], v[12:13], v[8:9]
	s_delay_alu instid0(VALU_DEP_1) | instskip(NEXT) | instid1(VALU_DEP_1)
	v_mov_b32_e32 v12, v11
	v_pk_add_f32 v[12:13], v[10:11], v[12:13]
	s_delay_alu instid0(VALU_DEP_1) | instskip(NEXT) | instid1(VALU_DEP_1)
	v_pk_add_f32 v[14:15], v[4:5], v[12:13]
	v_mov_b32_e32 v11, v14
	s_delay_alu instid0(VALU_DEP_1) | instskip(NEXT) | instid1(VALU_DEP_1)
	v_pk_add_f32 v[16:17], v[10:11], v[6:7] neg_lo:[0,1] neg_hi:[0,1]
	v_dual_mov_b32 v9, v12 :: v_dual_sub_f32 v4, v10, v16
	s_delay_alu instid0(VALU_DEP_1) | instskip(NEXT) | instid1(VALU_DEP_2)
	v_pk_add_f32 v[8:9], v[8:9], v[16:17] neg_lo:[0,1] neg_hi:[0,1]
	v_sub_f32_e32 v4, v6, v4
	s_delay_alu instid0(VALU_DEP_1) | instskip(NEXT) | instid1(VALU_DEP_1)
	v_add_f32_e32 v4, v8, v4
	v_add_f32_e32 v4, v4, v9
	s_delay_alu instid0(VALU_DEP_1) | instskip(NEXT) | instid1(VALU_DEP_1)
	v_add_f32_e32 v4, v14, v4
	v_cndmask_b32_e32 v4, 0x7f800000, v4, vcc_lo
	v_cmp_gt_f32_e64 vcc_lo, 0x33800000, |v22|
	s_delay_alu instid0(VALU_DEP_2) | instskip(NEXT) | instid1(VALU_DEP_1)
	v_cndmask_b32_e32 v4, v4, v22, vcc_lo
	v_div_scale_f32 v6, null, s9, s9, v4
	s_delay_alu instid0(VALU_DEP_1) | instskip(SKIP_1) | instid1(TRANS32_DEP_1)
	v_rcp_f32_e32 v7, v6
	v_nop
	v_fma_f32 v8, -v6, v7, 1.0
	s_delay_alu instid0(VALU_DEP_1) | instskip(SKIP_1) | instid1(VALU_DEP_1)
	v_fmac_f32_e32 v7, v8, v7
	v_div_scale_f32 v8, vcc_lo, v4, s9, v4
	v_mul_f32_e32 v9, v8, v7
	s_delay_alu instid0(VALU_DEP_1) | instskip(NEXT) | instid1(VALU_DEP_1)
	v_fma_f32 v10, -v6, v9, v8
	v_fmac_f32_e32 v9, v10, v7
	s_delay_alu instid0(VALU_DEP_1) | instskip(NEXT) | instid1(VALU_DEP_1)
	v_fma_f32 v6, -v6, v9, v8
	v_div_fmas_f32 v6, v6, v7, v9
	s_delay_alu instid0(VALU_DEP_1)
	v_div_fixup_f32 v4, v6, s9, v4
.LBB30_7:
	s_or_b32 exec_lo, exec_lo, s3
	v_lshlrev_b32_e32 v6, 16, v5
	s_mov_b32 s3, exec_lo
	s_delay_alu instid0(VALU_DEP_1) | instskip(NEXT) | instid1(VALU_DEP_1)
	v_mul_f32_e32 v7, s9, v6
	v_cmpx_nlt_f32_e32 s10, v7
	s_cbranch_execz .LBB30_9
; %bb.8:
	v_mul_f32_e32 v6, 0x3fb8aa3b, v7
	v_cmp_ngt_f32_e32 vcc_lo, 0xc2ce8ed0, v7
	s_mov_b32 s8, 0x3e9b6dac
	s_delay_alu instid0(VALU_DEP_2) | instskip(SKIP_1) | instid1(VALU_DEP_1)
	v_rndne_f32_e32 v8, v6
	v_fma_f32 v9, 0x3fb8aa3b, v7, -v6
	v_dual_sub_f32 v6, v6, v8 :: v_dual_fmamk_f32 v9, v7, 0x32a5705f, v9
	v_cvt_i32_f32_e32 v8, v8
	s_delay_alu instid0(VALU_DEP_2) | instskip(NEXT) | instid1(VALU_DEP_1)
	v_add_f32_e32 v6, v6, v9
	v_exp_f32_e32 v6, v6
	v_nop
	s_delay_alu instid0(TRANS32_DEP_1) | instskip(NEXT) | instid1(VALU_DEP_1)
	v_ldexp_f32 v6, v6, v8
	v_cndmask_b32_e32 v6, 0, v6, vcc_lo
	v_cmp_nlt_f32_e32 vcc_lo, 0x42b17218, v7
	s_delay_alu instid0(VALU_DEP_2) | instskip(NEXT) | instid1(VALU_DEP_1)
	v_cndmask_b32_e32 v22, 0x7f800000, v6, vcc_lo
	v_add_f32_e32 v8, 1.0, v22
	s_delay_alu instid0(VALU_DEP_1) | instskip(NEXT) | instid1(VALU_DEP_1)
	v_cvt_f64_f32_e32 v[6:7], v8
	v_frexp_exp_i32_f64_e32 v6, v[6:7]
	v_frexp_mant_f32_e32 v7, v8
	s_delay_alu instid0(VALU_DEP_1) | instskip(NEXT) | instid1(VALU_DEP_3)
	v_cmp_gt_f32_e32 vcc_lo, 0x3f2aaaab, v7
	v_subrev_co_ci_u32_e64 v12, null, 0, v6, vcc_lo
	v_add_f32_e32 v6, -1.0, v8
	s_delay_alu instid0(VALU_DEP_2) | instskip(NEXT) | instid1(VALU_DEP_2)
	v_sub_nc_u32_e32 v7, 0, v12
	v_sub_f32_e32 v9, v6, v8
	v_cmp_neq_f32_e32 vcc_lo, 0x7f800000, v22
	s_delay_alu instid0(VALU_DEP_3) | instskip(NEXT) | instid1(VALU_DEP_1)
	v_ldexp_f32 v8, v8, v7
	v_dual_add_f32 v9, 1.0, v9 :: v_dual_add_f32 v10, 1.0, v8
	v_dual_sub_f32 v6, v22, v6 :: v_dual_add_f32 v11, -1.0, v8
	s_delay_alu instid0(VALU_DEP_1) | instskip(NEXT) | instid1(VALU_DEP_1)
	v_dual_add_f32 v6, v6, v9 :: v_dual_add_f32 v9, -1.0, v10
	v_ldexp_f32 v6, v6, v7
	s_delay_alu instid0(VALU_DEP_2) | instskip(NEXT) | instid1(VALU_DEP_1)
	v_dual_sub_f32 v7, v8, v9 :: v_dual_add_f32 v9, 1.0, v11
	v_dual_add_f32 v13, v6, v7 :: v_dual_sub_f32 v7, v8, v9
	s_delay_alu instid0(VALU_DEP_1) | instskip(NEXT) | instid1(VALU_DEP_1)
	v_add_f32_e32 v15, v6, v7
	v_dual_add_f32 v14, v10, v13 :: v_dual_add_f32 v7, v11, v15
	s_delay_alu instid0(VALU_DEP_1) | instskip(NEXT) | instid1(VALU_DEP_1)
	v_rcp_f32_e32 v16, v14
	v_sub_f32_e32 v18, v11, v7
	s_delay_alu instid0(TRANS32_DEP_1) | instskip(NEXT) | instid1(VALU_DEP_1)
	v_mul_f32_e32 v17, v7, v16
	v_mul_f32_e32 v8, v14, v17
	s_delay_alu instid0(VALU_DEP_1) | instskip(NEXT) | instid1(VALU_DEP_1)
	v_dual_sub_f32 v6, v10, v14 :: v_dual_fma_f32 v10, v17, v14, -v8
	v_add_f32_e32 v13, v13, v6
	s_delay_alu instid0(VALU_DEP_1) | instskip(NEXT) | instid1(VALU_DEP_1)
	v_fmac_f32_e32 v10, v17, v13
	v_add_f32_e32 v6, v8, v10
	s_delay_alu instid0(VALU_DEP_1) | instskip(NEXT) | instid1(VALU_DEP_1)
	v_dual_sub_f32 v9, v7, v6 :: v_dual_mov_b32 v11, v6
	v_pk_add_f32 v[6:7], v[6:7], v[8:9] neg_lo:[0,1] neg_hi:[0,1]
	v_add_f32_e32 v8, v15, v18
	s_delay_alu instid0(VALU_DEP_2) | instskip(NEXT) | instid1(VALU_DEP_1)
	v_pk_add_f32 v[6:7], v[6:7], v[10:11] neg_lo:[0,1] neg_hi:[0,1]
	v_add_f32_e32 v7, v8, v7
	s_delay_alu instid0(VALU_DEP_1) | instskip(NEXT) | instid1(VALU_DEP_1)
	v_add_f32_e32 v15, v6, v7
	v_add_f32_e32 v7, v9, v15
	s_delay_alu instid0(VALU_DEP_1) | instskip(NEXT) | instid1(VALU_DEP_1)
	v_mul_f32_e32 v18, v16, v7
	v_mul_f32_e32 v10, v14, v18
	s_delay_alu instid0(VALU_DEP_1) | instskip(NEXT) | instid1(VALU_DEP_1)
	v_fma_f32 v8, v18, v14, -v10
	v_dual_fmac_f32 v8, v18, v13 :: v_dual_sub_f32 v13, v9, v7
	s_delay_alu instid0(VALU_DEP_1) | instskip(NEXT) | instid1(VALU_DEP_1)
	v_add_f32_e32 v6, v10, v8
	v_dual_sub_f32 v11, v7, v6 :: v_dual_mov_b32 v9, v6
	s_delay_alu instid0(VALU_DEP_1) | instskip(NEXT) | instid1(VALU_DEP_4)
	v_pk_add_f32 v[6:7], v[6:7], v[10:11] neg_lo:[0,1] neg_hi:[0,1]
	v_add_f32_e32 v10, v15, v13
	s_delay_alu instid0(VALU_DEP_2) | instskip(SKIP_1) | instid1(VALU_DEP_2)
	v_pk_add_f32 v[6:7], v[6:7], v[8:9] neg_lo:[0,1] neg_hi:[0,1]
	v_cvt_f32_i32_e32 v8, v12
	v_dual_add_f32 v7, v10, v7 :: v_dual_add_f32 v10, v17, v18
	s_delay_alu instid0(VALU_DEP_1) | instskip(NEXT) | instid1(VALU_DEP_1)
	v_add_f32_e32 v6, v6, v7
	v_dual_sub_f32 v7, v10, v17 :: v_dual_add_f32 v6, v11, v6
	s_delay_alu instid0(VALU_DEP_1) | instskip(NEXT) | instid1(VALU_DEP_1)
	v_dual_sub_f32 v7, v18, v7 :: v_dual_mul_f32 v6, v16, v6
	v_dual_add_f32 v13, v7, v6 :: v_dual_mov_b32 v6, 0x3f317218
	s_delay_alu instid0(VALU_DEP_1) | instskip(NEXT) | instid1(VALU_DEP_1)
	v_add_f32_e32 v11, v10, v13
	v_mul_f32_e32 v7, v11, v11
	s_delay_alu instid0(VALU_DEP_1) | instskip(NEXT) | instid1(VALU_DEP_1)
	v_dual_fmaak_f32 v14, s8, v7, 0x3ecc95a3 :: v_dual_mul_f32 v9, v11, v7
	v_fmaak_f32 v7, v7, v14, 0x3f2aaada
	s_delay_alu instid0(VALU_DEP_1) | instskip(SKIP_1) | instid1(VALU_DEP_2)
	v_pk_mul_f32 v[6:7], v[8:9], v[6:7]
	v_ldexp_f32 v9, v11, 1
	v_fma_f32 v12, 0x3f317218, v8, -v6
	s_delay_alu instid0(VALU_DEP_1) | instskip(SKIP_1) | instid1(VALU_DEP_2)
	v_fmamk_f32 v8, v8, 0xb102e308, v12
	v_sub_f32_e32 v12, v11, v10
	v_pk_add_f32 v[10:11], v[6:7], v[8:9]
	s_delay_alu instid0(VALU_DEP_1) | instskip(NEXT) | instid1(VALU_DEP_1)
	v_dual_sub_f32 v9, v11, v9 :: v_dual_sub_f32 v12, v13, v12
	v_sub_f32_e32 v9, v7, v9
	s_delay_alu instid0(VALU_DEP_2) | instskip(SKIP_2) | instid1(VALU_DEP_3)
	v_ldexp_f32 v13, v12, 1
	v_mov_b32_e32 v12, v6
	v_pk_add_f32 v[6:7], v[10:11], v[6:7] neg_lo:[0,1] neg_hi:[0,1]
	v_dual_add_f32 v13, v13, v9 :: v_dual_mov_b32 v9, v10
	s_delay_alu instid0(VALU_DEP_1) | instskip(NEXT) | instid1(VALU_DEP_1)
	v_pk_add_f32 v[14:15], v[10:11], v[12:13]
	v_dual_mov_b32 v20, v11 :: v_dual_mov_b32 v7, v15
	s_delay_alu instid0(VALU_DEP_1) | instskip(NEXT) | instid1(VALU_DEP_1)
	v_pk_add_f32 v[16:17], v[8:9], v[6:7]
	v_dual_mov_b32 v16, v15 :: v_dual_mov_b32 v12, v17
	v_pk_add_f32 v[6:7], v[8:9], v[6:7] neg_lo:[0,1] neg_hi:[0,1]
	v_mov_b32_e32 v7, v17
	s_delay_alu instid0(VALU_DEP_3) | instskip(SKIP_1) | instid1(VALU_DEP_2)
	v_pk_add_f32 v[18:19], v[12:13], v[10:11] neg_lo:[0,1] neg_hi:[0,1]
	v_dual_mov_b32 v11, v10 :: v_dual_mov_b32 v10, v13
	v_dual_mov_b32 v13, v18 :: v_dual_mov_b32 v21, v18
	s_delay_alu instid0(VALU_DEP_1) | instskip(NEXT) | instid1(VALU_DEP_2)
	v_pk_add_f32 v[14:15], v[14:15], v[12:13] neg_lo:[0,1] neg_hi:[0,1]
	v_pk_add_f32 v[8:9], v[16:17], v[20:21] neg_lo:[0,1] neg_hi:[0,1]
	v_mov_b32_e32 v14, v6
	s_delay_alu instid0(VALU_DEP_2) | instskip(NEXT) | instid1(VALU_DEP_1)
	v_pk_add_f32 v[8:9], v[10:11], v[8:9] neg_lo:[0,1] neg_hi:[0,1]
	v_pk_add_f32 v[10:11], v[14:15], v[8:9]
	s_delay_alu instid0(VALU_DEP_1) | instskip(NEXT) | instid1(VALU_DEP_1)
	v_mov_b32_e32 v14, v11
	v_pk_add_f32 v[14:15], v[10:11], v[14:15]
	s_delay_alu instid0(VALU_DEP_1) | instskip(NEXT) | instid1(VALU_DEP_1)
	v_pk_add_f32 v[12:13], v[12:13], v[14:15]
	v_mov_b32_e32 v11, v12
	s_delay_alu instid0(VALU_DEP_1) | instskip(NEXT) | instid1(VALU_DEP_1)
	v_pk_add_f32 v[16:17], v[10:11], v[6:7] neg_lo:[0,1] neg_hi:[0,1]
	v_sub_f32_e32 v7, v10, v16
	s_delay_alu instid0(VALU_DEP_1) | instskip(SKIP_1) | instid1(VALU_DEP_1)
	v_sub_f32_e32 v6, v6, v7
	v_mov_b32_e32 v9, v14
	v_pk_add_f32 v[8:9], v[8:9], v[16:17] neg_lo:[0,1] neg_hi:[0,1]
	s_delay_alu instid0(VALU_DEP_1) | instskip(NEXT) | instid1(VALU_DEP_1)
	v_add_f32_e32 v6, v8, v6
	v_add_f32_e32 v6, v6, v9
	s_delay_alu instid0(VALU_DEP_1) | instskip(NEXT) | instid1(VALU_DEP_1)
	v_add_f32_e32 v6, v12, v6
	v_cndmask_b32_e32 v6, 0x7f800000, v6, vcc_lo
	v_cmp_gt_f32_e64 vcc_lo, 0x33800000, |v22|
	s_delay_alu instid0(VALU_DEP_2) | instskip(NEXT) | instid1(VALU_DEP_1)
	v_cndmask_b32_e32 v6, v6, v22, vcc_lo
	v_div_scale_f32 v7, null, s9, s9, v6
	s_delay_alu instid0(VALU_DEP_1) | instskip(SKIP_1) | instid1(TRANS32_DEP_1)
	v_rcp_f32_e32 v8, v7
	v_nop
	v_fma_f32 v9, -v7, v8, 1.0
	s_delay_alu instid0(VALU_DEP_1) | instskip(SKIP_1) | instid1(VALU_DEP_1)
	v_fmac_f32_e32 v8, v9, v8
	v_div_scale_f32 v9, vcc_lo, v6, s9, v6
	v_mul_f32_e32 v10, v9, v8
	s_delay_alu instid0(VALU_DEP_1) | instskip(NEXT) | instid1(VALU_DEP_1)
	v_fma_f32 v11, -v7, v10, v9
	v_fmac_f32_e32 v10, v11, v8
	s_delay_alu instid0(VALU_DEP_1) | instskip(NEXT) | instid1(VALU_DEP_1)
	v_fma_f32 v7, -v7, v10, v9
	v_div_fmas_f32 v7, v7, v8, v10
	s_delay_alu instid0(VALU_DEP_1)
	v_div_fixup_f32 v6, v7, s9, v6
.LBB30_9:
	s_or_b32 exec_lo, exec_lo, s3
	v_and_b32_e32 v5, 0xffff0000, v5
	s_mov_b32 s3, exec_lo
	s_delay_alu instid0(VALU_DEP_1) | instskip(NEXT) | instid1(VALU_DEP_1)
	v_mul_f32_e32 v7, s9, v5
	v_cmpx_nlt_f32_e32 s10, v7
	s_cbranch_execz .LBB30_11
; %bb.10:
	v_mul_f32_e32 v5, 0x3fb8aa3b, v7
	v_cmp_ngt_f32_e32 vcc_lo, 0xc2ce8ed0, v7
	s_mov_b32 s8, 0x3e9b6dac
	s_delay_alu instid0(VALU_DEP_2) | instskip(SKIP_1) | instid1(VALU_DEP_2)
	v_rndne_f32_e32 v8, v5
	v_fma_f32 v9, 0x3fb8aa3b, v7, -v5
	v_sub_f32_e32 v5, v5, v8
	s_delay_alu instid0(VALU_DEP_2) | instskip(SKIP_1) | instid1(VALU_DEP_2)
	v_fmamk_f32 v9, v7, 0x32a5705f, v9
	v_cvt_i32_f32_e32 v8, v8
	v_add_f32_e32 v5, v5, v9
	s_delay_alu instid0(VALU_DEP_1) | instskip(SKIP_1) | instid1(TRANS32_DEP_1)
	v_exp_f32_e32 v5, v5
	v_nop
	v_ldexp_f32 v5, v5, v8
	s_delay_alu instid0(VALU_DEP_1) | instskip(SKIP_1) | instid1(VALU_DEP_2)
	v_cndmask_b32_e32 v5, 0, v5, vcc_lo
	v_cmp_nlt_f32_e32 vcc_lo, 0x42b17218, v7
	v_cndmask_b32_e32 v7, 0x7f800000, v5, vcc_lo
	s_delay_alu instid0(VALU_DEP_1) | instskip(NEXT) | instid1(VALU_DEP_1)
	v_add_f32_e32 v5, 1.0, v7
	v_cvt_f64_f32_e32 v[8:9], v5
	s_delay_alu instid0(VALU_DEP_1) | instskip(SKIP_1) | instid1(VALU_DEP_1)
	v_frexp_exp_i32_f64_e32 v8, v[8:9]
	v_frexp_mant_f32_e32 v9, v5
	v_cmp_gt_f32_e32 vcc_lo, 0x3f2aaaab, v9
	s_delay_alu instid0(VALU_DEP_3) | instskip(NEXT) | instid1(VALU_DEP_1)
	v_subrev_co_ci_u32_e64 v14, null, 0, v8, vcc_lo
	v_dual_add_f32 v8, -1.0, v5 :: v_dual_sub_nc_u32 v9, 0, v14
	s_delay_alu instid0(VALU_DEP_1) | instskip(SKIP_1) | instid1(VALU_DEP_3)
	v_dual_sub_f32 v10, v8, v5 :: v_dual_sub_f32 v8, v7, v8
	v_cmp_neq_f32_e32 vcc_lo, 0x7f800000, v7
	v_ldexp_f32 v5, v5, v9
	s_delay_alu instid0(VALU_DEP_1) | instskip(NEXT) | instid1(VALU_DEP_1)
	v_dual_add_f32 v10, 1.0, v10 :: v_dual_add_f32 v11, 1.0, v5
	v_dual_add_f32 v13, -1.0, v5 :: v_dual_add_f32 v8, v8, v10
	s_delay_alu instid0(VALU_DEP_1) | instskip(NEXT) | instid1(VALU_DEP_3)
	v_ldexp_f32 v8, v8, v9
	v_add_f32_e32 v10, -1.0, v11
	s_delay_alu instid0(VALU_DEP_1) | instskip(NEXT) | instid1(VALU_DEP_1)
	v_dual_sub_f32 v9, v5, v10 :: v_dual_add_f32 v10, 1.0, v13
	v_dual_sub_f32 v5, v5, v10 :: v_dual_add_f32 v12, v8, v9
	s_delay_alu instid0(VALU_DEP_1) | instskip(NEXT) | instid1(VALU_DEP_1)
	v_dual_add_f32 v5, v8, v5 :: v_dual_add_f32 v15, v11, v12
	v_dual_add_f32 v9, v13, v5 :: v_dual_sub_f32 v8, v11, v15
	v_rcp_f32_e32 v16, v15
	s_delay_alu instid0(VALU_DEP_1) | instskip(NEXT) | instid1(TRANS32_DEP_1)
	v_dual_sub_f32 v19, v13, v9 :: v_dual_add_f32 v18, v12, v8
	v_mul_f32_e32 v17, v9, v16
	s_delay_alu instid0(VALU_DEP_1) | instskip(NEXT) | instid1(VALU_DEP_1)
	v_dual_add_f32 v5, v5, v19 :: v_dual_mul_f32 v10, v15, v17
	v_fma_f32 v12, v17, v15, -v10
	s_delay_alu instid0(VALU_DEP_1) | instskip(NEXT) | instid1(VALU_DEP_1)
	v_fmac_f32_e32 v12, v17, v18
	v_add_f32_e32 v8, v10, v12
	s_delay_alu instid0(VALU_DEP_1) | instskip(NEXT) | instid1(VALU_DEP_1)
	v_dual_sub_f32 v11, v9, v8 :: v_dual_mov_b32 v13, v8
	v_pk_add_f32 v[8:9], v[8:9], v[10:11] neg_lo:[0,1] neg_hi:[0,1]
	s_delay_alu instid0(VALU_DEP_1) | instskip(NEXT) | instid1(VALU_DEP_1)
	v_pk_add_f32 v[8:9], v[8:9], v[12:13] neg_lo:[0,1] neg_hi:[0,1]
	v_add_f32_e32 v5, v5, v9
	s_delay_alu instid0(VALU_DEP_1) | instskip(NEXT) | instid1(VALU_DEP_1)
	v_add_f32_e32 v5, v8, v5
	v_add_f32_e32 v9, v11, v5
	s_delay_alu instid0(VALU_DEP_1) | instskip(NEXT) | instid1(VALU_DEP_1)
	v_mul_f32_e32 v19, v16, v9
	v_mul_f32_e32 v12, v15, v19
	s_delay_alu instid0(VALU_DEP_1) | instskip(SKIP_1) | instid1(VALU_DEP_1)
	v_fma_f32 v10, v19, v15, -v12
	v_sub_f32_e32 v15, v11, v9
	v_dual_fmac_f32 v10, v19, v18 :: v_dual_add_f32 v5, v5, v15
	s_delay_alu instid0(VALU_DEP_1) | instskip(NEXT) | instid1(VALU_DEP_1)
	v_add_f32_e32 v8, v12, v10
	v_dual_sub_f32 v13, v9, v8 :: v_dual_mov_b32 v11, v8
	s_delay_alu instid0(VALU_DEP_1) | instskip(NEXT) | instid1(VALU_DEP_1)
	v_pk_add_f32 v[8:9], v[8:9], v[12:13] neg_lo:[0,1] neg_hi:[0,1]
	v_pk_add_f32 v[8:9], v[8:9], v[10:11] neg_lo:[0,1] neg_hi:[0,1]
	v_cvt_f32_i32_e32 v10, v14
	s_delay_alu instid0(VALU_DEP_2) | instskip(NEXT) | instid1(VALU_DEP_1)
	v_add_f32_e32 v5, v5, v9
	v_dual_add_f32 v12, v17, v19 :: v_dual_add_f32 v5, v8, v5
	s_delay_alu instid0(VALU_DEP_1) | instskip(NEXT) | instid1(VALU_DEP_1)
	v_sub_f32_e32 v8, v12, v17
	v_dual_add_f32 v5, v13, v5 :: v_dual_sub_f32 v8, v19, v8
	s_delay_alu instid0(VALU_DEP_1) | instskip(NEXT) | instid1(VALU_DEP_1)
	v_mul_f32_e32 v5, v16, v5
	v_dual_add_f32 v5, v8, v5 :: v_dual_mov_b32 v8, 0x3f317218
	s_delay_alu instid0(VALU_DEP_1) | instskip(NEXT) | instid1(VALU_DEP_1)
	v_add_f32_e32 v13, v12, v5
	v_mul_f32_e32 v9, v13, v13
	s_delay_alu instid0(VALU_DEP_1) | instskip(SKIP_1) | instid1(VALU_DEP_2)
	v_fmaak_f32 v15, s8, v9, 0x3ecc95a3
	v_mul_f32_e32 v11, v13, v9
	v_fmaak_f32 v9, v9, v15, 0x3f2aaada
	s_delay_alu instid0(VALU_DEP_1) | instskip(NEXT) | instid1(VALU_DEP_1)
	v_pk_mul_f32 v[8:9], v[10:11], v[8:9]
	v_fma_f32 v14, 0x3f317218, v10, -v8
	s_delay_alu instid0(VALU_DEP_1) | instskip(SKIP_1) | instid1(VALU_DEP_1)
	v_fmamk_f32 v10, v10, 0xb102e308, v14
	v_sub_f32_e32 v14, v13, v12
	v_sub_f32_e32 v5, v5, v14
	v_ldexp_f32 v11, v13, 1
	v_mov_b32_e32 v14, v8
	s_delay_alu instid0(VALU_DEP_3) | instskip(NEXT) | instid1(VALU_DEP_3)
	v_ldexp_f32 v5, v5, 1
	v_pk_add_f32 v[12:13], v[8:9], v[10:11]
	s_delay_alu instid0(VALU_DEP_1) | instskip(NEXT) | instid1(VALU_DEP_1)
	v_dual_sub_f32 v11, v13, v11 :: v_dual_mov_b32 v22, v13
	v_sub_f32_e32 v11, v9, v11
	s_delay_alu instid0(VALU_DEP_3) | instskip(NEXT) | instid1(VALU_DEP_2)
	v_pk_add_f32 v[8:9], v[12:13], v[8:9] neg_lo:[0,1] neg_hi:[0,1]
	v_dual_add_f32 v15, v5, v11 :: v_dual_mov_b32 v11, v12
	s_delay_alu instid0(VALU_DEP_1) | instskip(NEXT) | instid1(VALU_DEP_1)
	v_pk_add_f32 v[16:17], v[12:13], v[14:15]
	v_mov_b32_e32 v9, v17
	s_delay_alu instid0(VALU_DEP_1) | instskip(SKIP_2) | instid1(VALU_DEP_3)
	v_pk_add_f32 v[18:19], v[10:11], v[8:9]
	v_mov_b32_e32 v18, v17
	v_pk_add_f32 v[8:9], v[10:11], v[8:9] neg_lo:[0,1] neg_hi:[0,1]
	v_dual_mov_b32 v14, v19 :: v_dual_mov_b32 v9, v19
	s_delay_alu instid0(VALU_DEP_1) | instskip(SKIP_1) | instid1(VALU_DEP_2)
	v_pk_add_f32 v[20:21], v[14:15], v[12:13] neg_lo:[0,1] neg_hi:[0,1]
	v_dual_mov_b32 v13, v12 :: v_dual_mov_b32 v12, v15
	v_dual_mov_b32 v5, v20 :: v_dual_mov_b32 v23, v20
	s_delay_alu instid0(VALU_DEP_1) | instskip(NEXT) | instid1(VALU_DEP_2)
	v_pk_add_f32 v[16:17], v[16:17], v[4:5] neg_lo:[0,1] neg_hi:[0,1]
	v_pk_add_f32 v[10:11], v[18:19], v[22:23] neg_lo:[0,1] neg_hi:[0,1]
	v_mov_b32_e32 v16, v8
	s_delay_alu instid0(VALU_DEP_2) | instskip(NEXT) | instid1(VALU_DEP_1)
	v_pk_add_f32 v[10:11], v[12:13], v[10:11] neg_lo:[0,1] neg_hi:[0,1]
	v_pk_add_f32 v[12:13], v[16:17], v[10:11]
	s_delay_alu instid0(VALU_DEP_1) | instskip(NEXT) | instid1(VALU_DEP_1)
	v_mov_b32_e32 v16, v13
	v_pk_add_f32 v[16:17], v[12:13], v[16:17]
	s_delay_alu instid0(VALU_DEP_1) | instskip(NEXT) | instid1(VALU_DEP_1)
	v_pk_add_f32 v[14:15], v[14:15], v[16:17]
	v_mov_b32_e32 v13, v14
	s_delay_alu instid0(VALU_DEP_1) | instskip(NEXT) | instid1(VALU_DEP_1)
	v_pk_add_f32 v[18:19], v[12:13], v[8:9] neg_lo:[0,1] neg_hi:[0,1]
	v_sub_f32_e32 v5, v12, v18
	s_delay_alu instid0(VALU_DEP_1) | instskip(SKIP_1) | instid1(VALU_DEP_1)
	v_sub_f32_e32 v5, v8, v5
	v_mov_b32_e32 v11, v16
	v_pk_add_f32 v[10:11], v[10:11], v[18:19] neg_lo:[0,1] neg_hi:[0,1]
	s_delay_alu instid0(VALU_DEP_1) | instskip(NEXT) | instid1(VALU_DEP_1)
	v_add_f32_e32 v5, v10, v5
	v_add_f32_e32 v5, v5, v11
	s_delay_alu instid0(VALU_DEP_1) | instskip(NEXT) | instid1(VALU_DEP_1)
	v_add_f32_e32 v5, v14, v5
	v_cndmask_b32_e32 v5, 0x7f800000, v5, vcc_lo
	v_cmp_gt_f32_e64 vcc_lo, 0x33800000, |v7|
	s_delay_alu instid0(VALU_DEP_2) | instskip(NEXT) | instid1(VALU_DEP_1)
	v_cndmask_b32_e32 v5, v5, v7, vcc_lo
	v_div_scale_f32 v7, null, s9, s9, v5
	s_delay_alu instid0(VALU_DEP_1) | instskip(SKIP_1) | instid1(TRANS32_DEP_1)
	v_rcp_f32_e32 v8, v7
	v_nop
	v_fma_f32 v9, -v7, v8, 1.0
	s_delay_alu instid0(VALU_DEP_1) | instskip(SKIP_1) | instid1(VALU_DEP_1)
	v_fmac_f32_e32 v8, v9, v8
	v_div_scale_f32 v9, vcc_lo, v5, s9, v5
	v_mul_f32_e32 v10, v9, v8
	s_delay_alu instid0(VALU_DEP_1) | instskip(NEXT) | instid1(VALU_DEP_1)
	v_fma_f32 v11, -v7, v10, v9
	v_fmac_f32_e32 v10, v11, v8
	s_delay_alu instid0(VALU_DEP_1) | instskip(NEXT) | instid1(VALU_DEP_1)
	v_fma_f32 v7, -v7, v10, v9
	v_div_fmas_f32 v7, v7, v8, v10
	s_delay_alu instid0(VALU_DEP_1)
	v_div_fixup_f32 v5, v7, s9, v5
.LBB30_11:
	s_or_b32 exec_lo, exec_lo, s3
	s_wait_loadcnt 0x0
	v_lshlrev_b32_e32 v7, 16, v2
	s_mov_b32 s3, exec_lo
	s_delay_alu instid0(VALU_DEP_1) | instskip(NEXT) | instid1(VALU_DEP_1)
	v_mul_f32_e32 v8, s9, v7
	v_cmpx_nlt_f32_e32 s10, v8
	s_cbranch_execz .LBB30_13
; %bb.12:
	v_mul_f32_e32 v7, 0x3fb8aa3b, v8
	v_cmp_ngt_f32_e32 vcc_lo, 0xc2ce8ed0, v8
	s_mov_b32 s8, 0x3e9b6dac
	s_delay_alu instid0(VALU_DEP_2) | instskip(SKIP_1) | instid1(VALU_DEP_1)
	v_rndne_f32_e32 v9, v7
	v_fma_f32 v10, 0x3fb8aa3b, v8, -v7
	v_dual_sub_f32 v7, v7, v9 :: v_dual_fmamk_f32 v10, v8, 0x32a5705f, v10
	v_cvt_i32_f32_e32 v9, v9
	s_delay_alu instid0(VALU_DEP_2) | instskip(NEXT) | instid1(VALU_DEP_1)
	v_add_f32_e32 v7, v7, v10
	v_exp_f32_e32 v7, v7
	v_nop
	s_delay_alu instid0(TRANS32_DEP_1) | instskip(NEXT) | instid1(VALU_DEP_1)
	v_ldexp_f32 v7, v7, v9
	v_cndmask_b32_e32 v7, 0, v7, vcc_lo
	v_cmp_nlt_f32_e32 vcc_lo, 0x42b17218, v8
	s_delay_alu instid0(VALU_DEP_2) | instskip(NEXT) | instid1(VALU_DEP_1)
	v_cndmask_b32_e32 v24, 0x7f800000, v7, vcc_lo
	v_add_f32_e32 v7, 1.0, v24
	s_delay_alu instid0(VALU_DEP_1) | instskip(NEXT) | instid1(VALU_DEP_1)
	v_cvt_f64_f32_e32 v[8:9], v7
	v_frexp_exp_i32_f64_e32 v8, v[8:9]
	v_frexp_mant_f32_e32 v9, v7
	s_delay_alu instid0(VALU_DEP_1) | instskip(NEXT) | instid1(VALU_DEP_3)
	v_cmp_gt_f32_e32 vcc_lo, 0x3f2aaaab, v9
	v_subrev_co_ci_u32_e64 v14, null, 0, v8, vcc_lo
	s_delay_alu instid0(VALU_DEP_1) | instskip(NEXT) | instid1(VALU_DEP_1)
	v_dual_add_f32 v8, -1.0, v7 :: v_dual_sub_nc_u32 v9, 0, v14
	v_sub_f32_e32 v10, v8, v7
	s_delay_alu instid0(VALU_DEP_2) | instskip(NEXT) | instid1(VALU_DEP_1)
	v_ldexp_f32 v7, v7, v9
	v_dual_add_f32 v10, 1.0, v10 :: v_dual_add_f32 v11, 1.0, v7
	v_dual_add_f32 v13, -1.0, v7 :: v_dual_sub_f32 v8, v24, v8
	v_cmp_neq_f32_e32 vcc_lo, 0x7f800000, v24
	s_delay_alu instid0(VALU_DEP_2) | instskip(NEXT) | instid1(VALU_DEP_1)
	v_dual_add_f32 v8, v8, v10 :: v_dual_add_f32 v10, -1.0, v11
	v_ldexp_f32 v8, v8, v9
	s_delay_alu instid0(VALU_DEP_2) | instskip(NEXT) | instid1(VALU_DEP_1)
	v_dual_sub_f32 v9, v7, v10 :: v_dual_add_f32 v10, 1.0, v13
	v_add_f32_e32 v12, v8, v9
	s_delay_alu instid0(VALU_DEP_1) | instskip(NEXT) | instid1(VALU_DEP_1)
	v_add_f32_e32 v15, v11, v12
	v_rcp_f32_e32 v16, v15
	s_delay_alu instid0(VALU_DEP_3) | instskip(NEXT) | instid1(VALU_DEP_1)
	v_sub_f32_e32 v7, v7, v10
	v_add_f32_e32 v7, v8, v7
	v_sub_f32_e32 v8, v11, v15
	s_delay_alu instid0(VALU_DEP_1)
	v_dual_add_f32 v9, v13, v7 :: v_dual_add_f32 v18, v12, v8
	s_delay_alu instid0(TRANS32_DEP_1) | instid1(VALU_DEP_1)
	v_mul_f32_e32 v17, v9, v16
	v_sub_f32_e32 v19, v13, v9
	s_delay_alu instid0(VALU_DEP_2) | instskip(NEXT) | instid1(VALU_DEP_2)
	v_mul_f32_e32 v10, v15, v17
	v_add_f32_e32 v7, v7, v19
	s_delay_alu instid0(VALU_DEP_2) | instskip(NEXT) | instid1(VALU_DEP_1)
	v_fma_f32 v12, v17, v15, -v10
	v_fmac_f32_e32 v12, v17, v18
	s_delay_alu instid0(VALU_DEP_1) | instskip(NEXT) | instid1(VALU_DEP_1)
	v_add_f32_e32 v8, v10, v12
	v_dual_sub_f32 v11, v9, v8 :: v_dual_mov_b32 v13, v8
	s_delay_alu instid0(VALU_DEP_1) | instskip(NEXT) | instid1(VALU_DEP_1)
	v_pk_add_f32 v[8:9], v[8:9], v[10:11] neg_lo:[0,1] neg_hi:[0,1]
	v_pk_add_f32 v[8:9], v[8:9], v[12:13] neg_lo:[0,1] neg_hi:[0,1]
	s_delay_alu instid0(VALU_DEP_1) | instskip(NEXT) | instid1(VALU_DEP_1)
	v_add_f32_e32 v7, v7, v9
	v_add_f32_e32 v7, v8, v7
	s_delay_alu instid0(VALU_DEP_1) | instskip(NEXT) | instid1(VALU_DEP_1)
	v_add_f32_e32 v9, v11, v7
	v_mul_f32_e32 v19, v16, v9
	s_delay_alu instid0(VALU_DEP_1) | instskip(NEXT) | instid1(VALU_DEP_1)
	v_mul_f32_e32 v12, v15, v19
	v_fma_f32 v10, v19, v15, -v12
	s_delay_alu instid0(VALU_DEP_1) | instskip(NEXT) | instid1(VALU_DEP_1)
	v_fmac_f32_e32 v10, v19, v18
	v_dual_add_f32 v8, v12, v10 :: v_dual_sub_f32 v15, v11, v9
	s_delay_alu instid0(VALU_DEP_1) | instskip(NEXT) | instid1(VALU_DEP_1)
	v_dual_sub_f32 v13, v9, v8 :: v_dual_mov_b32 v11, v8
	v_pk_add_f32 v[8:9], v[8:9], v[12:13] neg_lo:[0,1] neg_hi:[0,1]
	v_add_f32_e32 v12, v17, v19
	s_delay_alu instid0(VALU_DEP_4) | instskip(NEXT) | instid1(VALU_DEP_3)
	v_add_f32_e32 v7, v7, v15
	v_pk_add_f32 v[8:9], v[8:9], v[10:11] neg_lo:[0,1] neg_hi:[0,1]
	v_cvt_f32_i32_e32 v10, v14
	s_delay_alu instid0(VALU_DEP_2) | instskip(NEXT) | instid1(VALU_DEP_1)
	v_add_f32_e32 v7, v7, v9
	v_add_f32_e32 v7, v8, v7
	v_sub_f32_e32 v8, v12, v17
	s_delay_alu instid0(VALU_DEP_1) | instskip(NEXT) | instid1(VALU_DEP_1)
	v_dual_sub_f32 v8, v19, v8 :: v_dual_add_f32 v7, v13, v7
	v_mul_f32_e32 v7, v16, v7
	s_delay_alu instid0(VALU_DEP_1) | instskip(NEXT) | instid1(VALU_DEP_1)
	v_dual_add_f32 v7, v8, v7 :: v_dual_mov_b32 v8, 0x3f317218
	v_add_f32_e32 v13, v12, v7
	s_delay_alu instid0(VALU_DEP_1) | instskip(NEXT) | instid1(VALU_DEP_1)
	v_mul_f32_e32 v9, v13, v13
	v_fmaak_f32 v15, s8, v9, 0x3ecc95a3
	v_mul_f32_e32 v11, v13, v9
	s_delay_alu instid0(VALU_DEP_2) | instskip(NEXT) | instid1(VALU_DEP_1)
	v_fmaak_f32 v9, v9, v15, 0x3f2aaada
	v_pk_mul_f32 v[8:9], v[10:11], v[8:9]
	s_delay_alu instid0(VALU_DEP_1) | instskip(NEXT) | instid1(VALU_DEP_1)
	v_fma_f32 v14, 0x3f317218, v10, -v8
	v_fmamk_f32 v10, v10, 0xb102e308, v14
	v_sub_f32_e32 v14, v13, v12
	s_delay_alu instid0(VALU_DEP_1) | instskip(SKIP_2) | instid1(VALU_DEP_3)
	v_sub_f32_e32 v7, v7, v14
	v_ldexp_f32 v11, v13, 1
	v_mov_b32_e32 v14, v8
	v_ldexp_f32 v7, v7, 1
	s_delay_alu instid0(VALU_DEP_3) | instskip(NEXT) | instid1(VALU_DEP_1)
	v_pk_add_f32 v[12:13], v[8:9], v[10:11]
	v_dual_sub_f32 v11, v13, v11 :: v_dual_mov_b32 v22, v13
	s_delay_alu instid0(VALU_DEP_1) | instskip(NEXT) | instid1(VALU_DEP_3)
	v_sub_f32_e32 v11, v9, v11
	v_pk_add_f32 v[8:9], v[12:13], v[8:9] neg_lo:[0,1] neg_hi:[0,1]
	s_delay_alu instid0(VALU_DEP_2) | instskip(NEXT) | instid1(VALU_DEP_1)
	v_dual_add_f32 v15, v7, v11 :: v_dual_mov_b32 v11, v12
	v_pk_add_f32 v[16:17], v[12:13], v[14:15]
	s_delay_alu instid0(VALU_DEP_1) | instskip(NEXT) | instid1(VALU_DEP_1)
	v_mov_b32_e32 v9, v17
	v_pk_add_f32 v[18:19], v[10:11], v[8:9]
	v_mov_b32_e32 v18, v17
	v_pk_add_f32 v[8:9], v[10:11], v[8:9] neg_lo:[0,1] neg_hi:[0,1]
	s_delay_alu instid0(VALU_DEP_3) | instskip(NEXT) | instid1(VALU_DEP_1)
	v_dual_mov_b32 v14, v19 :: v_dual_mov_b32 v9, v19
	v_pk_add_f32 v[20:21], v[14:15], v[12:13] neg_lo:[0,1] neg_hi:[0,1]
	v_dual_mov_b32 v13, v12 :: v_dual_mov_b32 v12, v15
	s_delay_alu instid0(VALU_DEP_2) | instskip(NEXT) | instid1(VALU_DEP_1)
	v_dual_mov_b32 v7, v20 :: v_dual_mov_b32 v23, v20
	v_pk_add_f32 v[16:17], v[16:17], v[6:7] neg_lo:[0,1] neg_hi:[0,1]
	s_delay_alu instid0(VALU_DEP_2) | instskip(SKIP_1) | instid1(VALU_DEP_2)
	v_pk_add_f32 v[10:11], v[18:19], v[22:23] neg_lo:[0,1] neg_hi:[0,1]
	v_mov_b32_e32 v16, v8
	v_pk_add_f32 v[10:11], v[12:13], v[10:11] neg_lo:[0,1] neg_hi:[0,1]
	s_delay_alu instid0(VALU_DEP_1) | instskip(NEXT) | instid1(VALU_DEP_1)
	v_pk_add_f32 v[12:13], v[16:17], v[10:11]
	v_mov_b32_e32 v16, v13
	s_delay_alu instid0(VALU_DEP_1) | instskip(NEXT) | instid1(VALU_DEP_1)
	v_pk_add_f32 v[16:17], v[12:13], v[16:17]
	v_pk_add_f32 v[14:15], v[14:15], v[16:17]
	s_delay_alu instid0(VALU_DEP_1) | instskip(NEXT) | instid1(VALU_DEP_1)
	v_mov_b32_e32 v13, v14
	v_pk_add_f32 v[18:19], v[12:13], v[8:9] neg_lo:[0,1] neg_hi:[0,1]
	s_delay_alu instid0(VALU_DEP_1) | instskip(NEXT) | instid1(VALU_DEP_1)
	v_sub_f32_e32 v7, v12, v18
	v_sub_f32_e32 v7, v8, v7
	v_mov_b32_e32 v11, v16
	s_delay_alu instid0(VALU_DEP_1) | instskip(NEXT) | instid1(VALU_DEP_1)
	v_pk_add_f32 v[10:11], v[10:11], v[18:19] neg_lo:[0,1] neg_hi:[0,1]
	v_add_f32_e32 v7, v10, v7
	s_delay_alu instid0(VALU_DEP_1) | instskip(NEXT) | instid1(VALU_DEP_1)
	v_add_f32_e32 v7, v7, v11
	v_add_f32_e32 v7, v14, v7
	s_delay_alu instid0(VALU_DEP_1) | instskip(SKIP_1) | instid1(VALU_DEP_2)
	v_cndmask_b32_e32 v7, 0x7f800000, v7, vcc_lo
	v_cmp_gt_f32_e64 vcc_lo, 0x33800000, |v24|
	v_cndmask_b32_e32 v7, v7, v24, vcc_lo
	s_delay_alu instid0(VALU_DEP_1) | instskip(NEXT) | instid1(VALU_DEP_1)
	v_div_scale_f32 v8, null, s9, s9, v7
	v_rcp_f32_e32 v9, v8
	v_nop
	s_delay_alu instid0(TRANS32_DEP_1) | instskip(NEXT) | instid1(VALU_DEP_1)
	v_fma_f32 v10, -v8, v9, 1.0
	v_fmac_f32_e32 v9, v10, v9
	v_div_scale_f32 v10, vcc_lo, v7, s9, v7
	s_delay_alu instid0(VALU_DEP_1) | instskip(NEXT) | instid1(VALU_DEP_1)
	v_mul_f32_e32 v11, v10, v9
	v_fma_f32 v12, -v8, v11, v10
	s_delay_alu instid0(VALU_DEP_1) | instskip(NEXT) | instid1(VALU_DEP_1)
	v_fmac_f32_e32 v11, v12, v9
	v_fma_f32 v8, -v8, v11, v10
	s_delay_alu instid0(VALU_DEP_1) | instskip(NEXT) | instid1(VALU_DEP_1)
	v_div_fmas_f32 v8, v8, v9, v11
	v_div_fixup_f32 v7, v8, s9, v7
.LBB30_13:
	s_or_b32 exec_lo, exec_lo, s3
	v_and_b32_e32 v2, 0xffff0000, v2
	s_mov_b32 s3, exec_lo
	s_delay_alu instid0(VALU_DEP_1) | instskip(NEXT) | instid1(VALU_DEP_1)
	v_mul_f32_e32 v8, s9, v2
	v_cmpx_nlt_f32_e32 s10, v8
	s_cbranch_execz .LBB30_15
; %bb.14:
	v_mul_f32_e32 v2, 0x3fb8aa3b, v8
	v_cmp_ngt_f32_e32 vcc_lo, 0xc2ce8ed0, v8
	s_mov_b32 s8, 0x3e9b6dac
	s_delay_alu instid0(VALU_DEP_2) | instskip(SKIP_1) | instid1(VALU_DEP_2)
	v_rndne_f32_e32 v9, v2
	v_fma_f32 v10, 0x3fb8aa3b, v8, -v2
	v_sub_f32_e32 v2, v2, v9
	s_delay_alu instid0(VALU_DEP_2) | instskip(SKIP_1) | instid1(VALU_DEP_2)
	v_fmamk_f32 v10, v8, 0x32a5705f, v10
	v_cvt_i32_f32_e32 v9, v9
	v_add_f32_e32 v2, v2, v10
	s_delay_alu instid0(VALU_DEP_1) | instskip(SKIP_1) | instid1(TRANS32_DEP_1)
	v_exp_f32_e32 v2, v2
	v_nop
	v_ldexp_f32 v2, v2, v9
	s_delay_alu instid0(VALU_DEP_1) | instskip(SKIP_1) | instid1(VALU_DEP_2)
	v_cndmask_b32_e32 v2, 0, v2, vcc_lo
	v_cmp_nlt_f32_e32 vcc_lo, 0x42b17218, v8
	v_cndmask_b32_e32 v24, 0x7f800000, v2, vcc_lo
	s_delay_alu instid0(VALU_DEP_1) | instskip(NEXT) | instid1(VALU_DEP_1)
	v_add_f32_e32 v2, 1.0, v24
	v_cvt_f64_f32_e32 v[8:9], v2
	s_delay_alu instid0(VALU_DEP_1) | instskip(SKIP_1) | instid1(VALU_DEP_1)
	v_frexp_exp_i32_f64_e32 v8, v[8:9]
	v_frexp_mant_f32_e32 v9, v2
	v_cmp_gt_f32_e32 vcc_lo, 0x3f2aaaab, v9
	s_delay_alu instid0(VALU_DEP_3) | instskip(SKIP_1) | instid1(VALU_DEP_2)
	v_subrev_co_ci_u32_e64 v14, null, 0, v8, vcc_lo
	v_add_f32_e32 v8, -1.0, v2
	v_sub_nc_u32_e32 v9, 0, v14
	s_delay_alu instid0(VALU_DEP_2) | instskip(NEXT) | instid1(VALU_DEP_2)
	v_sub_f32_e32 v10, v8, v2
	v_ldexp_f32 v2, v2, v9
	s_delay_alu instid0(VALU_DEP_2) | instskip(NEXT) | instid1(VALU_DEP_2)
	v_add_f32_e32 v10, 1.0, v10
	v_dual_add_f32 v11, 1.0, v2 :: v_dual_add_f32 v13, -1.0, v2
	v_sub_f32_e32 v8, v24, v8
	v_cmp_neq_f32_e32 vcc_lo, 0x7f800000, v24
	s_delay_alu instid0(VALU_DEP_2) | instskip(NEXT) | instid1(VALU_DEP_1)
	v_dual_add_f32 v8, v8, v10 :: v_dual_add_f32 v10, -1.0, v11
	v_ldexp_f32 v8, v8, v9
	s_delay_alu instid0(VALU_DEP_2) | instskip(NEXT) | instid1(VALU_DEP_1)
	v_dual_sub_f32 v9, v2, v10 :: v_dual_add_f32 v10, 1.0, v13
	v_dual_sub_f32 v2, v2, v10 :: v_dual_add_f32 v12, v8, v9
	s_delay_alu instid0(VALU_DEP_1) | instskip(NEXT) | instid1(VALU_DEP_1)
	v_dual_add_f32 v2, v8, v2 :: v_dual_add_f32 v15, v11, v12
	v_dual_add_f32 v9, v13, v2 :: v_dual_sub_f32 v8, v11, v15
	v_rcp_f32_e32 v16, v15
	s_delay_alu instid0(VALU_DEP_1)
	v_dual_sub_f32 v19, v13, v9 :: v_dual_add_f32 v18, v12, v8
	s_delay_alu instid0(TRANS32_DEP_1) | instid1(VALU_DEP_1)
	v_dual_mul_f32 v17, v9, v16 :: v_dual_add_f32 v2, v2, v19
	s_delay_alu instid0(VALU_DEP_1) | instskip(NEXT) | instid1(VALU_DEP_1)
	v_mul_f32_e32 v10, v15, v17
	v_fma_f32 v12, v17, v15, -v10
	s_delay_alu instid0(VALU_DEP_1) | instskip(NEXT) | instid1(VALU_DEP_1)
	v_fmac_f32_e32 v12, v17, v18
	v_add_f32_e32 v8, v10, v12
	s_delay_alu instid0(VALU_DEP_1) | instskip(NEXT) | instid1(VALU_DEP_1)
	v_dual_sub_f32 v11, v9, v8 :: v_dual_mov_b32 v13, v8
	v_pk_add_f32 v[8:9], v[8:9], v[10:11] neg_lo:[0,1] neg_hi:[0,1]
	s_delay_alu instid0(VALU_DEP_1) | instskip(NEXT) | instid1(VALU_DEP_1)
	v_pk_add_f32 v[8:9], v[8:9], v[12:13] neg_lo:[0,1] neg_hi:[0,1]
	v_add_f32_e32 v2, v2, v9
	s_delay_alu instid0(VALU_DEP_1) | instskip(NEXT) | instid1(VALU_DEP_1)
	v_add_f32_e32 v2, v8, v2
	v_add_f32_e32 v9, v11, v2
	s_delay_alu instid0(VALU_DEP_1) | instskip(NEXT) | instid1(VALU_DEP_1)
	v_mul_f32_e32 v19, v16, v9
	v_mul_f32_e32 v12, v15, v19
	s_delay_alu instid0(VALU_DEP_1) | instskip(SKIP_1) | instid1(VALU_DEP_2)
	v_fma_f32 v10, v19, v15, -v12
	v_sub_f32_e32 v15, v11, v9
	v_fmac_f32_e32 v10, v19, v18
	s_delay_alu instid0(VALU_DEP_1) | instskip(NEXT) | instid1(VALU_DEP_1)
	v_add_f32_e32 v8, v12, v10
	v_dual_sub_f32 v13, v9, v8 :: v_dual_mov_b32 v11, v8
	s_delay_alu instid0(VALU_DEP_1) | instskip(NEXT) | instid1(VALU_DEP_1)
	v_pk_add_f32 v[8:9], v[8:9], v[12:13] neg_lo:[0,1] neg_hi:[0,1]
	v_pk_add_f32 v[8:9], v[8:9], v[10:11] neg_lo:[0,1] neg_hi:[0,1]
	v_add_f32_e32 v12, v17, v19
	v_add_f32_e32 v2, v2, v15
	v_cvt_f32_i32_e32 v10, v14
	s_delay_alu instid0(VALU_DEP_2) | instskip(NEXT) | instid1(VALU_DEP_1)
	v_add_f32_e32 v2, v2, v9
	v_add_f32_e32 v2, v8, v2
	s_delay_alu instid0(VALU_DEP_1) | instskip(NEXT) | instid1(VALU_DEP_1)
	v_dual_sub_f32 v8, v12, v17 :: v_dual_add_f32 v2, v13, v2
	v_dual_sub_f32 v8, v19, v8 :: v_dual_mul_f32 v2, v16, v2
	s_delay_alu instid0(VALU_DEP_1) | instskip(NEXT) | instid1(VALU_DEP_1)
	v_add_f32_e32 v2, v8, v2
	v_dual_mov_b32 v8, 0x3f317218 :: v_dual_add_f32 v13, v12, v2
	s_delay_alu instid0(VALU_DEP_1) | instskip(NEXT) | instid1(VALU_DEP_1)
	v_mul_f32_e32 v9, v13, v13
	v_fmaak_f32 v15, s8, v9, 0x3ecc95a3
	v_mul_f32_e32 v11, v13, v9
	s_delay_alu instid0(VALU_DEP_2) | instskip(NEXT) | instid1(VALU_DEP_1)
	v_fmaak_f32 v9, v9, v15, 0x3f2aaada
	v_pk_mul_f32 v[8:9], v[10:11], v[8:9]
	v_ldexp_f32 v11, v13, 1
	s_delay_alu instid0(VALU_DEP_2) | instskip(NEXT) | instid1(VALU_DEP_1)
	v_fma_f32 v14, 0x3f317218, v10, -v8
	v_fmamk_f32 v10, v10, 0xb102e308, v14
	v_sub_f32_e32 v14, v13, v12
	s_delay_alu instid0(VALU_DEP_2) | instskip(NEXT) | instid1(VALU_DEP_1)
	v_pk_add_f32 v[12:13], v[8:9], v[10:11]
	v_dual_sub_f32 v11, v13, v11 :: v_dual_sub_f32 v2, v2, v14
	s_delay_alu instid0(VALU_DEP_1) | instskip(NEXT) | instid1(VALU_DEP_2)
	v_dual_mov_b32 v14, v8 :: v_dual_sub_f32 v11, v9, v11
	v_ldexp_f32 v2, v2, 1
	s_delay_alu instid0(VALU_DEP_4) | instskip(NEXT) | instid1(VALU_DEP_2)
	v_pk_add_f32 v[8:9], v[12:13], v[8:9] neg_lo:[0,1] neg_hi:[0,1]
	v_dual_add_f32 v15, v2, v11 :: v_dual_mov_b32 v11, v12
	s_delay_alu instid0(VALU_DEP_1) | instskip(NEXT) | instid1(VALU_DEP_1)
	v_pk_add_f32 v[16:17], v[12:13], v[14:15]
	v_dual_mov_b32 v22, v13 :: v_dual_mov_b32 v9, v17
	s_delay_alu instid0(VALU_DEP_1) | instskip(NEXT) | instid1(VALU_DEP_1)
	v_pk_add_f32 v[18:19], v[10:11], v[8:9]
	v_dual_mov_b32 v18, v17 :: v_dual_mov_b32 v2, v19
	v_pk_add_f32 v[8:9], v[10:11], v[8:9] neg_lo:[0,1] neg_hi:[0,1]
	v_mov_b32_e32 v9, v19
	s_delay_alu instid0(VALU_DEP_3) | instskip(SKIP_1) | instid1(VALU_DEP_2)
	v_pk_add_f32 v[20:21], v[2:3], v[12:13] neg_lo:[0,1] neg_hi:[0,1]
	v_dual_mov_b32 v13, v12 :: v_dual_mov_b32 v12, v15
	v_dual_mov_b32 v15, v20 :: v_dual_mov_b32 v23, v20
	s_delay_alu instid0(VALU_DEP_1) | instskip(NEXT) | instid1(VALU_DEP_2)
	v_pk_add_f32 v[14:15], v[16:17], v[14:15] neg_lo:[0,1] neg_hi:[0,1]
	v_pk_add_f32 v[10:11], v[18:19], v[22:23] neg_lo:[0,1] neg_hi:[0,1]
	v_mov_b32_e32 v14, v8
	s_delay_alu instid0(VALU_DEP_2) | instskip(NEXT) | instid1(VALU_DEP_1)
	v_pk_add_f32 v[10:11], v[12:13], v[10:11] neg_lo:[0,1] neg_hi:[0,1]
	v_pk_add_f32 v[12:13], v[14:15], v[10:11]
	s_delay_alu instid0(VALU_DEP_1) | instskip(NEXT) | instid1(VALU_DEP_1)
	v_mov_b32_e32 v14, v13
	v_pk_add_f32 v[14:15], v[12:13], v[14:15]
	s_delay_alu instid0(VALU_DEP_1) | instskip(NEXT) | instid1(VALU_DEP_1)
	v_pk_add_f32 v[16:17], v[2:3], v[14:15]
	v_mov_b32_e32 v13, v16
	s_delay_alu instid0(VALU_DEP_1) | instskip(NEXT) | instid1(VALU_DEP_1)
	v_pk_add_f32 v[18:19], v[12:13], v[8:9] neg_lo:[0,1] neg_hi:[0,1]
	v_dual_mov_b32 v11, v14 :: v_dual_sub_f32 v2, v12, v18
	s_delay_alu instid0(VALU_DEP_1) | instskip(NEXT) | instid1(VALU_DEP_2)
	v_pk_add_f32 v[10:11], v[10:11], v[18:19] neg_lo:[0,1] neg_hi:[0,1]
	v_sub_f32_e32 v2, v8, v2
	s_delay_alu instid0(VALU_DEP_1) | instskip(NEXT) | instid1(VALU_DEP_1)
	v_add_f32_e32 v2, v10, v2
	v_add_f32_e32 v2, v2, v11
	s_delay_alu instid0(VALU_DEP_1) | instskip(NEXT) | instid1(VALU_DEP_1)
	v_add_f32_e32 v2, v16, v2
	v_cndmask_b32_e32 v2, 0x7f800000, v2, vcc_lo
	v_cmp_gt_f32_e64 vcc_lo, 0x33800000, |v24|
	s_delay_alu instid0(VALU_DEP_2) | instskip(NEXT) | instid1(VALU_DEP_1)
	v_cndmask_b32_e32 v2, v2, v24, vcc_lo
	v_div_scale_f32 v8, null, s9, s9, v2
	s_delay_alu instid0(VALU_DEP_1) | instskip(SKIP_1) | instid1(TRANS32_DEP_1)
	v_rcp_f32_e32 v9, v8
	v_nop
	v_fma_f32 v10, -v8, v9, 1.0
	s_delay_alu instid0(VALU_DEP_1) | instskip(SKIP_1) | instid1(VALU_DEP_1)
	v_fmac_f32_e32 v9, v10, v9
	v_div_scale_f32 v10, vcc_lo, v2, s9, v2
	v_mul_f32_e32 v11, v10, v9
	s_delay_alu instid0(VALU_DEP_1) | instskip(NEXT) | instid1(VALU_DEP_1)
	v_fma_f32 v12, -v8, v11, v10
	v_fmac_f32_e32 v11, v12, v9
	s_delay_alu instid0(VALU_DEP_1) | instskip(NEXT) | instid1(VALU_DEP_1)
	v_fma_f32 v8, -v8, v11, v10
	v_div_fmas_f32 v8, v8, v9, v11
	s_delay_alu instid0(VALU_DEP_1)
	v_div_fixup_f32 v2, v8, s9, v2
.LBB30_15:
	s_or_b32 exec_lo, exec_lo, s3
	v_lshlrev_b32_e32 v8, 16, v3
	s_mov_b32 s3, exec_lo
	s_delay_alu instid0(VALU_DEP_1) | instskip(NEXT) | instid1(VALU_DEP_1)
	v_mul_f32_e32 v9, s9, v8
	v_cmpx_nlt_f32_e32 s10, v9
	s_cbranch_execz .LBB30_17
; %bb.16:
	v_mul_f32_e32 v8, 0x3fb8aa3b, v9
	v_cmp_ngt_f32_e32 vcc_lo, 0xc2ce8ed0, v9
	s_mov_b32 s8, 0x3e9b6dac
	s_delay_alu instid0(VALU_DEP_2) | instskip(SKIP_1) | instid1(VALU_DEP_1)
	v_rndne_f32_e32 v10, v8
	v_fma_f32 v11, 0x3fb8aa3b, v9, -v8
	v_dual_sub_f32 v8, v8, v10 :: v_dual_fmamk_f32 v11, v9, 0x32a5705f, v11
	v_cvt_i32_f32_e32 v10, v10
	s_delay_alu instid0(VALU_DEP_2) | instskip(NEXT) | instid1(VALU_DEP_1)
	v_add_f32_e32 v8, v8, v11
	v_exp_f32_e32 v8, v8
	v_nop
	s_delay_alu instid0(TRANS32_DEP_1) | instskip(NEXT) | instid1(VALU_DEP_1)
	v_ldexp_f32 v8, v8, v10
	v_cndmask_b32_e32 v8, 0, v8, vcc_lo
	v_cmp_nlt_f32_e32 vcc_lo, 0x42b17218, v9
	s_delay_alu instid0(VALU_DEP_2) | instskip(NEXT) | instid1(VALU_DEP_1)
	v_cndmask_b32_e32 v24, 0x7f800000, v8, vcc_lo
	v_add_f32_e32 v10, 1.0, v24
	s_delay_alu instid0(VALU_DEP_1) | instskip(NEXT) | instid1(VALU_DEP_1)
	v_cvt_f64_f32_e32 v[8:9], v10
	v_frexp_exp_i32_f64_e32 v8, v[8:9]
	v_frexp_mant_f32_e32 v9, v10
	s_delay_alu instid0(VALU_DEP_1) | instskip(NEXT) | instid1(VALU_DEP_3)
	v_cmp_gt_f32_e32 vcc_lo, 0x3f2aaaab, v9
	v_subrev_co_ci_u32_e64 v14, null, 0, v8, vcc_lo
	v_add_f32_e32 v8, -1.0, v10
	s_delay_alu instid0(VALU_DEP_2) | instskip(NEXT) | instid1(VALU_DEP_2)
	v_sub_nc_u32_e32 v9, 0, v14
	v_sub_f32_e32 v11, v8, v10
	v_cmp_neq_f32_e32 vcc_lo, 0x7f800000, v24
	s_delay_alu instid0(VALU_DEP_3) | instskip(NEXT) | instid1(VALU_DEP_1)
	v_ldexp_f32 v10, v10, v9
	v_dual_add_f32 v11, 1.0, v11 :: v_dual_add_f32 v12, 1.0, v10
	v_dual_sub_f32 v8, v24, v8 :: v_dual_add_f32 v13, -1.0, v10
	s_delay_alu instid0(VALU_DEP_1) | instskip(NEXT) | instid1(VALU_DEP_1)
	v_dual_add_f32 v8, v8, v11 :: v_dual_add_f32 v11, -1.0, v12
	v_ldexp_f32 v8, v8, v9
	s_delay_alu instid0(VALU_DEP_2) | instskip(NEXT) | instid1(VALU_DEP_1)
	v_dual_sub_f32 v9, v10, v11 :: v_dual_add_f32 v11, 1.0, v13
	v_dual_add_f32 v15, v8, v9 :: v_dual_sub_f32 v9, v10, v11
	s_delay_alu instid0(VALU_DEP_1) | instskip(NEXT) | instid1(VALU_DEP_1)
	v_add_f32_e32 v17, v8, v9
	v_dual_add_f32 v16, v12, v15 :: v_dual_add_f32 v9, v13, v17
	s_delay_alu instid0(VALU_DEP_1) | instskip(NEXT) | instid1(VALU_DEP_1)
	v_rcp_f32_e32 v18, v16
	v_sub_f32_e32 v20, v13, v9
	s_delay_alu instid0(TRANS32_DEP_1) | instskip(NEXT) | instid1(VALU_DEP_1)
	v_mul_f32_e32 v19, v9, v18
	v_mul_f32_e32 v10, v16, v19
	s_delay_alu instid0(VALU_DEP_1) | instskip(NEXT) | instid1(VALU_DEP_1)
	v_dual_sub_f32 v8, v12, v16 :: v_dual_fma_f32 v12, v19, v16, -v10
	v_add_f32_e32 v15, v15, v8
	s_delay_alu instid0(VALU_DEP_1) | instskip(NEXT) | instid1(VALU_DEP_1)
	v_fmac_f32_e32 v12, v19, v15
	v_add_f32_e32 v8, v10, v12
	s_delay_alu instid0(VALU_DEP_1) | instskip(NEXT) | instid1(VALU_DEP_1)
	v_dual_sub_f32 v11, v9, v8 :: v_dual_mov_b32 v13, v8
	v_pk_add_f32 v[8:9], v[8:9], v[10:11] neg_lo:[0,1] neg_hi:[0,1]
	v_add_f32_e32 v10, v17, v20
	s_delay_alu instid0(VALU_DEP_2) | instskip(NEXT) | instid1(VALU_DEP_1)
	v_pk_add_f32 v[8:9], v[8:9], v[12:13] neg_lo:[0,1] neg_hi:[0,1]
	v_add_f32_e32 v9, v10, v9
	s_delay_alu instid0(VALU_DEP_1) | instskip(NEXT) | instid1(VALU_DEP_1)
	v_add_f32_e32 v17, v8, v9
	v_add_f32_e32 v9, v11, v17
	s_delay_alu instid0(VALU_DEP_1) | instskip(NEXT) | instid1(VALU_DEP_1)
	v_mul_f32_e32 v20, v18, v9
	v_mul_f32_e32 v12, v16, v20
	s_delay_alu instid0(VALU_DEP_1) | instskip(NEXT) | instid1(VALU_DEP_1)
	v_fma_f32 v10, v20, v16, -v12
	v_dual_fmac_f32 v10, v20, v15 :: v_dual_sub_f32 v15, v11, v9
	s_delay_alu instid0(VALU_DEP_1) | instskip(NEXT) | instid1(VALU_DEP_1)
	v_add_f32_e32 v8, v12, v10
	v_dual_sub_f32 v13, v9, v8 :: v_dual_mov_b32 v11, v8
	s_delay_alu instid0(VALU_DEP_1) | instskip(NEXT) | instid1(VALU_DEP_4)
	v_pk_add_f32 v[8:9], v[8:9], v[12:13] neg_lo:[0,1] neg_hi:[0,1]
	v_add_f32_e32 v12, v17, v15
	s_delay_alu instid0(VALU_DEP_2) | instskip(SKIP_1) | instid1(VALU_DEP_2)
	v_pk_add_f32 v[8:9], v[8:9], v[10:11] neg_lo:[0,1] neg_hi:[0,1]
	v_cvt_f32_i32_e32 v10, v14
	v_dual_add_f32 v9, v12, v9 :: v_dual_add_f32 v12, v19, v20
	s_delay_alu instid0(VALU_DEP_1) | instskip(NEXT) | instid1(VALU_DEP_1)
	v_add_f32_e32 v8, v8, v9
	v_dual_sub_f32 v9, v12, v19 :: v_dual_add_f32 v8, v13, v8
	s_delay_alu instid0(VALU_DEP_1) | instskip(NEXT) | instid1(VALU_DEP_1)
	v_dual_sub_f32 v9, v20, v9 :: v_dual_mul_f32 v8, v18, v8
	v_dual_add_f32 v15, v9, v8 :: v_dual_mov_b32 v8, 0x3f317218
	s_delay_alu instid0(VALU_DEP_1) | instskip(NEXT) | instid1(VALU_DEP_1)
	v_add_f32_e32 v13, v12, v15
	v_mul_f32_e32 v9, v13, v13
	s_delay_alu instid0(VALU_DEP_1) | instskip(NEXT) | instid1(VALU_DEP_1)
	v_dual_fmaak_f32 v16, s8, v9, 0x3ecc95a3 :: v_dual_mul_f32 v11, v13, v9
	v_fmaak_f32 v9, v9, v16, 0x3f2aaada
	s_delay_alu instid0(VALU_DEP_1) | instskip(SKIP_1) | instid1(VALU_DEP_2)
	v_pk_mul_f32 v[8:9], v[10:11], v[8:9]
	v_ldexp_f32 v11, v13, 1
	v_fma_f32 v14, 0x3f317218, v10, -v8
	s_delay_alu instid0(VALU_DEP_1) | instskip(SKIP_1) | instid1(VALU_DEP_2)
	v_fmamk_f32 v10, v10, 0xb102e308, v14
	v_sub_f32_e32 v14, v13, v12
	v_pk_add_f32 v[12:13], v[8:9], v[10:11]
	s_delay_alu instid0(VALU_DEP_1) | instskip(NEXT) | instid1(VALU_DEP_1)
	v_dual_sub_f32 v11, v13, v11 :: v_dual_sub_f32 v14, v15, v14
	v_sub_f32_e32 v11, v9, v11
	s_delay_alu instid0(VALU_DEP_2) | instskip(SKIP_2) | instid1(VALU_DEP_3)
	v_ldexp_f32 v15, v14, 1
	v_mov_b32_e32 v14, v8
	v_pk_add_f32 v[8:9], v[12:13], v[8:9] neg_lo:[0,1] neg_hi:[0,1]
	v_dual_add_f32 v15, v15, v11 :: v_dual_mov_b32 v11, v12
	s_delay_alu instid0(VALU_DEP_1) | instskip(NEXT) | instid1(VALU_DEP_1)
	v_pk_add_f32 v[16:17], v[12:13], v[14:15]
	v_dual_mov_b32 v22, v13 :: v_dual_mov_b32 v9, v17
	s_delay_alu instid0(VALU_DEP_1) | instskip(NEXT) | instid1(VALU_DEP_1)
	v_pk_add_f32 v[18:19], v[10:11], v[8:9]
	v_dual_mov_b32 v18, v17 :: v_dual_mov_b32 v14, v19
	v_pk_add_f32 v[8:9], v[10:11], v[8:9] neg_lo:[0,1] neg_hi:[0,1]
	v_mov_b32_e32 v9, v19
	s_delay_alu instid0(VALU_DEP_3) | instskip(SKIP_1) | instid1(VALU_DEP_2)
	v_pk_add_f32 v[20:21], v[14:15], v[12:13] neg_lo:[0,1] neg_hi:[0,1]
	v_dual_mov_b32 v13, v12 :: v_dual_mov_b32 v12, v15
	v_dual_mov_b32 v15, v20 :: v_dual_mov_b32 v23, v20
	s_delay_alu instid0(VALU_DEP_1) | instskip(NEXT) | instid1(VALU_DEP_2)
	v_pk_add_f32 v[16:17], v[16:17], v[14:15] neg_lo:[0,1] neg_hi:[0,1]
	v_pk_add_f32 v[10:11], v[18:19], v[22:23] neg_lo:[0,1] neg_hi:[0,1]
	v_mov_b32_e32 v16, v8
	s_delay_alu instid0(VALU_DEP_2) | instskip(NEXT) | instid1(VALU_DEP_1)
	v_pk_add_f32 v[10:11], v[12:13], v[10:11] neg_lo:[0,1] neg_hi:[0,1]
	v_pk_add_f32 v[12:13], v[16:17], v[10:11]
	s_delay_alu instid0(VALU_DEP_1) | instskip(NEXT) | instid1(VALU_DEP_1)
	v_mov_b32_e32 v16, v13
	v_pk_add_f32 v[16:17], v[12:13], v[16:17]
	s_delay_alu instid0(VALU_DEP_1) | instskip(NEXT) | instid1(VALU_DEP_1)
	v_pk_add_f32 v[14:15], v[14:15], v[16:17]
	v_mov_b32_e32 v13, v14
	s_delay_alu instid0(VALU_DEP_1) | instskip(NEXT) | instid1(VALU_DEP_1)
	v_pk_add_f32 v[18:19], v[12:13], v[8:9] neg_lo:[0,1] neg_hi:[0,1]
	v_sub_f32_e32 v9, v12, v18
	s_delay_alu instid0(VALU_DEP_1) | instskip(SKIP_1) | instid1(VALU_DEP_1)
	v_sub_f32_e32 v8, v8, v9
	v_mov_b32_e32 v11, v16
	v_pk_add_f32 v[10:11], v[10:11], v[18:19] neg_lo:[0,1] neg_hi:[0,1]
	s_delay_alu instid0(VALU_DEP_1) | instskip(NEXT) | instid1(VALU_DEP_1)
	v_add_f32_e32 v8, v10, v8
	v_add_f32_e32 v8, v8, v11
	s_delay_alu instid0(VALU_DEP_1) | instskip(NEXT) | instid1(VALU_DEP_1)
	v_add_f32_e32 v8, v14, v8
	v_cndmask_b32_e32 v8, 0x7f800000, v8, vcc_lo
	v_cmp_gt_f32_e64 vcc_lo, 0x33800000, |v24|
	s_delay_alu instid0(VALU_DEP_2) | instskip(NEXT) | instid1(VALU_DEP_1)
	v_cndmask_b32_e32 v8, v8, v24, vcc_lo
	v_div_scale_f32 v9, null, s9, s9, v8
	s_delay_alu instid0(VALU_DEP_1) | instskip(SKIP_1) | instid1(TRANS32_DEP_1)
	v_rcp_f32_e32 v10, v9
	v_nop
	v_fma_f32 v11, -v9, v10, 1.0
	s_delay_alu instid0(VALU_DEP_1) | instskip(SKIP_1) | instid1(VALU_DEP_1)
	v_fmac_f32_e32 v10, v11, v10
	v_div_scale_f32 v11, vcc_lo, v8, s9, v8
	v_mul_f32_e32 v12, v11, v10
	s_delay_alu instid0(VALU_DEP_1) | instskip(NEXT) | instid1(VALU_DEP_1)
	v_fma_f32 v13, -v9, v12, v11
	v_fmac_f32_e32 v12, v13, v10
	s_delay_alu instid0(VALU_DEP_1) | instskip(NEXT) | instid1(VALU_DEP_1)
	v_fma_f32 v9, -v9, v12, v11
	v_div_fmas_f32 v9, v9, v10, v12
	s_delay_alu instid0(VALU_DEP_1)
	v_div_fixup_f32 v8, v9, s9, v8
.LBB30_17:
	s_or_b32 exec_lo, exec_lo, s3
	v_and_b32_e32 v3, 0xffff0000, v3
	s_mov_b32 s3, exec_lo
	s_delay_alu instid0(VALU_DEP_1) | instskip(NEXT) | instid1(VALU_DEP_1)
	v_mul_f32_e32 v9, s9, v3
	v_cmpx_nlt_f32_e32 s10, v9
	s_cbranch_execz .LBB30_19
; %bb.18:
	v_mul_f32_e32 v3, 0x3fb8aa3b, v9
	v_cmp_ngt_f32_e32 vcc_lo, 0xc2ce8ed0, v9
	s_mov_b32 s8, 0x3e9b6dac
	s_delay_alu instid0(VALU_DEP_2) | instskip(SKIP_1) | instid1(VALU_DEP_2)
	v_rndne_f32_e32 v10, v3
	v_fma_f32 v11, 0x3fb8aa3b, v9, -v3
	v_sub_f32_e32 v3, v3, v10
	s_delay_alu instid0(VALU_DEP_2) | instskip(SKIP_1) | instid1(VALU_DEP_2)
	v_fmamk_f32 v11, v9, 0x32a5705f, v11
	v_cvt_i32_f32_e32 v10, v10
	v_add_f32_e32 v3, v3, v11
	s_delay_alu instid0(VALU_DEP_1) | instskip(SKIP_1) | instid1(TRANS32_DEP_1)
	v_exp_f32_e32 v3, v3
	v_nop
	v_ldexp_f32 v3, v3, v10
	s_delay_alu instid0(VALU_DEP_1) | instskip(SKIP_1) | instid1(VALU_DEP_2)
	v_cndmask_b32_e32 v3, 0, v3, vcc_lo
	v_cmp_nlt_f32_e32 vcc_lo, 0x42b17218, v9
	v_cndmask_b32_e32 v9, 0x7f800000, v3, vcc_lo
	s_delay_alu instid0(VALU_DEP_1) | instskip(NEXT) | instid1(VALU_DEP_1)
	v_add_f32_e32 v3, 1.0, v9
	v_cvt_f64_f32_e32 v[10:11], v3
	s_delay_alu instid0(VALU_DEP_1) | instskip(SKIP_1) | instid1(VALU_DEP_1)
	v_frexp_exp_i32_f64_e32 v10, v[10:11]
	v_frexp_mant_f32_e32 v11, v3
	v_cmp_gt_f32_e32 vcc_lo, 0x3f2aaaab, v11
	s_delay_alu instid0(VALU_DEP_3) | instskip(NEXT) | instid1(VALU_DEP_1)
	v_subrev_co_ci_u32_e64 v16, null, 0, v10, vcc_lo
	v_dual_add_f32 v10, -1.0, v3 :: v_dual_sub_nc_u32 v11, 0, v16
	s_delay_alu instid0(VALU_DEP_1) | instskip(SKIP_1) | instid1(VALU_DEP_3)
	v_dual_sub_f32 v12, v10, v3 :: v_dual_sub_f32 v10, v9, v10
	v_cmp_neq_f32_e32 vcc_lo, 0x7f800000, v9
	v_ldexp_f32 v3, v3, v11
	s_delay_alu instid0(VALU_DEP_1) | instskip(NEXT) | instid1(VALU_DEP_1)
	v_dual_add_f32 v12, 1.0, v12 :: v_dual_add_f32 v13, 1.0, v3
	v_dual_add_f32 v15, -1.0, v3 :: v_dual_add_f32 v10, v10, v12
	s_delay_alu instid0(VALU_DEP_1) | instskip(NEXT) | instid1(VALU_DEP_3)
	v_ldexp_f32 v10, v10, v11
	v_add_f32_e32 v12, -1.0, v13
	s_delay_alu instid0(VALU_DEP_1) | instskip(NEXT) | instid1(VALU_DEP_1)
	v_dual_sub_f32 v11, v3, v12 :: v_dual_add_f32 v12, 1.0, v15
	v_dual_sub_f32 v3, v3, v12 :: v_dual_add_f32 v14, v10, v11
	s_delay_alu instid0(VALU_DEP_1) | instskip(NEXT) | instid1(VALU_DEP_1)
	v_dual_add_f32 v3, v10, v3 :: v_dual_add_f32 v17, v13, v14
	v_dual_add_f32 v11, v15, v3 :: v_dual_sub_f32 v10, v13, v17
	v_rcp_f32_e32 v18, v17
	s_delay_alu instid0(VALU_DEP_1) | instskip(NEXT) | instid1(TRANS32_DEP_1)
	v_dual_sub_f32 v21, v15, v11 :: v_dual_add_f32 v20, v14, v10
	v_mul_f32_e32 v19, v11, v18
	s_delay_alu instid0(VALU_DEP_1) | instskip(NEXT) | instid1(VALU_DEP_1)
	v_dual_add_f32 v3, v3, v21 :: v_dual_mul_f32 v12, v17, v19
	v_fma_f32 v14, v19, v17, -v12
	s_delay_alu instid0(VALU_DEP_1) | instskip(NEXT) | instid1(VALU_DEP_1)
	v_fmac_f32_e32 v14, v19, v20
	v_add_f32_e32 v10, v12, v14
	s_delay_alu instid0(VALU_DEP_1) | instskip(NEXT) | instid1(VALU_DEP_1)
	v_dual_sub_f32 v13, v11, v10 :: v_dual_mov_b32 v15, v10
	v_pk_add_f32 v[10:11], v[10:11], v[12:13] neg_lo:[0,1] neg_hi:[0,1]
	s_delay_alu instid0(VALU_DEP_1) | instskip(NEXT) | instid1(VALU_DEP_1)
	v_pk_add_f32 v[10:11], v[10:11], v[14:15] neg_lo:[0,1] neg_hi:[0,1]
	v_add_f32_e32 v3, v3, v11
	s_delay_alu instid0(VALU_DEP_1) | instskip(NEXT) | instid1(VALU_DEP_1)
	v_add_f32_e32 v3, v10, v3
	v_add_f32_e32 v11, v13, v3
	s_delay_alu instid0(VALU_DEP_1) | instskip(NEXT) | instid1(VALU_DEP_1)
	v_mul_f32_e32 v21, v18, v11
	v_mul_f32_e32 v14, v17, v21
	s_delay_alu instid0(VALU_DEP_1) | instskip(SKIP_1) | instid1(VALU_DEP_1)
	v_fma_f32 v12, v21, v17, -v14
	v_sub_f32_e32 v17, v13, v11
	v_dual_fmac_f32 v12, v21, v20 :: v_dual_add_f32 v3, v3, v17
	s_delay_alu instid0(VALU_DEP_1) | instskip(NEXT) | instid1(VALU_DEP_1)
	v_add_f32_e32 v10, v14, v12
	v_dual_sub_f32 v15, v11, v10 :: v_dual_mov_b32 v13, v10
	s_delay_alu instid0(VALU_DEP_1) | instskip(NEXT) | instid1(VALU_DEP_1)
	v_pk_add_f32 v[10:11], v[10:11], v[14:15] neg_lo:[0,1] neg_hi:[0,1]
	v_pk_add_f32 v[10:11], v[10:11], v[12:13] neg_lo:[0,1] neg_hi:[0,1]
	v_cvt_f32_i32_e32 v12, v16
	s_delay_alu instid0(VALU_DEP_2) | instskip(NEXT) | instid1(VALU_DEP_1)
	v_add_f32_e32 v3, v3, v11
	v_dual_add_f32 v14, v19, v21 :: v_dual_add_f32 v3, v10, v3
	s_delay_alu instid0(VALU_DEP_1) | instskip(NEXT) | instid1(VALU_DEP_1)
	v_sub_f32_e32 v10, v14, v19
	v_dual_add_f32 v3, v15, v3 :: v_dual_sub_f32 v10, v21, v10
	s_delay_alu instid0(VALU_DEP_1) | instskip(NEXT) | instid1(VALU_DEP_1)
	v_mul_f32_e32 v3, v18, v3
	v_dual_add_f32 v3, v10, v3 :: v_dual_mov_b32 v10, 0x3f317218
	s_delay_alu instid0(VALU_DEP_1) | instskip(NEXT) | instid1(VALU_DEP_1)
	v_add_f32_e32 v15, v14, v3
	v_mul_f32_e32 v11, v15, v15
	s_delay_alu instid0(VALU_DEP_1) | instskip(SKIP_1) | instid1(VALU_DEP_2)
	v_fmaak_f32 v17, s8, v11, 0x3ecc95a3
	v_mul_f32_e32 v13, v15, v11
	v_fmaak_f32 v11, v11, v17, 0x3f2aaada
	s_delay_alu instid0(VALU_DEP_1) | instskip(NEXT) | instid1(VALU_DEP_1)
	v_pk_mul_f32 v[10:11], v[12:13], v[10:11]
	v_fma_f32 v16, 0x3f317218, v12, -v10
	s_delay_alu instid0(VALU_DEP_1) | instskip(SKIP_1) | instid1(VALU_DEP_1)
	v_fmamk_f32 v12, v12, 0xb102e308, v16
	v_sub_f32_e32 v16, v15, v14
	v_sub_f32_e32 v3, v3, v16
	v_ldexp_f32 v13, v15, 1
	v_mov_b32_e32 v16, v10
	s_delay_alu instid0(VALU_DEP_3) | instskip(NEXT) | instid1(VALU_DEP_3)
	v_ldexp_f32 v3, v3, 1
	v_pk_add_f32 v[14:15], v[10:11], v[12:13]
	s_delay_alu instid0(VALU_DEP_1) | instskip(NEXT) | instid1(VALU_DEP_1)
	v_dual_sub_f32 v13, v15, v13 :: v_dual_mov_b32 v24, v15
	v_sub_f32_e32 v13, v11, v13
	s_delay_alu instid0(VALU_DEP_3) | instskip(NEXT) | instid1(VALU_DEP_2)
	v_pk_add_f32 v[10:11], v[14:15], v[10:11] neg_lo:[0,1] neg_hi:[0,1]
	v_dual_add_f32 v17, v3, v13 :: v_dual_mov_b32 v13, v14
	s_delay_alu instid0(VALU_DEP_1) | instskip(NEXT) | instid1(VALU_DEP_1)
	v_pk_add_f32 v[18:19], v[14:15], v[16:17]
	v_mov_b32_e32 v11, v19
	s_delay_alu instid0(VALU_DEP_1) | instskip(SKIP_2) | instid1(VALU_DEP_3)
	v_pk_add_f32 v[20:21], v[12:13], v[10:11]
	v_mov_b32_e32 v20, v19
	v_pk_add_f32 v[10:11], v[12:13], v[10:11] neg_lo:[0,1] neg_hi:[0,1]
	v_dual_mov_b32 v16, v21 :: v_dual_mov_b32 v11, v21
	s_delay_alu instid0(VALU_DEP_1) | instskip(SKIP_1) | instid1(VALU_DEP_2)
	v_pk_add_f32 v[22:23], v[16:17], v[14:15] neg_lo:[0,1] neg_hi:[0,1]
	v_dual_mov_b32 v15, v14 :: v_dual_mov_b32 v14, v17
	v_dual_mov_b32 v3, v22 :: v_dual_mov_b32 v25, v22
	s_delay_alu instid0(VALU_DEP_1) | instskip(NEXT) | instid1(VALU_DEP_2)
	v_pk_add_f32 v[18:19], v[18:19], v[2:3] neg_lo:[0,1] neg_hi:[0,1]
	v_pk_add_f32 v[12:13], v[20:21], v[24:25] neg_lo:[0,1] neg_hi:[0,1]
	v_mov_b32_e32 v18, v10
	s_delay_alu instid0(VALU_DEP_2) | instskip(NEXT) | instid1(VALU_DEP_1)
	v_pk_add_f32 v[12:13], v[14:15], v[12:13] neg_lo:[0,1] neg_hi:[0,1]
	v_pk_add_f32 v[14:15], v[18:19], v[12:13]
	s_delay_alu instid0(VALU_DEP_1) | instskip(NEXT) | instid1(VALU_DEP_1)
	v_mov_b32_e32 v18, v15
	v_pk_add_f32 v[18:19], v[14:15], v[18:19]
	s_delay_alu instid0(VALU_DEP_1) | instskip(NEXT) | instid1(VALU_DEP_1)
	v_pk_add_f32 v[16:17], v[16:17], v[18:19]
	v_mov_b32_e32 v15, v16
	s_delay_alu instid0(VALU_DEP_1) | instskip(NEXT) | instid1(VALU_DEP_1)
	v_pk_add_f32 v[20:21], v[14:15], v[10:11] neg_lo:[0,1] neg_hi:[0,1]
	v_sub_f32_e32 v3, v14, v20
	s_delay_alu instid0(VALU_DEP_1) | instskip(SKIP_1) | instid1(VALU_DEP_1)
	v_sub_f32_e32 v3, v10, v3
	v_mov_b32_e32 v13, v18
	v_pk_add_f32 v[12:13], v[12:13], v[20:21] neg_lo:[0,1] neg_hi:[0,1]
	s_delay_alu instid0(VALU_DEP_1) | instskip(NEXT) | instid1(VALU_DEP_1)
	v_add_f32_e32 v3, v12, v3
	v_add_f32_e32 v3, v3, v13
	s_delay_alu instid0(VALU_DEP_1) | instskip(NEXT) | instid1(VALU_DEP_1)
	v_add_f32_e32 v3, v16, v3
	v_cndmask_b32_e32 v3, 0x7f800000, v3, vcc_lo
	v_cmp_gt_f32_e64 vcc_lo, 0x33800000, |v9|
	s_delay_alu instid0(VALU_DEP_2) | instskip(NEXT) | instid1(VALU_DEP_1)
	v_cndmask_b32_e32 v3, v3, v9, vcc_lo
	v_div_scale_f32 v9, null, s9, s9, v3
	s_delay_alu instid0(VALU_DEP_1) | instskip(SKIP_1) | instid1(TRANS32_DEP_1)
	v_rcp_f32_e32 v10, v9
	v_nop
	v_fma_f32 v11, -v9, v10, 1.0
	s_delay_alu instid0(VALU_DEP_1) | instskip(SKIP_1) | instid1(VALU_DEP_1)
	v_fmac_f32_e32 v10, v11, v10
	v_div_scale_f32 v11, vcc_lo, v3, s9, v3
	v_mul_f32_e32 v12, v11, v10
	s_delay_alu instid0(VALU_DEP_1) | instskip(NEXT) | instid1(VALU_DEP_1)
	v_fma_f32 v13, -v9, v12, v11
	v_fmac_f32_e32 v12, v13, v10
	s_delay_alu instid0(VALU_DEP_1) | instskip(NEXT) | instid1(VALU_DEP_1)
	v_fma_f32 v9, -v9, v12, v11
	v_div_fmas_f32 v9, v9, v10, v12
	s_delay_alu instid0(VALU_DEP_1)
	v_div_fixup_f32 v3, v9, s9, v3
.LBB30_19:
	s_or_b32 exec_lo, exec_lo, s3
	v_bfe_u32 v9, v7, 16, 1
	v_bfe_u32 v10, v2, 16, 1
	;; [unrolled: 1-line block ×3, first 2 shown]
	v_cmp_o_f32_e32 vcc_lo, v7, v7
	v_bfe_u32 v12, v8, 16, 1
	v_add3_u32 v9, v7, v9, 0x7fff
	v_add3_u32 v10, v2, v10, 0x7fff
	;; [unrolled: 1-line block ×3, first 2 shown]
	v_bfe_u32 v13, v4, 16, 1
	v_add3_u32 v12, v8, v12, 0x7fff
	v_lshrrev_b32_e32 v9, 16, v9
	v_and_b32_e32 v10, 0xffff0000, v10
	v_lshrrev_b32_e32 v11, 16, v11
	v_add3_u32 v13, v4, v13, 0x7fff
	s_add_nc_u64 s[12:13], s[4:5], s[0:1]
	v_cndmask_b32_e32 v7, 0x7fc0, v9, vcc_lo
	v_cmp_o_f32_e32 vcc_lo, v2, v2
	v_lshrrev_b32_e32 v9, 16, v12
	v_bfe_u32 v12, v5, 16, 1
	v_cndmask_b32_e32 v2, 0x7fc00000, v10, vcc_lo
	v_cmp_o_f32_e32 vcc_lo, v1, v1
	v_and_b32_e32 v10, 0xffff0000, v13
	v_bfe_u32 v13, v3, 16, 1
	s_delay_alu instid0(VALU_DEP_4) | instskip(SKIP_4) | instid1(VALU_DEP_3)
	v_or_b32_e32 v7, v2, v7
	v_cndmask_b32_e32 v1, 0x7fc0, v11, vcc_lo
	v_bfe_u32 v11, v6, 16, 1
	v_cmp_o_f32_e32 vcc_lo, v4, v4
	v_cndmask_b32_e32 v4, 0x7fc00000, v10, vcc_lo
	v_add3_u32 v10, v6, v11, 0x7fff
	v_cmp_o_f32_e32 vcc_lo, v8, v8
	v_add3_u32 v11, v5, v12, 0x7fff
	v_add3_u32 v12, v3, v13, 0x7fff
	s_delay_alu instid0(VALU_DEP_4)
	v_dual_cndmask_b32 v8, 0x7fc0, v9 :: v_dual_lshrrev_b32 v9, 16, v10
	v_cmp_o_f32_e32 vcc_lo, v6, v6
	v_or_b32_e32 v1, v4, v1
	v_and_b32_e32 v4, 0xffff0000, v11
	v_and_b32_e32 v10, 0xffff0000, v12
	v_cndmask_b32_e32 v6, 0x7fc0, v9, vcc_lo
	v_cmp_o_f32_e32 vcc_lo, v5, v5
	v_or3_b32 v2, v1, 0, 0
	v_cndmask_b32_e32 v4, 0x7fc00000, v4, vcc_lo
	v_cmp_o_f32_e32 vcc_lo, v3, v3
	s_delay_alu instid0(VALU_DEP_2) | instskip(SKIP_2) | instid1(VALU_DEP_2)
	v_or3_b32 v3, 0, v6, v4
	v_cndmask_b32_e32 v5, 0x7fc00000, v10, vcc_lo
	v_or3_b32 v4, v7, 0, 0
	v_or3_b32 v5, 0, v8, v5
	s_clause 0x1
	global_store_b64 v0, v[2:3], s[12:13] scale_offset
	global_store_b64 v0, v[4:5], s[12:13] offset:2048 scale_offset
	s_branch .LBB30_2
.LBB30_20:
	s_wait_xcnt 0x0
	v_dual_mov_b32 v31, v0 :: v_dual_mov_b32 v0, s9
	v_dual_mov_b32 v1, s10 :: v_dual_mov_b32 v2, s4
	;; [unrolled: 1-line block ×4, first 2 shown]
	s_get_pc_i64 s[0:1]
	s_add_nc_u64 s[0:1], s[0:1], _ZN2at6native25elementwise_kernel_helperILb0EZZZNS0_12_GLOBAL__N_115softplus_kernelERNS_18TensorIteratorBaseERKN3c106ScalarES8_ENKUlvE_clEvENKUlvE2_clEvEUlNS5_8BFloat16EE_NS0_6memory8policies11unroll_baseILi256ESt5arrayIPcLm2EE23TrivialOffsetCalculatorILi1EjESK_NSD_15LoadWithoutCastENSD_16StoreWithoutCastELi8ELi1EEEEEvT0_T1_@rel64+4
	s_delay_alu instid0(SALU_CYCLE_1)
	s_swap_pc_i64 s[30:31], s[0:1]
	s_endpgm
	.section	.rodata,"a",@progbits
	.p2align	6, 0x0
	.amdhsa_kernel _ZN2at6native29vectorized_elementwise_kernelILi4EZZZNS0_12_GLOBAL__N_115softplus_kernelERNS_18TensorIteratorBaseERKN3c106ScalarES8_ENKUlvE_clEvENKUlvE2_clEvEUlNS5_8BFloat16EE_St5arrayIPcLm2EEEEviT0_T1_
		.amdhsa_group_segment_fixed_size 0
		.amdhsa_private_segment_fixed_size 0
		.amdhsa_kernarg_size 32
		.amdhsa_user_sgpr_count 2
		.amdhsa_user_sgpr_dispatch_ptr 0
		.amdhsa_user_sgpr_queue_ptr 0
		.amdhsa_user_sgpr_kernarg_segment_ptr 1
		.amdhsa_user_sgpr_dispatch_id 0
		.amdhsa_user_sgpr_kernarg_preload_length 0
		.amdhsa_user_sgpr_kernarg_preload_offset 0
		.amdhsa_user_sgpr_private_segment_size 0
		.amdhsa_wavefront_size32 1
		.amdhsa_uses_dynamic_stack 0
		.amdhsa_enable_private_segment 0
		.amdhsa_system_sgpr_workgroup_id_x 1
		.amdhsa_system_sgpr_workgroup_id_y 0
		.amdhsa_system_sgpr_workgroup_id_z 0
		.amdhsa_system_sgpr_workgroup_info 0
		.amdhsa_system_vgpr_workitem_id 0
		.amdhsa_next_free_vgpr 35
		.amdhsa_next_free_sgpr 33
		.amdhsa_named_barrier_count 0
		.amdhsa_reserve_vcc 1
		.amdhsa_float_round_mode_32 0
		.amdhsa_float_round_mode_16_64 0
		.amdhsa_float_denorm_mode_32 3
		.amdhsa_float_denorm_mode_16_64 3
		.amdhsa_fp16_overflow 0
		.amdhsa_memory_ordered 1
		.amdhsa_forward_progress 1
		.amdhsa_inst_pref_size 70
		.amdhsa_round_robin_scheduling 0
		.amdhsa_exception_fp_ieee_invalid_op 0
		.amdhsa_exception_fp_denorm_src 0
		.amdhsa_exception_fp_ieee_div_zero 0
		.amdhsa_exception_fp_ieee_overflow 0
		.amdhsa_exception_fp_ieee_underflow 0
		.amdhsa_exception_fp_ieee_inexact 0
		.amdhsa_exception_int_div_zero 0
	.end_amdhsa_kernel
	.section	.text._ZN2at6native29vectorized_elementwise_kernelILi4EZZZNS0_12_GLOBAL__N_115softplus_kernelERNS_18TensorIteratorBaseERKN3c106ScalarES8_ENKUlvE_clEvENKUlvE2_clEvEUlNS5_8BFloat16EE_St5arrayIPcLm2EEEEviT0_T1_,"axG",@progbits,_ZN2at6native29vectorized_elementwise_kernelILi4EZZZNS0_12_GLOBAL__N_115softplus_kernelERNS_18TensorIteratorBaseERKN3c106ScalarES8_ENKUlvE_clEvENKUlvE2_clEvEUlNS5_8BFloat16EE_St5arrayIPcLm2EEEEviT0_T1_,comdat
.Lfunc_end30:
	.size	_ZN2at6native29vectorized_elementwise_kernelILi4EZZZNS0_12_GLOBAL__N_115softplus_kernelERNS_18TensorIteratorBaseERKN3c106ScalarES8_ENKUlvE_clEvENKUlvE2_clEvEUlNS5_8BFloat16EE_St5arrayIPcLm2EEEEviT0_T1_, .Lfunc_end30-_ZN2at6native29vectorized_elementwise_kernelILi4EZZZNS0_12_GLOBAL__N_115softplus_kernelERNS_18TensorIteratorBaseERKN3c106ScalarES8_ENKUlvE_clEvENKUlvE2_clEvEUlNS5_8BFloat16EE_St5arrayIPcLm2EEEEviT0_T1_
                                        ; -- End function
	.set _ZN2at6native29vectorized_elementwise_kernelILi4EZZZNS0_12_GLOBAL__N_115softplus_kernelERNS_18TensorIteratorBaseERKN3c106ScalarES8_ENKUlvE_clEvENKUlvE2_clEvEUlNS5_8BFloat16EE_St5arrayIPcLm2EEEEviT0_T1_.num_vgpr, max(32, .L_ZN2at6native25elementwise_kernel_helperILb0EZZZNS0_12_GLOBAL__N_115softplus_kernelERNS_18TensorIteratorBaseERKN3c106ScalarES8_ENKUlvE_clEvENKUlvE2_clEvEUlNS5_8BFloat16EE_NS0_6memory8policies11unroll_baseILi256ESt5arrayIPcLm2EE23TrivialOffsetCalculatorILi1EjESK_NSD_15LoadWithoutCastENSD_16StoreWithoutCastELi8ELi1EEEEEvT0_T1_.num_vgpr)
	.set _ZN2at6native29vectorized_elementwise_kernelILi4EZZZNS0_12_GLOBAL__N_115softplus_kernelERNS_18TensorIteratorBaseERKN3c106ScalarES8_ENKUlvE_clEvENKUlvE2_clEvEUlNS5_8BFloat16EE_St5arrayIPcLm2EEEEviT0_T1_.num_agpr, max(0, .L_ZN2at6native25elementwise_kernel_helperILb0EZZZNS0_12_GLOBAL__N_115softplus_kernelERNS_18TensorIteratorBaseERKN3c106ScalarES8_ENKUlvE_clEvENKUlvE2_clEvEUlNS5_8BFloat16EE_NS0_6memory8policies11unroll_baseILi256ESt5arrayIPcLm2EE23TrivialOffsetCalculatorILi1EjESK_NSD_15LoadWithoutCastENSD_16StoreWithoutCastELi8ELi1EEEEEvT0_T1_.num_agpr)
	.set _ZN2at6native29vectorized_elementwise_kernelILi4EZZZNS0_12_GLOBAL__N_115softplus_kernelERNS_18TensorIteratorBaseERKN3c106ScalarES8_ENKUlvE_clEvENKUlvE2_clEvEUlNS5_8BFloat16EE_St5arrayIPcLm2EEEEviT0_T1_.numbered_sgpr, max(33, .L_ZN2at6native25elementwise_kernel_helperILb0EZZZNS0_12_GLOBAL__N_115softplus_kernelERNS_18TensorIteratorBaseERKN3c106ScalarES8_ENKUlvE_clEvENKUlvE2_clEvEUlNS5_8BFloat16EE_NS0_6memory8policies11unroll_baseILi256ESt5arrayIPcLm2EE23TrivialOffsetCalculatorILi1EjESK_NSD_15LoadWithoutCastENSD_16StoreWithoutCastELi8ELi1EEEEEvT0_T1_.numbered_sgpr)
	.set _ZN2at6native29vectorized_elementwise_kernelILi4EZZZNS0_12_GLOBAL__N_115softplus_kernelERNS_18TensorIteratorBaseERKN3c106ScalarES8_ENKUlvE_clEvENKUlvE2_clEvEUlNS5_8BFloat16EE_St5arrayIPcLm2EEEEviT0_T1_.num_named_barrier, max(0, .L_ZN2at6native25elementwise_kernel_helperILb0EZZZNS0_12_GLOBAL__N_115softplus_kernelERNS_18TensorIteratorBaseERKN3c106ScalarES8_ENKUlvE_clEvENKUlvE2_clEvEUlNS5_8BFloat16EE_NS0_6memory8policies11unroll_baseILi256ESt5arrayIPcLm2EE23TrivialOffsetCalculatorILi1EjESK_NSD_15LoadWithoutCastENSD_16StoreWithoutCastELi8ELi1EEEEEvT0_T1_.num_named_barrier)
	.set _ZN2at6native29vectorized_elementwise_kernelILi4EZZZNS0_12_GLOBAL__N_115softplus_kernelERNS_18TensorIteratorBaseERKN3c106ScalarES8_ENKUlvE_clEvENKUlvE2_clEvEUlNS5_8BFloat16EE_St5arrayIPcLm2EEEEviT0_T1_.private_seg_size, 0+max(.L_ZN2at6native25elementwise_kernel_helperILb0EZZZNS0_12_GLOBAL__N_115softplus_kernelERNS_18TensorIteratorBaseERKN3c106ScalarES8_ENKUlvE_clEvENKUlvE2_clEvEUlNS5_8BFloat16EE_NS0_6memory8policies11unroll_baseILi256ESt5arrayIPcLm2EE23TrivialOffsetCalculatorILi1EjESK_NSD_15LoadWithoutCastENSD_16StoreWithoutCastELi8ELi1EEEEEvT0_T1_.private_seg_size)
	.set _ZN2at6native29vectorized_elementwise_kernelILi4EZZZNS0_12_GLOBAL__N_115softplus_kernelERNS_18TensorIteratorBaseERKN3c106ScalarES8_ENKUlvE_clEvENKUlvE2_clEvEUlNS5_8BFloat16EE_St5arrayIPcLm2EEEEviT0_T1_.uses_vcc, or(1, .L_ZN2at6native25elementwise_kernel_helperILb0EZZZNS0_12_GLOBAL__N_115softplus_kernelERNS_18TensorIteratorBaseERKN3c106ScalarES8_ENKUlvE_clEvENKUlvE2_clEvEUlNS5_8BFloat16EE_NS0_6memory8policies11unroll_baseILi256ESt5arrayIPcLm2EE23TrivialOffsetCalculatorILi1EjESK_NSD_15LoadWithoutCastENSD_16StoreWithoutCastELi8ELi1EEEEEvT0_T1_.uses_vcc)
	.set _ZN2at6native29vectorized_elementwise_kernelILi4EZZZNS0_12_GLOBAL__N_115softplus_kernelERNS_18TensorIteratorBaseERKN3c106ScalarES8_ENKUlvE_clEvENKUlvE2_clEvEUlNS5_8BFloat16EE_St5arrayIPcLm2EEEEviT0_T1_.uses_flat_scratch, or(0, .L_ZN2at6native25elementwise_kernel_helperILb0EZZZNS0_12_GLOBAL__N_115softplus_kernelERNS_18TensorIteratorBaseERKN3c106ScalarES8_ENKUlvE_clEvENKUlvE2_clEvEUlNS5_8BFloat16EE_NS0_6memory8policies11unroll_baseILi256ESt5arrayIPcLm2EE23TrivialOffsetCalculatorILi1EjESK_NSD_15LoadWithoutCastENSD_16StoreWithoutCastELi8ELi1EEEEEvT0_T1_.uses_flat_scratch)
	.set _ZN2at6native29vectorized_elementwise_kernelILi4EZZZNS0_12_GLOBAL__N_115softplus_kernelERNS_18TensorIteratorBaseERKN3c106ScalarES8_ENKUlvE_clEvENKUlvE2_clEvEUlNS5_8BFloat16EE_St5arrayIPcLm2EEEEviT0_T1_.has_dyn_sized_stack, or(0, .L_ZN2at6native25elementwise_kernel_helperILb0EZZZNS0_12_GLOBAL__N_115softplus_kernelERNS_18TensorIteratorBaseERKN3c106ScalarES8_ENKUlvE_clEvENKUlvE2_clEvEUlNS5_8BFloat16EE_NS0_6memory8policies11unroll_baseILi256ESt5arrayIPcLm2EE23TrivialOffsetCalculatorILi1EjESK_NSD_15LoadWithoutCastENSD_16StoreWithoutCastELi8ELi1EEEEEvT0_T1_.has_dyn_sized_stack)
	.set _ZN2at6native29vectorized_elementwise_kernelILi4EZZZNS0_12_GLOBAL__N_115softplus_kernelERNS_18TensorIteratorBaseERKN3c106ScalarES8_ENKUlvE_clEvENKUlvE2_clEvEUlNS5_8BFloat16EE_St5arrayIPcLm2EEEEviT0_T1_.has_recursion, or(0, .L_ZN2at6native25elementwise_kernel_helperILb0EZZZNS0_12_GLOBAL__N_115softplus_kernelERNS_18TensorIteratorBaseERKN3c106ScalarES8_ENKUlvE_clEvENKUlvE2_clEvEUlNS5_8BFloat16EE_NS0_6memory8policies11unroll_baseILi256ESt5arrayIPcLm2EE23TrivialOffsetCalculatorILi1EjESK_NSD_15LoadWithoutCastENSD_16StoreWithoutCastELi8ELi1EEEEEvT0_T1_.has_recursion)
	.set _ZN2at6native29vectorized_elementwise_kernelILi4EZZZNS0_12_GLOBAL__N_115softplus_kernelERNS_18TensorIteratorBaseERKN3c106ScalarES8_ENKUlvE_clEvENKUlvE2_clEvEUlNS5_8BFloat16EE_St5arrayIPcLm2EEEEviT0_T1_.has_indirect_call, or(0, .L_ZN2at6native25elementwise_kernel_helperILb0EZZZNS0_12_GLOBAL__N_115softplus_kernelERNS_18TensorIteratorBaseERKN3c106ScalarES8_ENKUlvE_clEvENKUlvE2_clEvEUlNS5_8BFloat16EE_NS0_6memory8policies11unroll_baseILi256ESt5arrayIPcLm2EE23TrivialOffsetCalculatorILi1EjESK_NSD_15LoadWithoutCastENSD_16StoreWithoutCastELi8ELi1EEEEEvT0_T1_.has_indirect_call)
	.section	.AMDGPU.csdata,"",@progbits
; Kernel info:
; codeLenInByte = 8896
; TotalNumSgprs: 35
; NumVgprs: 35
; ScratchSize: 0
; MemoryBound: 0
; FloatMode: 240
; IeeeMode: 1
; LDSByteSize: 0 bytes/workgroup (compile time only)
; SGPRBlocks: 0
; VGPRBlocks: 2
; NumSGPRsForWavesPerEU: 35
; NumVGPRsForWavesPerEU: 35
; NamedBarCnt: 0
; Occupancy: 16
; WaveLimiterHint : 1
; COMPUTE_PGM_RSRC2:SCRATCH_EN: 0
; COMPUTE_PGM_RSRC2:USER_SGPR: 2
; COMPUTE_PGM_RSRC2:TRAP_HANDLER: 0
; COMPUTE_PGM_RSRC2:TGID_X_EN: 1
; COMPUTE_PGM_RSRC2:TGID_Y_EN: 0
; COMPUTE_PGM_RSRC2:TGID_Z_EN: 0
; COMPUTE_PGM_RSRC2:TIDIG_COMP_CNT: 0
	.section	.text._ZN2at6native29vectorized_elementwise_kernelILi2EZZZNS0_12_GLOBAL__N_115softplus_kernelERNS_18TensorIteratorBaseERKN3c106ScalarES8_ENKUlvE_clEvENKUlvE2_clEvEUlNS5_8BFloat16EE_St5arrayIPcLm2EEEEviT0_T1_,"axG",@progbits,_ZN2at6native29vectorized_elementwise_kernelILi2EZZZNS0_12_GLOBAL__N_115softplus_kernelERNS_18TensorIteratorBaseERKN3c106ScalarES8_ENKUlvE_clEvENKUlvE2_clEvEUlNS5_8BFloat16EE_St5arrayIPcLm2EEEEviT0_T1_,comdat
	.globl	_ZN2at6native29vectorized_elementwise_kernelILi2EZZZNS0_12_GLOBAL__N_115softplus_kernelERNS_18TensorIteratorBaseERKN3c106ScalarES8_ENKUlvE_clEvENKUlvE2_clEvEUlNS5_8BFloat16EE_St5arrayIPcLm2EEEEviT0_T1_ ; -- Begin function _ZN2at6native29vectorized_elementwise_kernelILi2EZZZNS0_12_GLOBAL__N_115softplus_kernelERNS_18TensorIteratorBaseERKN3c106ScalarES8_ENKUlvE_clEvENKUlvE2_clEvEUlNS5_8BFloat16EE_St5arrayIPcLm2EEEEviT0_T1_
	.p2align	8
	.type	_ZN2at6native29vectorized_elementwise_kernelILi2EZZZNS0_12_GLOBAL__N_115softplus_kernelERNS_18TensorIteratorBaseERKN3c106ScalarES8_ENKUlvE_clEvENKUlvE2_clEvEUlNS5_8BFloat16EE_St5arrayIPcLm2EEEEviT0_T1_,@function
_ZN2at6native29vectorized_elementwise_kernelILi2EZZZNS0_12_GLOBAL__N_115softplus_kernelERNS_18TensorIteratorBaseERKN3c106ScalarES8_ENKUlvE_clEvENKUlvE2_clEvEUlNS5_8BFloat16EE_St5arrayIPcLm2EEEEviT0_T1_: ; @_ZN2at6native29vectorized_elementwise_kernelILi2EZZZNS0_12_GLOBAL__N_115softplus_kernelERNS_18TensorIteratorBaseERKN3c106ScalarES8_ENKUlvE_clEvENKUlvE2_clEvEUlNS5_8BFloat16EE_St5arrayIPcLm2EEEEviT0_T1_
; %bb.0:
	s_clause 0x1
	s_load_b96 s[8:10], s[0:1], 0x0
	s_load_b128 s[4:7], s[0:1], 0x10
	s_wait_xcnt 0x0
	s_bfe_u32 s0, ttmp6, 0x4000c
	s_and_b32 s1, ttmp6, 15
	s_add_co_i32 s0, s0, 1
	s_getreg_b32 s2, hwreg(HW_REG_IB_STS2, 6, 4)
	s_mul_i32 s0, ttmp9, s0
	s_mov_b32 s32, 0
	s_add_co_i32 s1, s1, s0
	s_cmp_eq_u32 s2, 0
	s_cselect_b32 s0, ttmp9, s1
	s_mov_b32 s1, -1
	s_lshl_b32 s0, s0, 11
	s_wait_kmcnt 0x0
	s_sub_co_i32 s2, s8, s0
	s_delay_alu instid0(SALU_CYCLE_1)
	s_cmp_gt_i32 s2, 0x7ff
	s_cbranch_scc1 .LBB31_3
; %bb.1:
	s_and_b32 vcc_lo, exec_lo, s1
	s_cbranch_vccnz .LBB31_20
.LBB31_2:
	s_sendmsg sendmsg(MSG_DEALLOC_VGPRS)
	s_endpgm
.LBB31_3:
	s_ashr_i32 s1, s0, 31
	s_mov_b32 s3, exec_lo
	s_lshl_b64 s[0:1], s[0:1], 1
	s_delay_alu instid0(SALU_CYCLE_1)
	s_add_nc_u64 s[12:13], s[6:7], s[0:1]
	s_clause 0x3
	global_load_b32 v3, v0, s[12:13] scale_offset
	global_load_b32 v6, v0, s[12:13] offset:1024 scale_offset
	global_load_b32 v5, v0, s[12:13] offset:2048 scale_offset
	global_load_b32 v2, v0, s[12:13] offset:3072 scale_offset
	s_wait_loadcnt 0x3
	v_lshlrev_b32_e32 v1, 16, v3
	s_delay_alu instid0(VALU_DEP_1) | instskip(SKIP_1) | instid1(VALU_DEP_1)
	v_mul_f32_e32 v4, s9, v1
	s_wait_xcnt 0x0
	v_cmpx_nlt_f32_e32 s10, v4
	s_cbranch_execz .LBB31_5
; %bb.4:
	v_mul_f32_e32 v1, 0x3fb8aa3b, v4
	v_cmp_ngt_f32_e32 vcc_lo, 0xc2ce8ed0, v4
	s_mov_b32 s8, 0x3e9b6dac
	s_delay_alu instid0(VALU_DEP_2) | instskip(SKIP_1) | instid1(VALU_DEP_1)
	v_rndne_f32_e32 v7, v1
	v_fma_f32 v8, 0x3fb8aa3b, v4, -v1
	v_dual_sub_f32 v1, v1, v7 :: v_dual_fmamk_f32 v8, v4, 0x32a5705f, v8
	v_cvt_i32_f32_e32 v7, v7
	s_delay_alu instid0(VALU_DEP_2) | instskip(NEXT) | instid1(VALU_DEP_1)
	v_add_f32_e32 v1, v1, v8
	v_exp_f32_e32 v1, v1
	v_nop
	s_delay_alu instid0(TRANS32_DEP_1) | instskip(NEXT) | instid1(VALU_DEP_1)
	v_ldexp_f32 v1, v1, v7
	v_cndmask_b32_e32 v1, 0, v1, vcc_lo
	v_cmp_nlt_f32_e32 vcc_lo, 0x42b17218, v4
	s_delay_alu instid0(VALU_DEP_2) | instskip(NEXT) | instid1(VALU_DEP_1)
	v_cndmask_b32_e32 v7, 0x7f800000, v1, vcc_lo
	v_add_f32_e32 v1, 1.0, v7
	s_delay_alu instid0(VALU_DEP_1) | instskip(NEXT) | instid1(VALU_DEP_1)
	v_cvt_f64_f32_e32 v[8:9], v1
	v_frexp_exp_i32_f64_e32 v4, v[8:9]
	v_frexp_mant_f32_e32 v8, v1
	s_delay_alu instid0(VALU_DEP_1) | instskip(SKIP_1) | instid1(VALU_DEP_1)
	v_cmp_gt_f32_e32 vcc_lo, 0x3f2aaaab, v8
	v_add_f32_e32 v8, -1.0, v1
	v_dual_sub_f32 v10, v8, v1 :: v_dual_sub_f32 v8, v7, v8
	s_delay_alu instid0(VALU_DEP_1) | instskip(NEXT) | instid1(VALU_DEP_1)
	v_add_f32_e32 v10, 1.0, v10
	v_add_f32_e32 v8, v8, v10
	v_subrev_co_ci_u32_e64 v4, null, 0, v4, vcc_lo
	v_cmp_neq_f32_e32 vcc_lo, 0x7f800000, v7
	s_delay_alu instid0(VALU_DEP_2) | instskip(NEXT) | instid1(VALU_DEP_1)
	v_sub_nc_u32_e32 v9, 0, v4
	v_ldexp_f32 v1, v1, v9
	v_ldexp_f32 v8, v8, v9
	s_delay_alu instid0(VALU_DEP_2) | instskip(NEXT) | instid1(VALU_DEP_1)
	v_dual_add_f32 v11, 1.0, v1 :: v_dual_add_f32 v13, -1.0, v1
	v_add_f32_e32 v10, -1.0, v11
	s_delay_alu instid0(VALU_DEP_1) | instskip(NEXT) | instid1(VALU_DEP_1)
	v_dual_sub_f32 v9, v1, v10 :: v_dual_add_f32 v10, 1.0, v13
	v_dual_add_f32 v12, v8, v9 :: v_dual_sub_f32 v1, v1, v10
	s_delay_alu instid0(VALU_DEP_1) | instskip(NEXT) | instid1(VALU_DEP_1)
	v_dual_add_f32 v14, v11, v12 :: v_dual_add_f32 v1, v8, v1
	v_rcp_f32_e32 v15, v14
	s_delay_alu instid0(VALU_DEP_1) | instskip(NEXT) | instid1(VALU_DEP_1)
	v_dual_add_f32 v9, v13, v1 :: v_dual_sub_f32 v8, v11, v14
	v_sub_f32_e32 v18, v13, v9
	s_delay_alu instid0(TRANS32_DEP_1) | instid1(VALU_DEP_2)
	v_dual_mul_f32 v16, v9, v15 :: v_dual_add_f32 v17, v12, v8
	s_delay_alu instid0(VALU_DEP_1) | instskip(NEXT) | instid1(VALU_DEP_1)
	v_dual_add_f32 v1, v1, v18 :: v_dual_mul_f32 v10, v14, v16
	v_fma_f32 v12, v16, v14, -v10
	s_delay_alu instid0(VALU_DEP_1) | instskip(NEXT) | instid1(VALU_DEP_1)
	v_fmac_f32_e32 v12, v16, v17
	v_add_f32_e32 v8, v10, v12
	s_delay_alu instid0(VALU_DEP_1) | instskip(NEXT) | instid1(VALU_DEP_1)
	v_dual_sub_f32 v11, v9, v8 :: v_dual_mov_b32 v13, v8
	v_pk_add_f32 v[8:9], v[8:9], v[10:11] neg_lo:[0,1] neg_hi:[0,1]
	s_delay_alu instid0(VALU_DEP_1) | instskip(NEXT) | instid1(VALU_DEP_1)
	v_pk_add_f32 v[8:9], v[8:9], v[12:13] neg_lo:[0,1] neg_hi:[0,1]
	v_add_f32_e32 v1, v1, v9
	s_delay_alu instid0(VALU_DEP_1) | instskip(NEXT) | instid1(VALU_DEP_1)
	v_add_f32_e32 v1, v8, v1
	v_add_f32_e32 v9, v11, v1
	s_delay_alu instid0(VALU_DEP_1) | instskip(NEXT) | instid1(VALU_DEP_1)
	v_mul_f32_e32 v18, v15, v9
	v_mul_f32_e32 v12, v14, v18
	s_delay_alu instid0(VALU_DEP_1) | instskip(NEXT) | instid1(VALU_DEP_1)
	v_dual_fma_f32 v10, v18, v14, -v12 :: v_dual_sub_f32 v14, v11, v9
	v_dual_fmac_f32 v10, v18, v17 :: v_dual_add_f32 v1, v1, v14
	s_delay_alu instid0(VALU_DEP_1) | instskip(NEXT) | instid1(VALU_DEP_1)
	v_add_f32_e32 v8, v12, v10
	v_dual_sub_f32 v13, v9, v8 :: v_dual_mov_b32 v11, v8
	s_delay_alu instid0(VALU_DEP_1) | instskip(SKIP_1) | instid1(VALU_DEP_2)
	v_pk_add_f32 v[8:9], v[8:9], v[12:13] neg_lo:[0,1] neg_hi:[0,1]
	v_add_f32_e32 v12, v16, v18
	v_pk_add_f32 v[8:9], v[8:9], v[10:11] neg_lo:[0,1] neg_hi:[0,1]
	v_cvt_f32_i32_e32 v10, v4
	s_delay_alu instid0(VALU_DEP_2) | instskip(NEXT) | instid1(VALU_DEP_1)
	v_add_f32_e32 v1, v1, v9
	v_add_f32_e32 v1, v8, v1
	v_sub_f32_e32 v8, v12, v16
	s_delay_alu instid0(VALU_DEP_1) | instskip(NEXT) | instid1(VALU_DEP_1)
	v_dual_sub_f32 v8, v18, v8 :: v_dual_add_f32 v1, v13, v1
	v_mul_f32_e32 v1, v15, v1
	s_delay_alu instid0(VALU_DEP_1) | instskip(NEXT) | instid1(VALU_DEP_1)
	v_dual_add_f32 v1, v8, v1 :: v_dual_mov_b32 v8, 0x3f317218
	v_add_f32_e32 v13, v12, v1
	s_delay_alu instid0(VALU_DEP_1) | instskip(NEXT) | instid1(VALU_DEP_1)
	v_mul_f32_e32 v9, v13, v13
	v_dual_fmaak_f32 v14, s8, v9, 0x3ecc95a3 :: v_dual_mul_f32 v11, v13, v9
	s_delay_alu instid0(VALU_DEP_1) | instskip(NEXT) | instid1(VALU_DEP_1)
	v_fmaak_f32 v9, v9, v14, 0x3f2aaada
	v_pk_mul_f32 v[8:9], v[10:11], v[8:9]
	s_delay_alu instid0(VALU_DEP_1) | instskip(SKIP_1) | instid1(VALU_DEP_2)
	v_fma_f32 v4, 0x3f317218, v10, -v8
	v_mov_b32_e32 v14, v8
	v_fmamk_f32 v10, v10, 0xb102e308, v4
	v_sub_f32_e32 v4, v13, v12
	s_delay_alu instid0(VALU_DEP_1) | instskip(SKIP_1) | instid1(VALU_DEP_2)
	v_sub_f32_e32 v1, v1, v4
	v_ldexp_f32 v11, v13, 1
	v_ldexp_f32 v1, v1, 1
	s_delay_alu instid0(VALU_DEP_2) | instskip(NEXT) | instid1(VALU_DEP_1)
	v_pk_add_f32 v[12:13], v[8:9], v[10:11]
	v_dual_sub_f32 v4, v13, v11 :: v_dual_mov_b32 v11, v12
	v_mov_b32_e32 v22, v13
	s_delay_alu instid0(VALU_DEP_2) | instskip(SKIP_1) | instid1(VALU_DEP_2)
	v_sub_f32_e32 v4, v9, v4
	v_pk_add_f32 v[8:9], v[12:13], v[8:9] neg_lo:[0,1] neg_hi:[0,1]
	v_add_f32_e32 v15, v1, v4
	s_delay_alu instid0(VALU_DEP_1) | instskip(NEXT) | instid1(VALU_DEP_1)
	v_pk_add_f32 v[16:17], v[12:13], v[14:15]
	v_mov_b32_e32 v9, v17
	s_delay_alu instid0(VALU_DEP_1) | instskip(SKIP_2) | instid1(VALU_DEP_3)
	v_pk_add_f32 v[18:19], v[10:11], v[8:9]
	v_mov_b32_e32 v18, v17
	v_pk_add_f32 v[8:9], v[10:11], v[8:9] neg_lo:[0,1] neg_hi:[0,1]
	v_dual_mov_b32 v4, v19 :: v_dual_mov_b32 v9, v19
	s_wait_loadcnt 0x1
	s_delay_alu instid0(VALU_DEP_1) | instskip(SKIP_1) | instid1(VALU_DEP_2)
	v_pk_add_f32 v[20:21], v[4:5], v[12:13] neg_lo:[0,1] neg_hi:[0,1]
	v_dual_mov_b32 v13, v12 :: v_dual_mov_b32 v12, v15
	v_dual_mov_b32 v1, v20 :: v_dual_mov_b32 v23, v20
	s_delay_alu instid0(VALU_DEP_1) | instskip(NEXT) | instid1(VALU_DEP_2)
	v_pk_add_f32 v[14:15], v[16:17], v[0:1] neg_lo:[0,1] neg_hi:[0,1]
	v_pk_add_f32 v[10:11], v[18:19], v[22:23] neg_lo:[0,1] neg_hi:[0,1]
	v_mov_b32_e32 v14, v8
	s_delay_alu instid0(VALU_DEP_2) | instskip(NEXT) | instid1(VALU_DEP_1)
	v_pk_add_f32 v[10:11], v[12:13], v[10:11] neg_lo:[0,1] neg_hi:[0,1]
	v_pk_add_f32 v[12:13], v[14:15], v[10:11]
	s_delay_alu instid0(VALU_DEP_1) | instskip(NEXT) | instid1(VALU_DEP_1)
	v_mov_b32_e32 v14, v13
	v_pk_add_f32 v[14:15], v[12:13], v[14:15]
	s_delay_alu instid0(VALU_DEP_1) | instskip(NEXT) | instid1(VALU_DEP_1)
	v_pk_add_f32 v[16:17], v[4:5], v[14:15]
	v_mov_b32_e32 v13, v16
	s_delay_alu instid0(VALU_DEP_1) | instskip(NEXT) | instid1(VALU_DEP_1)
	v_pk_add_f32 v[18:19], v[12:13], v[8:9] neg_lo:[0,1] neg_hi:[0,1]
	v_dual_mov_b32 v11, v14 :: v_dual_sub_f32 v1, v12, v18
	s_delay_alu instid0(VALU_DEP_1) | instskip(NEXT) | instid1(VALU_DEP_2)
	v_pk_add_f32 v[10:11], v[10:11], v[18:19] neg_lo:[0,1] neg_hi:[0,1]
	v_sub_f32_e32 v1, v8, v1
	s_delay_alu instid0(VALU_DEP_1) | instskip(NEXT) | instid1(VALU_DEP_1)
	v_add_f32_e32 v1, v10, v1
	v_add_f32_e32 v1, v1, v11
	s_delay_alu instid0(VALU_DEP_1) | instskip(NEXT) | instid1(VALU_DEP_1)
	v_add_f32_e32 v1, v16, v1
	v_cndmask_b32_e32 v1, 0x7f800000, v1, vcc_lo
	v_cmp_gt_f32_e64 vcc_lo, 0x33800000, |v7|
	s_delay_alu instid0(VALU_DEP_2) | instskip(NEXT) | instid1(VALU_DEP_1)
	v_cndmask_b32_e32 v1, v1, v7, vcc_lo
	v_div_scale_f32 v4, null, s9, s9, v1
	s_delay_alu instid0(VALU_DEP_1) | instskip(SKIP_1) | instid1(TRANS32_DEP_1)
	v_rcp_f32_e32 v7, v4
	v_nop
	v_fma_f32 v8, -v4, v7, 1.0
	s_delay_alu instid0(VALU_DEP_1) | instskip(SKIP_1) | instid1(VALU_DEP_1)
	v_fmac_f32_e32 v7, v8, v7
	v_div_scale_f32 v8, vcc_lo, v1, s9, v1
	v_mul_f32_e32 v9, v8, v7
	s_delay_alu instid0(VALU_DEP_1) | instskip(NEXT) | instid1(VALU_DEP_1)
	v_fma_f32 v10, -v4, v9, v8
	v_fmac_f32_e32 v9, v10, v7
	s_delay_alu instid0(VALU_DEP_1) | instskip(NEXT) | instid1(VALU_DEP_1)
	v_fma_f32 v4, -v4, v9, v8
	v_div_fmas_f32 v4, v4, v7, v9
	s_delay_alu instid0(VALU_DEP_1)
	v_div_fixup_f32 v1, v4, s9, v1
.LBB31_5:
	s_or_b32 exec_lo, exec_lo, s3
	v_and_b32_e32 v3, 0xffff0000, v3
	s_mov_b32 s3, exec_lo
	s_delay_alu instid0(VALU_DEP_1) | instskip(NEXT) | instid1(VALU_DEP_1)
	v_mul_f32_e32 v4, s9, v3
	v_cmpx_nlt_f32_e32 s10, v4
	s_cbranch_execz .LBB31_7
; %bb.6:
	v_mul_f32_e32 v3, 0x3fb8aa3b, v4
	v_cmp_ngt_f32_e32 vcc_lo, 0xc2ce8ed0, v4
	s_mov_b32 s8, 0x3e9b6dac
	s_delay_alu instid0(VALU_DEP_2) | instskip(SKIP_1) | instid1(VALU_DEP_1)
	v_rndne_f32_e32 v7, v3
	v_fma_f32 v8, 0x3fb8aa3b, v4, -v3
	v_dual_sub_f32 v3, v3, v7 :: v_dual_fmamk_f32 v8, v4, 0x32a5705f, v8
	v_cvt_i32_f32_e32 v7, v7
	s_delay_alu instid0(VALU_DEP_2) | instskip(NEXT) | instid1(VALU_DEP_1)
	v_add_f32_e32 v3, v3, v8
	v_exp_f32_e32 v3, v3
	v_nop
	s_delay_alu instid0(TRANS32_DEP_1) | instskip(NEXT) | instid1(VALU_DEP_1)
	v_ldexp_f32 v3, v3, v7
	v_cndmask_b32_e32 v3, 0, v3, vcc_lo
	v_cmp_nlt_f32_e32 vcc_lo, 0x42b17218, v4
	s_delay_alu instid0(VALU_DEP_2) | instskip(NEXT) | instid1(VALU_DEP_1)
	v_cndmask_b32_e32 v7, 0x7f800000, v3, vcc_lo
	v_add_f32_e32 v3, 1.0, v7
	s_delay_alu instid0(VALU_DEP_1) | instskip(NEXT) | instid1(VALU_DEP_1)
	v_cvt_f64_f32_e32 v[8:9], v3
	v_frexp_exp_i32_f64_e32 v4, v[8:9]
	v_frexp_mant_f32_e32 v8, v3
	s_delay_alu instid0(VALU_DEP_1) | instskip(SKIP_1) | instid1(VALU_DEP_1)
	v_cmp_gt_f32_e32 vcc_lo, 0x3f2aaaab, v8
	v_add_f32_e32 v8, -1.0, v3
	v_dual_sub_f32 v10, v8, v3 :: v_dual_sub_f32 v8, v7, v8
	v_subrev_co_ci_u32_e64 v4, null, 0, v4, vcc_lo
	v_cmp_neq_f32_e32 vcc_lo, 0x7f800000, v7
	s_delay_alu instid0(VALU_DEP_2) | instskip(NEXT) | instid1(VALU_DEP_1)
	v_sub_nc_u32_e32 v9, 0, v4
	v_ldexp_f32 v3, v3, v9
	s_delay_alu instid0(VALU_DEP_1) | instskip(NEXT) | instid1(VALU_DEP_1)
	v_dual_add_f32 v11, 1.0, v3 :: v_dual_add_f32 v10, 1.0, v10
	v_add_f32_e32 v8, v8, v10
	s_delay_alu instid0(VALU_DEP_1) | instskip(NEXT) | instid1(VALU_DEP_3)
	v_ldexp_f32 v8, v8, v9
	v_add_f32_e32 v10, -1.0, v11
	s_delay_alu instid0(VALU_DEP_1) | instskip(NEXT) | instid1(VALU_DEP_1)
	v_dual_add_f32 v13, -1.0, v3 :: v_dual_sub_f32 v9, v3, v10
	v_add_f32_e32 v12, v8, v9
	s_delay_alu instid0(VALU_DEP_1) | instskip(NEXT) | instid1(VALU_DEP_1)
	v_dual_add_f32 v10, 1.0, v13 :: v_dual_add_f32 v14, v11, v12
	v_rcp_f32_e32 v15, v14
	s_delay_alu instid0(VALU_DEP_1) | instskip(NEXT) | instid1(VALU_DEP_1)
	v_sub_f32_e32 v3, v3, v10
	v_dual_add_f32 v3, v8, v3 :: v_dual_sub_f32 v8, v11, v14
	s_delay_alu instid0(VALU_DEP_1)
	v_add_f32_e32 v9, v13, v3
	s_delay_alu instid0(TRANS32_DEP_1) | instid1(VALU_DEP_1)
	v_mul_f32_e32 v16, v9, v15
	s_delay_alu instid0(VALU_DEP_1) | instskip(NEXT) | instid1(VALU_DEP_4)
	v_mul_f32_e32 v10, v14, v16
	v_dual_add_f32 v17, v12, v8 :: v_dual_sub_f32 v18, v13, v9
	s_delay_alu instid0(VALU_DEP_2) | instskip(NEXT) | instid1(VALU_DEP_1)
	v_fma_f32 v12, v16, v14, -v10
	v_dual_add_f32 v3, v3, v18 :: v_dual_fmac_f32 v12, v16, v17
	s_delay_alu instid0(VALU_DEP_1) | instskip(NEXT) | instid1(VALU_DEP_1)
	v_add_f32_e32 v8, v10, v12
	v_dual_sub_f32 v11, v9, v8 :: v_dual_mov_b32 v13, v8
	s_delay_alu instid0(VALU_DEP_1) | instskip(NEXT) | instid1(VALU_DEP_1)
	v_pk_add_f32 v[8:9], v[8:9], v[10:11] neg_lo:[0,1] neg_hi:[0,1]
	v_pk_add_f32 v[8:9], v[8:9], v[12:13] neg_lo:[0,1] neg_hi:[0,1]
	s_delay_alu instid0(VALU_DEP_1) | instskip(NEXT) | instid1(VALU_DEP_1)
	v_add_f32_e32 v3, v3, v9
	v_add_f32_e32 v3, v8, v3
	s_delay_alu instid0(VALU_DEP_1) | instskip(NEXT) | instid1(VALU_DEP_1)
	v_add_f32_e32 v9, v11, v3
	v_mul_f32_e32 v18, v15, v9
	s_delay_alu instid0(VALU_DEP_1) | instskip(NEXT) | instid1(VALU_DEP_1)
	v_mul_f32_e32 v12, v14, v18
	v_dual_fma_f32 v10, v18, v14, -v12 :: v_dual_sub_f32 v14, v11, v9
	s_delay_alu instid0(VALU_DEP_1) | instskip(NEXT) | instid1(VALU_DEP_1)
	v_fmac_f32_e32 v10, v18, v17
	v_add_f32_e32 v8, v12, v10
	s_delay_alu instid0(VALU_DEP_1) | instskip(NEXT) | instid1(VALU_DEP_1)
	v_dual_sub_f32 v13, v9, v8 :: v_dual_mov_b32 v11, v8
	v_pk_add_f32 v[8:9], v[8:9], v[12:13] neg_lo:[0,1] neg_hi:[0,1]
	v_add_f32_e32 v12, v16, v18
	v_add_f32_e32 v3, v3, v14
	s_delay_alu instid0(VALU_DEP_3) | instskip(SKIP_1) | instid1(VALU_DEP_2)
	v_pk_add_f32 v[8:9], v[8:9], v[10:11] neg_lo:[0,1] neg_hi:[0,1]
	v_cvt_f32_i32_e32 v10, v4
	v_add_f32_e32 v3, v3, v9
	s_delay_alu instid0(VALU_DEP_1) | instskip(NEXT) | instid1(VALU_DEP_1)
	v_add_f32_e32 v3, v8, v3
	v_dual_sub_f32 v8, v12, v16 :: v_dual_add_f32 v3, v13, v3
	s_delay_alu instid0(VALU_DEP_1) | instskip(NEXT) | instid1(VALU_DEP_1)
	v_dual_sub_f32 v8, v18, v8 :: v_dual_mul_f32 v3, v15, v3
	v_dual_add_f32 v3, v8, v3 :: v_dual_mov_b32 v8, 0x3f317218
	s_delay_alu instid0(VALU_DEP_1) | instskip(NEXT) | instid1(VALU_DEP_1)
	v_add_f32_e32 v13, v12, v3
	v_mul_f32_e32 v9, v13, v13
	s_delay_alu instid0(VALU_DEP_1) | instskip(NEXT) | instid1(VALU_DEP_1)
	v_dual_fmaak_f32 v14, s8, v9, 0x3ecc95a3 :: v_dual_mul_f32 v11, v13, v9
	v_fmaak_f32 v9, v9, v14, 0x3f2aaada
	s_delay_alu instid0(VALU_DEP_1) | instskip(NEXT) | instid1(VALU_DEP_1)
	v_pk_mul_f32 v[8:9], v[10:11], v[8:9]
	v_fma_f32 v4, 0x3f317218, v10, -v8
	v_mov_b32_e32 v14, v8
	s_delay_alu instid0(VALU_DEP_2) | instskip(SKIP_2) | instid1(VALU_DEP_2)
	v_fmamk_f32 v10, v10, 0xb102e308, v4
	v_ldexp_f32 v11, v13, 1
	v_sub_f32_e32 v4, v13, v12
	v_pk_add_f32 v[12:13], v[8:9], v[10:11]
	s_delay_alu instid0(VALU_DEP_1) | instskip(NEXT) | instid1(VALU_DEP_1)
	v_dual_sub_f32 v3, v3, v4 :: v_dual_sub_f32 v4, v13, v11
	v_ldexp_f32 v3, v3, 1
	s_delay_alu instid0(VALU_DEP_3) | instskip(NEXT) | instid1(VALU_DEP_3)
	v_dual_mov_b32 v11, v12 :: v_dual_mov_b32 v22, v13
	v_sub_f32_e32 v4, v9, v4
	v_pk_add_f32 v[8:9], v[12:13], v[8:9] neg_lo:[0,1] neg_hi:[0,1]
	s_delay_alu instid0(VALU_DEP_2) | instskip(NEXT) | instid1(VALU_DEP_1)
	v_add_f32_e32 v15, v3, v4
	v_pk_add_f32 v[16:17], v[12:13], v[14:15]
	s_delay_alu instid0(VALU_DEP_1) | instskip(NEXT) | instid1(VALU_DEP_1)
	v_mov_b32_e32 v9, v17
	v_pk_add_f32 v[18:19], v[10:11], v[8:9]
	v_mov_b32_e32 v18, v17
	v_pk_add_f32 v[8:9], v[10:11], v[8:9] neg_lo:[0,1] neg_hi:[0,1]
	s_delay_alu instid0(VALU_DEP_3) | instskip(SKIP_1) | instid1(VALU_DEP_1)
	v_dual_mov_b32 v4, v19 :: v_dual_mov_b32 v9, v19
	s_wait_loadcnt 0x1
	v_pk_add_f32 v[20:21], v[4:5], v[12:13] neg_lo:[0,1] neg_hi:[0,1]
	v_dual_mov_b32 v13, v12 :: v_dual_mov_b32 v12, v15
	s_delay_alu instid0(VALU_DEP_2) | instskip(SKIP_1) | instid1(VALU_DEP_1)
	v_dual_mov_b32 v3, v20 :: v_dual_mov_b32 v23, v20
	s_wait_loadcnt 0x0
	v_pk_add_f32 v[14:15], v[16:17], v[2:3] neg_lo:[0,1] neg_hi:[0,1]
	s_delay_alu instid0(VALU_DEP_2) | instskip(SKIP_1) | instid1(VALU_DEP_2)
	v_pk_add_f32 v[10:11], v[18:19], v[22:23] neg_lo:[0,1] neg_hi:[0,1]
	v_mov_b32_e32 v14, v8
	v_pk_add_f32 v[10:11], v[12:13], v[10:11] neg_lo:[0,1] neg_hi:[0,1]
	s_delay_alu instid0(VALU_DEP_1) | instskip(NEXT) | instid1(VALU_DEP_1)
	v_pk_add_f32 v[12:13], v[14:15], v[10:11]
	v_mov_b32_e32 v14, v13
	s_delay_alu instid0(VALU_DEP_1) | instskip(NEXT) | instid1(VALU_DEP_1)
	v_pk_add_f32 v[14:15], v[12:13], v[14:15]
	v_pk_add_f32 v[16:17], v[4:5], v[14:15]
	s_delay_alu instid0(VALU_DEP_1) | instskip(NEXT) | instid1(VALU_DEP_1)
	v_mov_b32_e32 v13, v16
	v_pk_add_f32 v[18:19], v[12:13], v[8:9] neg_lo:[0,1] neg_hi:[0,1]
	s_delay_alu instid0(VALU_DEP_1) | instskip(NEXT) | instid1(VALU_DEP_1)
	v_dual_mov_b32 v11, v14 :: v_dual_sub_f32 v3, v12, v18
	v_pk_add_f32 v[10:11], v[10:11], v[18:19] neg_lo:[0,1] neg_hi:[0,1]
	s_delay_alu instid0(VALU_DEP_2) | instskip(NEXT) | instid1(VALU_DEP_1)
	v_sub_f32_e32 v3, v8, v3
	v_add_f32_e32 v3, v10, v3
	s_delay_alu instid0(VALU_DEP_1) | instskip(NEXT) | instid1(VALU_DEP_1)
	v_add_f32_e32 v3, v3, v11
	v_add_f32_e32 v3, v16, v3
	s_delay_alu instid0(VALU_DEP_1) | instskip(SKIP_1) | instid1(VALU_DEP_2)
	v_cndmask_b32_e32 v3, 0x7f800000, v3, vcc_lo
	v_cmp_gt_f32_e64 vcc_lo, 0x33800000, |v7|
	v_cndmask_b32_e32 v3, v3, v7, vcc_lo
	s_delay_alu instid0(VALU_DEP_1) | instskip(NEXT) | instid1(VALU_DEP_1)
	v_div_scale_f32 v4, null, s9, s9, v3
	v_rcp_f32_e32 v7, v4
	v_nop
	s_delay_alu instid0(TRANS32_DEP_1) | instskip(NEXT) | instid1(VALU_DEP_1)
	v_fma_f32 v8, -v4, v7, 1.0
	v_fmac_f32_e32 v7, v8, v7
	v_div_scale_f32 v8, vcc_lo, v3, s9, v3
	s_delay_alu instid0(VALU_DEP_1) | instskip(NEXT) | instid1(VALU_DEP_1)
	v_mul_f32_e32 v9, v8, v7
	v_fma_f32 v10, -v4, v9, v8
	s_delay_alu instid0(VALU_DEP_1) | instskip(NEXT) | instid1(VALU_DEP_1)
	v_fmac_f32_e32 v9, v10, v7
	v_fma_f32 v4, -v4, v9, v8
	s_delay_alu instid0(VALU_DEP_1) | instskip(NEXT) | instid1(VALU_DEP_1)
	v_div_fmas_f32 v4, v4, v7, v9
	v_div_fixup_f32 v3, v4, s9, v3
.LBB31_7:
	s_or_b32 exec_lo, exec_lo, s3
	s_wait_loadcnt 0x2
	v_lshlrev_b32_e32 v4, 16, v6
	s_mov_b32 s3, exec_lo
	s_delay_alu instid0(VALU_DEP_1) | instskip(NEXT) | instid1(VALU_DEP_1)
	v_mul_f32_e32 v7, s9, v4
	v_cmpx_nlt_f32_e32 s10, v7
	s_cbranch_execz .LBB31_9
; %bb.8:
	v_mul_f32_e32 v4, 0x3fb8aa3b, v7
	v_cmp_ngt_f32_e32 vcc_lo, 0xc2ce8ed0, v7
	s_mov_b32 s8, 0x3e9b6dac
	s_delay_alu instid0(VALU_DEP_2) | instskip(SKIP_1) | instid1(VALU_DEP_1)
	v_rndne_f32_e32 v8, v4
	v_fma_f32 v9, 0x3fb8aa3b, v7, -v4
	v_dual_sub_f32 v4, v4, v8 :: v_dual_fmamk_f32 v9, v7, 0x32a5705f, v9
	v_cvt_i32_f32_e32 v8, v8
	s_delay_alu instid0(VALU_DEP_2) | instskip(NEXT) | instid1(VALU_DEP_1)
	v_add_f32_e32 v4, v4, v9
	v_exp_f32_e32 v4, v4
	v_nop
	s_delay_alu instid0(TRANS32_DEP_1) | instskip(NEXT) | instid1(VALU_DEP_1)
	v_ldexp_f32 v4, v4, v8
	v_cndmask_b32_e32 v4, 0, v4, vcc_lo
	v_cmp_nlt_f32_e32 vcc_lo, 0x42b17218, v7
	s_delay_alu instid0(VALU_DEP_2) | instskip(NEXT) | instid1(VALU_DEP_1)
	v_cndmask_b32_e32 v24, 0x7f800000, v4, vcc_lo
	v_add_f32_e32 v4, 1.0, v24
	s_delay_alu instid0(VALU_DEP_1) | instskip(NEXT) | instid1(VALU_DEP_1)
	v_cvt_f64_f32_e32 v[8:9], v4
	v_frexp_exp_i32_f64_e32 v7, v[8:9]
	v_frexp_mant_f32_e32 v8, v4
	s_delay_alu instid0(VALU_DEP_1) | instskip(SKIP_1) | instid1(VALU_DEP_1)
	v_cmp_gt_f32_e32 vcc_lo, 0x3f2aaaab, v8
	v_add_f32_e32 v8, -1.0, v4
	v_sub_f32_e32 v10, v8, v4
	s_delay_alu instid0(VALU_DEP_1) | instskip(SKIP_1) | instid1(VALU_DEP_1)
	v_add_f32_e32 v10, 1.0, v10
	v_subrev_co_ci_u32_e64 v7, null, 0, v7, vcc_lo
	v_sub_nc_u32_e32 v9, 0, v7
	s_delay_alu instid0(VALU_DEP_1) | instskip(NEXT) | instid1(VALU_DEP_1)
	v_ldexp_f32 v4, v4, v9
	v_dual_add_f32 v11, 1.0, v4 :: v_dual_add_f32 v13, -1.0, v4
	v_sub_f32_e32 v8, v24, v8
	v_cmp_neq_f32_e32 vcc_lo, 0x7f800000, v24
	s_delay_alu instid0(VALU_DEP_2) | instskip(NEXT) | instid1(VALU_DEP_1)
	v_dual_add_f32 v8, v8, v10 :: v_dual_add_f32 v10, -1.0, v11
	v_ldexp_f32 v8, v8, v9
	s_delay_alu instid0(VALU_DEP_2) | instskip(NEXT) | instid1(VALU_DEP_1)
	v_dual_sub_f32 v9, v4, v10 :: v_dual_add_f32 v10, 1.0, v13
	v_sub_f32_e32 v4, v4, v10
	s_delay_alu instid0(VALU_DEP_1) | instskip(NEXT) | instid1(VALU_DEP_1)
	v_dual_add_f32 v12, v8, v9 :: v_dual_add_f32 v4, v8, v4
	v_add_f32_e32 v9, v13, v4
	s_delay_alu instid0(VALU_DEP_2) | instskip(NEXT) | instid1(VALU_DEP_1)
	v_add_f32_e32 v14, v11, v12
	v_rcp_f32_e32 v15, v14
	v_nop
	s_delay_alu instid0(TRANS32_DEP_1) | instskip(NEXT) | instid1(VALU_DEP_1)
	v_dual_mul_f32 v16, v9, v15 :: v_dual_sub_f32 v8, v11, v14
	v_add_f32_e32 v17, v12, v8
	s_delay_alu instid0(VALU_DEP_2) | instskip(NEXT) | instid1(VALU_DEP_1)
	v_mul_f32_e32 v10, v14, v16
	v_dual_fma_f32 v12, v16, v14, -v10 :: v_dual_sub_f32 v18, v13, v9
	s_delay_alu instid0(VALU_DEP_1) | instskip(NEXT) | instid1(VALU_DEP_1)
	v_fmac_f32_e32 v12, v16, v17
	v_dual_add_f32 v4, v4, v18 :: v_dual_add_f32 v8, v10, v12
	s_delay_alu instid0(VALU_DEP_1) | instskip(NEXT) | instid1(VALU_DEP_1)
	v_dual_sub_f32 v11, v9, v8 :: v_dual_mov_b32 v13, v8
	v_pk_add_f32 v[8:9], v[8:9], v[10:11] neg_lo:[0,1] neg_hi:[0,1]
	s_delay_alu instid0(VALU_DEP_1) | instskip(NEXT) | instid1(VALU_DEP_1)
	v_pk_add_f32 v[8:9], v[8:9], v[12:13] neg_lo:[0,1] neg_hi:[0,1]
	v_add_f32_e32 v4, v4, v9
	s_delay_alu instid0(VALU_DEP_1) | instskip(NEXT) | instid1(VALU_DEP_1)
	v_add_f32_e32 v4, v8, v4
	v_add_f32_e32 v9, v11, v4
	s_delay_alu instid0(VALU_DEP_1) | instskip(NEXT) | instid1(VALU_DEP_1)
	v_mul_f32_e32 v18, v15, v9
	v_mul_f32_e32 v12, v14, v18
	s_delay_alu instid0(VALU_DEP_1) | instskip(NEXT) | instid1(VALU_DEP_1)
	v_dual_fma_f32 v10, v18, v14, -v12 :: v_dual_sub_f32 v14, v11, v9
	v_dual_fmac_f32 v10, v18, v17 :: v_dual_add_f32 v4, v4, v14
	s_delay_alu instid0(VALU_DEP_1) | instskip(NEXT) | instid1(VALU_DEP_1)
	v_add_f32_e32 v8, v12, v10
	v_dual_sub_f32 v13, v9, v8 :: v_dual_mov_b32 v11, v8
	s_delay_alu instid0(VALU_DEP_1) | instskip(NEXT) | instid1(VALU_DEP_1)
	v_pk_add_f32 v[8:9], v[8:9], v[12:13] neg_lo:[0,1] neg_hi:[0,1]
	v_pk_add_f32 v[8:9], v[8:9], v[10:11] neg_lo:[0,1] neg_hi:[0,1]
	v_cvt_f32_i32_e32 v10, v7
	s_delay_alu instid0(VALU_DEP_2) | instskip(NEXT) | instid1(VALU_DEP_1)
	v_add_f32_e32 v4, v4, v9
	v_add_f32_e32 v4, v8, v4
	s_delay_alu instid0(VALU_DEP_1) | instskip(NEXT) | instid1(VALU_DEP_1)
	v_dual_add_f32 v12, v16, v18 :: v_dual_add_f32 v4, v13, v4
	v_sub_f32_e32 v8, v12, v16
	s_delay_alu instid0(VALU_DEP_2) | instskip(NEXT) | instid1(VALU_DEP_2)
	v_mul_f32_e32 v4, v15, v4
	v_sub_f32_e32 v8, v18, v8
	s_delay_alu instid0(VALU_DEP_1) | instskip(NEXT) | instid1(VALU_DEP_1)
	v_add_f32_e32 v4, v8, v4
	v_add_f32_e32 v13, v12, v4
	s_delay_alu instid0(VALU_DEP_1) | instskip(NEXT) | instid1(VALU_DEP_1)
	v_mul_f32_e32 v9, v13, v13
	v_fmaak_f32 v14, s8, v9, 0x3ecc95a3
	v_dual_mov_b32 v8, 0x3f317218 :: v_dual_mul_f32 v11, v13, v9
	s_delay_alu instid0(VALU_DEP_2) | instskip(NEXT) | instid1(VALU_DEP_1)
	v_fmaak_f32 v9, v9, v14, 0x3f2aaada
	v_pk_mul_f32 v[8:9], v[10:11], v[8:9]
	v_ldexp_f32 v11, v13, 1
	s_delay_alu instid0(VALU_DEP_2) | instskip(NEXT) | instid1(VALU_DEP_1)
	v_fma_f32 v7, 0x3f317218, v10, -v8
	v_dual_fmamk_f32 v10, v10, 0xb102e308, v7 :: v_dual_sub_f32 v7, v13, v12
	s_delay_alu instid0(VALU_DEP_1) | instskip(NEXT) | instid1(VALU_DEP_2)
	v_pk_add_f32 v[12:13], v[8:9], v[10:11]
	v_sub_f32_e32 v4, v4, v7
	s_delay_alu instid0(VALU_DEP_2) | instskip(NEXT) | instid1(VALU_DEP_2)
	v_dual_mov_b32 v14, v8 :: v_dual_sub_f32 v7, v13, v11
	v_ldexp_f32 v4, v4, 1
	s_delay_alu instid0(VALU_DEP_2) | instskip(SKIP_1) | instid1(VALU_DEP_2)
	v_dual_mov_b32 v11, v12 :: v_dual_sub_f32 v7, v9, v7
	v_pk_add_f32 v[8:9], v[12:13], v[8:9] neg_lo:[0,1] neg_hi:[0,1]
	v_add_f32_e32 v15, v4, v7
	s_delay_alu instid0(VALU_DEP_1) | instskip(NEXT) | instid1(VALU_DEP_1)
	v_pk_add_f32 v[16:17], v[12:13], v[14:15]
	v_dual_mov_b32 v22, v13 :: v_dual_mov_b32 v9, v17
	s_delay_alu instid0(VALU_DEP_1) | instskip(SKIP_2) | instid1(VALU_DEP_3)
	v_pk_add_f32 v[18:19], v[10:11], v[8:9]
	v_mov_b32_e32 v18, v17
	v_pk_add_f32 v[8:9], v[10:11], v[8:9] neg_lo:[0,1] neg_hi:[0,1]
	v_dual_mov_b32 v4, v19 :: v_dual_mov_b32 v9, v19
	s_wait_loadcnt 0x1
	s_delay_alu instid0(VALU_DEP_1) | instskip(SKIP_1) | instid1(VALU_DEP_2)
	v_pk_add_f32 v[20:21], v[4:5], v[12:13] neg_lo:[0,1] neg_hi:[0,1]
	v_dual_mov_b32 v13, v12 :: v_dual_mov_b32 v12, v15
	v_dual_mov_b32 v7, v20 :: v_dual_mov_b32 v23, v20
	s_delay_alu instid0(VALU_DEP_1) | instskip(NEXT) | instid1(VALU_DEP_2)
	v_pk_add_f32 v[14:15], v[16:17], v[6:7] neg_lo:[0,1] neg_hi:[0,1]
	v_pk_add_f32 v[10:11], v[18:19], v[22:23] neg_lo:[0,1] neg_hi:[0,1]
	v_mov_b32_e32 v14, v8
	s_delay_alu instid0(VALU_DEP_2) | instskip(NEXT) | instid1(VALU_DEP_1)
	v_pk_add_f32 v[10:11], v[12:13], v[10:11] neg_lo:[0,1] neg_hi:[0,1]
	v_pk_add_f32 v[12:13], v[14:15], v[10:11]
	s_delay_alu instid0(VALU_DEP_1) | instskip(NEXT) | instid1(VALU_DEP_1)
	v_mov_b32_e32 v14, v13
	v_pk_add_f32 v[14:15], v[12:13], v[14:15]
	s_delay_alu instid0(VALU_DEP_1) | instskip(NEXT) | instid1(VALU_DEP_1)
	v_pk_add_f32 v[16:17], v[4:5], v[14:15]
	v_mov_b32_e32 v13, v16
	s_delay_alu instid0(VALU_DEP_1) | instskip(NEXT) | instid1(VALU_DEP_1)
	v_pk_add_f32 v[18:19], v[12:13], v[8:9] neg_lo:[0,1] neg_hi:[0,1]
	v_dual_mov_b32 v11, v14 :: v_dual_sub_f32 v4, v12, v18
	s_delay_alu instid0(VALU_DEP_1) | instskip(NEXT) | instid1(VALU_DEP_2)
	v_pk_add_f32 v[10:11], v[10:11], v[18:19] neg_lo:[0,1] neg_hi:[0,1]
	v_sub_f32_e32 v4, v8, v4
	s_delay_alu instid0(VALU_DEP_1) | instskip(NEXT) | instid1(VALU_DEP_1)
	v_add_f32_e32 v4, v10, v4
	v_add_f32_e32 v4, v4, v11
	s_delay_alu instid0(VALU_DEP_1) | instskip(NEXT) | instid1(VALU_DEP_1)
	v_add_f32_e32 v4, v16, v4
	v_cndmask_b32_e32 v4, 0x7f800000, v4, vcc_lo
	v_cmp_gt_f32_e64 vcc_lo, 0x33800000, |v24|
	s_delay_alu instid0(VALU_DEP_2) | instskip(NEXT) | instid1(VALU_DEP_1)
	v_cndmask_b32_e32 v4, v4, v24, vcc_lo
	v_div_scale_f32 v7, null, s9, s9, v4
	s_delay_alu instid0(VALU_DEP_1) | instskip(SKIP_1) | instid1(TRANS32_DEP_1)
	v_rcp_f32_e32 v8, v7
	v_nop
	v_fma_f32 v9, -v7, v8, 1.0
	s_delay_alu instid0(VALU_DEP_1) | instskip(SKIP_1) | instid1(VALU_DEP_1)
	v_fmac_f32_e32 v8, v9, v8
	v_div_scale_f32 v9, vcc_lo, v4, s9, v4
	v_mul_f32_e32 v10, v9, v8
	s_delay_alu instid0(VALU_DEP_1) | instskip(NEXT) | instid1(VALU_DEP_1)
	v_fma_f32 v11, -v7, v10, v9
	v_fmac_f32_e32 v10, v11, v8
	s_delay_alu instid0(VALU_DEP_1) | instskip(NEXT) | instid1(VALU_DEP_1)
	v_fma_f32 v7, -v7, v10, v9
	v_div_fmas_f32 v7, v7, v8, v10
	s_delay_alu instid0(VALU_DEP_1)
	v_div_fixup_f32 v4, v7, s9, v4
.LBB31_9:
	s_or_b32 exec_lo, exec_lo, s3
	v_and_b32_e32 v6, 0xffff0000, v6
	s_mov_b32 s3, exec_lo
	s_delay_alu instid0(VALU_DEP_1) | instskip(NEXT) | instid1(VALU_DEP_1)
	v_mul_f32_e32 v7, s9, v6
	v_cmpx_nlt_f32_e32 s10, v7
	s_cbranch_execz .LBB31_11
; %bb.10:
	v_mul_f32_e32 v6, 0x3fb8aa3b, v7
	v_cmp_ngt_f32_e32 vcc_lo, 0xc2ce8ed0, v7
	s_mov_b32 s8, 0x3e9b6dac
	s_delay_alu instid0(VALU_DEP_2) | instskip(SKIP_1) | instid1(VALU_DEP_1)
	v_rndne_f32_e32 v8, v6
	v_fma_f32 v9, 0x3fb8aa3b, v7, -v6
	v_dual_sub_f32 v6, v6, v8 :: v_dual_fmamk_f32 v9, v7, 0x32a5705f, v9
	v_cvt_i32_f32_e32 v8, v8
	s_delay_alu instid0(VALU_DEP_2) | instskip(NEXT) | instid1(VALU_DEP_1)
	v_add_f32_e32 v6, v6, v9
	v_exp_f32_e32 v6, v6
	v_nop
	s_delay_alu instid0(TRANS32_DEP_1) | instskip(NEXT) | instid1(VALU_DEP_1)
	v_ldexp_f32 v6, v6, v8
	v_cndmask_b32_e32 v6, 0, v6, vcc_lo
	v_cmp_nlt_f32_e32 vcc_lo, 0x42b17218, v7
	s_delay_alu instid0(VALU_DEP_2) | instskip(NEXT) | instid1(VALU_DEP_1)
	v_cndmask_b32_e32 v22, 0x7f800000, v6, vcc_lo
	v_add_f32_e32 v8, 1.0, v22
	s_delay_alu instid0(VALU_DEP_1) | instskip(NEXT) | instid1(VALU_DEP_1)
	v_cvt_f64_f32_e32 v[6:7], v8
	v_frexp_exp_i32_f64_e32 v6, v[6:7]
	v_frexp_mant_f32_e32 v7, v8
	s_delay_alu instid0(VALU_DEP_1) | instskip(NEXT) | instid1(VALU_DEP_3)
	v_cmp_gt_f32_e32 vcc_lo, 0x3f2aaaab, v7
	v_subrev_co_ci_u32_e64 v12, null, 0, v6, vcc_lo
	v_add_f32_e32 v6, -1.0, v8
	s_delay_alu instid0(VALU_DEP_2) | instskip(NEXT) | instid1(VALU_DEP_2)
	v_sub_nc_u32_e32 v7, 0, v12
	v_sub_f32_e32 v9, v6, v8
	v_cmp_neq_f32_e32 vcc_lo, 0x7f800000, v22
	s_delay_alu instid0(VALU_DEP_3) | instskip(NEXT) | instid1(VALU_DEP_1)
	v_ldexp_f32 v8, v8, v7
	v_dual_add_f32 v9, 1.0, v9 :: v_dual_add_f32 v10, 1.0, v8
	v_dual_sub_f32 v6, v22, v6 :: v_dual_add_f32 v11, -1.0, v8
	s_delay_alu instid0(VALU_DEP_1) | instskip(NEXT) | instid1(VALU_DEP_1)
	v_dual_add_f32 v6, v6, v9 :: v_dual_add_f32 v9, -1.0, v10
	v_ldexp_f32 v6, v6, v7
	s_delay_alu instid0(VALU_DEP_2) | instskip(NEXT) | instid1(VALU_DEP_1)
	v_dual_sub_f32 v7, v8, v9 :: v_dual_add_f32 v9, 1.0, v11
	v_dual_add_f32 v13, v6, v7 :: v_dual_sub_f32 v7, v8, v9
	s_delay_alu instid0(VALU_DEP_1) | instskip(NEXT) | instid1(VALU_DEP_1)
	v_add_f32_e32 v15, v6, v7
	v_dual_add_f32 v14, v10, v13 :: v_dual_add_f32 v7, v11, v15
	s_delay_alu instid0(VALU_DEP_1) | instskip(NEXT) | instid1(VALU_DEP_1)
	v_rcp_f32_e32 v16, v14
	v_sub_f32_e32 v18, v11, v7
	s_delay_alu instid0(TRANS32_DEP_1) | instskip(NEXT) | instid1(VALU_DEP_1)
	v_mul_f32_e32 v17, v7, v16
	v_mul_f32_e32 v8, v14, v17
	s_delay_alu instid0(VALU_DEP_1) | instskip(NEXT) | instid1(VALU_DEP_1)
	v_dual_sub_f32 v6, v10, v14 :: v_dual_fma_f32 v10, v17, v14, -v8
	v_add_f32_e32 v13, v13, v6
	s_delay_alu instid0(VALU_DEP_1) | instskip(NEXT) | instid1(VALU_DEP_1)
	v_fmac_f32_e32 v10, v17, v13
	v_add_f32_e32 v6, v8, v10
	s_delay_alu instid0(VALU_DEP_1) | instskip(NEXT) | instid1(VALU_DEP_1)
	v_dual_sub_f32 v9, v7, v6 :: v_dual_mov_b32 v11, v6
	v_pk_add_f32 v[6:7], v[6:7], v[8:9] neg_lo:[0,1] neg_hi:[0,1]
	v_add_f32_e32 v8, v15, v18
	s_delay_alu instid0(VALU_DEP_2) | instskip(NEXT) | instid1(VALU_DEP_1)
	v_pk_add_f32 v[6:7], v[6:7], v[10:11] neg_lo:[0,1] neg_hi:[0,1]
	v_add_f32_e32 v7, v8, v7
	s_delay_alu instid0(VALU_DEP_1) | instskip(NEXT) | instid1(VALU_DEP_1)
	v_add_f32_e32 v15, v6, v7
	v_add_f32_e32 v7, v9, v15
	s_delay_alu instid0(VALU_DEP_1) | instskip(NEXT) | instid1(VALU_DEP_1)
	v_mul_f32_e32 v18, v16, v7
	v_mul_f32_e32 v10, v14, v18
	s_delay_alu instid0(VALU_DEP_1) | instskip(NEXT) | instid1(VALU_DEP_1)
	v_fma_f32 v8, v18, v14, -v10
	v_dual_fmac_f32 v8, v18, v13 :: v_dual_sub_f32 v13, v9, v7
	s_delay_alu instid0(VALU_DEP_1) | instskip(NEXT) | instid1(VALU_DEP_1)
	v_add_f32_e32 v6, v10, v8
	v_dual_sub_f32 v11, v7, v6 :: v_dual_mov_b32 v9, v6
	s_delay_alu instid0(VALU_DEP_1) | instskip(NEXT) | instid1(VALU_DEP_4)
	v_pk_add_f32 v[6:7], v[6:7], v[10:11] neg_lo:[0,1] neg_hi:[0,1]
	v_add_f32_e32 v10, v15, v13
	s_delay_alu instid0(VALU_DEP_2) | instskip(SKIP_1) | instid1(VALU_DEP_2)
	v_pk_add_f32 v[6:7], v[6:7], v[8:9] neg_lo:[0,1] neg_hi:[0,1]
	v_cvt_f32_i32_e32 v8, v12
	v_dual_add_f32 v7, v10, v7 :: v_dual_add_f32 v10, v17, v18
	s_delay_alu instid0(VALU_DEP_1) | instskip(NEXT) | instid1(VALU_DEP_1)
	v_add_f32_e32 v6, v6, v7
	v_dual_sub_f32 v7, v10, v17 :: v_dual_add_f32 v6, v11, v6
	s_delay_alu instid0(VALU_DEP_1) | instskip(NEXT) | instid1(VALU_DEP_1)
	v_dual_sub_f32 v7, v18, v7 :: v_dual_mul_f32 v6, v16, v6
	v_dual_add_f32 v13, v7, v6 :: v_dual_mov_b32 v6, 0x3f317218
	s_delay_alu instid0(VALU_DEP_1) | instskip(NEXT) | instid1(VALU_DEP_1)
	v_add_f32_e32 v11, v10, v13
	v_mul_f32_e32 v7, v11, v11
	s_delay_alu instid0(VALU_DEP_1) | instskip(NEXT) | instid1(VALU_DEP_1)
	v_dual_fmaak_f32 v14, s8, v7, 0x3ecc95a3 :: v_dual_mul_f32 v9, v11, v7
	v_fmaak_f32 v7, v7, v14, 0x3f2aaada
	s_delay_alu instid0(VALU_DEP_1) | instskip(SKIP_1) | instid1(VALU_DEP_2)
	v_pk_mul_f32 v[6:7], v[8:9], v[6:7]
	v_ldexp_f32 v9, v11, 1
	v_fma_f32 v12, 0x3f317218, v8, -v6
	s_delay_alu instid0(VALU_DEP_1) | instskip(SKIP_1) | instid1(VALU_DEP_2)
	v_fmamk_f32 v8, v8, 0xb102e308, v12
	v_sub_f32_e32 v12, v11, v10
	v_pk_add_f32 v[10:11], v[6:7], v[8:9]
	s_delay_alu instid0(VALU_DEP_1) | instskip(NEXT) | instid1(VALU_DEP_1)
	v_dual_sub_f32 v9, v11, v9 :: v_dual_sub_f32 v12, v13, v12
	v_sub_f32_e32 v9, v7, v9
	s_delay_alu instid0(VALU_DEP_2) | instskip(SKIP_2) | instid1(VALU_DEP_3)
	v_ldexp_f32 v13, v12, 1
	v_mov_b32_e32 v12, v6
	v_pk_add_f32 v[6:7], v[10:11], v[6:7] neg_lo:[0,1] neg_hi:[0,1]
	v_dual_add_f32 v13, v13, v9 :: v_dual_mov_b32 v9, v10
	s_delay_alu instid0(VALU_DEP_1) | instskip(NEXT) | instid1(VALU_DEP_1)
	v_pk_add_f32 v[14:15], v[10:11], v[12:13]
	v_dual_mov_b32 v20, v11 :: v_dual_mov_b32 v7, v15
	s_delay_alu instid0(VALU_DEP_1) | instskip(NEXT) | instid1(VALU_DEP_1)
	v_pk_add_f32 v[16:17], v[8:9], v[6:7]
	v_dual_mov_b32 v16, v15 :: v_dual_mov_b32 v12, v17
	v_pk_add_f32 v[6:7], v[8:9], v[6:7] neg_lo:[0,1] neg_hi:[0,1]
	v_mov_b32_e32 v7, v17
	s_delay_alu instid0(VALU_DEP_3) | instskip(SKIP_1) | instid1(VALU_DEP_2)
	v_pk_add_f32 v[18:19], v[12:13], v[10:11] neg_lo:[0,1] neg_hi:[0,1]
	v_dual_mov_b32 v11, v10 :: v_dual_mov_b32 v10, v13
	v_dual_mov_b32 v13, v18 :: v_dual_mov_b32 v21, v18
	s_delay_alu instid0(VALU_DEP_1) | instskip(NEXT) | instid1(VALU_DEP_2)
	v_pk_add_f32 v[14:15], v[14:15], v[12:13] neg_lo:[0,1] neg_hi:[0,1]
	v_pk_add_f32 v[8:9], v[16:17], v[20:21] neg_lo:[0,1] neg_hi:[0,1]
	v_mov_b32_e32 v14, v6
	s_delay_alu instid0(VALU_DEP_2) | instskip(NEXT) | instid1(VALU_DEP_1)
	v_pk_add_f32 v[8:9], v[10:11], v[8:9] neg_lo:[0,1] neg_hi:[0,1]
	v_pk_add_f32 v[10:11], v[14:15], v[8:9]
	s_delay_alu instid0(VALU_DEP_1) | instskip(NEXT) | instid1(VALU_DEP_1)
	v_mov_b32_e32 v14, v11
	v_pk_add_f32 v[14:15], v[10:11], v[14:15]
	s_delay_alu instid0(VALU_DEP_1) | instskip(NEXT) | instid1(VALU_DEP_1)
	v_pk_add_f32 v[12:13], v[12:13], v[14:15]
	v_mov_b32_e32 v11, v12
	s_delay_alu instid0(VALU_DEP_1) | instskip(NEXT) | instid1(VALU_DEP_1)
	v_pk_add_f32 v[16:17], v[10:11], v[6:7] neg_lo:[0,1] neg_hi:[0,1]
	v_sub_f32_e32 v7, v10, v16
	s_delay_alu instid0(VALU_DEP_1) | instskip(SKIP_1) | instid1(VALU_DEP_1)
	v_sub_f32_e32 v6, v6, v7
	v_mov_b32_e32 v9, v14
	v_pk_add_f32 v[8:9], v[8:9], v[16:17] neg_lo:[0,1] neg_hi:[0,1]
	s_delay_alu instid0(VALU_DEP_1) | instskip(NEXT) | instid1(VALU_DEP_1)
	v_add_f32_e32 v6, v8, v6
	v_add_f32_e32 v6, v6, v9
	s_delay_alu instid0(VALU_DEP_1) | instskip(NEXT) | instid1(VALU_DEP_1)
	v_add_f32_e32 v6, v12, v6
	v_cndmask_b32_e32 v6, 0x7f800000, v6, vcc_lo
	v_cmp_gt_f32_e64 vcc_lo, 0x33800000, |v22|
	s_delay_alu instid0(VALU_DEP_2) | instskip(NEXT) | instid1(VALU_DEP_1)
	v_cndmask_b32_e32 v6, v6, v22, vcc_lo
	v_div_scale_f32 v7, null, s9, s9, v6
	s_delay_alu instid0(VALU_DEP_1) | instskip(SKIP_1) | instid1(TRANS32_DEP_1)
	v_rcp_f32_e32 v8, v7
	v_nop
	v_fma_f32 v9, -v7, v8, 1.0
	s_delay_alu instid0(VALU_DEP_1) | instskip(SKIP_1) | instid1(VALU_DEP_1)
	v_fmac_f32_e32 v8, v9, v8
	v_div_scale_f32 v9, vcc_lo, v6, s9, v6
	v_mul_f32_e32 v10, v9, v8
	s_delay_alu instid0(VALU_DEP_1) | instskip(NEXT) | instid1(VALU_DEP_1)
	v_fma_f32 v11, -v7, v10, v9
	v_fmac_f32_e32 v10, v11, v8
	s_delay_alu instid0(VALU_DEP_1) | instskip(NEXT) | instid1(VALU_DEP_1)
	v_fma_f32 v7, -v7, v10, v9
	v_div_fmas_f32 v7, v7, v8, v10
	s_delay_alu instid0(VALU_DEP_1)
	v_div_fixup_f32 v6, v7, s9, v6
.LBB31_11:
	s_or_b32 exec_lo, exec_lo, s3
	s_wait_loadcnt 0x1
	v_lshlrev_b32_e32 v7, 16, v5
	s_mov_b32 s3, exec_lo
	s_delay_alu instid0(VALU_DEP_1) | instskip(NEXT) | instid1(VALU_DEP_1)
	v_mul_f32_e32 v8, s9, v7
	v_cmpx_nlt_f32_e32 s10, v8
	s_cbranch_execz .LBB31_13
; %bb.12:
	v_mul_f32_e32 v7, 0x3fb8aa3b, v8
	v_cmp_ngt_f32_e32 vcc_lo, 0xc2ce8ed0, v8
	s_mov_b32 s8, 0x3e9b6dac
	s_delay_alu instid0(VALU_DEP_2) | instskip(SKIP_1) | instid1(VALU_DEP_1)
	v_rndne_f32_e32 v9, v7
	v_fma_f32 v10, 0x3fb8aa3b, v8, -v7
	v_dual_sub_f32 v7, v7, v9 :: v_dual_fmamk_f32 v10, v8, 0x32a5705f, v10
	v_cvt_i32_f32_e32 v9, v9
	s_delay_alu instid0(VALU_DEP_2) | instskip(NEXT) | instid1(VALU_DEP_1)
	v_add_f32_e32 v7, v7, v10
	v_exp_f32_e32 v7, v7
	v_nop
	s_delay_alu instid0(TRANS32_DEP_1) | instskip(NEXT) | instid1(VALU_DEP_1)
	v_ldexp_f32 v7, v7, v9
	v_cndmask_b32_e32 v7, 0, v7, vcc_lo
	v_cmp_nlt_f32_e32 vcc_lo, 0x42b17218, v8
	s_delay_alu instid0(VALU_DEP_2) | instskip(NEXT) | instid1(VALU_DEP_1)
	v_cndmask_b32_e32 v24, 0x7f800000, v7, vcc_lo
	v_add_f32_e32 v7, 1.0, v24
	s_delay_alu instid0(VALU_DEP_1) | instskip(NEXT) | instid1(VALU_DEP_1)
	v_cvt_f64_f32_e32 v[8:9], v7
	v_frexp_exp_i32_f64_e32 v8, v[8:9]
	v_frexp_mant_f32_e32 v9, v7
	s_delay_alu instid0(VALU_DEP_1) | instskip(NEXT) | instid1(VALU_DEP_3)
	v_cmp_gt_f32_e32 vcc_lo, 0x3f2aaaab, v9
	v_subrev_co_ci_u32_e64 v14, null, 0, v8, vcc_lo
	s_delay_alu instid0(VALU_DEP_1) | instskip(NEXT) | instid1(VALU_DEP_1)
	v_dual_add_f32 v8, -1.0, v7 :: v_dual_sub_nc_u32 v9, 0, v14
	v_sub_f32_e32 v10, v8, v7
	s_delay_alu instid0(VALU_DEP_2) | instskip(NEXT) | instid1(VALU_DEP_1)
	v_ldexp_f32 v7, v7, v9
	v_dual_add_f32 v10, 1.0, v10 :: v_dual_add_f32 v11, 1.0, v7
	v_dual_add_f32 v13, -1.0, v7 :: v_dual_sub_f32 v8, v24, v8
	v_cmp_neq_f32_e32 vcc_lo, 0x7f800000, v24
	s_delay_alu instid0(VALU_DEP_2) | instskip(NEXT) | instid1(VALU_DEP_1)
	v_dual_add_f32 v8, v8, v10 :: v_dual_add_f32 v10, -1.0, v11
	v_ldexp_f32 v8, v8, v9
	s_delay_alu instid0(VALU_DEP_2) | instskip(NEXT) | instid1(VALU_DEP_1)
	v_dual_sub_f32 v9, v7, v10 :: v_dual_add_f32 v10, 1.0, v13
	v_add_f32_e32 v12, v8, v9
	s_delay_alu instid0(VALU_DEP_1) | instskip(NEXT) | instid1(VALU_DEP_1)
	v_add_f32_e32 v15, v11, v12
	v_rcp_f32_e32 v16, v15
	s_delay_alu instid0(VALU_DEP_3) | instskip(NEXT) | instid1(VALU_DEP_1)
	v_sub_f32_e32 v7, v7, v10
	v_add_f32_e32 v7, v8, v7
	v_sub_f32_e32 v8, v11, v15
	s_delay_alu instid0(VALU_DEP_1)
	v_dual_add_f32 v9, v13, v7 :: v_dual_add_f32 v18, v12, v8
	s_delay_alu instid0(TRANS32_DEP_1) | instid1(VALU_DEP_1)
	v_mul_f32_e32 v17, v9, v16
	v_sub_f32_e32 v19, v13, v9
	s_delay_alu instid0(VALU_DEP_2) | instskip(NEXT) | instid1(VALU_DEP_2)
	v_mul_f32_e32 v10, v15, v17
	v_add_f32_e32 v7, v7, v19
	s_delay_alu instid0(VALU_DEP_2) | instskip(NEXT) | instid1(VALU_DEP_1)
	v_fma_f32 v12, v17, v15, -v10
	v_fmac_f32_e32 v12, v17, v18
	s_delay_alu instid0(VALU_DEP_1) | instskip(NEXT) | instid1(VALU_DEP_1)
	v_add_f32_e32 v8, v10, v12
	v_dual_sub_f32 v11, v9, v8 :: v_dual_mov_b32 v13, v8
	s_delay_alu instid0(VALU_DEP_1) | instskip(NEXT) | instid1(VALU_DEP_1)
	v_pk_add_f32 v[8:9], v[8:9], v[10:11] neg_lo:[0,1] neg_hi:[0,1]
	v_pk_add_f32 v[8:9], v[8:9], v[12:13] neg_lo:[0,1] neg_hi:[0,1]
	s_delay_alu instid0(VALU_DEP_1) | instskip(NEXT) | instid1(VALU_DEP_1)
	v_add_f32_e32 v7, v7, v9
	v_add_f32_e32 v7, v8, v7
	s_delay_alu instid0(VALU_DEP_1) | instskip(NEXT) | instid1(VALU_DEP_1)
	v_add_f32_e32 v9, v11, v7
	v_mul_f32_e32 v19, v16, v9
	s_delay_alu instid0(VALU_DEP_1) | instskip(NEXT) | instid1(VALU_DEP_1)
	v_mul_f32_e32 v12, v15, v19
	v_fma_f32 v10, v19, v15, -v12
	s_delay_alu instid0(VALU_DEP_1) | instskip(NEXT) | instid1(VALU_DEP_1)
	v_fmac_f32_e32 v10, v19, v18
	v_dual_add_f32 v8, v12, v10 :: v_dual_sub_f32 v15, v11, v9
	s_delay_alu instid0(VALU_DEP_1) | instskip(NEXT) | instid1(VALU_DEP_1)
	v_dual_sub_f32 v13, v9, v8 :: v_dual_mov_b32 v11, v8
	v_pk_add_f32 v[8:9], v[8:9], v[12:13] neg_lo:[0,1] neg_hi:[0,1]
	v_add_f32_e32 v12, v17, v19
	s_delay_alu instid0(VALU_DEP_4) | instskip(NEXT) | instid1(VALU_DEP_3)
	v_add_f32_e32 v7, v7, v15
	v_pk_add_f32 v[8:9], v[8:9], v[10:11] neg_lo:[0,1] neg_hi:[0,1]
	v_cvt_f32_i32_e32 v10, v14
	s_delay_alu instid0(VALU_DEP_2) | instskip(NEXT) | instid1(VALU_DEP_1)
	v_add_f32_e32 v7, v7, v9
	v_add_f32_e32 v7, v8, v7
	v_sub_f32_e32 v8, v12, v17
	s_delay_alu instid0(VALU_DEP_1) | instskip(NEXT) | instid1(VALU_DEP_1)
	v_dual_sub_f32 v8, v19, v8 :: v_dual_add_f32 v7, v13, v7
	v_mul_f32_e32 v7, v16, v7
	s_delay_alu instid0(VALU_DEP_1) | instskip(NEXT) | instid1(VALU_DEP_1)
	v_dual_add_f32 v7, v8, v7 :: v_dual_mov_b32 v8, 0x3f317218
	v_add_f32_e32 v13, v12, v7
	s_delay_alu instid0(VALU_DEP_1) | instskip(NEXT) | instid1(VALU_DEP_1)
	v_mul_f32_e32 v9, v13, v13
	v_fmaak_f32 v15, s8, v9, 0x3ecc95a3
	v_mul_f32_e32 v11, v13, v9
	s_delay_alu instid0(VALU_DEP_2) | instskip(NEXT) | instid1(VALU_DEP_1)
	v_fmaak_f32 v9, v9, v15, 0x3f2aaada
	v_pk_mul_f32 v[8:9], v[10:11], v[8:9]
	s_delay_alu instid0(VALU_DEP_1) | instskip(NEXT) | instid1(VALU_DEP_1)
	v_fma_f32 v14, 0x3f317218, v10, -v8
	v_fmamk_f32 v10, v10, 0xb102e308, v14
	v_sub_f32_e32 v14, v13, v12
	s_delay_alu instid0(VALU_DEP_1) | instskip(SKIP_2) | instid1(VALU_DEP_3)
	v_sub_f32_e32 v7, v7, v14
	v_ldexp_f32 v11, v13, 1
	v_mov_b32_e32 v14, v8
	v_ldexp_f32 v7, v7, 1
	s_delay_alu instid0(VALU_DEP_3) | instskip(NEXT) | instid1(VALU_DEP_1)
	v_pk_add_f32 v[12:13], v[8:9], v[10:11]
	v_dual_sub_f32 v11, v13, v11 :: v_dual_mov_b32 v22, v13
	s_delay_alu instid0(VALU_DEP_1) | instskip(NEXT) | instid1(VALU_DEP_3)
	v_sub_f32_e32 v11, v9, v11
	v_pk_add_f32 v[8:9], v[12:13], v[8:9] neg_lo:[0,1] neg_hi:[0,1]
	s_delay_alu instid0(VALU_DEP_2) | instskip(NEXT) | instid1(VALU_DEP_1)
	v_dual_add_f32 v15, v7, v11 :: v_dual_mov_b32 v11, v12
	v_pk_add_f32 v[16:17], v[12:13], v[14:15]
	s_delay_alu instid0(VALU_DEP_1) | instskip(NEXT) | instid1(VALU_DEP_1)
	v_mov_b32_e32 v9, v17
	v_pk_add_f32 v[18:19], v[10:11], v[8:9]
	v_mov_b32_e32 v18, v17
	v_pk_add_f32 v[8:9], v[10:11], v[8:9] neg_lo:[0,1] neg_hi:[0,1]
	s_delay_alu instid0(VALU_DEP_3) | instskip(NEXT) | instid1(VALU_DEP_1)
	v_dual_mov_b32 v14, v19 :: v_dual_mov_b32 v9, v19
	v_pk_add_f32 v[20:21], v[14:15], v[12:13] neg_lo:[0,1] neg_hi:[0,1]
	v_dual_mov_b32 v13, v12 :: v_dual_mov_b32 v12, v15
	s_delay_alu instid0(VALU_DEP_2) | instskip(NEXT) | instid1(VALU_DEP_1)
	v_dual_mov_b32 v7, v20 :: v_dual_mov_b32 v23, v20
	v_pk_add_f32 v[16:17], v[16:17], v[6:7] neg_lo:[0,1] neg_hi:[0,1]
	s_delay_alu instid0(VALU_DEP_2) | instskip(SKIP_1) | instid1(VALU_DEP_2)
	v_pk_add_f32 v[10:11], v[18:19], v[22:23] neg_lo:[0,1] neg_hi:[0,1]
	v_mov_b32_e32 v16, v8
	v_pk_add_f32 v[10:11], v[12:13], v[10:11] neg_lo:[0,1] neg_hi:[0,1]
	s_delay_alu instid0(VALU_DEP_1) | instskip(NEXT) | instid1(VALU_DEP_1)
	v_pk_add_f32 v[12:13], v[16:17], v[10:11]
	v_mov_b32_e32 v16, v13
	s_delay_alu instid0(VALU_DEP_1) | instskip(NEXT) | instid1(VALU_DEP_1)
	v_pk_add_f32 v[16:17], v[12:13], v[16:17]
	v_pk_add_f32 v[14:15], v[14:15], v[16:17]
	s_delay_alu instid0(VALU_DEP_1) | instskip(NEXT) | instid1(VALU_DEP_1)
	v_mov_b32_e32 v13, v14
	v_pk_add_f32 v[18:19], v[12:13], v[8:9] neg_lo:[0,1] neg_hi:[0,1]
	s_delay_alu instid0(VALU_DEP_1) | instskip(NEXT) | instid1(VALU_DEP_1)
	v_sub_f32_e32 v7, v12, v18
	v_sub_f32_e32 v7, v8, v7
	v_mov_b32_e32 v11, v16
	s_delay_alu instid0(VALU_DEP_1) | instskip(NEXT) | instid1(VALU_DEP_1)
	v_pk_add_f32 v[10:11], v[10:11], v[18:19] neg_lo:[0,1] neg_hi:[0,1]
	v_add_f32_e32 v7, v10, v7
	s_delay_alu instid0(VALU_DEP_1) | instskip(NEXT) | instid1(VALU_DEP_1)
	v_add_f32_e32 v7, v7, v11
	v_add_f32_e32 v7, v14, v7
	s_delay_alu instid0(VALU_DEP_1) | instskip(SKIP_1) | instid1(VALU_DEP_2)
	v_cndmask_b32_e32 v7, 0x7f800000, v7, vcc_lo
	v_cmp_gt_f32_e64 vcc_lo, 0x33800000, |v24|
	v_cndmask_b32_e32 v7, v7, v24, vcc_lo
	s_delay_alu instid0(VALU_DEP_1) | instskip(NEXT) | instid1(VALU_DEP_1)
	v_div_scale_f32 v8, null, s9, s9, v7
	v_rcp_f32_e32 v9, v8
	v_nop
	s_delay_alu instid0(TRANS32_DEP_1) | instskip(NEXT) | instid1(VALU_DEP_1)
	v_fma_f32 v10, -v8, v9, 1.0
	v_fmac_f32_e32 v9, v10, v9
	v_div_scale_f32 v10, vcc_lo, v7, s9, v7
	s_delay_alu instid0(VALU_DEP_1) | instskip(NEXT) | instid1(VALU_DEP_1)
	v_mul_f32_e32 v11, v10, v9
	v_fma_f32 v12, -v8, v11, v10
	s_delay_alu instid0(VALU_DEP_1) | instskip(NEXT) | instid1(VALU_DEP_1)
	v_fmac_f32_e32 v11, v12, v9
	v_fma_f32 v8, -v8, v11, v10
	s_delay_alu instid0(VALU_DEP_1) | instskip(NEXT) | instid1(VALU_DEP_1)
	v_div_fmas_f32 v8, v8, v9, v11
	v_div_fixup_f32 v7, v8, s9, v7
.LBB31_13:
	s_or_b32 exec_lo, exec_lo, s3
	v_and_b32_e32 v5, 0xffff0000, v5
	s_mov_b32 s3, exec_lo
	s_delay_alu instid0(VALU_DEP_1) | instskip(NEXT) | instid1(VALU_DEP_1)
	v_mul_f32_e32 v8, s9, v5
	v_cmpx_nlt_f32_e32 s10, v8
	s_cbranch_execz .LBB31_15
; %bb.14:
	v_mul_f32_e32 v5, 0x3fb8aa3b, v8
	v_cmp_ngt_f32_e32 vcc_lo, 0xc2ce8ed0, v8
	s_mov_b32 s8, 0x3e9b6dac
	s_delay_alu instid0(VALU_DEP_2) | instskip(SKIP_1) | instid1(VALU_DEP_1)
	v_rndne_f32_e32 v9, v5
	v_fma_f32 v10, 0x3fb8aa3b, v8, -v5
	v_dual_sub_f32 v5, v5, v9 :: v_dual_fmamk_f32 v10, v8, 0x32a5705f, v10
	v_cvt_i32_f32_e32 v9, v9
	s_delay_alu instid0(VALU_DEP_2) | instskip(NEXT) | instid1(VALU_DEP_1)
	v_add_f32_e32 v5, v5, v10
	v_exp_f32_e32 v5, v5
	v_nop
	s_delay_alu instid0(TRANS32_DEP_1) | instskip(NEXT) | instid1(VALU_DEP_1)
	v_ldexp_f32 v5, v5, v9
	v_cndmask_b32_e32 v5, 0, v5, vcc_lo
	v_cmp_nlt_f32_e32 vcc_lo, 0x42b17218, v8
	s_delay_alu instid0(VALU_DEP_2) | instskip(NEXT) | instid1(VALU_DEP_1)
	v_cndmask_b32_e32 v24, 0x7f800000, v5, vcc_lo
	v_add_f32_e32 v5, 1.0, v24
	s_delay_alu instid0(VALU_DEP_1) | instskip(NEXT) | instid1(VALU_DEP_1)
	v_cvt_f64_f32_e32 v[8:9], v5
	v_frexp_exp_i32_f64_e32 v8, v[8:9]
	v_frexp_mant_f32_e32 v9, v5
	s_delay_alu instid0(VALU_DEP_1) | instskip(NEXT) | instid1(VALU_DEP_3)
	v_cmp_gt_f32_e32 vcc_lo, 0x3f2aaaab, v9
	v_subrev_co_ci_u32_e64 v14, null, 0, v8, vcc_lo
	s_delay_alu instid0(VALU_DEP_1) | instskip(NEXT) | instid1(VALU_DEP_1)
	v_dual_add_f32 v8, -1.0, v5 :: v_dual_sub_nc_u32 v9, 0, v14
	v_sub_f32_e32 v10, v8, v5
	s_delay_alu instid0(VALU_DEP_2) | instskip(NEXT) | instid1(VALU_DEP_1)
	v_ldexp_f32 v5, v5, v9
	v_dual_add_f32 v11, 1.0, v5 :: v_dual_sub_f32 v8, v24, v8
	s_delay_alu instid0(VALU_DEP_3) | instskip(SKIP_1) | instid1(VALU_DEP_2)
	v_dual_add_f32 v13, -1.0, v5 :: v_dual_add_f32 v10, 1.0, v10
	v_cmp_neq_f32_e32 vcc_lo, 0x7f800000, v24
	v_dual_add_f32 v8, v8, v10 :: v_dual_add_f32 v10, -1.0, v11
	s_delay_alu instid0(VALU_DEP_1) | instskip(NEXT) | instid1(VALU_DEP_2)
	v_ldexp_f32 v8, v8, v9
	v_dual_sub_f32 v9, v5, v10 :: v_dual_add_f32 v10, 1.0, v13
	s_delay_alu instid0(VALU_DEP_1) | instskip(NEXT) | instid1(VALU_DEP_1)
	v_dual_add_f32 v12, v8, v9 :: v_dual_sub_f32 v5, v5, v10
	v_dual_add_f32 v15, v11, v12 :: v_dual_add_f32 v5, v8, v5
	s_delay_alu instid0(VALU_DEP_1) | instskip(NEXT) | instid1(VALU_DEP_1)
	v_rcp_f32_e32 v16, v15
	v_dual_add_f32 v9, v13, v5 :: v_dual_sub_f32 v8, v11, v15
	s_delay_alu instid0(VALU_DEP_1) | instskip(NEXT) | instid1(TRANS32_DEP_1)
	v_sub_f32_e32 v19, v13, v9
	v_mul_f32_e32 v17, v9, v16
	s_delay_alu instid0(VALU_DEP_2) | instskip(NEXT) | instid1(VALU_DEP_2)
	v_dual_add_f32 v18, v12, v8 :: v_dual_add_f32 v5, v5, v19
	v_mul_f32_e32 v10, v15, v17
	s_delay_alu instid0(VALU_DEP_1) | instskip(NEXT) | instid1(VALU_DEP_1)
	v_fma_f32 v12, v17, v15, -v10
	v_fmac_f32_e32 v12, v17, v18
	s_delay_alu instid0(VALU_DEP_1) | instskip(NEXT) | instid1(VALU_DEP_1)
	v_add_f32_e32 v8, v10, v12
	v_dual_sub_f32 v11, v9, v8 :: v_dual_mov_b32 v13, v8
	s_delay_alu instid0(VALU_DEP_1) | instskip(NEXT) | instid1(VALU_DEP_1)
	v_pk_add_f32 v[8:9], v[8:9], v[10:11] neg_lo:[0,1] neg_hi:[0,1]
	v_pk_add_f32 v[8:9], v[8:9], v[12:13] neg_lo:[0,1] neg_hi:[0,1]
	s_delay_alu instid0(VALU_DEP_1) | instskip(NEXT) | instid1(VALU_DEP_1)
	v_add_f32_e32 v5, v5, v9
	v_add_f32_e32 v5, v8, v5
	s_delay_alu instid0(VALU_DEP_1) | instskip(NEXT) | instid1(VALU_DEP_1)
	v_add_f32_e32 v9, v11, v5
	v_mul_f32_e32 v19, v16, v9
	s_delay_alu instid0(VALU_DEP_1) | instskip(NEXT) | instid1(VALU_DEP_1)
	v_mul_f32_e32 v12, v15, v19
	v_fma_f32 v10, v19, v15, -v12
	v_sub_f32_e32 v15, v11, v9
	s_delay_alu instid0(VALU_DEP_1) | instskip(NEXT) | instid1(VALU_DEP_1)
	v_dual_fmac_f32 v10, v19, v18 :: v_dual_add_f32 v5, v5, v15
	v_add_f32_e32 v8, v12, v10
	s_delay_alu instid0(VALU_DEP_1) | instskip(NEXT) | instid1(VALU_DEP_1)
	v_dual_sub_f32 v13, v9, v8 :: v_dual_mov_b32 v11, v8
	v_pk_add_f32 v[8:9], v[8:9], v[12:13] neg_lo:[0,1] neg_hi:[0,1]
	s_delay_alu instid0(VALU_DEP_1) | instskip(SKIP_1) | instid1(VALU_DEP_2)
	v_pk_add_f32 v[8:9], v[8:9], v[10:11] neg_lo:[0,1] neg_hi:[0,1]
	v_cvt_f32_i32_e32 v10, v14
	v_add_f32_e32 v5, v5, v9
	s_delay_alu instid0(VALU_DEP_1) | instskip(NEXT) | instid1(VALU_DEP_1)
	v_dual_add_f32 v12, v17, v19 :: v_dual_add_f32 v5, v8, v5
	v_sub_f32_e32 v8, v12, v17
	s_delay_alu instid0(VALU_DEP_1) | instskip(NEXT) | instid1(VALU_DEP_1)
	v_dual_add_f32 v5, v13, v5 :: v_dual_sub_f32 v8, v19, v8
	v_mul_f32_e32 v5, v16, v5
	s_delay_alu instid0(VALU_DEP_1) | instskip(NEXT) | instid1(VALU_DEP_1)
	v_dual_add_f32 v5, v8, v5 :: v_dual_mov_b32 v8, 0x3f317218
	v_add_f32_e32 v13, v12, v5
	s_delay_alu instid0(VALU_DEP_1) | instskip(NEXT) | instid1(VALU_DEP_1)
	v_mul_f32_e32 v9, v13, v13
	v_fmaak_f32 v15, s8, v9, 0x3ecc95a3
	v_mul_f32_e32 v11, v13, v9
	s_delay_alu instid0(VALU_DEP_2) | instskip(NEXT) | instid1(VALU_DEP_1)
	v_fmaak_f32 v9, v9, v15, 0x3f2aaada
	v_pk_mul_f32 v[8:9], v[10:11], v[8:9]
	s_delay_alu instid0(VALU_DEP_1) | instskip(NEXT) | instid1(VALU_DEP_1)
	v_fma_f32 v14, 0x3f317218, v10, -v8
	v_fmamk_f32 v10, v10, 0xb102e308, v14
	v_sub_f32_e32 v14, v13, v12
	s_delay_alu instid0(VALU_DEP_1) | instskip(SKIP_2) | instid1(VALU_DEP_3)
	v_sub_f32_e32 v5, v5, v14
	v_ldexp_f32 v11, v13, 1
	v_mov_b32_e32 v14, v8
	v_ldexp_f32 v5, v5, 1
	s_delay_alu instid0(VALU_DEP_3) | instskip(NEXT) | instid1(VALU_DEP_1)
	v_pk_add_f32 v[12:13], v[8:9], v[10:11]
	v_dual_sub_f32 v11, v13, v11 :: v_dual_mov_b32 v22, v13
	s_delay_alu instid0(VALU_DEP_1) | instskip(NEXT) | instid1(VALU_DEP_3)
	v_sub_f32_e32 v11, v9, v11
	v_pk_add_f32 v[8:9], v[12:13], v[8:9] neg_lo:[0,1] neg_hi:[0,1]
	s_delay_alu instid0(VALU_DEP_2) | instskip(NEXT) | instid1(VALU_DEP_1)
	v_dual_add_f32 v15, v5, v11 :: v_dual_mov_b32 v11, v12
	v_pk_add_f32 v[16:17], v[12:13], v[14:15]
	s_delay_alu instid0(VALU_DEP_1) | instskip(NEXT) | instid1(VALU_DEP_1)
	v_mov_b32_e32 v9, v17
	v_pk_add_f32 v[18:19], v[10:11], v[8:9]
	v_mov_b32_e32 v18, v17
	v_pk_add_f32 v[8:9], v[10:11], v[8:9] neg_lo:[0,1] neg_hi:[0,1]
	s_delay_alu instid0(VALU_DEP_3) | instskip(NEXT) | instid1(VALU_DEP_1)
	v_dual_mov_b32 v14, v19 :: v_dual_mov_b32 v9, v19
	v_pk_add_f32 v[20:21], v[14:15], v[12:13] neg_lo:[0,1] neg_hi:[0,1]
	v_dual_mov_b32 v13, v12 :: v_dual_mov_b32 v12, v15
	s_delay_alu instid0(VALU_DEP_2) | instskip(NEXT) | instid1(VALU_DEP_1)
	v_dual_mov_b32 v5, v20 :: v_dual_mov_b32 v23, v20
	v_pk_add_f32 v[16:17], v[16:17], v[4:5] neg_lo:[0,1] neg_hi:[0,1]
	s_delay_alu instid0(VALU_DEP_2) | instskip(SKIP_1) | instid1(VALU_DEP_2)
	v_pk_add_f32 v[10:11], v[18:19], v[22:23] neg_lo:[0,1] neg_hi:[0,1]
	v_mov_b32_e32 v16, v8
	v_pk_add_f32 v[10:11], v[12:13], v[10:11] neg_lo:[0,1] neg_hi:[0,1]
	s_delay_alu instid0(VALU_DEP_1) | instskip(NEXT) | instid1(VALU_DEP_1)
	v_pk_add_f32 v[12:13], v[16:17], v[10:11]
	v_mov_b32_e32 v16, v13
	s_delay_alu instid0(VALU_DEP_1) | instskip(NEXT) | instid1(VALU_DEP_1)
	v_pk_add_f32 v[16:17], v[12:13], v[16:17]
	v_pk_add_f32 v[14:15], v[14:15], v[16:17]
	s_delay_alu instid0(VALU_DEP_1) | instskip(NEXT) | instid1(VALU_DEP_1)
	v_mov_b32_e32 v13, v14
	v_pk_add_f32 v[18:19], v[12:13], v[8:9] neg_lo:[0,1] neg_hi:[0,1]
	s_delay_alu instid0(VALU_DEP_1) | instskip(NEXT) | instid1(VALU_DEP_1)
	v_sub_f32_e32 v5, v12, v18
	v_sub_f32_e32 v5, v8, v5
	v_mov_b32_e32 v11, v16
	s_delay_alu instid0(VALU_DEP_1) | instskip(NEXT) | instid1(VALU_DEP_1)
	v_pk_add_f32 v[10:11], v[10:11], v[18:19] neg_lo:[0,1] neg_hi:[0,1]
	v_add_f32_e32 v5, v10, v5
	s_delay_alu instid0(VALU_DEP_1) | instskip(NEXT) | instid1(VALU_DEP_1)
	v_add_f32_e32 v5, v5, v11
	v_add_f32_e32 v5, v14, v5
	s_delay_alu instid0(VALU_DEP_1) | instskip(SKIP_1) | instid1(VALU_DEP_2)
	v_cndmask_b32_e32 v5, 0x7f800000, v5, vcc_lo
	v_cmp_gt_f32_e64 vcc_lo, 0x33800000, |v24|
	v_cndmask_b32_e32 v5, v5, v24, vcc_lo
	s_delay_alu instid0(VALU_DEP_1) | instskip(NEXT) | instid1(VALU_DEP_1)
	v_div_scale_f32 v8, null, s9, s9, v5
	v_rcp_f32_e32 v9, v8
	v_nop
	s_delay_alu instid0(TRANS32_DEP_1) | instskip(NEXT) | instid1(VALU_DEP_1)
	v_fma_f32 v10, -v8, v9, 1.0
	v_fmac_f32_e32 v9, v10, v9
	v_div_scale_f32 v10, vcc_lo, v5, s9, v5
	s_delay_alu instid0(VALU_DEP_1) | instskip(NEXT) | instid1(VALU_DEP_1)
	v_mul_f32_e32 v11, v10, v9
	v_fma_f32 v12, -v8, v11, v10
	s_delay_alu instid0(VALU_DEP_1) | instskip(NEXT) | instid1(VALU_DEP_1)
	v_fmac_f32_e32 v11, v12, v9
	v_fma_f32 v8, -v8, v11, v10
	s_delay_alu instid0(VALU_DEP_1) | instskip(NEXT) | instid1(VALU_DEP_1)
	v_div_fmas_f32 v8, v8, v9, v11
	v_div_fixup_f32 v5, v8, s9, v5
.LBB31_15:
	s_or_b32 exec_lo, exec_lo, s3
	s_wait_loadcnt 0x0
	v_lshlrev_b32_e32 v8, 16, v2
	s_mov_b32 s3, exec_lo
	s_delay_alu instid0(VALU_DEP_1) | instskip(NEXT) | instid1(VALU_DEP_1)
	v_mul_f32_e32 v9, s9, v8
	v_cmpx_nlt_f32_e32 s10, v9
	s_cbranch_execz .LBB31_17
; %bb.16:
	v_mul_f32_e32 v8, 0x3fb8aa3b, v9
	v_cmp_ngt_f32_e32 vcc_lo, 0xc2ce8ed0, v9
	s_mov_b32 s8, 0x3e9b6dac
	s_delay_alu instid0(VALU_DEP_2) | instskip(SKIP_1) | instid1(VALU_DEP_1)
	v_rndne_f32_e32 v10, v8
	v_fma_f32 v11, 0x3fb8aa3b, v9, -v8
	v_dual_sub_f32 v8, v8, v10 :: v_dual_fmamk_f32 v11, v9, 0x32a5705f, v11
	v_cvt_i32_f32_e32 v10, v10
	s_delay_alu instid0(VALU_DEP_2) | instskip(NEXT) | instid1(VALU_DEP_1)
	v_add_f32_e32 v8, v8, v11
	v_exp_f32_e32 v8, v8
	v_nop
	s_delay_alu instid0(TRANS32_DEP_1) | instskip(NEXT) | instid1(VALU_DEP_1)
	v_ldexp_f32 v8, v8, v10
	v_cndmask_b32_e32 v8, 0, v8, vcc_lo
	v_cmp_nlt_f32_e32 vcc_lo, 0x42b17218, v9
	s_delay_alu instid0(VALU_DEP_2) | instskip(NEXT) | instid1(VALU_DEP_1)
	v_cndmask_b32_e32 v24, 0x7f800000, v8, vcc_lo
	v_add_f32_e32 v10, 1.0, v24
	s_delay_alu instid0(VALU_DEP_1) | instskip(NEXT) | instid1(VALU_DEP_1)
	v_cvt_f64_f32_e32 v[8:9], v10
	v_frexp_exp_i32_f64_e32 v8, v[8:9]
	v_frexp_mant_f32_e32 v9, v10
	s_delay_alu instid0(VALU_DEP_1) | instskip(NEXT) | instid1(VALU_DEP_3)
	v_cmp_gt_f32_e32 vcc_lo, 0x3f2aaaab, v9
	v_subrev_co_ci_u32_e64 v14, null, 0, v8, vcc_lo
	v_add_f32_e32 v8, -1.0, v10
	s_delay_alu instid0(VALU_DEP_2) | instskip(NEXT) | instid1(VALU_DEP_2)
	v_sub_nc_u32_e32 v9, 0, v14
	v_sub_f32_e32 v11, v8, v10
	v_cmp_neq_f32_e32 vcc_lo, 0x7f800000, v24
	s_delay_alu instid0(VALU_DEP_3) | instskip(NEXT) | instid1(VALU_DEP_1)
	v_ldexp_f32 v10, v10, v9
	v_dual_add_f32 v11, 1.0, v11 :: v_dual_add_f32 v12, 1.0, v10
	v_dual_sub_f32 v8, v24, v8 :: v_dual_add_f32 v13, -1.0, v10
	s_delay_alu instid0(VALU_DEP_1) | instskip(NEXT) | instid1(VALU_DEP_1)
	v_dual_add_f32 v8, v8, v11 :: v_dual_add_f32 v11, -1.0, v12
	v_ldexp_f32 v8, v8, v9
	s_delay_alu instid0(VALU_DEP_2) | instskip(NEXT) | instid1(VALU_DEP_1)
	v_dual_sub_f32 v9, v10, v11 :: v_dual_add_f32 v11, 1.0, v13
	v_dual_add_f32 v15, v8, v9 :: v_dual_sub_f32 v9, v10, v11
	s_delay_alu instid0(VALU_DEP_1) | instskip(NEXT) | instid1(VALU_DEP_1)
	v_add_f32_e32 v17, v8, v9
	v_dual_add_f32 v16, v12, v15 :: v_dual_add_f32 v9, v13, v17
	s_delay_alu instid0(VALU_DEP_1) | instskip(NEXT) | instid1(VALU_DEP_1)
	v_rcp_f32_e32 v18, v16
	v_sub_f32_e32 v20, v13, v9
	s_delay_alu instid0(TRANS32_DEP_1) | instskip(NEXT) | instid1(VALU_DEP_1)
	v_mul_f32_e32 v19, v9, v18
	v_mul_f32_e32 v10, v16, v19
	s_delay_alu instid0(VALU_DEP_1) | instskip(NEXT) | instid1(VALU_DEP_1)
	v_dual_sub_f32 v8, v12, v16 :: v_dual_fma_f32 v12, v19, v16, -v10
	v_add_f32_e32 v15, v15, v8
	s_delay_alu instid0(VALU_DEP_1) | instskip(NEXT) | instid1(VALU_DEP_1)
	v_fmac_f32_e32 v12, v19, v15
	v_add_f32_e32 v8, v10, v12
	s_delay_alu instid0(VALU_DEP_1) | instskip(NEXT) | instid1(VALU_DEP_1)
	v_dual_sub_f32 v11, v9, v8 :: v_dual_mov_b32 v13, v8
	v_pk_add_f32 v[8:9], v[8:9], v[10:11] neg_lo:[0,1] neg_hi:[0,1]
	v_add_f32_e32 v10, v17, v20
	s_delay_alu instid0(VALU_DEP_2) | instskip(NEXT) | instid1(VALU_DEP_1)
	v_pk_add_f32 v[8:9], v[8:9], v[12:13] neg_lo:[0,1] neg_hi:[0,1]
	v_add_f32_e32 v9, v10, v9
	s_delay_alu instid0(VALU_DEP_1) | instskip(NEXT) | instid1(VALU_DEP_1)
	v_add_f32_e32 v17, v8, v9
	v_add_f32_e32 v9, v11, v17
	s_delay_alu instid0(VALU_DEP_1) | instskip(NEXT) | instid1(VALU_DEP_1)
	v_mul_f32_e32 v20, v18, v9
	v_mul_f32_e32 v12, v16, v20
	s_delay_alu instid0(VALU_DEP_1) | instskip(NEXT) | instid1(VALU_DEP_1)
	v_fma_f32 v10, v20, v16, -v12
	v_dual_fmac_f32 v10, v20, v15 :: v_dual_sub_f32 v15, v11, v9
	s_delay_alu instid0(VALU_DEP_1) | instskip(NEXT) | instid1(VALU_DEP_1)
	v_add_f32_e32 v8, v12, v10
	v_dual_sub_f32 v13, v9, v8 :: v_dual_mov_b32 v11, v8
	s_delay_alu instid0(VALU_DEP_1) | instskip(NEXT) | instid1(VALU_DEP_4)
	v_pk_add_f32 v[8:9], v[8:9], v[12:13] neg_lo:[0,1] neg_hi:[0,1]
	v_add_f32_e32 v12, v17, v15
	s_delay_alu instid0(VALU_DEP_2) | instskip(SKIP_1) | instid1(VALU_DEP_2)
	v_pk_add_f32 v[8:9], v[8:9], v[10:11] neg_lo:[0,1] neg_hi:[0,1]
	v_cvt_f32_i32_e32 v10, v14
	v_dual_add_f32 v9, v12, v9 :: v_dual_add_f32 v12, v19, v20
	s_delay_alu instid0(VALU_DEP_1) | instskip(NEXT) | instid1(VALU_DEP_1)
	v_add_f32_e32 v8, v8, v9
	v_dual_sub_f32 v9, v12, v19 :: v_dual_add_f32 v8, v13, v8
	s_delay_alu instid0(VALU_DEP_1) | instskip(NEXT) | instid1(VALU_DEP_1)
	v_dual_sub_f32 v9, v20, v9 :: v_dual_mul_f32 v8, v18, v8
	v_dual_add_f32 v15, v9, v8 :: v_dual_mov_b32 v8, 0x3f317218
	s_delay_alu instid0(VALU_DEP_1) | instskip(NEXT) | instid1(VALU_DEP_1)
	v_add_f32_e32 v13, v12, v15
	v_mul_f32_e32 v9, v13, v13
	s_delay_alu instid0(VALU_DEP_1) | instskip(NEXT) | instid1(VALU_DEP_1)
	v_dual_fmaak_f32 v16, s8, v9, 0x3ecc95a3 :: v_dual_mul_f32 v11, v13, v9
	v_fmaak_f32 v9, v9, v16, 0x3f2aaada
	s_delay_alu instid0(VALU_DEP_1) | instskip(SKIP_1) | instid1(VALU_DEP_2)
	v_pk_mul_f32 v[8:9], v[10:11], v[8:9]
	v_ldexp_f32 v11, v13, 1
	v_fma_f32 v14, 0x3f317218, v10, -v8
	s_delay_alu instid0(VALU_DEP_1) | instskip(SKIP_1) | instid1(VALU_DEP_2)
	v_fmamk_f32 v10, v10, 0xb102e308, v14
	v_sub_f32_e32 v14, v13, v12
	v_pk_add_f32 v[12:13], v[8:9], v[10:11]
	s_delay_alu instid0(VALU_DEP_1) | instskip(NEXT) | instid1(VALU_DEP_1)
	v_dual_sub_f32 v11, v13, v11 :: v_dual_sub_f32 v14, v15, v14
	v_sub_f32_e32 v11, v9, v11
	s_delay_alu instid0(VALU_DEP_2) | instskip(SKIP_2) | instid1(VALU_DEP_3)
	v_ldexp_f32 v15, v14, 1
	v_mov_b32_e32 v14, v8
	v_pk_add_f32 v[8:9], v[12:13], v[8:9] neg_lo:[0,1] neg_hi:[0,1]
	v_dual_add_f32 v15, v15, v11 :: v_dual_mov_b32 v11, v12
	s_delay_alu instid0(VALU_DEP_1) | instskip(NEXT) | instid1(VALU_DEP_1)
	v_pk_add_f32 v[16:17], v[12:13], v[14:15]
	v_dual_mov_b32 v22, v13 :: v_dual_mov_b32 v9, v17
	s_delay_alu instid0(VALU_DEP_1) | instskip(NEXT) | instid1(VALU_DEP_1)
	v_pk_add_f32 v[18:19], v[10:11], v[8:9]
	v_dual_mov_b32 v18, v17 :: v_dual_mov_b32 v14, v19
	v_pk_add_f32 v[8:9], v[10:11], v[8:9] neg_lo:[0,1] neg_hi:[0,1]
	v_mov_b32_e32 v9, v19
	s_delay_alu instid0(VALU_DEP_3) | instskip(SKIP_1) | instid1(VALU_DEP_2)
	v_pk_add_f32 v[20:21], v[14:15], v[12:13] neg_lo:[0,1] neg_hi:[0,1]
	v_dual_mov_b32 v13, v12 :: v_dual_mov_b32 v12, v15
	v_dual_mov_b32 v15, v20 :: v_dual_mov_b32 v23, v20
	s_delay_alu instid0(VALU_DEP_1) | instskip(NEXT) | instid1(VALU_DEP_2)
	v_pk_add_f32 v[16:17], v[16:17], v[14:15] neg_lo:[0,1] neg_hi:[0,1]
	v_pk_add_f32 v[10:11], v[18:19], v[22:23] neg_lo:[0,1] neg_hi:[0,1]
	v_mov_b32_e32 v16, v8
	s_delay_alu instid0(VALU_DEP_2) | instskip(NEXT) | instid1(VALU_DEP_1)
	v_pk_add_f32 v[10:11], v[12:13], v[10:11] neg_lo:[0,1] neg_hi:[0,1]
	v_pk_add_f32 v[12:13], v[16:17], v[10:11]
	s_delay_alu instid0(VALU_DEP_1) | instskip(NEXT) | instid1(VALU_DEP_1)
	v_mov_b32_e32 v16, v13
	v_pk_add_f32 v[16:17], v[12:13], v[16:17]
	s_delay_alu instid0(VALU_DEP_1) | instskip(NEXT) | instid1(VALU_DEP_1)
	v_pk_add_f32 v[14:15], v[14:15], v[16:17]
	v_mov_b32_e32 v13, v14
	s_delay_alu instid0(VALU_DEP_1) | instskip(NEXT) | instid1(VALU_DEP_1)
	v_pk_add_f32 v[18:19], v[12:13], v[8:9] neg_lo:[0,1] neg_hi:[0,1]
	v_sub_f32_e32 v9, v12, v18
	s_delay_alu instid0(VALU_DEP_1) | instskip(SKIP_1) | instid1(VALU_DEP_1)
	v_sub_f32_e32 v8, v8, v9
	v_mov_b32_e32 v11, v16
	v_pk_add_f32 v[10:11], v[10:11], v[18:19] neg_lo:[0,1] neg_hi:[0,1]
	s_delay_alu instid0(VALU_DEP_1) | instskip(NEXT) | instid1(VALU_DEP_1)
	v_add_f32_e32 v8, v10, v8
	v_add_f32_e32 v8, v8, v11
	s_delay_alu instid0(VALU_DEP_1) | instskip(NEXT) | instid1(VALU_DEP_1)
	v_add_f32_e32 v8, v14, v8
	v_cndmask_b32_e32 v8, 0x7f800000, v8, vcc_lo
	v_cmp_gt_f32_e64 vcc_lo, 0x33800000, |v24|
	s_delay_alu instid0(VALU_DEP_2) | instskip(NEXT) | instid1(VALU_DEP_1)
	v_cndmask_b32_e32 v8, v8, v24, vcc_lo
	v_div_scale_f32 v9, null, s9, s9, v8
	s_delay_alu instid0(VALU_DEP_1) | instskip(SKIP_1) | instid1(TRANS32_DEP_1)
	v_rcp_f32_e32 v10, v9
	v_nop
	v_fma_f32 v11, -v9, v10, 1.0
	s_delay_alu instid0(VALU_DEP_1) | instskip(SKIP_1) | instid1(VALU_DEP_1)
	v_fmac_f32_e32 v10, v11, v10
	v_div_scale_f32 v11, vcc_lo, v8, s9, v8
	v_mul_f32_e32 v12, v11, v10
	s_delay_alu instid0(VALU_DEP_1) | instskip(NEXT) | instid1(VALU_DEP_1)
	v_fma_f32 v13, -v9, v12, v11
	v_fmac_f32_e32 v12, v13, v10
	s_delay_alu instid0(VALU_DEP_1) | instskip(NEXT) | instid1(VALU_DEP_1)
	v_fma_f32 v9, -v9, v12, v11
	v_div_fmas_f32 v9, v9, v10, v12
	s_delay_alu instid0(VALU_DEP_1)
	v_div_fixup_f32 v8, v9, s9, v8
.LBB31_17:
	s_or_b32 exec_lo, exec_lo, s3
	v_and_b32_e32 v2, 0xffff0000, v2
	s_mov_b32 s3, exec_lo
	s_delay_alu instid0(VALU_DEP_1) | instskip(NEXT) | instid1(VALU_DEP_1)
	v_mul_f32_e32 v9, s9, v2
	v_cmpx_nlt_f32_e32 s10, v9
	s_cbranch_execz .LBB31_19
; %bb.18:
	v_mul_f32_e32 v2, 0x3fb8aa3b, v9
	v_cmp_ngt_f32_e32 vcc_lo, 0xc2ce8ed0, v9
	s_mov_b32 s8, 0x3e9b6dac
	s_delay_alu instid0(VALU_DEP_2) | instskip(SKIP_1) | instid1(VALU_DEP_1)
	v_rndne_f32_e32 v10, v2
	v_fma_f32 v11, 0x3fb8aa3b, v9, -v2
	v_dual_sub_f32 v2, v2, v10 :: v_dual_fmamk_f32 v11, v9, 0x32a5705f, v11
	v_cvt_i32_f32_e32 v10, v10
	s_delay_alu instid0(VALU_DEP_2) | instskip(NEXT) | instid1(VALU_DEP_1)
	v_add_f32_e32 v2, v2, v11
	v_exp_f32_e32 v2, v2
	v_nop
	s_delay_alu instid0(TRANS32_DEP_1) | instskip(NEXT) | instid1(VALU_DEP_1)
	v_ldexp_f32 v2, v2, v10
	v_cndmask_b32_e32 v2, 0, v2, vcc_lo
	v_cmp_nlt_f32_e32 vcc_lo, 0x42b17218, v9
	s_delay_alu instid0(VALU_DEP_2) | instskip(NEXT) | instid1(VALU_DEP_1)
	v_cndmask_b32_e32 v26, 0x7f800000, v2, vcc_lo
	v_add_f32_e32 v2, 1.0, v26
	s_delay_alu instid0(VALU_DEP_1) | instskip(NEXT) | instid1(VALU_DEP_1)
	v_cvt_f64_f32_e32 v[10:11], v2
	v_frexp_exp_i32_f64_e32 v9, v[10:11]
	v_frexp_mant_f32_e32 v10, v2
	s_delay_alu instid0(VALU_DEP_1) | instskip(SKIP_1) | instid1(VALU_DEP_1)
	v_cmp_gt_f32_e32 vcc_lo, 0x3f2aaaab, v10
	v_add_f32_e32 v10, -1.0, v2
	v_sub_f32_e32 v12, v10, v2
	s_delay_alu instid0(VALU_DEP_1) | instskip(SKIP_1) | instid1(VALU_DEP_1)
	v_add_f32_e32 v12, 1.0, v12
	v_subrev_co_ci_u32_e64 v9, null, 0, v9, vcc_lo
	v_sub_nc_u32_e32 v11, 0, v9
	s_delay_alu instid0(VALU_DEP_1) | instskip(NEXT) | instid1(VALU_DEP_1)
	v_ldexp_f32 v2, v2, v11
	v_dual_add_f32 v13, 1.0, v2 :: v_dual_add_f32 v15, -1.0, v2
	v_sub_f32_e32 v10, v26, v10
	v_cmp_neq_f32_e32 vcc_lo, 0x7f800000, v26
	s_delay_alu instid0(VALU_DEP_2) | instskip(NEXT) | instid1(VALU_DEP_1)
	v_dual_add_f32 v10, v10, v12 :: v_dual_add_f32 v12, -1.0, v13
	v_ldexp_f32 v10, v10, v11
	s_delay_alu instid0(VALU_DEP_2) | instskip(NEXT) | instid1(VALU_DEP_1)
	v_dual_sub_f32 v11, v2, v12 :: v_dual_add_f32 v12, 1.0, v15
	v_sub_f32_e32 v2, v2, v12
	s_delay_alu instid0(VALU_DEP_1) | instskip(NEXT) | instid1(VALU_DEP_1)
	v_dual_add_f32 v14, v10, v11 :: v_dual_add_f32 v2, v10, v2
	v_add_f32_e32 v11, v15, v2
	s_delay_alu instid0(VALU_DEP_2) | instskip(NEXT) | instid1(VALU_DEP_1)
	v_add_f32_e32 v16, v13, v14
	v_rcp_f32_e32 v17, v16
	v_nop
	s_delay_alu instid0(TRANS32_DEP_1) | instskip(NEXT) | instid1(VALU_DEP_1)
	v_dual_mul_f32 v18, v11, v17 :: v_dual_sub_f32 v10, v13, v16
	v_add_f32_e32 v19, v14, v10
	s_delay_alu instid0(VALU_DEP_2) | instskip(NEXT) | instid1(VALU_DEP_1)
	v_mul_f32_e32 v12, v16, v18
	v_dual_fma_f32 v14, v18, v16, -v12 :: v_dual_sub_f32 v20, v15, v11
	s_delay_alu instid0(VALU_DEP_1) | instskip(NEXT) | instid1(VALU_DEP_1)
	v_fmac_f32_e32 v14, v18, v19
	v_dual_add_f32 v2, v2, v20 :: v_dual_add_f32 v10, v12, v14
	s_delay_alu instid0(VALU_DEP_1) | instskip(NEXT) | instid1(VALU_DEP_1)
	v_dual_sub_f32 v13, v11, v10 :: v_dual_mov_b32 v15, v10
	v_pk_add_f32 v[10:11], v[10:11], v[12:13] neg_lo:[0,1] neg_hi:[0,1]
	s_delay_alu instid0(VALU_DEP_1) | instskip(NEXT) | instid1(VALU_DEP_1)
	v_pk_add_f32 v[10:11], v[10:11], v[14:15] neg_lo:[0,1] neg_hi:[0,1]
	v_add_f32_e32 v2, v2, v11
	s_delay_alu instid0(VALU_DEP_1) | instskip(NEXT) | instid1(VALU_DEP_1)
	v_add_f32_e32 v2, v10, v2
	v_add_f32_e32 v11, v13, v2
	s_delay_alu instid0(VALU_DEP_1) | instskip(NEXT) | instid1(VALU_DEP_1)
	v_mul_f32_e32 v20, v17, v11
	v_mul_f32_e32 v14, v16, v20
	s_delay_alu instid0(VALU_DEP_1) | instskip(NEXT) | instid1(VALU_DEP_1)
	v_dual_fma_f32 v12, v20, v16, -v14 :: v_dual_sub_f32 v16, v13, v11
	v_dual_fmac_f32 v12, v20, v19 :: v_dual_add_f32 v2, v2, v16
	s_delay_alu instid0(VALU_DEP_1) | instskip(NEXT) | instid1(VALU_DEP_1)
	v_add_f32_e32 v10, v14, v12
	v_dual_sub_f32 v15, v11, v10 :: v_dual_mov_b32 v13, v10
	s_delay_alu instid0(VALU_DEP_1) | instskip(NEXT) | instid1(VALU_DEP_1)
	v_pk_add_f32 v[10:11], v[10:11], v[14:15] neg_lo:[0,1] neg_hi:[0,1]
	v_pk_add_f32 v[10:11], v[10:11], v[12:13] neg_lo:[0,1] neg_hi:[0,1]
	v_cvt_f32_i32_e32 v12, v9
	s_delay_alu instid0(VALU_DEP_2) | instskip(NEXT) | instid1(VALU_DEP_1)
	v_add_f32_e32 v2, v2, v11
	v_add_f32_e32 v2, v10, v2
	s_delay_alu instid0(VALU_DEP_1) | instskip(NEXT) | instid1(VALU_DEP_1)
	v_dual_add_f32 v14, v18, v20 :: v_dual_add_f32 v2, v15, v2
	v_sub_f32_e32 v10, v14, v18
	s_delay_alu instid0(VALU_DEP_2) | instskip(NEXT) | instid1(VALU_DEP_2)
	v_mul_f32_e32 v2, v17, v2
	v_sub_f32_e32 v10, v20, v10
	s_delay_alu instid0(VALU_DEP_1) | instskip(NEXT) | instid1(VALU_DEP_1)
	v_add_f32_e32 v2, v10, v2
	v_add_f32_e32 v15, v14, v2
	s_delay_alu instid0(VALU_DEP_1) | instskip(NEXT) | instid1(VALU_DEP_1)
	v_mul_f32_e32 v11, v15, v15
	v_fmaak_f32 v16, s8, v11, 0x3ecc95a3
	v_dual_mov_b32 v10, 0x3f317218 :: v_dual_mul_f32 v13, v15, v11
	s_delay_alu instid0(VALU_DEP_2) | instskip(NEXT) | instid1(VALU_DEP_1)
	v_fmaak_f32 v11, v11, v16, 0x3f2aaada
	v_pk_mul_f32 v[10:11], v[12:13], v[10:11]
	v_ldexp_f32 v13, v15, 1
	s_delay_alu instid0(VALU_DEP_2) | instskip(NEXT) | instid1(VALU_DEP_1)
	v_fma_f32 v9, 0x3f317218, v12, -v10
	v_dual_fmamk_f32 v12, v12, 0xb102e308, v9 :: v_dual_sub_f32 v9, v15, v14
	s_delay_alu instid0(VALU_DEP_1) | instskip(NEXT) | instid1(VALU_DEP_2)
	v_pk_add_f32 v[14:15], v[10:11], v[12:13]
	v_sub_f32_e32 v2, v2, v9
	s_delay_alu instid0(VALU_DEP_2) | instskip(NEXT) | instid1(VALU_DEP_2)
	v_dual_mov_b32 v16, v10 :: v_dual_sub_f32 v9, v15, v13
	v_ldexp_f32 v2, v2, 1
	s_delay_alu instid0(VALU_DEP_2) | instskip(SKIP_1) | instid1(VALU_DEP_2)
	v_dual_mov_b32 v13, v14 :: v_dual_sub_f32 v9, v11, v9
	v_pk_add_f32 v[10:11], v[14:15], v[10:11] neg_lo:[0,1] neg_hi:[0,1]
	v_add_f32_e32 v17, v2, v9
	s_delay_alu instid0(VALU_DEP_1) | instskip(NEXT) | instid1(VALU_DEP_1)
	v_pk_add_f32 v[18:19], v[14:15], v[16:17]
	v_dual_mov_b32 v24, v15 :: v_dual_mov_b32 v11, v19
	s_delay_alu instid0(VALU_DEP_1) | instskip(SKIP_2) | instid1(VALU_DEP_3)
	v_pk_add_f32 v[20:21], v[12:13], v[10:11]
	v_mov_b32_e32 v20, v19
	v_pk_add_f32 v[10:11], v[12:13], v[10:11] neg_lo:[0,1] neg_hi:[0,1]
	v_dual_mov_b32 v2, v21 :: v_dual_mov_b32 v11, v21
	s_delay_alu instid0(VALU_DEP_1) | instskip(SKIP_1) | instid1(VALU_DEP_2)
	v_pk_add_f32 v[22:23], v[2:3], v[14:15] neg_lo:[0,1] neg_hi:[0,1]
	v_dual_mov_b32 v15, v14 :: v_dual_mov_b32 v14, v17
	v_dual_mov_b32 v9, v22 :: v_dual_mov_b32 v25, v22
	s_delay_alu instid0(VALU_DEP_1) | instskip(NEXT) | instid1(VALU_DEP_2)
	v_pk_add_f32 v[16:17], v[18:19], v[8:9] neg_lo:[0,1] neg_hi:[0,1]
	v_pk_add_f32 v[12:13], v[20:21], v[24:25] neg_lo:[0,1] neg_hi:[0,1]
	v_mov_b32_e32 v16, v10
	s_delay_alu instid0(VALU_DEP_2) | instskip(NEXT) | instid1(VALU_DEP_1)
	v_pk_add_f32 v[12:13], v[14:15], v[12:13] neg_lo:[0,1] neg_hi:[0,1]
	v_pk_add_f32 v[14:15], v[16:17], v[12:13]
	s_delay_alu instid0(VALU_DEP_1) | instskip(NEXT) | instid1(VALU_DEP_1)
	v_mov_b32_e32 v16, v15
	v_pk_add_f32 v[16:17], v[14:15], v[16:17]
	s_delay_alu instid0(VALU_DEP_1) | instskip(NEXT) | instid1(VALU_DEP_1)
	v_pk_add_f32 v[18:19], v[2:3], v[16:17]
	v_mov_b32_e32 v15, v18
	s_delay_alu instid0(VALU_DEP_1) | instskip(NEXT) | instid1(VALU_DEP_1)
	v_pk_add_f32 v[20:21], v[14:15], v[10:11] neg_lo:[0,1] neg_hi:[0,1]
	v_dual_mov_b32 v13, v16 :: v_dual_sub_f32 v2, v14, v20
	s_delay_alu instid0(VALU_DEP_1) | instskip(NEXT) | instid1(VALU_DEP_2)
	v_pk_add_f32 v[12:13], v[12:13], v[20:21] neg_lo:[0,1] neg_hi:[0,1]
	v_sub_f32_e32 v2, v10, v2
	s_delay_alu instid0(VALU_DEP_1) | instskip(NEXT) | instid1(VALU_DEP_1)
	v_add_f32_e32 v2, v12, v2
	v_add_f32_e32 v2, v2, v13
	s_delay_alu instid0(VALU_DEP_1) | instskip(NEXT) | instid1(VALU_DEP_1)
	v_add_f32_e32 v2, v18, v2
	v_cndmask_b32_e32 v2, 0x7f800000, v2, vcc_lo
	v_cmp_gt_f32_e64 vcc_lo, 0x33800000, |v26|
	s_delay_alu instid0(VALU_DEP_2) | instskip(NEXT) | instid1(VALU_DEP_1)
	v_cndmask_b32_e32 v2, v2, v26, vcc_lo
	v_div_scale_f32 v9, null, s9, s9, v2
	s_delay_alu instid0(VALU_DEP_1) | instskip(SKIP_1) | instid1(TRANS32_DEP_1)
	v_rcp_f32_e32 v10, v9
	v_nop
	v_fma_f32 v11, -v9, v10, 1.0
	s_delay_alu instid0(VALU_DEP_1) | instskip(SKIP_1) | instid1(VALU_DEP_1)
	v_fmac_f32_e32 v10, v11, v10
	v_div_scale_f32 v11, vcc_lo, v2, s9, v2
	v_mul_f32_e32 v12, v11, v10
	s_delay_alu instid0(VALU_DEP_1) | instskip(NEXT) | instid1(VALU_DEP_1)
	v_fma_f32 v13, -v9, v12, v11
	v_fmac_f32_e32 v12, v13, v10
	s_delay_alu instid0(VALU_DEP_1) | instskip(NEXT) | instid1(VALU_DEP_1)
	v_fma_f32 v9, -v9, v12, v11
	v_div_fmas_f32 v9, v9, v10, v12
	s_delay_alu instid0(VALU_DEP_1)
	v_div_fixup_f32 v2, v9, s9, v2
.LBB31_19:
	s_or_b32 exec_lo, exec_lo, s3
	v_bfe_u32 v9, v8, 16, 1
	v_bfe_u32 v10, v7, 16, 1
	;; [unrolled: 1-line block ×3, first 2 shown]
	v_cmp_o_f32_e32 vcc_lo, v8, v8
	v_bfe_u32 v12, v4, 16, 1
	v_add3_u32 v9, v8, v9, 0x7fff
	v_add3_u32 v10, v7, v10, 0x7fff
	;; [unrolled: 1-line block ×3, first 2 shown]
	v_bfe_u32 v13, v6, 16, 1
	v_add3_u32 v12, v4, v12, 0x7fff
	s_delay_alu instid0(VALU_DEP_4) | instskip(NEXT) | instid1(VALU_DEP_4)
	v_dual_lshrrev_b32 v9, 16, v9 :: v_dual_lshrrev_b32 v10, 16, v10
	v_and_b32_e32 v11, 0xffff0000, v11
	s_add_nc_u64 s[12:13], s[4:5], s[0:1]
	s_delay_alu instid0(VALU_DEP_2) | instskip(SKIP_4) | instid1(VALU_DEP_3)
	v_cndmask_b32_e32 v8, 0x7fc0, v9, vcc_lo
	v_cmp_o_f32_e32 vcc_lo, v7, v7
	v_bfe_u32 v9, v1, 16, 1
	v_dual_cndmask_b32 v7, 0x7fc0, v10 :: v_dual_lshrrev_b32 v10, 16, v12
	v_cmp_o_f32_e32 vcc_lo, v5, v5
	v_add3_u32 v9, v1, v9, 0x7fff
	v_bfe_u32 v12, v3, 16, 1
	v_cndmask_b32_e32 v5, 0x7fc00000, v11, vcc_lo
	v_add3_u32 v11, v6, v13, 0x7fff
	v_cmp_o_f32_e32 vcc_lo, v4, v4
	v_bfe_u32 v13, v2, 16, 1
	s_delay_alu instid0(VALU_DEP_4)
	v_dual_lshrrev_b32 v9, 16, v9 :: v_dual_bitop2_b32 v5, v5, v7 bitop3:0x54
	v_cndmask_b32_e32 v4, 0x7fc0, v10, vcc_lo
	v_and_b32_e32 v10, 0xffff0000, v11
	v_cmp_o_f32_e32 vcc_lo, v6, v6
	v_add3_u32 v11, v3, v12, 0x7fff
	v_add3_u32 v12, v2, v13, 0x7fff
	s_delay_alu instid0(VALU_DEP_4) | instskip(SKIP_1) | instid1(VALU_DEP_4)
	v_cndmask_b32_e32 v6, 0x7fc00000, v10, vcc_lo
	v_cmp_o_f32_e32 vcc_lo, v1, v1
	v_and_b32_e32 v10, 0xffff0000, v11
	s_delay_alu instid0(VALU_DEP_4) | instskip(SKIP_2) | instid1(VALU_DEP_4)
	v_and_b32_e32 v11, 0xffff0000, v12
	v_cndmask_b32_e32 v1, 0x7fc0, v9, vcc_lo
	v_cmp_o_f32_e32 vcc_lo, v3, v3
	v_cndmask_b32_e32 v3, 0x7fc00000, v10, vcc_lo
	v_cmp_o_f32_e32 vcc_lo, v2, v2
	s_delay_alu instid0(VALU_DEP_2) | instskip(SKIP_2) | instid1(VALU_DEP_2)
	v_or_b32_e32 v1, v3, v1
	v_cndmask_b32_e32 v2, 0x7fc00000, v11, vcc_lo
	v_or_b32_e32 v3, v6, v4
	v_or_b32_e32 v2, v2, v8
	s_clause 0x3
	global_store_b32 v0, v1, s[12:13] scale_offset
	global_store_b32 v0, v3, s[12:13] offset:1024 scale_offset
	global_store_b32 v0, v5, s[12:13] offset:2048 scale_offset
	;; [unrolled: 1-line block ×3, first 2 shown]
	s_branch .LBB31_2
.LBB31_20:
	s_wait_xcnt 0x0
	v_dual_mov_b32 v31, v0 :: v_dual_mov_b32 v0, s9
	v_dual_mov_b32 v1, s10 :: v_dual_mov_b32 v2, s4
	v_dual_mov_b32 v3, s5 :: v_dual_mov_b32 v4, s6
	v_dual_mov_b32 v5, s7 :: v_dual_mov_b32 v6, s2
	s_get_pc_i64 s[0:1]
	s_add_nc_u64 s[0:1], s[0:1], _ZN2at6native25elementwise_kernel_helperILb0EZZZNS0_12_GLOBAL__N_115softplus_kernelERNS_18TensorIteratorBaseERKN3c106ScalarES8_ENKUlvE_clEvENKUlvE2_clEvEUlNS5_8BFloat16EE_NS0_6memory8policies11unroll_baseILi256ESt5arrayIPcLm2EE23TrivialOffsetCalculatorILi1EjESK_NSD_15LoadWithoutCastENSD_16StoreWithoutCastELi8ELi1EEEEEvT0_T1_@rel64+4
	s_delay_alu instid0(SALU_CYCLE_1)
	s_swap_pc_i64 s[30:31], s[0:1]
	s_endpgm
	.section	.rodata,"a",@progbits
	.p2align	6, 0x0
	.amdhsa_kernel _ZN2at6native29vectorized_elementwise_kernelILi2EZZZNS0_12_GLOBAL__N_115softplus_kernelERNS_18TensorIteratorBaseERKN3c106ScalarES8_ENKUlvE_clEvENKUlvE2_clEvEUlNS5_8BFloat16EE_St5arrayIPcLm2EEEEviT0_T1_
		.amdhsa_group_segment_fixed_size 0
		.amdhsa_private_segment_fixed_size 0
		.amdhsa_kernarg_size 32
		.amdhsa_user_sgpr_count 2
		.amdhsa_user_sgpr_dispatch_ptr 0
		.amdhsa_user_sgpr_queue_ptr 0
		.amdhsa_user_sgpr_kernarg_segment_ptr 1
		.amdhsa_user_sgpr_dispatch_id 0
		.amdhsa_user_sgpr_kernarg_preload_length 0
		.amdhsa_user_sgpr_kernarg_preload_offset 0
		.amdhsa_user_sgpr_private_segment_size 0
		.amdhsa_wavefront_size32 1
		.amdhsa_uses_dynamic_stack 0
		.amdhsa_enable_private_segment 0
		.amdhsa_system_sgpr_workgroup_id_x 1
		.amdhsa_system_sgpr_workgroup_id_y 0
		.amdhsa_system_sgpr_workgroup_id_z 0
		.amdhsa_system_sgpr_workgroup_info 0
		.amdhsa_system_vgpr_workitem_id 0
		.amdhsa_next_free_vgpr 35
		.amdhsa_next_free_sgpr 33
		.amdhsa_named_barrier_count 0
		.amdhsa_reserve_vcc 1
		.amdhsa_float_round_mode_32 0
		.amdhsa_float_round_mode_16_64 0
		.amdhsa_float_denorm_mode_32 3
		.amdhsa_float_denorm_mode_16_64 3
		.amdhsa_fp16_overflow 0
		.amdhsa_memory_ordered 1
		.amdhsa_forward_progress 1
		.amdhsa_inst_pref_size 71
		.amdhsa_round_robin_scheduling 0
		.amdhsa_exception_fp_ieee_invalid_op 0
		.amdhsa_exception_fp_denorm_src 0
		.amdhsa_exception_fp_ieee_div_zero 0
		.amdhsa_exception_fp_ieee_overflow 0
		.amdhsa_exception_fp_ieee_underflow 0
		.amdhsa_exception_fp_ieee_inexact 0
		.amdhsa_exception_int_div_zero 0
	.end_amdhsa_kernel
	.section	.text._ZN2at6native29vectorized_elementwise_kernelILi2EZZZNS0_12_GLOBAL__N_115softplus_kernelERNS_18TensorIteratorBaseERKN3c106ScalarES8_ENKUlvE_clEvENKUlvE2_clEvEUlNS5_8BFloat16EE_St5arrayIPcLm2EEEEviT0_T1_,"axG",@progbits,_ZN2at6native29vectorized_elementwise_kernelILi2EZZZNS0_12_GLOBAL__N_115softplus_kernelERNS_18TensorIteratorBaseERKN3c106ScalarES8_ENKUlvE_clEvENKUlvE2_clEvEUlNS5_8BFloat16EE_St5arrayIPcLm2EEEEviT0_T1_,comdat
.Lfunc_end31:
	.size	_ZN2at6native29vectorized_elementwise_kernelILi2EZZZNS0_12_GLOBAL__N_115softplus_kernelERNS_18TensorIteratorBaseERKN3c106ScalarES8_ENKUlvE_clEvENKUlvE2_clEvEUlNS5_8BFloat16EE_St5arrayIPcLm2EEEEviT0_T1_, .Lfunc_end31-_ZN2at6native29vectorized_elementwise_kernelILi2EZZZNS0_12_GLOBAL__N_115softplus_kernelERNS_18TensorIteratorBaseERKN3c106ScalarES8_ENKUlvE_clEvENKUlvE2_clEvEUlNS5_8BFloat16EE_St5arrayIPcLm2EEEEviT0_T1_
                                        ; -- End function
	.set _ZN2at6native29vectorized_elementwise_kernelILi2EZZZNS0_12_GLOBAL__N_115softplus_kernelERNS_18TensorIteratorBaseERKN3c106ScalarES8_ENKUlvE_clEvENKUlvE2_clEvEUlNS5_8BFloat16EE_St5arrayIPcLm2EEEEviT0_T1_.num_vgpr, max(32, .L_ZN2at6native25elementwise_kernel_helperILb0EZZZNS0_12_GLOBAL__N_115softplus_kernelERNS_18TensorIteratorBaseERKN3c106ScalarES8_ENKUlvE_clEvENKUlvE2_clEvEUlNS5_8BFloat16EE_NS0_6memory8policies11unroll_baseILi256ESt5arrayIPcLm2EE23TrivialOffsetCalculatorILi1EjESK_NSD_15LoadWithoutCastENSD_16StoreWithoutCastELi8ELi1EEEEEvT0_T1_.num_vgpr)
	.set _ZN2at6native29vectorized_elementwise_kernelILi2EZZZNS0_12_GLOBAL__N_115softplus_kernelERNS_18TensorIteratorBaseERKN3c106ScalarES8_ENKUlvE_clEvENKUlvE2_clEvEUlNS5_8BFloat16EE_St5arrayIPcLm2EEEEviT0_T1_.num_agpr, max(0, .L_ZN2at6native25elementwise_kernel_helperILb0EZZZNS0_12_GLOBAL__N_115softplus_kernelERNS_18TensorIteratorBaseERKN3c106ScalarES8_ENKUlvE_clEvENKUlvE2_clEvEUlNS5_8BFloat16EE_NS0_6memory8policies11unroll_baseILi256ESt5arrayIPcLm2EE23TrivialOffsetCalculatorILi1EjESK_NSD_15LoadWithoutCastENSD_16StoreWithoutCastELi8ELi1EEEEEvT0_T1_.num_agpr)
	.set _ZN2at6native29vectorized_elementwise_kernelILi2EZZZNS0_12_GLOBAL__N_115softplus_kernelERNS_18TensorIteratorBaseERKN3c106ScalarES8_ENKUlvE_clEvENKUlvE2_clEvEUlNS5_8BFloat16EE_St5arrayIPcLm2EEEEviT0_T1_.numbered_sgpr, max(33, .L_ZN2at6native25elementwise_kernel_helperILb0EZZZNS0_12_GLOBAL__N_115softplus_kernelERNS_18TensorIteratorBaseERKN3c106ScalarES8_ENKUlvE_clEvENKUlvE2_clEvEUlNS5_8BFloat16EE_NS0_6memory8policies11unroll_baseILi256ESt5arrayIPcLm2EE23TrivialOffsetCalculatorILi1EjESK_NSD_15LoadWithoutCastENSD_16StoreWithoutCastELi8ELi1EEEEEvT0_T1_.numbered_sgpr)
	.set _ZN2at6native29vectorized_elementwise_kernelILi2EZZZNS0_12_GLOBAL__N_115softplus_kernelERNS_18TensorIteratorBaseERKN3c106ScalarES8_ENKUlvE_clEvENKUlvE2_clEvEUlNS5_8BFloat16EE_St5arrayIPcLm2EEEEviT0_T1_.num_named_barrier, max(0, .L_ZN2at6native25elementwise_kernel_helperILb0EZZZNS0_12_GLOBAL__N_115softplus_kernelERNS_18TensorIteratorBaseERKN3c106ScalarES8_ENKUlvE_clEvENKUlvE2_clEvEUlNS5_8BFloat16EE_NS0_6memory8policies11unroll_baseILi256ESt5arrayIPcLm2EE23TrivialOffsetCalculatorILi1EjESK_NSD_15LoadWithoutCastENSD_16StoreWithoutCastELi8ELi1EEEEEvT0_T1_.num_named_barrier)
	.set _ZN2at6native29vectorized_elementwise_kernelILi2EZZZNS0_12_GLOBAL__N_115softplus_kernelERNS_18TensorIteratorBaseERKN3c106ScalarES8_ENKUlvE_clEvENKUlvE2_clEvEUlNS5_8BFloat16EE_St5arrayIPcLm2EEEEviT0_T1_.private_seg_size, 0+max(.L_ZN2at6native25elementwise_kernel_helperILb0EZZZNS0_12_GLOBAL__N_115softplus_kernelERNS_18TensorIteratorBaseERKN3c106ScalarES8_ENKUlvE_clEvENKUlvE2_clEvEUlNS5_8BFloat16EE_NS0_6memory8policies11unroll_baseILi256ESt5arrayIPcLm2EE23TrivialOffsetCalculatorILi1EjESK_NSD_15LoadWithoutCastENSD_16StoreWithoutCastELi8ELi1EEEEEvT0_T1_.private_seg_size)
	.set _ZN2at6native29vectorized_elementwise_kernelILi2EZZZNS0_12_GLOBAL__N_115softplus_kernelERNS_18TensorIteratorBaseERKN3c106ScalarES8_ENKUlvE_clEvENKUlvE2_clEvEUlNS5_8BFloat16EE_St5arrayIPcLm2EEEEviT0_T1_.uses_vcc, or(1, .L_ZN2at6native25elementwise_kernel_helperILb0EZZZNS0_12_GLOBAL__N_115softplus_kernelERNS_18TensorIteratorBaseERKN3c106ScalarES8_ENKUlvE_clEvENKUlvE2_clEvEUlNS5_8BFloat16EE_NS0_6memory8policies11unroll_baseILi256ESt5arrayIPcLm2EE23TrivialOffsetCalculatorILi1EjESK_NSD_15LoadWithoutCastENSD_16StoreWithoutCastELi8ELi1EEEEEvT0_T1_.uses_vcc)
	.set _ZN2at6native29vectorized_elementwise_kernelILi2EZZZNS0_12_GLOBAL__N_115softplus_kernelERNS_18TensorIteratorBaseERKN3c106ScalarES8_ENKUlvE_clEvENKUlvE2_clEvEUlNS5_8BFloat16EE_St5arrayIPcLm2EEEEviT0_T1_.uses_flat_scratch, or(0, .L_ZN2at6native25elementwise_kernel_helperILb0EZZZNS0_12_GLOBAL__N_115softplus_kernelERNS_18TensorIteratorBaseERKN3c106ScalarES8_ENKUlvE_clEvENKUlvE2_clEvEUlNS5_8BFloat16EE_NS0_6memory8policies11unroll_baseILi256ESt5arrayIPcLm2EE23TrivialOffsetCalculatorILi1EjESK_NSD_15LoadWithoutCastENSD_16StoreWithoutCastELi8ELi1EEEEEvT0_T1_.uses_flat_scratch)
	.set _ZN2at6native29vectorized_elementwise_kernelILi2EZZZNS0_12_GLOBAL__N_115softplus_kernelERNS_18TensorIteratorBaseERKN3c106ScalarES8_ENKUlvE_clEvENKUlvE2_clEvEUlNS5_8BFloat16EE_St5arrayIPcLm2EEEEviT0_T1_.has_dyn_sized_stack, or(0, .L_ZN2at6native25elementwise_kernel_helperILb0EZZZNS0_12_GLOBAL__N_115softplus_kernelERNS_18TensorIteratorBaseERKN3c106ScalarES8_ENKUlvE_clEvENKUlvE2_clEvEUlNS5_8BFloat16EE_NS0_6memory8policies11unroll_baseILi256ESt5arrayIPcLm2EE23TrivialOffsetCalculatorILi1EjESK_NSD_15LoadWithoutCastENSD_16StoreWithoutCastELi8ELi1EEEEEvT0_T1_.has_dyn_sized_stack)
	.set _ZN2at6native29vectorized_elementwise_kernelILi2EZZZNS0_12_GLOBAL__N_115softplus_kernelERNS_18TensorIteratorBaseERKN3c106ScalarES8_ENKUlvE_clEvENKUlvE2_clEvEUlNS5_8BFloat16EE_St5arrayIPcLm2EEEEviT0_T1_.has_recursion, or(0, .L_ZN2at6native25elementwise_kernel_helperILb0EZZZNS0_12_GLOBAL__N_115softplus_kernelERNS_18TensorIteratorBaseERKN3c106ScalarES8_ENKUlvE_clEvENKUlvE2_clEvEUlNS5_8BFloat16EE_NS0_6memory8policies11unroll_baseILi256ESt5arrayIPcLm2EE23TrivialOffsetCalculatorILi1EjESK_NSD_15LoadWithoutCastENSD_16StoreWithoutCastELi8ELi1EEEEEvT0_T1_.has_recursion)
	.set _ZN2at6native29vectorized_elementwise_kernelILi2EZZZNS0_12_GLOBAL__N_115softplus_kernelERNS_18TensorIteratorBaseERKN3c106ScalarES8_ENKUlvE_clEvENKUlvE2_clEvEUlNS5_8BFloat16EE_St5arrayIPcLm2EEEEviT0_T1_.has_indirect_call, or(0, .L_ZN2at6native25elementwise_kernel_helperILb0EZZZNS0_12_GLOBAL__N_115softplus_kernelERNS_18TensorIteratorBaseERKN3c106ScalarES8_ENKUlvE_clEvENKUlvE2_clEvEUlNS5_8BFloat16EE_NS0_6memory8policies11unroll_baseILi256ESt5arrayIPcLm2EE23TrivialOffsetCalculatorILi1EjESK_NSD_15LoadWithoutCastENSD_16StoreWithoutCastELi8ELi1EEEEEvT0_T1_.has_indirect_call)
	.section	.AMDGPU.csdata,"",@progbits
; Kernel info:
; codeLenInByte = 8980
; TotalNumSgprs: 35
; NumVgprs: 35
; ScratchSize: 0
; MemoryBound: 0
; FloatMode: 240
; IeeeMode: 1
; LDSByteSize: 0 bytes/workgroup (compile time only)
; SGPRBlocks: 0
; VGPRBlocks: 2
; NumSGPRsForWavesPerEU: 35
; NumVGPRsForWavesPerEU: 35
; NamedBarCnt: 0
; Occupancy: 16
; WaveLimiterHint : 1
; COMPUTE_PGM_RSRC2:SCRATCH_EN: 0
; COMPUTE_PGM_RSRC2:USER_SGPR: 2
; COMPUTE_PGM_RSRC2:TRAP_HANDLER: 0
; COMPUTE_PGM_RSRC2:TGID_X_EN: 1
; COMPUTE_PGM_RSRC2:TGID_Y_EN: 0
; COMPUTE_PGM_RSRC2:TGID_Z_EN: 0
; COMPUTE_PGM_RSRC2:TIDIG_COMP_CNT: 0
	.section	.text._ZN2at6native27unrolled_elementwise_kernelIZZZNS0_12_GLOBAL__N_115softplus_kernelERNS_18TensorIteratorBaseERKN3c106ScalarES8_ENKUlvE_clEvENKUlvE2_clEvEUlNS5_8BFloat16EE_St5arrayIPcLm2EELi4E23TrivialOffsetCalculatorILi1EjESH_NS0_6memory15LoadWithoutCastENSI_16StoreWithoutCastEEEviT_T0_T2_T3_T4_T5_,"axG",@progbits,_ZN2at6native27unrolled_elementwise_kernelIZZZNS0_12_GLOBAL__N_115softplus_kernelERNS_18TensorIteratorBaseERKN3c106ScalarES8_ENKUlvE_clEvENKUlvE2_clEvEUlNS5_8BFloat16EE_St5arrayIPcLm2EELi4E23TrivialOffsetCalculatorILi1EjESH_NS0_6memory15LoadWithoutCastENSI_16StoreWithoutCastEEEviT_T0_T2_T3_T4_T5_,comdat
	.globl	_ZN2at6native27unrolled_elementwise_kernelIZZZNS0_12_GLOBAL__N_115softplus_kernelERNS_18TensorIteratorBaseERKN3c106ScalarES8_ENKUlvE_clEvENKUlvE2_clEvEUlNS5_8BFloat16EE_St5arrayIPcLm2EELi4E23TrivialOffsetCalculatorILi1EjESH_NS0_6memory15LoadWithoutCastENSI_16StoreWithoutCastEEEviT_T0_T2_T3_T4_T5_ ; -- Begin function _ZN2at6native27unrolled_elementwise_kernelIZZZNS0_12_GLOBAL__N_115softplus_kernelERNS_18TensorIteratorBaseERKN3c106ScalarES8_ENKUlvE_clEvENKUlvE2_clEvEUlNS5_8BFloat16EE_St5arrayIPcLm2EELi4E23TrivialOffsetCalculatorILi1EjESH_NS0_6memory15LoadWithoutCastENSI_16StoreWithoutCastEEEviT_T0_T2_T3_T4_T5_
	.p2align	8
	.type	_ZN2at6native27unrolled_elementwise_kernelIZZZNS0_12_GLOBAL__N_115softplus_kernelERNS_18TensorIteratorBaseERKN3c106ScalarES8_ENKUlvE_clEvENKUlvE2_clEvEUlNS5_8BFloat16EE_St5arrayIPcLm2EELi4E23TrivialOffsetCalculatorILi1EjESH_NS0_6memory15LoadWithoutCastENSI_16StoreWithoutCastEEEviT_T0_T2_T3_T4_T5_,@function
_ZN2at6native27unrolled_elementwise_kernelIZZZNS0_12_GLOBAL__N_115softplus_kernelERNS_18TensorIteratorBaseERKN3c106ScalarES8_ENKUlvE_clEvENKUlvE2_clEvEUlNS5_8BFloat16EE_St5arrayIPcLm2EELi4E23TrivialOffsetCalculatorILi1EjESH_NS0_6memory15LoadWithoutCastENSI_16StoreWithoutCastEEEviT_T0_T2_T3_T4_T5_: ; @_ZN2at6native27unrolled_elementwise_kernelIZZZNS0_12_GLOBAL__N_115softplus_kernelERNS_18TensorIteratorBaseERKN3c106ScalarES8_ENKUlvE_clEvENKUlvE2_clEvEUlNS5_8BFloat16EE_St5arrayIPcLm2EELi4E23TrivialOffsetCalculatorILi1EjESH_NS0_6memory15LoadWithoutCastENSI_16StoreWithoutCastEEEviT_T0_T2_T3_T4_T5_
; %bb.0:
	s_clause 0x1
	s_load_b96 s[8:10], s[0:1], 0x0
	s_load_b128 s[4:7], s[0:1], 0x10
	s_bfe_u32 s2, ttmp6, 0x4000c
	s_wait_xcnt 0x0
	s_and_b32 s0, ttmp6, 15
	s_add_co_i32 s2, s2, 1
	v_dual_mov_b32 v7, 0 :: v_dual_mov_b32 v6, 0
	s_mul_i32 s1, ttmp9, s2
	s_getreg_b32 s2, hwreg(HW_REG_IB_STS2, 6, 4)
	s_add_co_i32 s0, s0, s1
	s_cmp_eq_u32 s2, 0
	v_or_b32_e32 v1, 0x100, v0
	s_cselect_b32 s0, ttmp9, s0
	v_mov_b32_e32 v4, v0
	s_lshl_b32 s1, s0, 10
	s_delay_alu instid0(SALU_CYCLE_1) | instskip(SKIP_2) | instid1(SALU_CYCLE_1)
	v_or_b32_e32 v2, s1, v0
	s_wait_kmcnt 0x0
	s_sub_co_i32 s2, s8, s1
	v_cmp_gt_i32_e64 s0, s2, v0
	s_and_saveexec_b32 s3, s0
	s_cbranch_execz .LBB32_2
; %bb.1:
	global_load_u16 v3, v2, s[6:7] scale_offset
	v_or_b32_e32 v4, 0x100, v0
	s_wait_loadcnt 0x0
	v_lshlrev_b32_e32 v6, 16, v3
.LBB32_2:
	s_or_b32 exec_lo, exec_lo, s3
	s_delay_alu instid0(SALU_CYCLE_1)
	s_mov_b32 s3, exec_lo
	v_cmpx_gt_i32_e64 s2, v4
	s_cbranch_execz .LBB32_4
; %bb.3:
	v_add_nc_u32_e32 v3, s1, v4
	v_add_nc_u32_e32 v4, 0x100, v4
	global_load_u16 v3, v3, s[6:7] scale_offset
	s_wait_loadcnt 0x0
	v_lshlrev_b32_e32 v7, 16, v3
.LBB32_4:
	s_or_b32 exec_lo, exec_lo, s3
	v_dual_mov_b32 v3, 0 :: v_dual_mov_b32 v5, 0
	s_mov_b32 s3, exec_lo
	v_cmpx_gt_i32_e64 s2, v4
	s_cbranch_execz .LBB32_8
; %bb.5:
	v_add_nc_u32_e32 v5, s1, v4
	v_add_nc_u32_e32 v4, 0x100, v4
	global_load_u16 v5, v5, s[6:7] scale_offset
	s_wait_loadcnt 0x0
	v_lshlrev_b32_e32 v5, 16, v5
	s_or_b32 exec_lo, exec_lo, s3
	s_delay_alu instid0(SALU_CYCLE_1)
	s_mov_b32 s3, exec_lo
	v_cmpx_gt_i32_e64 s2, v4
	s_cbranch_execnz .LBB32_9
.LBB32_6:
	s_or_b32 exec_lo, exec_lo, s3
                                        ; implicit-def: $vgpr4
	s_and_saveexec_b32 s3, s0
	s_cbranch_execnz .LBB32_10
.LBB32_7:
	s_or_b32 exec_lo, exec_lo, s3
	s_delay_alu instid0(SALU_CYCLE_1)
	s_mov_b32 s3, exec_lo
                                        ; implicit-def: $vgpr6
	v_cmpx_gt_i32_e64 s2, v1
	s_cbranch_execz .LBB32_16
	s_branch .LBB32_13
.LBB32_8:
	s_or_b32 exec_lo, exec_lo, s3
	s_delay_alu instid0(SALU_CYCLE_1)
	s_mov_b32 s3, exec_lo
	v_cmpx_gt_i32_e64 s2, v4
	s_cbranch_execz .LBB32_6
.LBB32_9:
	v_add_nc_u32_e32 v3, s1, v4
	global_load_u16 v3, v3, s[6:7] scale_offset
	s_wait_loadcnt 0x0
	v_lshlrev_b32_e32 v3, 16, v3
	s_or_b32 exec_lo, exec_lo, s3
                                        ; implicit-def: $vgpr4
	s_and_saveexec_b32 s3, s0
	s_cbranch_execz .LBB32_7
.LBB32_10:
	v_mul_f32_e32 v4, s9, v6
	s_mov_b32 s6, exec_lo
	s_delay_alu instid0(VALU_DEP_1)
	v_cmpx_nlt_f32_e32 s10, v4
	s_cbranch_execz .LBB32_12
; %bb.11:
	v_mul_f32_e32 v6, 0x3fb8aa3b, v4
	v_cmp_ngt_f32_e32 vcc_lo, 0xc2ce8ed0, v4
	s_mov_b32 s7, 0x3e9b6dac
	s_delay_alu instid0(VALU_DEP_2) | instskip(SKIP_1) | instid1(VALU_DEP_1)
	v_rndne_f32_e32 v8, v6
	v_fma_f32 v9, 0x3fb8aa3b, v4, -v6
	v_dual_sub_f32 v6, v6, v8 :: v_dual_fmamk_f32 v9, v4, 0x32a5705f, v9
	v_cvt_i32_f32_e32 v8, v8
	s_delay_alu instid0(VALU_DEP_2) | instskip(NEXT) | instid1(VALU_DEP_1)
	v_add_f32_e32 v6, v6, v9
	v_exp_f32_e32 v6, v6
	v_nop
	s_delay_alu instid0(TRANS32_DEP_1) | instskip(NEXT) | instid1(VALU_DEP_1)
	v_ldexp_f32 v6, v6, v8
	v_cndmask_b32_e32 v6, 0, v6, vcc_lo
	v_cmp_nlt_f32_e32 vcc_lo, 0x42b17218, v4
	s_delay_alu instid0(VALU_DEP_2) | instskip(NEXT) | instid1(VALU_DEP_1)
	v_cndmask_b32_e32 v24, 0x7f800000, v6, vcc_lo
	v_add_f32_e32 v4, 1.0, v24
	s_delay_alu instid0(VALU_DEP_1) | instskip(NEXT) | instid1(VALU_DEP_1)
	v_cvt_f64_f32_e32 v[8:9], v4
	v_frexp_exp_i32_f64_e32 v6, v[8:9]
	v_frexp_mant_f32_e32 v8, v4
	s_delay_alu instid0(VALU_DEP_1) | instskip(SKIP_1) | instid1(VALU_DEP_1)
	v_cmp_gt_f32_e32 vcc_lo, 0x3f2aaaab, v8
	v_add_f32_e32 v8, -1.0, v4
	v_sub_f32_e32 v10, v8, v4
	v_subrev_co_ci_u32_e64 v6, null, 0, v6, vcc_lo
	s_delay_alu instid0(VALU_DEP_1) | instskip(SKIP_1) | instid1(VALU_DEP_2)
	v_sub_nc_u32_e32 v9, 0, v6
	v_cmp_neq_f32_e32 vcc_lo, 0x7f800000, v24
	v_ldexp_f32 v4, v4, v9
	s_delay_alu instid0(VALU_DEP_1) | instskip(SKIP_1) | instid1(VALU_DEP_1)
	v_dual_add_f32 v11, 1.0, v4 :: v_dual_add_f32 v13, -1.0, v4
	v_dual_sub_f32 v8, v24, v8 :: v_dual_add_f32 v10, 1.0, v10
	v_dual_add_f32 v8, v8, v10 :: v_dual_add_f32 v10, -1.0, v11
	s_delay_alu instid0(VALU_DEP_1) | instskip(NEXT) | instid1(VALU_DEP_2)
	v_ldexp_f32 v8, v8, v9
	v_dual_sub_f32 v9, v4, v10 :: v_dual_add_f32 v10, 1.0, v13
	s_delay_alu instid0(VALU_DEP_1) | instskip(NEXT) | instid1(VALU_DEP_1)
	v_sub_f32_e32 v4, v4, v10
	v_dual_add_f32 v12, v8, v9 :: v_dual_add_f32 v4, v8, v4
	s_delay_alu instid0(VALU_DEP_1) | instskip(NEXT) | instid1(VALU_DEP_1)
	v_add_f32_e32 v14, v11, v12
	v_dual_add_f32 v9, v13, v4 :: v_dual_sub_f32 v8, v11, v14
	v_rcp_f32_e32 v15, v14
	s_delay_alu instid0(VALU_DEP_1)
	v_dual_sub_f32 v18, v13, v9 :: v_dual_add_f32 v17, v12, v8
	s_delay_alu instid0(TRANS32_DEP_1) | instid1(VALU_DEP_1)
	v_dual_mul_f32 v16, v9, v15 :: v_dual_add_f32 v4, v4, v18
	s_delay_alu instid0(VALU_DEP_1) | instskip(NEXT) | instid1(VALU_DEP_1)
	v_mul_f32_e32 v10, v14, v16
	v_fma_f32 v12, v16, v14, -v10
	s_delay_alu instid0(VALU_DEP_1) | instskip(NEXT) | instid1(VALU_DEP_1)
	v_fmac_f32_e32 v12, v16, v17
	v_add_f32_e32 v8, v10, v12
	s_delay_alu instid0(VALU_DEP_1) | instskip(NEXT) | instid1(VALU_DEP_1)
	v_dual_sub_f32 v11, v9, v8 :: v_dual_mov_b32 v13, v8
	v_pk_add_f32 v[8:9], v[8:9], v[10:11] neg_lo:[0,1] neg_hi:[0,1]
	s_delay_alu instid0(VALU_DEP_1) | instskip(NEXT) | instid1(VALU_DEP_1)
	v_pk_add_f32 v[8:9], v[8:9], v[12:13] neg_lo:[0,1] neg_hi:[0,1]
	v_add_f32_e32 v4, v4, v9
	s_delay_alu instid0(VALU_DEP_1) | instskip(NEXT) | instid1(VALU_DEP_1)
	v_add_f32_e32 v4, v8, v4
	v_add_f32_e32 v9, v11, v4
	s_delay_alu instid0(VALU_DEP_1) | instskip(NEXT) | instid1(VALU_DEP_1)
	v_mul_f32_e32 v18, v15, v9
	v_mul_f32_e32 v12, v14, v18
	s_delay_alu instid0(VALU_DEP_1) | instskip(NEXT) | instid1(VALU_DEP_1)
	v_dual_fma_f32 v10, v18, v14, -v12 :: v_dual_sub_f32 v14, v11, v9
	v_dual_fmac_f32 v10, v18, v17 :: v_dual_add_f32 v4, v4, v14
	s_delay_alu instid0(VALU_DEP_1) | instskip(NEXT) | instid1(VALU_DEP_1)
	v_add_f32_e32 v8, v12, v10
	v_dual_sub_f32 v13, v9, v8 :: v_dual_mov_b32 v11, v8
	s_delay_alu instid0(VALU_DEP_1) | instskip(NEXT) | instid1(VALU_DEP_1)
	v_pk_add_f32 v[8:9], v[8:9], v[12:13] neg_lo:[0,1] neg_hi:[0,1]
	v_pk_add_f32 v[8:9], v[8:9], v[10:11] neg_lo:[0,1] neg_hi:[0,1]
	v_cvt_f32_i32_e32 v10, v6
	s_delay_alu instid0(VALU_DEP_2) | instskip(NEXT) | instid1(VALU_DEP_1)
	v_add_f32_e32 v4, v4, v9
	v_add_f32_e32 v4, v8, v4
	s_delay_alu instid0(VALU_DEP_1) | instskip(NEXT) | instid1(VALU_DEP_1)
	v_dual_add_f32 v12, v16, v18 :: v_dual_add_f32 v4, v13, v4
	v_sub_f32_e32 v8, v12, v16
	s_delay_alu instid0(VALU_DEP_2) | instskip(NEXT) | instid1(VALU_DEP_2)
	v_mul_f32_e32 v4, v15, v4
	v_sub_f32_e32 v8, v18, v8
	s_delay_alu instid0(VALU_DEP_1) | instskip(NEXT) | instid1(VALU_DEP_1)
	v_add_f32_e32 v4, v8, v4
	v_dual_mov_b32 v8, 0x3f317218 :: v_dual_add_f32 v13, v12, v4
	s_delay_alu instid0(VALU_DEP_1) | instskip(NEXT) | instid1(VALU_DEP_1)
	v_mul_f32_e32 v9, v13, v13
	v_dual_fmaak_f32 v14, s7, v9, 0x3ecc95a3 :: v_dual_mul_f32 v11, v13, v9
	s_delay_alu instid0(VALU_DEP_1) | instskip(NEXT) | instid1(VALU_DEP_1)
	v_fmaak_f32 v9, v9, v14, 0x3f2aaada
	v_pk_mul_f32 v[8:9], v[10:11], v[8:9]
	v_ldexp_f32 v11, v13, 1
	s_delay_alu instid0(VALU_DEP_2) | instskip(SKIP_1) | instid1(VALU_DEP_2)
	v_fma_f32 v6, 0x3f317218, v10, -v8
	v_mov_b32_e32 v14, v8
	v_fmamk_f32 v10, v10, 0xb102e308, v6
	v_sub_f32_e32 v6, v13, v12
	s_delay_alu instid0(VALU_DEP_2) | instskip(NEXT) | instid1(VALU_DEP_1)
	v_pk_add_f32 v[12:13], v[8:9], v[10:11]
	v_dual_sub_f32 v4, v4, v6 :: v_dual_sub_f32 v6, v13, v11
	s_delay_alu instid0(VALU_DEP_1) | instskip(NEXT) | instid1(VALU_DEP_2)
	v_dual_mov_b32 v11, v12 :: v_dual_sub_f32 v6, v9, v6
	v_ldexp_f32 v4, v4, 1
	v_pk_add_f32 v[8:9], v[12:13], v[8:9] neg_lo:[0,1] neg_hi:[0,1]
	s_delay_alu instid0(VALU_DEP_2) | instskip(NEXT) | instid1(VALU_DEP_1)
	v_add_f32_e32 v15, v4, v6
	v_pk_add_f32 v[16:17], v[12:13], v[14:15]
	s_delay_alu instid0(VALU_DEP_1) | instskip(NEXT) | instid1(VALU_DEP_1)
	v_dual_mov_b32 v22, v13 :: v_dual_mov_b32 v9, v17
	v_pk_add_f32 v[18:19], v[10:11], v[8:9]
	s_delay_alu instid0(VALU_DEP_1) | instskip(SKIP_1) | instid1(VALU_DEP_2)
	v_dual_mov_b32 v18, v17 :: v_dual_mov_b32 v4, v19
	v_pk_add_f32 v[8:9], v[10:11], v[8:9] neg_lo:[0,1] neg_hi:[0,1]
	v_pk_add_f32 v[20:21], v[4:5], v[12:13] neg_lo:[0,1] neg_hi:[0,1]
	v_dual_mov_b32 v13, v12 :: v_dual_mov_b32 v12, v15
	s_delay_alu instid0(VALU_DEP_2) | instskip(NEXT) | instid1(VALU_DEP_1)
	v_dual_mov_b32 v15, v20 :: v_dual_mov_b32 v23, v20
	v_pk_add_f32 v[14:15], v[16:17], v[14:15] neg_lo:[0,1] neg_hi:[0,1]
	s_delay_alu instid0(VALU_DEP_2) | instskip(SKIP_1) | instid1(VALU_DEP_2)
	v_pk_add_f32 v[10:11], v[18:19], v[22:23] neg_lo:[0,1] neg_hi:[0,1]
	v_mov_b32_e32 v14, v8
	v_pk_add_f32 v[10:11], v[12:13], v[10:11] neg_lo:[0,1] neg_hi:[0,1]
	s_delay_alu instid0(VALU_DEP_1) | instskip(NEXT) | instid1(VALU_DEP_1)
	v_pk_add_f32 v[12:13], v[14:15], v[10:11]
	v_mov_b32_e32 v6, v13
	s_delay_alu instid0(VALU_DEP_1) | instskip(NEXT) | instid1(VALU_DEP_1)
	v_pk_add_f32 v[14:15], v[12:13], v[6:7]
	v_pk_add_f32 v[16:17], v[4:5], v[14:15]
	s_delay_alu instid0(VALU_DEP_1) | instskip(NEXT) | instid1(VALU_DEP_1)
	v_dual_mov_b32 v9, v19 :: v_dual_mov_b32 v13, v16
	v_pk_add_f32 v[18:19], v[12:13], v[8:9] neg_lo:[0,1] neg_hi:[0,1]
	s_delay_alu instid0(VALU_DEP_1) | instskip(NEXT) | instid1(VALU_DEP_1)
	v_dual_mov_b32 v11, v14 :: v_dual_sub_f32 v4, v12, v18
	v_pk_add_f32 v[10:11], v[10:11], v[18:19] neg_lo:[0,1] neg_hi:[0,1]
	s_delay_alu instid0(VALU_DEP_2) | instskip(NEXT) | instid1(VALU_DEP_1)
	v_sub_f32_e32 v4, v8, v4
	v_add_f32_e32 v4, v10, v4
	s_delay_alu instid0(VALU_DEP_1) | instskip(NEXT) | instid1(VALU_DEP_1)
	v_add_f32_e32 v4, v4, v11
	v_add_f32_e32 v4, v16, v4
	s_delay_alu instid0(VALU_DEP_1) | instskip(SKIP_1) | instid1(VALU_DEP_2)
	v_cndmask_b32_e32 v4, 0x7f800000, v4, vcc_lo
	v_cmp_gt_f32_e64 vcc_lo, 0x33800000, |v24|
	v_cndmask_b32_e32 v4, v4, v24, vcc_lo
	s_delay_alu instid0(VALU_DEP_1) | instskip(NEXT) | instid1(VALU_DEP_1)
	v_div_scale_f32 v6, null, s9, s9, v4
	v_rcp_f32_e32 v8, v6
	v_nop
	s_delay_alu instid0(TRANS32_DEP_1) | instskip(NEXT) | instid1(VALU_DEP_1)
	v_fma_f32 v9, -v6, v8, 1.0
	v_fmac_f32_e32 v8, v9, v8
	v_div_scale_f32 v9, vcc_lo, v4, s9, v4
	s_delay_alu instid0(VALU_DEP_1) | instskip(NEXT) | instid1(VALU_DEP_1)
	v_mul_f32_e32 v10, v9, v8
	v_fma_f32 v11, -v6, v10, v9
	s_delay_alu instid0(VALU_DEP_1) | instskip(NEXT) | instid1(VALU_DEP_1)
	v_fmac_f32_e32 v10, v11, v8
	v_fma_f32 v6, -v6, v10, v9
	s_delay_alu instid0(VALU_DEP_1) | instskip(NEXT) | instid1(VALU_DEP_1)
	v_div_fmas_f32 v6, v6, v8, v10
	v_div_fixup_f32 v6, v6, s9, v4
.LBB32_12:
	s_or_b32 exec_lo, exec_lo, s6
	s_delay_alu instid0(VALU_DEP_1) | instskip(SKIP_1) | instid1(VALU_DEP_2)
	v_bfe_u32 v4, v6, 16, 1
	v_cmp_o_f32_e32 vcc_lo, v6, v6
	v_add3_u32 v4, v6, v4, 0x7fff
	s_delay_alu instid0(VALU_DEP_1) | instskip(NEXT) | instid1(VALU_DEP_1)
	v_lshrrev_b32_e32 v4, 16, v4
	v_cndmask_b32_e32 v4, 0x7fc0, v4, vcc_lo
	s_or_b32 exec_lo, exec_lo, s3
	s_delay_alu instid0(SALU_CYCLE_1)
	s_mov_b32 s3, exec_lo
                                        ; implicit-def: $vgpr6
	v_cmpx_gt_i32_e64 s2, v1
	s_cbranch_execz .LBB32_16
.LBB32_13:
	v_mul_f32_e32 v6, s9, v7
	s_mov_b32 s6, exec_lo
	s_delay_alu instid0(VALU_DEP_1)
	v_cmpx_nlt_f32_e32 s10, v6
	s_cbranch_execz .LBB32_15
; %bb.14:
	v_mul_f32_e32 v7, 0x3fb8aa3b, v6
	v_cmp_ngt_f32_e32 vcc_lo, 0xc2ce8ed0, v6
	s_mov_b32 s7, 0x3e9b6dac
	s_delay_alu instid0(VALU_DEP_2) | instskip(SKIP_1) | instid1(VALU_DEP_2)
	v_rndne_f32_e32 v8, v7
	v_fma_f32 v9, 0x3fb8aa3b, v6, -v7
	v_sub_f32_e32 v7, v7, v8
	s_delay_alu instid0(VALU_DEP_2) | instskip(SKIP_1) | instid1(VALU_DEP_2)
	v_fmamk_f32 v9, v6, 0x32a5705f, v9
	v_cvt_i32_f32_e32 v8, v8
	v_add_f32_e32 v7, v7, v9
	s_delay_alu instid0(VALU_DEP_1) | instskip(SKIP_1) | instid1(TRANS32_DEP_1)
	v_exp_f32_e32 v7, v7
	v_nop
	v_ldexp_f32 v7, v7, v8
	s_delay_alu instid0(VALU_DEP_1) | instskip(SKIP_1) | instid1(VALU_DEP_2)
	v_cndmask_b32_e32 v7, 0, v7, vcc_lo
	v_cmp_nlt_f32_e32 vcc_lo, 0x42b17218, v6
	v_cndmask_b32_e32 v22, 0x7f800000, v7, vcc_lo
	s_delay_alu instid0(VALU_DEP_1) | instskip(NEXT) | instid1(VALU_DEP_1)
	v_add_f32_e32 v8, 1.0, v22
	v_cvt_f64_f32_e32 v[6:7], v8
	s_delay_alu instid0(VALU_DEP_1) | instskip(SKIP_1) | instid1(VALU_DEP_1)
	v_frexp_exp_i32_f64_e32 v6, v[6:7]
	v_frexp_mant_f32_e32 v7, v8
	v_cmp_gt_f32_e32 vcc_lo, 0x3f2aaaab, v7
	s_delay_alu instid0(VALU_DEP_3) | instskip(SKIP_1) | instid1(VALU_DEP_2)
	v_subrev_co_ci_u32_e64 v12, null, 0, v6, vcc_lo
	v_add_f32_e32 v6, -1.0, v8
	v_sub_nc_u32_e32 v7, 0, v12
	v_cmp_neq_f32_e32 vcc_lo, 0x7f800000, v22
	s_delay_alu instid0(VALU_DEP_3) | instskip(SKIP_1) | instid1(VALU_DEP_4)
	v_sub_f32_e32 v9, v6, v8
	v_sub_f32_e32 v6, v22, v6
	v_ldexp_f32 v8, v8, v7
	s_delay_alu instid0(VALU_DEP_1) | instskip(NEXT) | instid1(VALU_DEP_1)
	v_dual_add_f32 v9, 1.0, v9 :: v_dual_add_f32 v11, -1.0, v8
	v_dual_add_f32 v10, 1.0, v8 :: v_dual_add_f32 v6, v6, v9
	s_delay_alu instid0(VALU_DEP_1) | instskip(NEXT) | instid1(VALU_DEP_2)
	v_add_f32_e32 v9, -1.0, v10
	v_ldexp_f32 v6, v6, v7
	s_delay_alu instid0(VALU_DEP_2) | instskip(NEXT) | instid1(VALU_DEP_1)
	v_dual_sub_f32 v7, v8, v9 :: v_dual_add_f32 v9, 1.0, v11
	v_dual_add_f32 v13, v6, v7 :: v_dual_sub_f32 v7, v8, v9
	s_delay_alu instid0(VALU_DEP_1) | instskip(NEXT) | instid1(VALU_DEP_1)
	v_add_f32_e32 v15, v6, v7
	v_dual_add_f32 v14, v10, v13 :: v_dual_add_f32 v7, v11, v15
	s_delay_alu instid0(VALU_DEP_1) | instskip(NEXT) | instid1(VALU_DEP_1)
	v_rcp_f32_e32 v16, v14
	v_sub_f32_e32 v18, v11, v7
	s_delay_alu instid0(TRANS32_DEP_1) | instskip(NEXT) | instid1(VALU_DEP_1)
	v_mul_f32_e32 v17, v7, v16
	v_mul_f32_e32 v8, v14, v17
	s_delay_alu instid0(VALU_DEP_1) | instskip(NEXT) | instid1(VALU_DEP_1)
	v_dual_sub_f32 v6, v10, v14 :: v_dual_fma_f32 v10, v17, v14, -v8
	v_add_f32_e32 v13, v13, v6
	s_delay_alu instid0(VALU_DEP_1) | instskip(NEXT) | instid1(VALU_DEP_1)
	v_fmac_f32_e32 v10, v17, v13
	v_add_f32_e32 v6, v8, v10
	s_delay_alu instid0(VALU_DEP_1) | instskip(NEXT) | instid1(VALU_DEP_1)
	v_dual_sub_f32 v9, v7, v6 :: v_dual_mov_b32 v11, v6
	v_pk_add_f32 v[6:7], v[6:7], v[8:9] neg_lo:[0,1] neg_hi:[0,1]
	v_add_f32_e32 v8, v15, v18
	s_delay_alu instid0(VALU_DEP_2) | instskip(NEXT) | instid1(VALU_DEP_1)
	v_pk_add_f32 v[6:7], v[6:7], v[10:11] neg_lo:[0,1] neg_hi:[0,1]
	v_add_f32_e32 v7, v8, v7
	s_delay_alu instid0(VALU_DEP_1) | instskip(NEXT) | instid1(VALU_DEP_1)
	v_add_f32_e32 v15, v6, v7
	v_add_f32_e32 v7, v9, v15
	s_delay_alu instid0(VALU_DEP_1) | instskip(NEXT) | instid1(VALU_DEP_1)
	v_mul_f32_e32 v18, v16, v7
	v_mul_f32_e32 v10, v14, v18
	s_delay_alu instid0(VALU_DEP_1) | instskip(NEXT) | instid1(VALU_DEP_1)
	v_fma_f32 v8, v18, v14, -v10
	v_dual_fmac_f32 v8, v18, v13 :: v_dual_sub_f32 v13, v9, v7
	s_delay_alu instid0(VALU_DEP_1) | instskip(NEXT) | instid1(VALU_DEP_1)
	v_add_f32_e32 v6, v10, v8
	v_dual_sub_f32 v11, v7, v6 :: v_dual_mov_b32 v9, v6
	s_delay_alu instid0(VALU_DEP_1) | instskip(NEXT) | instid1(VALU_DEP_4)
	v_pk_add_f32 v[6:7], v[6:7], v[10:11] neg_lo:[0,1] neg_hi:[0,1]
	v_add_f32_e32 v10, v15, v13
	s_delay_alu instid0(VALU_DEP_2) | instskip(SKIP_1) | instid1(VALU_DEP_2)
	v_pk_add_f32 v[6:7], v[6:7], v[8:9] neg_lo:[0,1] neg_hi:[0,1]
	v_cvt_f32_i32_e32 v8, v12
	v_dual_add_f32 v7, v10, v7 :: v_dual_add_f32 v10, v17, v18
	s_delay_alu instid0(VALU_DEP_1) | instskip(NEXT) | instid1(VALU_DEP_1)
	v_add_f32_e32 v6, v6, v7
	v_dual_sub_f32 v7, v10, v17 :: v_dual_add_f32 v6, v11, v6
	s_delay_alu instid0(VALU_DEP_1) | instskip(NEXT) | instid1(VALU_DEP_1)
	v_dual_sub_f32 v7, v18, v7 :: v_dual_mul_f32 v6, v16, v6
	v_dual_add_f32 v13, v7, v6 :: v_dual_mov_b32 v6, 0x3f317218
	s_delay_alu instid0(VALU_DEP_1) | instskip(NEXT) | instid1(VALU_DEP_1)
	v_add_f32_e32 v11, v10, v13
	v_mul_f32_e32 v7, v11, v11
	s_delay_alu instid0(VALU_DEP_1) | instskip(NEXT) | instid1(VALU_DEP_1)
	v_dual_fmaak_f32 v14, s7, v7, 0x3ecc95a3 :: v_dual_mul_f32 v9, v11, v7
	v_fmaak_f32 v7, v7, v14, 0x3f2aaada
	s_delay_alu instid0(VALU_DEP_1) | instskip(SKIP_1) | instid1(VALU_DEP_2)
	v_pk_mul_f32 v[6:7], v[8:9], v[6:7]
	v_ldexp_f32 v9, v11, 1
	v_fma_f32 v12, 0x3f317218, v8, -v6
	s_delay_alu instid0(VALU_DEP_1) | instskip(SKIP_1) | instid1(VALU_DEP_2)
	v_fmamk_f32 v8, v8, 0xb102e308, v12
	v_sub_f32_e32 v12, v11, v10
	v_pk_add_f32 v[10:11], v[6:7], v[8:9]
	s_delay_alu instid0(VALU_DEP_1) | instskip(NEXT) | instid1(VALU_DEP_1)
	v_dual_sub_f32 v9, v11, v9 :: v_dual_sub_f32 v12, v13, v12
	v_sub_f32_e32 v9, v7, v9
	s_delay_alu instid0(VALU_DEP_2) | instskip(SKIP_2) | instid1(VALU_DEP_3)
	v_ldexp_f32 v13, v12, 1
	v_mov_b32_e32 v12, v6
	v_pk_add_f32 v[6:7], v[10:11], v[6:7] neg_lo:[0,1] neg_hi:[0,1]
	v_dual_add_f32 v13, v13, v9 :: v_dual_mov_b32 v9, v10
	s_delay_alu instid0(VALU_DEP_1) | instskip(NEXT) | instid1(VALU_DEP_1)
	v_pk_add_f32 v[14:15], v[10:11], v[12:13]
	v_dual_mov_b32 v20, v11 :: v_dual_mov_b32 v7, v15
	s_delay_alu instid0(VALU_DEP_1) | instskip(NEXT) | instid1(VALU_DEP_1)
	v_pk_add_f32 v[16:17], v[8:9], v[6:7]
	v_dual_mov_b32 v16, v15 :: v_dual_mov_b32 v12, v17
	v_pk_add_f32 v[6:7], v[8:9], v[6:7] neg_lo:[0,1] neg_hi:[0,1]
	v_mov_b32_e32 v7, v17
	s_delay_alu instid0(VALU_DEP_3) | instskip(SKIP_1) | instid1(VALU_DEP_2)
	v_pk_add_f32 v[18:19], v[12:13], v[10:11] neg_lo:[0,1] neg_hi:[0,1]
	v_dual_mov_b32 v11, v10 :: v_dual_mov_b32 v10, v13
	v_dual_mov_b32 v13, v18 :: v_dual_mov_b32 v21, v18
	s_delay_alu instid0(VALU_DEP_1) | instskip(NEXT) | instid1(VALU_DEP_2)
	v_pk_add_f32 v[14:15], v[14:15], v[12:13] neg_lo:[0,1] neg_hi:[0,1]
	v_pk_add_f32 v[8:9], v[16:17], v[20:21] neg_lo:[0,1] neg_hi:[0,1]
	v_mov_b32_e32 v14, v6
	s_delay_alu instid0(VALU_DEP_2) | instskip(NEXT) | instid1(VALU_DEP_1)
	v_pk_add_f32 v[8:9], v[10:11], v[8:9] neg_lo:[0,1] neg_hi:[0,1]
	v_pk_add_f32 v[10:11], v[14:15], v[8:9]
	s_delay_alu instid0(VALU_DEP_1) | instskip(NEXT) | instid1(VALU_DEP_1)
	v_mov_b32_e32 v14, v11
	v_pk_add_f32 v[14:15], v[10:11], v[14:15]
	s_delay_alu instid0(VALU_DEP_1) | instskip(NEXT) | instid1(VALU_DEP_1)
	v_pk_add_f32 v[12:13], v[12:13], v[14:15]
	v_mov_b32_e32 v11, v12
	s_delay_alu instid0(VALU_DEP_1) | instskip(NEXT) | instid1(VALU_DEP_1)
	v_pk_add_f32 v[16:17], v[10:11], v[6:7] neg_lo:[0,1] neg_hi:[0,1]
	v_sub_f32_e32 v7, v10, v16
	s_delay_alu instid0(VALU_DEP_1) | instskip(SKIP_1) | instid1(VALU_DEP_1)
	v_sub_f32_e32 v6, v6, v7
	v_mov_b32_e32 v9, v14
	v_pk_add_f32 v[8:9], v[8:9], v[16:17] neg_lo:[0,1] neg_hi:[0,1]
	s_delay_alu instid0(VALU_DEP_1) | instskip(NEXT) | instid1(VALU_DEP_1)
	v_add_f32_e32 v6, v8, v6
	v_add_f32_e32 v6, v6, v9
	s_delay_alu instid0(VALU_DEP_1) | instskip(NEXT) | instid1(VALU_DEP_1)
	v_add_f32_e32 v6, v12, v6
	v_cndmask_b32_e32 v6, 0x7f800000, v6, vcc_lo
	v_cmp_gt_f32_e64 vcc_lo, 0x33800000, |v22|
	s_delay_alu instid0(VALU_DEP_2) | instskip(NEXT) | instid1(VALU_DEP_1)
	v_cndmask_b32_e32 v6, v6, v22, vcc_lo
	v_div_scale_f32 v7, null, s9, s9, v6
	s_delay_alu instid0(VALU_DEP_1) | instskip(SKIP_1) | instid1(TRANS32_DEP_1)
	v_rcp_f32_e32 v8, v7
	v_nop
	v_fma_f32 v9, -v7, v8, 1.0
	s_delay_alu instid0(VALU_DEP_1) | instskip(SKIP_1) | instid1(VALU_DEP_1)
	v_fmac_f32_e32 v8, v9, v8
	v_div_scale_f32 v9, vcc_lo, v6, s9, v6
	v_mul_f32_e32 v10, v9, v8
	s_delay_alu instid0(VALU_DEP_1) | instskip(NEXT) | instid1(VALU_DEP_1)
	v_fma_f32 v11, -v7, v10, v9
	v_fmac_f32_e32 v10, v11, v8
	s_delay_alu instid0(VALU_DEP_1) | instskip(NEXT) | instid1(VALU_DEP_1)
	v_fma_f32 v7, -v7, v10, v9
	v_div_fmas_f32 v7, v7, v8, v10
	s_delay_alu instid0(VALU_DEP_1)
	v_div_fixup_f32 v7, v7, s9, v6
.LBB32_15:
	s_or_b32 exec_lo, exec_lo, s6
	s_delay_alu instid0(VALU_DEP_1) | instskip(SKIP_1) | instid1(VALU_DEP_2)
	v_bfe_u32 v6, v7, 16, 1
	v_cmp_o_f32_e32 vcc_lo, v7, v7
	v_add3_u32 v6, v7, v6, 0x7fff
	s_delay_alu instid0(VALU_DEP_1) | instskip(NEXT) | instid1(VALU_DEP_1)
	v_lshrrev_b32_e32 v6, 16, v6
	v_cndmask_b32_e32 v6, 0x7fc0, v6, vcc_lo
.LBB32_16:
	s_or_b32 exec_lo, exec_lo, s3
	v_or_b32_e32 v7, 0x200, v0
	s_delay_alu instid0(VALU_DEP_1)
	v_cmp_gt_i32_e32 vcc_lo, s2, v7
                                        ; implicit-def: $vgpr7
	s_and_saveexec_b32 s3, vcc_lo
	s_cbranch_execz .LBB32_20
; %bb.17:
	v_mul_f32_e32 v7, s9, v5
	s_mov_b32 s6, exec_lo
	s_delay_alu instid0(VALU_DEP_1)
	v_cmpx_nlt_f32_e32 s10, v7
	s_cbranch_execz .LBB32_19
; %bb.18:
	v_mul_f32_e32 v5, 0x3fb8aa3b, v7
	v_cmp_ngt_f32_e32 vcc_lo, 0xc2ce8ed0, v7
	s_mov_b32 s7, 0x3e9b6dac
	s_delay_alu instid0(VALU_DEP_2) | instskip(SKIP_1) | instid1(VALU_DEP_2)
	v_rndne_f32_e32 v8, v5
	v_fma_f32 v9, 0x3fb8aa3b, v7, -v5
	v_sub_f32_e32 v5, v5, v8
	s_delay_alu instid0(VALU_DEP_2) | instskip(SKIP_1) | instid1(VALU_DEP_2)
	v_fmamk_f32 v9, v7, 0x32a5705f, v9
	v_cvt_i32_f32_e32 v8, v8
	v_add_f32_e32 v5, v5, v9
	s_delay_alu instid0(VALU_DEP_1) | instskip(SKIP_1) | instid1(TRANS32_DEP_1)
	v_exp_f32_e32 v5, v5
	v_nop
	v_ldexp_f32 v5, v5, v8
	s_delay_alu instid0(VALU_DEP_1) | instskip(SKIP_1) | instid1(VALU_DEP_2)
	v_cndmask_b32_e32 v5, 0, v5, vcc_lo
	v_cmp_nlt_f32_e32 vcc_lo, 0x42b17218, v7
	v_cndmask_b32_e32 v7, 0x7f800000, v5, vcc_lo
	s_delay_alu instid0(VALU_DEP_1) | instskip(NEXT) | instid1(VALU_DEP_1)
	v_add_f32_e32 v5, 1.0, v7
	v_cvt_f64_f32_e32 v[8:9], v5
	s_delay_alu instid0(VALU_DEP_1) | instskip(SKIP_1) | instid1(VALU_DEP_1)
	v_frexp_exp_i32_f64_e32 v8, v[8:9]
	v_frexp_mant_f32_e32 v9, v5
	v_cmp_gt_f32_e32 vcc_lo, 0x3f2aaaab, v9
	s_delay_alu instid0(VALU_DEP_3) | instskip(NEXT) | instid1(VALU_DEP_1)
	v_subrev_co_ci_u32_e64 v14, null, 0, v8, vcc_lo
	v_dual_add_f32 v8, -1.0, v5 :: v_dual_sub_nc_u32 v9, 0, v14
	s_delay_alu instid0(VALU_DEP_1) | instskip(SKIP_1) | instid1(VALU_DEP_3)
	v_dual_sub_f32 v10, v8, v5 :: v_dual_sub_f32 v8, v7, v8
	v_cmp_neq_f32_e32 vcc_lo, 0x7f800000, v7
	v_ldexp_f32 v5, v5, v9
	s_delay_alu instid0(VALU_DEP_1) | instskip(NEXT) | instid1(VALU_DEP_1)
	v_dual_add_f32 v10, 1.0, v10 :: v_dual_add_f32 v11, 1.0, v5
	v_dual_add_f32 v13, -1.0, v5 :: v_dual_add_f32 v8, v8, v10
	s_delay_alu instid0(VALU_DEP_1) | instskip(NEXT) | instid1(VALU_DEP_3)
	v_ldexp_f32 v8, v8, v9
	v_add_f32_e32 v10, -1.0, v11
	s_delay_alu instid0(VALU_DEP_1) | instskip(NEXT) | instid1(VALU_DEP_1)
	v_dual_sub_f32 v9, v5, v10 :: v_dual_add_f32 v10, 1.0, v13
	v_dual_sub_f32 v5, v5, v10 :: v_dual_add_f32 v12, v8, v9
	s_delay_alu instid0(VALU_DEP_1) | instskip(NEXT) | instid1(VALU_DEP_1)
	v_dual_add_f32 v5, v8, v5 :: v_dual_add_f32 v15, v11, v12
	v_dual_add_f32 v9, v13, v5 :: v_dual_sub_f32 v8, v11, v15
	v_rcp_f32_e32 v16, v15
	s_delay_alu instid0(VALU_DEP_1) | instskip(NEXT) | instid1(TRANS32_DEP_1)
	v_dual_sub_f32 v19, v13, v9 :: v_dual_add_f32 v18, v12, v8
	v_mul_f32_e32 v17, v9, v16
	s_delay_alu instid0(VALU_DEP_1) | instskip(NEXT) | instid1(VALU_DEP_1)
	v_dual_add_f32 v5, v5, v19 :: v_dual_mul_f32 v10, v15, v17
	v_fma_f32 v12, v17, v15, -v10
	s_delay_alu instid0(VALU_DEP_1) | instskip(NEXT) | instid1(VALU_DEP_1)
	v_fmac_f32_e32 v12, v17, v18
	v_add_f32_e32 v8, v10, v12
	s_delay_alu instid0(VALU_DEP_1) | instskip(NEXT) | instid1(VALU_DEP_1)
	v_dual_sub_f32 v11, v9, v8 :: v_dual_mov_b32 v13, v8
	v_pk_add_f32 v[8:9], v[8:9], v[10:11] neg_lo:[0,1] neg_hi:[0,1]
	s_delay_alu instid0(VALU_DEP_1) | instskip(NEXT) | instid1(VALU_DEP_1)
	v_pk_add_f32 v[8:9], v[8:9], v[12:13] neg_lo:[0,1] neg_hi:[0,1]
	v_add_f32_e32 v5, v5, v9
	s_delay_alu instid0(VALU_DEP_1) | instskip(NEXT) | instid1(VALU_DEP_1)
	v_add_f32_e32 v5, v8, v5
	v_add_f32_e32 v9, v11, v5
	s_delay_alu instid0(VALU_DEP_1) | instskip(NEXT) | instid1(VALU_DEP_1)
	v_mul_f32_e32 v19, v16, v9
	v_mul_f32_e32 v12, v15, v19
	s_delay_alu instid0(VALU_DEP_1) | instskip(SKIP_1) | instid1(VALU_DEP_1)
	v_fma_f32 v10, v19, v15, -v12
	v_sub_f32_e32 v15, v11, v9
	v_dual_fmac_f32 v10, v19, v18 :: v_dual_add_f32 v5, v5, v15
	s_delay_alu instid0(VALU_DEP_1) | instskip(NEXT) | instid1(VALU_DEP_1)
	v_add_f32_e32 v8, v12, v10
	v_dual_sub_f32 v13, v9, v8 :: v_dual_mov_b32 v11, v8
	s_delay_alu instid0(VALU_DEP_1) | instskip(NEXT) | instid1(VALU_DEP_1)
	v_pk_add_f32 v[8:9], v[8:9], v[12:13] neg_lo:[0,1] neg_hi:[0,1]
	v_pk_add_f32 v[8:9], v[8:9], v[10:11] neg_lo:[0,1] neg_hi:[0,1]
	v_cvt_f32_i32_e32 v10, v14
	s_delay_alu instid0(VALU_DEP_2) | instskip(NEXT) | instid1(VALU_DEP_1)
	v_add_f32_e32 v5, v5, v9
	v_dual_add_f32 v12, v17, v19 :: v_dual_add_f32 v5, v8, v5
	s_delay_alu instid0(VALU_DEP_1) | instskip(NEXT) | instid1(VALU_DEP_1)
	v_sub_f32_e32 v8, v12, v17
	v_dual_add_f32 v5, v13, v5 :: v_dual_sub_f32 v8, v19, v8
	s_delay_alu instid0(VALU_DEP_1) | instskip(NEXT) | instid1(VALU_DEP_1)
	v_mul_f32_e32 v5, v16, v5
	v_dual_add_f32 v5, v8, v5 :: v_dual_mov_b32 v8, 0x3f317218
	s_delay_alu instid0(VALU_DEP_1) | instskip(NEXT) | instid1(VALU_DEP_1)
	v_add_f32_e32 v13, v12, v5
	v_mul_f32_e32 v9, v13, v13
	s_delay_alu instid0(VALU_DEP_1) | instskip(SKIP_1) | instid1(VALU_DEP_2)
	v_fmaak_f32 v15, s7, v9, 0x3ecc95a3
	v_mul_f32_e32 v11, v13, v9
	v_fmaak_f32 v9, v9, v15, 0x3f2aaada
	s_delay_alu instid0(VALU_DEP_1) | instskip(NEXT) | instid1(VALU_DEP_1)
	v_pk_mul_f32 v[8:9], v[10:11], v[8:9]
	v_fma_f32 v14, 0x3f317218, v10, -v8
	s_delay_alu instid0(VALU_DEP_1) | instskip(SKIP_1) | instid1(VALU_DEP_1)
	v_fmamk_f32 v10, v10, 0xb102e308, v14
	v_sub_f32_e32 v14, v13, v12
	v_sub_f32_e32 v5, v5, v14
	v_ldexp_f32 v11, v13, 1
	v_mov_b32_e32 v14, v8
	s_delay_alu instid0(VALU_DEP_3) | instskip(NEXT) | instid1(VALU_DEP_3)
	v_ldexp_f32 v5, v5, 1
	v_pk_add_f32 v[12:13], v[8:9], v[10:11]
	s_delay_alu instid0(VALU_DEP_1) | instskip(NEXT) | instid1(VALU_DEP_1)
	v_dual_sub_f32 v11, v13, v11 :: v_dual_mov_b32 v22, v13
	v_sub_f32_e32 v11, v9, v11
	s_delay_alu instid0(VALU_DEP_3) | instskip(NEXT) | instid1(VALU_DEP_2)
	v_pk_add_f32 v[8:9], v[12:13], v[8:9] neg_lo:[0,1] neg_hi:[0,1]
	v_dual_add_f32 v15, v5, v11 :: v_dual_mov_b32 v11, v12
	s_delay_alu instid0(VALU_DEP_1) | instskip(NEXT) | instid1(VALU_DEP_1)
	v_pk_add_f32 v[16:17], v[12:13], v[14:15]
	v_mov_b32_e32 v9, v17
	s_delay_alu instid0(VALU_DEP_1) | instskip(SKIP_2) | instid1(VALU_DEP_3)
	v_pk_add_f32 v[18:19], v[10:11], v[8:9]
	v_mov_b32_e32 v18, v17
	v_pk_add_f32 v[8:9], v[10:11], v[8:9] neg_lo:[0,1] neg_hi:[0,1]
	v_dual_mov_b32 v14, v19 :: v_dual_mov_b32 v9, v19
	s_delay_alu instid0(VALU_DEP_1) | instskip(SKIP_1) | instid1(VALU_DEP_2)
	v_pk_add_f32 v[20:21], v[14:15], v[12:13] neg_lo:[0,1] neg_hi:[0,1]
	v_dual_mov_b32 v13, v12 :: v_dual_mov_b32 v12, v15
	v_dual_mov_b32 v5, v20 :: v_dual_mov_b32 v23, v20
	s_delay_alu instid0(VALU_DEP_1) | instskip(NEXT) | instid1(VALU_DEP_2)
	v_pk_add_f32 v[16:17], v[16:17], v[4:5] neg_lo:[0,1] neg_hi:[0,1]
	v_pk_add_f32 v[10:11], v[18:19], v[22:23] neg_lo:[0,1] neg_hi:[0,1]
	v_mov_b32_e32 v16, v8
	s_delay_alu instid0(VALU_DEP_2) | instskip(NEXT) | instid1(VALU_DEP_1)
	v_pk_add_f32 v[10:11], v[12:13], v[10:11] neg_lo:[0,1] neg_hi:[0,1]
	v_pk_add_f32 v[12:13], v[16:17], v[10:11]
	s_delay_alu instid0(VALU_DEP_1) | instskip(NEXT) | instid1(VALU_DEP_1)
	v_mov_b32_e32 v16, v13
	v_pk_add_f32 v[16:17], v[12:13], v[16:17]
	s_delay_alu instid0(VALU_DEP_1) | instskip(NEXT) | instid1(VALU_DEP_1)
	v_pk_add_f32 v[14:15], v[14:15], v[16:17]
	v_mov_b32_e32 v13, v14
	s_delay_alu instid0(VALU_DEP_1) | instskip(NEXT) | instid1(VALU_DEP_1)
	v_pk_add_f32 v[18:19], v[12:13], v[8:9] neg_lo:[0,1] neg_hi:[0,1]
	v_sub_f32_e32 v5, v12, v18
	s_delay_alu instid0(VALU_DEP_1) | instskip(SKIP_1) | instid1(VALU_DEP_1)
	v_sub_f32_e32 v5, v8, v5
	v_mov_b32_e32 v11, v16
	v_pk_add_f32 v[10:11], v[10:11], v[18:19] neg_lo:[0,1] neg_hi:[0,1]
	s_delay_alu instid0(VALU_DEP_1) | instskip(NEXT) | instid1(VALU_DEP_1)
	v_add_f32_e32 v5, v10, v5
	v_add_f32_e32 v5, v5, v11
	s_delay_alu instid0(VALU_DEP_1) | instskip(NEXT) | instid1(VALU_DEP_1)
	v_add_f32_e32 v5, v14, v5
	v_cndmask_b32_e32 v5, 0x7f800000, v5, vcc_lo
	v_cmp_gt_f32_e64 vcc_lo, 0x33800000, |v7|
	s_delay_alu instid0(VALU_DEP_2) | instskip(NEXT) | instid1(VALU_DEP_1)
	v_cndmask_b32_e32 v5, v5, v7, vcc_lo
	v_div_scale_f32 v7, null, s9, s9, v5
	s_delay_alu instid0(VALU_DEP_1) | instskip(SKIP_1) | instid1(TRANS32_DEP_1)
	v_rcp_f32_e32 v8, v7
	v_nop
	v_fma_f32 v9, -v7, v8, 1.0
	s_delay_alu instid0(VALU_DEP_1) | instskip(SKIP_1) | instid1(VALU_DEP_1)
	v_fmac_f32_e32 v8, v9, v8
	v_div_scale_f32 v9, vcc_lo, v5, s9, v5
	v_mul_f32_e32 v10, v9, v8
	s_delay_alu instid0(VALU_DEP_1) | instskip(NEXT) | instid1(VALU_DEP_1)
	v_fma_f32 v11, -v7, v10, v9
	v_fmac_f32_e32 v10, v11, v8
	s_delay_alu instid0(VALU_DEP_1) | instskip(NEXT) | instid1(VALU_DEP_1)
	v_fma_f32 v7, -v7, v10, v9
	v_div_fmas_f32 v7, v7, v8, v10
	s_delay_alu instid0(VALU_DEP_1)
	v_div_fixup_f32 v5, v7, s9, v5
.LBB32_19:
	s_or_b32 exec_lo, exec_lo, s6
	s_delay_alu instid0(VALU_DEP_1) | instskip(SKIP_1) | instid1(VALU_DEP_2)
	v_bfe_u32 v7, v5, 16, 1
	v_cmp_o_f32_e32 vcc_lo, v5, v5
	v_add3_u32 v7, v5, v7, 0x7fff
	s_delay_alu instid0(VALU_DEP_1) | instskip(NEXT) | instid1(VALU_DEP_1)
	v_lshrrev_b32_e32 v7, 16, v7
	v_cndmask_b32_e32 v7, 0x7fc0, v7, vcc_lo
.LBB32_20:
	s_or_b32 exec_lo, exec_lo, s3
	v_or_b32_e32 v5, 0x300, v0
	s_delay_alu instid0(VALU_DEP_1)
	v_cmp_gt_i32_e32 vcc_lo, s2, v5
                                        ; implicit-def: $vgpr5
	s_and_saveexec_b32 s3, vcc_lo
	s_cbranch_execz .LBB32_28
; %bb.21:
	v_mul_f32_e32 v5, s9, v3
	s_mov_b32 s6, exec_lo
	s_delay_alu instid0(VALU_DEP_1)
	v_cmpx_nlt_f32_e32 s10, v5
	s_cbranch_execz .LBB32_23
; %bb.22:
	v_mul_f32_e32 v3, 0x3fb8aa3b, v5
	v_cmp_ngt_f32_e32 vcc_lo, 0xc2ce8ed0, v5
	s_mov_b32 s7, 0x3e9b6dac
	s_delay_alu instid0(VALU_DEP_2) | instskip(SKIP_1) | instid1(VALU_DEP_2)
	v_rndne_f32_e32 v8, v3
	v_fma_f32 v9, 0x3fb8aa3b, v5, -v3
	v_sub_f32_e32 v3, v3, v8
	s_delay_alu instid0(VALU_DEP_2) | instskip(SKIP_1) | instid1(VALU_DEP_2)
	v_fmamk_f32 v9, v5, 0x32a5705f, v9
	v_cvt_i32_f32_e32 v8, v8
	v_add_f32_e32 v3, v3, v9
	s_delay_alu instid0(VALU_DEP_1) | instskip(SKIP_1) | instid1(TRANS32_DEP_1)
	v_exp_f32_e32 v3, v3
	v_nop
	v_ldexp_f32 v3, v3, v8
	s_delay_alu instid0(VALU_DEP_1) | instskip(SKIP_1) | instid1(VALU_DEP_2)
	v_cndmask_b32_e32 v3, 0, v3, vcc_lo
	v_cmp_nlt_f32_e32 vcc_lo, 0x42b17218, v5
	v_cndmask_b32_e32 v5, 0x7f800000, v3, vcc_lo
	s_delay_alu instid0(VALU_DEP_1) | instskip(NEXT) | instid1(VALU_DEP_1)
	v_add_f32_e32 v3, 1.0, v5
	v_cvt_f64_f32_e32 v[8:9], v3
	s_delay_alu instid0(VALU_DEP_1) | instskip(SKIP_1) | instid1(VALU_DEP_1)
	v_frexp_exp_i32_f64_e32 v8, v[8:9]
	v_frexp_mant_f32_e32 v9, v3
	v_cmp_gt_f32_e32 vcc_lo, 0x3f2aaaab, v9
	s_delay_alu instid0(VALU_DEP_3) | instskip(NEXT) | instid1(VALU_DEP_1)
	v_subrev_co_ci_u32_e64 v14, null, 0, v8, vcc_lo
	v_dual_add_f32 v8, -1.0, v3 :: v_dual_sub_nc_u32 v9, 0, v14
	s_delay_alu instid0(VALU_DEP_1) | instskip(SKIP_1) | instid1(VALU_DEP_3)
	v_dual_sub_f32 v10, v8, v3 :: v_dual_sub_f32 v8, v5, v8
	v_cmp_neq_f32_e32 vcc_lo, 0x7f800000, v5
	v_ldexp_f32 v3, v3, v9
	s_delay_alu instid0(VALU_DEP_1) | instskip(NEXT) | instid1(VALU_DEP_1)
	v_dual_add_f32 v10, 1.0, v10 :: v_dual_add_f32 v11, 1.0, v3
	v_dual_add_f32 v13, -1.0, v3 :: v_dual_add_f32 v8, v8, v10
	s_delay_alu instid0(VALU_DEP_2) | instskip(NEXT) | instid1(VALU_DEP_2)
	v_add_f32_e32 v10, -1.0, v11
	v_ldexp_f32 v8, v8, v9
	s_delay_alu instid0(VALU_DEP_2) | instskip(NEXT) | instid1(VALU_DEP_1)
	v_dual_sub_f32 v9, v3, v10 :: v_dual_add_f32 v10, 1.0, v13
	v_dual_add_f32 v12, v8, v9 :: v_dual_sub_f32 v3, v3, v10
	s_delay_alu instid0(VALU_DEP_1) | instskip(NEXT) | instid1(VALU_DEP_1)
	v_dual_add_f32 v15, v11, v12 :: v_dual_add_f32 v3, v8, v3
	v_rcp_f32_e32 v16, v15
	s_delay_alu instid0(VALU_DEP_1)
	v_add_f32_e32 v9, v13, v3
	s_delay_alu instid0(TRANS32_DEP_1) | instid1(VALU_DEP_1)
	v_dual_sub_f32 v8, v11, v15 :: v_dual_mul_f32 v17, v9, v16
	s_delay_alu instid0(VALU_DEP_1) | instskip(SKIP_1) | instid1(VALU_DEP_2)
	v_dual_mul_f32 v10, v15, v17 :: v_dual_add_f32 v18, v12, v8
	v_sub_f32_e32 v19, v13, v9
	v_fma_f32 v12, v17, v15, -v10
	s_delay_alu instid0(VALU_DEP_1) | instskip(NEXT) | instid1(VALU_DEP_1)
	v_dual_add_f32 v3, v3, v19 :: v_dual_fmac_f32 v12, v17, v18
	v_add_f32_e32 v8, v10, v12
	s_delay_alu instid0(VALU_DEP_1) | instskip(NEXT) | instid1(VALU_DEP_1)
	v_dual_sub_f32 v11, v9, v8 :: v_dual_mov_b32 v13, v8
	v_pk_add_f32 v[8:9], v[8:9], v[10:11] neg_lo:[0,1] neg_hi:[0,1]
	s_delay_alu instid0(VALU_DEP_1) | instskip(NEXT) | instid1(VALU_DEP_1)
	v_pk_add_f32 v[8:9], v[8:9], v[12:13] neg_lo:[0,1] neg_hi:[0,1]
	v_add_f32_e32 v3, v3, v9
	s_delay_alu instid0(VALU_DEP_1) | instskip(NEXT) | instid1(VALU_DEP_1)
	v_add_f32_e32 v3, v8, v3
	v_add_f32_e32 v9, v11, v3
	s_delay_alu instid0(VALU_DEP_1) | instskip(NEXT) | instid1(VALU_DEP_1)
	v_mul_f32_e32 v19, v16, v9
	v_mul_f32_e32 v12, v15, v19
	s_delay_alu instid0(VALU_DEP_1) | instskip(NEXT) | instid1(VALU_DEP_1)
	v_fma_f32 v10, v19, v15, -v12
	v_fmac_f32_e32 v10, v19, v18
	s_delay_alu instid0(VALU_DEP_1) | instskip(NEXT) | instid1(VALU_DEP_1)
	v_dual_add_f32 v8, v12, v10 :: v_dual_sub_f32 v15, v11, v9
	v_dual_sub_f32 v13, v9, v8 :: v_dual_mov_b32 v11, v8
	s_delay_alu instid0(VALU_DEP_1) | instskip(SKIP_1) | instid1(VALU_DEP_4)
	v_pk_add_f32 v[8:9], v[8:9], v[12:13] neg_lo:[0,1] neg_hi:[0,1]
	v_add_f32_e32 v12, v17, v19
	v_add_f32_e32 v3, v3, v15
	s_delay_alu instid0(VALU_DEP_3) | instskip(SKIP_1) | instid1(VALU_DEP_2)
	v_pk_add_f32 v[8:9], v[8:9], v[10:11] neg_lo:[0,1] neg_hi:[0,1]
	v_cvt_f32_i32_e32 v10, v14
	v_add_f32_e32 v3, v3, v9
	s_delay_alu instid0(VALU_DEP_1) | instskip(SKIP_1) | instid1(VALU_DEP_1)
	v_add_f32_e32 v3, v8, v3
	v_sub_f32_e32 v8, v12, v17
	v_dual_sub_f32 v8, v19, v8 :: v_dual_add_f32 v3, v13, v3
	s_delay_alu instid0(VALU_DEP_1) | instskip(NEXT) | instid1(VALU_DEP_1)
	v_mul_f32_e32 v3, v16, v3
	v_dual_add_f32 v3, v8, v3 :: v_dual_mov_b32 v8, 0x3f317218
	s_delay_alu instid0(VALU_DEP_1) | instskip(NEXT) | instid1(VALU_DEP_1)
	v_add_f32_e32 v13, v12, v3
	v_mul_f32_e32 v9, v13, v13
	s_delay_alu instid0(VALU_DEP_1) | instskip(SKIP_1) | instid1(VALU_DEP_2)
	v_fmaak_f32 v15, s7, v9, 0x3ecc95a3
	v_mul_f32_e32 v11, v13, v9
	v_fmaak_f32 v9, v9, v15, 0x3f2aaada
	s_delay_alu instid0(VALU_DEP_1) | instskip(NEXT) | instid1(VALU_DEP_1)
	v_pk_mul_f32 v[8:9], v[10:11], v[8:9]
	v_fma_f32 v14, 0x3f317218, v10, -v8
	s_delay_alu instid0(VALU_DEP_1) | instskip(SKIP_1) | instid1(VALU_DEP_1)
	v_fmamk_f32 v10, v10, 0xb102e308, v14
	v_sub_f32_e32 v14, v13, v12
	v_sub_f32_e32 v3, v3, v14
	v_ldexp_f32 v11, v13, 1
	v_mov_b32_e32 v14, v8
	s_delay_alu instid0(VALU_DEP_3) | instskip(NEXT) | instid1(VALU_DEP_3)
	v_ldexp_f32 v3, v3, 1
	v_pk_add_f32 v[12:13], v[8:9], v[10:11]
	s_delay_alu instid0(VALU_DEP_1) | instskip(NEXT) | instid1(VALU_DEP_1)
	v_dual_sub_f32 v11, v13, v11 :: v_dual_mov_b32 v22, v13
	v_sub_f32_e32 v11, v9, v11
	s_delay_alu instid0(VALU_DEP_3) | instskip(NEXT) | instid1(VALU_DEP_2)
	v_pk_add_f32 v[8:9], v[12:13], v[8:9] neg_lo:[0,1] neg_hi:[0,1]
	v_dual_add_f32 v15, v3, v11 :: v_dual_mov_b32 v11, v12
	s_delay_alu instid0(VALU_DEP_1) | instskip(NEXT) | instid1(VALU_DEP_1)
	v_pk_add_f32 v[16:17], v[12:13], v[14:15]
	v_mov_b32_e32 v9, v17
	s_delay_alu instid0(VALU_DEP_1) | instskip(SKIP_2) | instid1(VALU_DEP_3)
	v_pk_add_f32 v[18:19], v[10:11], v[8:9]
	v_mov_b32_e32 v18, v17
	v_pk_add_f32 v[8:9], v[10:11], v[8:9] neg_lo:[0,1] neg_hi:[0,1]
	v_dual_mov_b32 v14, v19 :: v_dual_mov_b32 v9, v19
	s_delay_alu instid0(VALU_DEP_1) | instskip(SKIP_1) | instid1(VALU_DEP_2)
	v_pk_add_f32 v[20:21], v[14:15], v[12:13] neg_lo:[0,1] neg_hi:[0,1]
	v_dual_mov_b32 v13, v12 :: v_dual_mov_b32 v12, v15
	v_dual_mov_b32 v3, v20 :: v_dual_mov_b32 v23, v20
	s_delay_alu instid0(VALU_DEP_1) | instskip(NEXT) | instid1(VALU_DEP_2)
	v_pk_add_f32 v[16:17], v[16:17], v[2:3] neg_lo:[0,1] neg_hi:[0,1]
	v_pk_add_f32 v[10:11], v[18:19], v[22:23] neg_lo:[0,1] neg_hi:[0,1]
	v_mov_b32_e32 v16, v8
	s_delay_alu instid0(VALU_DEP_2) | instskip(NEXT) | instid1(VALU_DEP_1)
	v_pk_add_f32 v[10:11], v[12:13], v[10:11] neg_lo:[0,1] neg_hi:[0,1]
	v_pk_add_f32 v[12:13], v[16:17], v[10:11]
	s_delay_alu instid0(VALU_DEP_1) | instskip(NEXT) | instid1(VALU_DEP_1)
	v_mov_b32_e32 v16, v13
	v_pk_add_f32 v[16:17], v[12:13], v[16:17]
	s_delay_alu instid0(VALU_DEP_1) | instskip(NEXT) | instid1(VALU_DEP_1)
	v_pk_add_f32 v[14:15], v[14:15], v[16:17]
	v_mov_b32_e32 v13, v14
	s_delay_alu instid0(VALU_DEP_1) | instskip(NEXT) | instid1(VALU_DEP_1)
	v_pk_add_f32 v[18:19], v[12:13], v[8:9] neg_lo:[0,1] neg_hi:[0,1]
	v_sub_f32_e32 v3, v12, v18
	s_delay_alu instid0(VALU_DEP_1) | instskip(SKIP_1) | instid1(VALU_DEP_1)
	v_sub_f32_e32 v3, v8, v3
	v_mov_b32_e32 v11, v16
	v_pk_add_f32 v[10:11], v[10:11], v[18:19] neg_lo:[0,1] neg_hi:[0,1]
	s_delay_alu instid0(VALU_DEP_1) | instskip(NEXT) | instid1(VALU_DEP_1)
	v_add_f32_e32 v3, v10, v3
	v_add_f32_e32 v3, v3, v11
	s_delay_alu instid0(VALU_DEP_1) | instskip(NEXT) | instid1(VALU_DEP_1)
	v_add_f32_e32 v3, v14, v3
	v_cndmask_b32_e32 v3, 0x7f800000, v3, vcc_lo
	v_cmp_gt_f32_e64 vcc_lo, 0x33800000, |v5|
	s_delay_alu instid0(VALU_DEP_2) | instskip(NEXT) | instid1(VALU_DEP_1)
	v_cndmask_b32_e32 v3, v3, v5, vcc_lo
	v_div_scale_f32 v5, null, s9, s9, v3
	s_delay_alu instid0(VALU_DEP_1) | instskip(SKIP_1) | instid1(TRANS32_DEP_1)
	v_rcp_f32_e32 v8, v5
	v_nop
	v_fma_f32 v9, -v5, v8, 1.0
	s_delay_alu instid0(VALU_DEP_1) | instskip(SKIP_1) | instid1(VALU_DEP_1)
	v_fmac_f32_e32 v8, v9, v8
	v_div_scale_f32 v9, vcc_lo, v3, s9, v3
	v_mul_f32_e32 v10, v9, v8
	s_delay_alu instid0(VALU_DEP_1) | instskip(NEXT) | instid1(VALU_DEP_1)
	v_fma_f32 v11, -v5, v10, v9
	v_fmac_f32_e32 v10, v11, v8
	s_delay_alu instid0(VALU_DEP_1) | instskip(NEXT) | instid1(VALU_DEP_1)
	v_fma_f32 v5, -v5, v10, v9
	v_div_fmas_f32 v5, v5, v8, v10
	s_delay_alu instid0(VALU_DEP_1)
	v_div_fixup_f32 v3, v5, s9, v3
.LBB32_23:
	s_or_b32 exec_lo, exec_lo, s6
	s_delay_alu instid0(VALU_DEP_1) | instskip(SKIP_1) | instid1(VALU_DEP_2)
	v_bfe_u32 v5, v3, 16, 1
	v_cmp_o_f32_e32 vcc_lo, v3, v3
	v_add3_u32 v5, v3, v5, 0x7fff
	s_delay_alu instid0(VALU_DEP_1) | instskip(NEXT) | instid1(VALU_DEP_1)
	v_lshrrev_b32_e32 v5, 16, v5
	v_cndmask_b32_e32 v5, 0x7fc0, v5, vcc_lo
	s_or_b32 exec_lo, exec_lo, s3
	s_and_saveexec_b32 s3, s0
	s_delay_alu instid0(SALU_CYCLE_1)
	s_xor_b32 s0, exec_lo, s3
	s_cbranch_execnz .LBB32_29
.LBB32_24:
	s_or_b32 exec_lo, exec_lo, s0
	s_delay_alu instid0(SALU_CYCLE_1)
	s_mov_b32 s0, exec_lo
	v_cmpx_gt_i32_e64 s2, v0
	s_cbranch_execz .LBB32_30
.LBB32_25:
	v_add_nc_u32_e32 v1, 0x100, v0
	s_delay_alu instid0(VALU_DEP_1) | instskip(SKIP_3) | instid1(SALU_CYCLE_1)
	v_dual_add_nc_u32 v2, s1, v0 :: v_dual_mov_b32 v0, v1
	global_store_b16 v2, v6, s[4:5] scale_offset
	s_wait_xcnt 0x0
	s_or_b32 exec_lo, exec_lo, s0
	s_mov_b32 s0, exec_lo
	v_cmpx_gt_i32_e64 s2, v0
	s_cbranch_execnz .LBB32_31
.LBB32_26:
	s_or_b32 exec_lo, exec_lo, s0
	s_delay_alu instid0(SALU_CYCLE_1)
	s_mov_b32 s0, exec_lo
	v_cmpx_gt_i32_e64 s2, v0
	s_cbranch_execz .LBB32_32
.LBB32_27:
	v_add_nc_u32_e32 v0, s1, v0
	global_store_b16 v0, v5, s[4:5] scale_offset
	s_endpgm
.LBB32_28:
	s_or_b32 exec_lo, exec_lo, s3
	s_and_saveexec_b32 s3, s0
	s_delay_alu instid0(SALU_CYCLE_1)
	s_xor_b32 s0, exec_lo, s3
	s_cbranch_execz .LBB32_24
.LBB32_29:
	v_mov_b32_e32 v0, v1
	global_store_b16 v2, v4, s[4:5] scale_offset
	s_wait_xcnt 0x0
	s_or_b32 exec_lo, exec_lo, s0
	s_delay_alu instid0(SALU_CYCLE_1)
	s_mov_b32 s0, exec_lo
	v_cmpx_gt_i32_e64 s2, v0
	s_cbranch_execnz .LBB32_25
.LBB32_30:
	s_or_b32 exec_lo, exec_lo, s0
	s_delay_alu instid0(SALU_CYCLE_1)
	s_mov_b32 s0, exec_lo
	v_cmpx_gt_i32_e64 s2, v0
	s_cbranch_execz .LBB32_26
.LBB32_31:
	v_add_nc_u32_e32 v1, 0x100, v0
	s_delay_alu instid0(VALU_DEP_1) | instskip(SKIP_3) | instid1(SALU_CYCLE_1)
	v_dual_add_nc_u32 v2, s1, v0 :: v_dual_mov_b32 v0, v1
	global_store_b16 v2, v7, s[4:5] scale_offset
	s_wait_xcnt 0x0
	s_or_b32 exec_lo, exec_lo, s0
	s_mov_b32 s0, exec_lo
	v_cmpx_gt_i32_e64 s2, v0
	s_cbranch_execnz .LBB32_27
.LBB32_32:
	s_endpgm
	.section	.rodata,"a",@progbits
	.p2align	6, 0x0
	.amdhsa_kernel _ZN2at6native27unrolled_elementwise_kernelIZZZNS0_12_GLOBAL__N_115softplus_kernelERNS_18TensorIteratorBaseERKN3c106ScalarES8_ENKUlvE_clEvENKUlvE2_clEvEUlNS5_8BFloat16EE_St5arrayIPcLm2EELi4E23TrivialOffsetCalculatorILi1EjESH_NS0_6memory15LoadWithoutCastENSI_16StoreWithoutCastEEEviT_T0_T2_T3_T4_T5_
		.amdhsa_group_segment_fixed_size 0
		.amdhsa_private_segment_fixed_size 0
		.amdhsa_kernarg_size 36
		.amdhsa_user_sgpr_count 2
		.amdhsa_user_sgpr_dispatch_ptr 0
		.amdhsa_user_sgpr_queue_ptr 0
		.amdhsa_user_sgpr_kernarg_segment_ptr 1
		.amdhsa_user_sgpr_dispatch_id 0
		.amdhsa_user_sgpr_kernarg_preload_length 0
		.amdhsa_user_sgpr_kernarg_preload_offset 0
		.amdhsa_user_sgpr_private_segment_size 0
		.amdhsa_wavefront_size32 1
		.amdhsa_uses_dynamic_stack 0
		.amdhsa_enable_private_segment 0
		.amdhsa_system_sgpr_workgroup_id_x 1
		.amdhsa_system_sgpr_workgroup_id_y 0
		.amdhsa_system_sgpr_workgroup_id_z 0
		.amdhsa_system_sgpr_workgroup_info 0
		.amdhsa_system_vgpr_workitem_id 0
		.amdhsa_next_free_vgpr 25
		.amdhsa_next_free_sgpr 11
		.amdhsa_named_barrier_count 0
		.amdhsa_reserve_vcc 1
		.amdhsa_float_round_mode_32 0
		.amdhsa_float_round_mode_16_64 0
		.amdhsa_float_denorm_mode_32 3
		.amdhsa_float_denorm_mode_16_64 3
		.amdhsa_fp16_overflow 0
		.amdhsa_memory_ordered 1
		.amdhsa_forward_progress 1
		.amdhsa_inst_pref_size 40
		.amdhsa_round_robin_scheduling 0
		.amdhsa_exception_fp_ieee_invalid_op 0
		.amdhsa_exception_fp_denorm_src 0
		.amdhsa_exception_fp_ieee_div_zero 0
		.amdhsa_exception_fp_ieee_overflow 0
		.amdhsa_exception_fp_ieee_underflow 0
		.amdhsa_exception_fp_ieee_inexact 0
		.amdhsa_exception_int_div_zero 0
	.end_amdhsa_kernel
	.section	.text._ZN2at6native27unrolled_elementwise_kernelIZZZNS0_12_GLOBAL__N_115softplus_kernelERNS_18TensorIteratorBaseERKN3c106ScalarES8_ENKUlvE_clEvENKUlvE2_clEvEUlNS5_8BFloat16EE_St5arrayIPcLm2EELi4E23TrivialOffsetCalculatorILi1EjESH_NS0_6memory15LoadWithoutCastENSI_16StoreWithoutCastEEEviT_T0_T2_T3_T4_T5_,"axG",@progbits,_ZN2at6native27unrolled_elementwise_kernelIZZZNS0_12_GLOBAL__N_115softplus_kernelERNS_18TensorIteratorBaseERKN3c106ScalarES8_ENKUlvE_clEvENKUlvE2_clEvEUlNS5_8BFloat16EE_St5arrayIPcLm2EELi4E23TrivialOffsetCalculatorILi1EjESH_NS0_6memory15LoadWithoutCastENSI_16StoreWithoutCastEEEviT_T0_T2_T3_T4_T5_,comdat
.Lfunc_end32:
	.size	_ZN2at6native27unrolled_elementwise_kernelIZZZNS0_12_GLOBAL__N_115softplus_kernelERNS_18TensorIteratorBaseERKN3c106ScalarES8_ENKUlvE_clEvENKUlvE2_clEvEUlNS5_8BFloat16EE_St5arrayIPcLm2EELi4E23TrivialOffsetCalculatorILi1EjESH_NS0_6memory15LoadWithoutCastENSI_16StoreWithoutCastEEEviT_T0_T2_T3_T4_T5_, .Lfunc_end32-_ZN2at6native27unrolled_elementwise_kernelIZZZNS0_12_GLOBAL__N_115softplus_kernelERNS_18TensorIteratorBaseERKN3c106ScalarES8_ENKUlvE_clEvENKUlvE2_clEvEUlNS5_8BFloat16EE_St5arrayIPcLm2EELi4E23TrivialOffsetCalculatorILi1EjESH_NS0_6memory15LoadWithoutCastENSI_16StoreWithoutCastEEEviT_T0_T2_T3_T4_T5_
                                        ; -- End function
	.set _ZN2at6native27unrolled_elementwise_kernelIZZZNS0_12_GLOBAL__N_115softplus_kernelERNS_18TensorIteratorBaseERKN3c106ScalarES8_ENKUlvE_clEvENKUlvE2_clEvEUlNS5_8BFloat16EE_St5arrayIPcLm2EELi4E23TrivialOffsetCalculatorILi1EjESH_NS0_6memory15LoadWithoutCastENSI_16StoreWithoutCastEEEviT_T0_T2_T3_T4_T5_.num_vgpr, 25
	.set _ZN2at6native27unrolled_elementwise_kernelIZZZNS0_12_GLOBAL__N_115softplus_kernelERNS_18TensorIteratorBaseERKN3c106ScalarES8_ENKUlvE_clEvENKUlvE2_clEvEUlNS5_8BFloat16EE_St5arrayIPcLm2EELi4E23TrivialOffsetCalculatorILi1EjESH_NS0_6memory15LoadWithoutCastENSI_16StoreWithoutCastEEEviT_T0_T2_T3_T4_T5_.num_agpr, 0
	.set _ZN2at6native27unrolled_elementwise_kernelIZZZNS0_12_GLOBAL__N_115softplus_kernelERNS_18TensorIteratorBaseERKN3c106ScalarES8_ENKUlvE_clEvENKUlvE2_clEvEUlNS5_8BFloat16EE_St5arrayIPcLm2EELi4E23TrivialOffsetCalculatorILi1EjESH_NS0_6memory15LoadWithoutCastENSI_16StoreWithoutCastEEEviT_T0_T2_T3_T4_T5_.numbered_sgpr, 11
	.set _ZN2at6native27unrolled_elementwise_kernelIZZZNS0_12_GLOBAL__N_115softplus_kernelERNS_18TensorIteratorBaseERKN3c106ScalarES8_ENKUlvE_clEvENKUlvE2_clEvEUlNS5_8BFloat16EE_St5arrayIPcLm2EELi4E23TrivialOffsetCalculatorILi1EjESH_NS0_6memory15LoadWithoutCastENSI_16StoreWithoutCastEEEviT_T0_T2_T3_T4_T5_.num_named_barrier, 0
	.set _ZN2at6native27unrolled_elementwise_kernelIZZZNS0_12_GLOBAL__N_115softplus_kernelERNS_18TensorIteratorBaseERKN3c106ScalarES8_ENKUlvE_clEvENKUlvE2_clEvEUlNS5_8BFloat16EE_St5arrayIPcLm2EELi4E23TrivialOffsetCalculatorILi1EjESH_NS0_6memory15LoadWithoutCastENSI_16StoreWithoutCastEEEviT_T0_T2_T3_T4_T5_.private_seg_size, 0
	.set _ZN2at6native27unrolled_elementwise_kernelIZZZNS0_12_GLOBAL__N_115softplus_kernelERNS_18TensorIteratorBaseERKN3c106ScalarES8_ENKUlvE_clEvENKUlvE2_clEvEUlNS5_8BFloat16EE_St5arrayIPcLm2EELi4E23TrivialOffsetCalculatorILi1EjESH_NS0_6memory15LoadWithoutCastENSI_16StoreWithoutCastEEEviT_T0_T2_T3_T4_T5_.uses_vcc, 1
	.set _ZN2at6native27unrolled_elementwise_kernelIZZZNS0_12_GLOBAL__N_115softplus_kernelERNS_18TensorIteratorBaseERKN3c106ScalarES8_ENKUlvE_clEvENKUlvE2_clEvEUlNS5_8BFloat16EE_St5arrayIPcLm2EELi4E23TrivialOffsetCalculatorILi1EjESH_NS0_6memory15LoadWithoutCastENSI_16StoreWithoutCastEEEviT_T0_T2_T3_T4_T5_.uses_flat_scratch, 0
	.set _ZN2at6native27unrolled_elementwise_kernelIZZZNS0_12_GLOBAL__N_115softplus_kernelERNS_18TensorIteratorBaseERKN3c106ScalarES8_ENKUlvE_clEvENKUlvE2_clEvEUlNS5_8BFloat16EE_St5arrayIPcLm2EELi4E23TrivialOffsetCalculatorILi1EjESH_NS0_6memory15LoadWithoutCastENSI_16StoreWithoutCastEEEviT_T0_T2_T3_T4_T5_.has_dyn_sized_stack, 0
	.set _ZN2at6native27unrolled_elementwise_kernelIZZZNS0_12_GLOBAL__N_115softplus_kernelERNS_18TensorIteratorBaseERKN3c106ScalarES8_ENKUlvE_clEvENKUlvE2_clEvEUlNS5_8BFloat16EE_St5arrayIPcLm2EELi4E23TrivialOffsetCalculatorILi1EjESH_NS0_6memory15LoadWithoutCastENSI_16StoreWithoutCastEEEviT_T0_T2_T3_T4_T5_.has_recursion, 0
	.set _ZN2at6native27unrolled_elementwise_kernelIZZZNS0_12_GLOBAL__N_115softplus_kernelERNS_18TensorIteratorBaseERKN3c106ScalarES8_ENKUlvE_clEvENKUlvE2_clEvEUlNS5_8BFloat16EE_St5arrayIPcLm2EELi4E23TrivialOffsetCalculatorILi1EjESH_NS0_6memory15LoadWithoutCastENSI_16StoreWithoutCastEEEviT_T0_T2_T3_T4_T5_.has_indirect_call, 0
	.section	.AMDGPU.csdata,"",@progbits
; Kernel info:
; codeLenInByte = 5084
; TotalNumSgprs: 13
; NumVgprs: 25
; ScratchSize: 0
; MemoryBound: 0
; FloatMode: 240
; IeeeMode: 1
; LDSByteSize: 0 bytes/workgroup (compile time only)
; SGPRBlocks: 0
; VGPRBlocks: 1
; NumSGPRsForWavesPerEU: 13
; NumVGPRsForWavesPerEU: 25
; NamedBarCnt: 0
; Occupancy: 16
; WaveLimiterHint : 0
; COMPUTE_PGM_RSRC2:SCRATCH_EN: 0
; COMPUTE_PGM_RSRC2:USER_SGPR: 2
; COMPUTE_PGM_RSRC2:TRAP_HANDLER: 0
; COMPUTE_PGM_RSRC2:TGID_X_EN: 1
; COMPUTE_PGM_RSRC2:TGID_Y_EN: 0
; COMPUTE_PGM_RSRC2:TGID_Z_EN: 0
; COMPUTE_PGM_RSRC2:TIDIG_COMP_CNT: 0
	.section	.text._ZN2at6native32elementwise_kernel_manual_unrollILi128ELi8EZNS0_22gpu_kernel_impl_nocastIZZZNS0_12_GLOBAL__N_115softplus_kernelERNS_18TensorIteratorBaseERKN3c106ScalarES9_ENKUlvE_clEvENKUlvE2_clEvEUlNS6_8BFloat16EE_EEvS5_RKT_EUlibE_EEviT1_,"axG",@progbits,_ZN2at6native32elementwise_kernel_manual_unrollILi128ELi8EZNS0_22gpu_kernel_impl_nocastIZZZNS0_12_GLOBAL__N_115softplus_kernelERNS_18TensorIteratorBaseERKN3c106ScalarES9_ENKUlvE_clEvENKUlvE2_clEvEUlNS6_8BFloat16EE_EEvS5_RKT_EUlibE_EEviT1_,comdat
	.globl	_ZN2at6native32elementwise_kernel_manual_unrollILi128ELi8EZNS0_22gpu_kernel_impl_nocastIZZZNS0_12_GLOBAL__N_115softplus_kernelERNS_18TensorIteratorBaseERKN3c106ScalarES9_ENKUlvE_clEvENKUlvE2_clEvEUlNS6_8BFloat16EE_EEvS5_RKT_EUlibE_EEviT1_ ; -- Begin function _ZN2at6native32elementwise_kernel_manual_unrollILi128ELi8EZNS0_22gpu_kernel_impl_nocastIZZZNS0_12_GLOBAL__N_115softplus_kernelERNS_18TensorIteratorBaseERKN3c106ScalarES9_ENKUlvE_clEvENKUlvE2_clEvEUlNS6_8BFloat16EE_EEvS5_RKT_EUlibE_EEviT1_
	.p2align	8
	.type	_ZN2at6native32elementwise_kernel_manual_unrollILi128ELi8EZNS0_22gpu_kernel_impl_nocastIZZZNS0_12_GLOBAL__N_115softplus_kernelERNS_18TensorIteratorBaseERKN3c106ScalarES9_ENKUlvE_clEvENKUlvE2_clEvEUlNS6_8BFloat16EE_EEvS5_RKT_EUlibE_EEviT1_,@function
_ZN2at6native32elementwise_kernel_manual_unrollILi128ELi8EZNS0_22gpu_kernel_impl_nocastIZZZNS0_12_GLOBAL__N_115softplus_kernelERNS_18TensorIteratorBaseERKN3c106ScalarES9_ENKUlvE_clEvENKUlvE2_clEvEUlNS6_8BFloat16EE_EEvS5_RKT_EUlibE_EEviT1_: ; @_ZN2at6native32elementwise_kernel_manual_unrollILi128ELi8EZNS0_22gpu_kernel_impl_nocastIZZZNS0_12_GLOBAL__N_115softplus_kernelERNS_18TensorIteratorBaseERKN3c106ScalarES9_ENKUlvE_clEvENKUlvE2_clEvEUlNS6_8BFloat16EE_EEvS5_RKT_EUlibE_EEviT1_
; %bb.0:
	s_clause 0x1
	s_load_b32 s30, s[0:1], 0x8
	s_load_b32 s36, s[0:1], 0x0
	s_bfe_u32 s2, ttmp6, 0x4000c
	s_and_b32 s3, ttmp6, 15
	s_add_co_i32 s2, s2, 1
	s_getreg_b32 s4, hwreg(HW_REG_IB_STS2, 6, 4)
	s_mul_i32 s2, ttmp9, s2
	s_add_nc_u64 s[12:13], s[0:1], 8
	s_add_co_i32 s3, s3, s2
	s_cmp_eq_u32 s4, 0
	s_mov_b32 s19, 0
	s_cselect_b32 s2, ttmp9, s3
	s_wait_xcnt 0x0
	s_mov_b32 s0, exec_lo
	v_lshl_or_b32 v0, s2, 10, v0
	s_delay_alu instid0(VALU_DEP_1) | instskip(SKIP_2) | instid1(SALU_CYCLE_1)
	v_or_b32_e32 v16, 0x380, v0
	s_wait_kmcnt 0x0
	s_add_co_i32 s31, s30, -1
	s_cmp_gt_u32 s31, 1
	s_cselect_b32 s33, -1, 0
	v_cmpx_le_i32_e64 s36, v16
	s_xor_b32 s34, exec_lo, s0
	s_cbranch_execz .LBB33_7
; %bb.1:
	s_clause 0x4
	s_load_b128 s[4:7], s[12:13], 0x4
	s_load_b64 s[16:17], s[12:13], 0x14
	s_load_b128 s[8:11], s[12:13], 0xc4
	s_load_b128 s[0:3], s[12:13], 0x148
	s_load_b64 s[14:15], s[12:13], 0x158
	s_cmp_lg_u32 s30, 0
	s_add_nc_u64 s[22:23], s[12:13], 0xc4
	s_cselect_b32 s38, -1, 0
	s_min_u32 s37, s31, 15
	s_cmp_gt_u32 s30, 1
	s_mov_b32 s21, s19
	s_cselect_b32 s35, -1, 0
	s_wait_kmcnt 0x0
	s_mov_b32 s18, s5
	s_mov_b32 s20, s16
	s_mov_b32 s5, exec_lo
	v_cmpx_gt_i32_e64 s36, v0
	s_cbranch_execz .LBB33_14
; %bb.2:
	s_and_not1_b32 vcc_lo, exec_lo, s33
	s_cbranch_vccnz .LBB33_21
; %bb.3:
	s_and_not1_b32 vcc_lo, exec_lo, s38
	s_cbranch_vccnz .LBB33_145
; %bb.4:
	s_add_co_i32 s16, s37, 1
	s_cmp_eq_u32 s31, 2
	s_cbranch_scc1 .LBB33_147
; %bb.5:
	v_dual_mov_b32 v2, 0 :: v_dual_mov_b32 v3, 0
	v_mov_b32_e32 v1, v0
	s_and_b32 s24, s16, 28
	s_mov_b32 s25, 0
	s_mov_b64 s[26:27], s[12:13]
	s_mov_b64 s[28:29], s[22:23]
.LBB33_6:                               ; =>This Inner Loop Header: Depth=1
	s_clause 0x1
	s_load_b256 s[40:47], s[26:27], 0x4
	s_load_b128 s[56:59], s[26:27], 0x24
	s_load_b256 s[48:55], s[28:29], 0x0
	s_add_co_i32 s25, s25, 4
	s_wait_xcnt 0x0
	s_add_nc_u64 s[26:27], s[26:27], 48
	s_cmp_lg_u32 s24, s25
	s_add_nc_u64 s[28:29], s[28:29], 32
	s_wait_kmcnt 0x0
	v_mul_hi_u32 v4, s41, v1
	s_delay_alu instid0(VALU_DEP_1) | instskip(NEXT) | instid1(VALU_DEP_1)
	v_add_nc_u32_e32 v4, v1, v4
	v_lshrrev_b32_e32 v4, s42, v4
	s_delay_alu instid0(VALU_DEP_1) | instskip(NEXT) | instid1(VALU_DEP_1)
	v_mul_hi_u32 v5, s44, v4
	v_add_nc_u32_e32 v5, v4, v5
	s_delay_alu instid0(VALU_DEP_1) | instskip(NEXT) | instid1(VALU_DEP_1)
	v_lshrrev_b32_e32 v5, s45, v5
	v_mul_hi_u32 v6, s47, v5
	s_delay_alu instid0(VALU_DEP_1) | instskip(SKIP_1) | instid1(VALU_DEP_1)
	v_add_nc_u32_e32 v6, v5, v6
	v_mul_lo_u32 v7, v4, s40
	v_sub_nc_u32_e32 v1, v1, v7
	v_mul_lo_u32 v7, v5, s43
	s_delay_alu instid0(VALU_DEP_4) | instskip(NEXT) | instid1(VALU_DEP_3)
	v_lshrrev_b32_e32 v6, s56, v6
	v_mad_u32 v3, v1, s49, v3
	v_mad_u32 v1, v1, s48, v2
	s_delay_alu instid0(VALU_DEP_4) | instskip(NEXT) | instid1(VALU_DEP_4)
	v_sub_nc_u32_e32 v2, v4, v7
	v_mul_hi_u32 v8, s58, v6
	v_mul_lo_u32 v4, v6, s46
	s_delay_alu instid0(VALU_DEP_3) | instskip(SKIP_1) | instid1(VALU_DEP_4)
	v_mad_u32 v3, v2, s51, v3
	v_mad_u32 v2, v2, s50, v1
	v_add_nc_u32_e32 v7, v6, v8
	s_delay_alu instid0(VALU_DEP_1) | instskip(NEXT) | instid1(VALU_DEP_1)
	v_dual_sub_nc_u32 v4, v5, v4 :: v_dual_lshrrev_b32 v1, s59, v7
	v_mad_u32 v3, v4, s53, v3
	s_delay_alu instid0(VALU_DEP_4) | instskip(NEXT) | instid1(VALU_DEP_3)
	v_mad_u32 v2, v4, s52, v2
	v_mul_lo_u32 v5, v1, s57
	s_delay_alu instid0(VALU_DEP_1) | instskip(NEXT) | instid1(VALU_DEP_1)
	v_sub_nc_u32_e32 v4, v6, v5
	v_mad_u32 v3, v4, s55, v3
	s_delay_alu instid0(VALU_DEP_4)
	v_mad_u32 v2, v4, s54, v2
	s_cbranch_scc1 .LBB33_6
	s_branch .LBB33_148
.LBB33_7:
	s_and_not1_saveexec_b32 s0, s34
	s_cbranch_execz .LBB33_249
.LBB33_8:
	v_cndmask_b32_e64 v14, 0, 1, s33
	s_and_not1_b32 vcc_lo, exec_lo, s33
	s_cbranch_vccnz .LBB33_20
; %bb.9:
	s_cmp_lg_u32 s30, 0
	s_mov_b32 s6, 0
	s_cbranch_scc0 .LBB33_23
; %bb.10:
	s_min_u32 s1, s31, 15
	s_delay_alu instid0(SALU_CYCLE_1)
	s_add_co_i32 s1, s1, 1
	s_cmp_eq_u32 s31, 2
	s_cbranch_scc1 .LBB33_24
; %bb.11:
	v_dual_mov_b32 v2, 0 :: v_dual_mov_b32 v3, 0
	v_mov_b32_e32 v1, v0
	s_and_b32 s0, s1, 28
	s_add_nc_u64 s[2:3], s[12:13], 0xc4
	s_mov_b32 s7, 0
	s_mov_b64 s[4:5], s[12:13]
.LBB33_12:                              ; =>This Inner Loop Header: Depth=1
	s_clause 0x1
	s_load_b256 s[16:23], s[4:5], 0x4
	s_load_b128 s[8:11], s[4:5], 0x24
	s_load_b256 s[36:43], s[2:3], 0x0
	s_add_co_i32 s7, s7, 4
	s_wait_xcnt 0x0
	s_add_nc_u64 s[4:5], s[4:5], 48
	s_cmp_lg_u32 s0, s7
	s_add_nc_u64 s[2:3], s[2:3], 32
	s_wait_kmcnt 0x0
	v_mul_hi_u32 v4, s17, v1
	s_delay_alu instid0(VALU_DEP_1) | instskip(NEXT) | instid1(VALU_DEP_1)
	v_add_nc_u32_e32 v4, v1, v4
	v_lshrrev_b32_e32 v4, s18, v4
	s_delay_alu instid0(VALU_DEP_1) | instskip(NEXT) | instid1(VALU_DEP_1)
	v_mul_hi_u32 v5, s20, v4
	v_add_nc_u32_e32 v5, v4, v5
	s_delay_alu instid0(VALU_DEP_1) | instskip(NEXT) | instid1(VALU_DEP_1)
	v_lshrrev_b32_e32 v5, s21, v5
	v_mul_hi_u32 v6, s23, v5
	s_delay_alu instid0(VALU_DEP_1) | instskip(SKIP_1) | instid1(VALU_DEP_1)
	v_add_nc_u32_e32 v6, v5, v6
	v_mul_lo_u32 v7, v4, s16
	v_sub_nc_u32_e32 v1, v1, v7
	v_mul_lo_u32 v7, v5, s19
	s_delay_alu instid0(VALU_DEP_4) | instskip(NEXT) | instid1(VALU_DEP_3)
	v_lshrrev_b32_e32 v6, s8, v6
	v_mad_u32 v3, v1, s37, v3
	v_mad_u32 v1, v1, s36, v2
	s_delay_alu instid0(VALU_DEP_4) | instskip(NEXT) | instid1(VALU_DEP_4)
	v_sub_nc_u32_e32 v2, v4, v7
	v_mul_hi_u32 v8, s10, v6
	v_mul_lo_u32 v4, v6, s22
	s_delay_alu instid0(VALU_DEP_3) | instskip(SKIP_1) | instid1(VALU_DEP_4)
	v_mad_u32 v3, v2, s39, v3
	v_mad_u32 v2, v2, s38, v1
	v_add_nc_u32_e32 v7, v6, v8
	s_delay_alu instid0(VALU_DEP_1) | instskip(NEXT) | instid1(VALU_DEP_1)
	v_dual_sub_nc_u32 v4, v5, v4 :: v_dual_lshrrev_b32 v1, s11, v7
	v_mad_u32 v3, v4, s41, v3
	s_delay_alu instid0(VALU_DEP_4) | instskip(NEXT) | instid1(VALU_DEP_3)
	v_mad_u32 v2, v4, s40, v2
	v_mul_lo_u32 v5, v1, s9
	s_delay_alu instid0(VALU_DEP_1) | instskip(NEXT) | instid1(VALU_DEP_1)
	v_sub_nc_u32_e32 v4, v6, v5
	v_mad_u32 v3, v4, s43, v3
	s_delay_alu instid0(VALU_DEP_4)
	v_mad_u32 v2, v4, s42, v2
	s_cbranch_scc1 .LBB33_12
; %bb.13:
	s_and_b32 s4, s1, 3
	s_mov_b32 s1, 0
	s_cmp_eq_u32 s4, 0
	s_cbranch_scc0 .LBB33_25
	s_branch .LBB33_27
.LBB33_14:
	s_or_b32 exec_lo, exec_lo, s5
	s_delay_alu instid0(SALU_CYCLE_1)
	s_mov_b32 s5, exec_lo
	v_cmpx_gt_i32_e64 s36, v0
	s_cbranch_execz .LBB33_157
.LBB33_15:
	s_and_not1_b32 vcc_lo, exec_lo, s33
	s_cbranch_vccnz .LBB33_22
; %bb.16:
	s_and_not1_b32 vcc_lo, exec_lo, s38
	s_cbranch_vccnz .LBB33_146
; %bb.17:
	s_add_co_i32 s16, s37, 1
	s_cmp_eq_u32 s31, 2
	s_cbranch_scc1 .LBB33_165
; %bb.18:
	v_dual_mov_b32 v2, 0 :: v_dual_mov_b32 v3, 0
	v_mov_b32_e32 v1, v0
	s_and_b32 s24, s16, 28
	s_mov_b32 s25, 0
	s_mov_b64 s[26:27], s[12:13]
	s_mov_b64 s[28:29], s[22:23]
.LBB33_19:                              ; =>This Inner Loop Header: Depth=1
	s_clause 0x1
	s_load_b256 s[40:47], s[26:27], 0x4
	s_load_b128 s[56:59], s[26:27], 0x24
	s_load_b256 s[48:55], s[28:29], 0x0
	s_add_co_i32 s25, s25, 4
	s_wait_xcnt 0x0
	s_add_nc_u64 s[26:27], s[26:27], 48
	s_cmp_eq_u32 s24, s25
	s_add_nc_u64 s[28:29], s[28:29], 32
	s_wait_kmcnt 0x0
	v_mul_hi_u32 v4, s41, v1
	s_delay_alu instid0(VALU_DEP_1) | instskip(NEXT) | instid1(VALU_DEP_1)
	v_add_nc_u32_e32 v4, v1, v4
	v_lshrrev_b32_e32 v4, s42, v4
	s_delay_alu instid0(VALU_DEP_1) | instskip(NEXT) | instid1(VALU_DEP_1)
	v_mul_hi_u32 v5, s44, v4
	v_add_nc_u32_e32 v5, v4, v5
	s_delay_alu instid0(VALU_DEP_1) | instskip(NEXT) | instid1(VALU_DEP_1)
	v_lshrrev_b32_e32 v5, s45, v5
	v_mul_hi_u32 v6, s47, v5
	s_delay_alu instid0(VALU_DEP_1) | instskip(SKIP_1) | instid1(VALU_DEP_1)
	v_add_nc_u32_e32 v6, v5, v6
	v_mul_lo_u32 v7, v4, s40
	v_sub_nc_u32_e32 v1, v1, v7
	v_mul_lo_u32 v7, v5, s43
	s_delay_alu instid0(VALU_DEP_4) | instskip(NEXT) | instid1(VALU_DEP_3)
	v_lshrrev_b32_e32 v6, s56, v6
	v_mad_u32 v3, v1, s49, v3
	v_mad_u32 v1, v1, s48, v2
	s_delay_alu instid0(VALU_DEP_4) | instskip(NEXT) | instid1(VALU_DEP_4)
	v_sub_nc_u32_e32 v2, v4, v7
	v_mul_hi_u32 v8, s58, v6
	v_mul_lo_u32 v4, v6, s46
	s_delay_alu instid0(VALU_DEP_3) | instskip(SKIP_1) | instid1(VALU_DEP_4)
	v_mad_u32 v3, v2, s51, v3
	v_mad_u32 v2, v2, s50, v1
	v_add_nc_u32_e32 v7, v6, v8
	s_delay_alu instid0(VALU_DEP_1) | instskip(NEXT) | instid1(VALU_DEP_1)
	v_dual_sub_nc_u32 v4, v5, v4 :: v_dual_lshrrev_b32 v1, s59, v7
	v_mad_u32 v3, v4, s53, v3
	s_delay_alu instid0(VALU_DEP_4) | instskip(NEXT) | instid1(VALU_DEP_3)
	v_mad_u32 v2, v4, s52, v2
	v_mul_lo_u32 v5, v1, s57
	s_delay_alu instid0(VALU_DEP_1) | instskip(NEXT) | instid1(VALU_DEP_1)
	v_sub_nc_u32_e32 v4, v6, v5
	v_mad_u32 v3, v4, s55, v3
	s_delay_alu instid0(VALU_DEP_4)
	v_mad_u32 v2, v4, s54, v2
	s_cbranch_scc0 .LBB33_19
	s_branch .LBB33_166
.LBB33_20:
	s_mov_b32 s6, -1
                                        ; implicit-def: $vgpr3
	s_branch .LBB33_27
.LBB33_21:
                                        ; implicit-def: $vgpr3
	s_branch .LBB33_152
.LBB33_22:
                                        ; implicit-def: $vgpr3
	s_branch .LBB33_170
.LBB33_23:
	v_dual_mov_b32 v3, 0 :: v_dual_mov_b32 v2, 0
	s_branch .LBB33_27
.LBB33_24:
	v_mov_b64_e32 v[2:3], 0
	v_mov_b32_e32 v1, v0
	s_mov_b32 s0, 0
	s_and_b32 s4, s1, 3
	s_mov_b32 s1, 0
	s_cmp_eq_u32 s4, 0
	s_cbranch_scc1 .LBB33_27
.LBB33_25:
	s_lshl_b32 s2, s0, 3
	s_mov_b32 s3, s1
	s_mul_u64 s[8:9], s[0:1], 12
	s_add_nc_u64 s[2:3], s[12:13], s[2:3]
	s_delay_alu instid0(SALU_CYCLE_1)
	s_add_nc_u64 s[0:1], s[2:3], 0xc4
	s_add_nc_u64 s[2:3], s[12:13], s[8:9]
.LBB33_26:                              ; =>This Inner Loop Header: Depth=1
	s_load_b96 s[8:10], s[2:3], 0x4
	s_add_co_i32 s4, s4, -1
	s_wait_xcnt 0x0
	s_add_nc_u64 s[2:3], s[2:3], 12
	s_cmp_lg_u32 s4, 0
	s_wait_kmcnt 0x0
	v_mul_hi_u32 v4, s9, v1
	s_delay_alu instid0(VALU_DEP_1) | instskip(NEXT) | instid1(VALU_DEP_1)
	v_add_nc_u32_e32 v4, v1, v4
	v_lshrrev_b32_e32 v4, s10, v4
	s_load_b64 s[10:11], s[0:1], 0x0
	s_wait_xcnt 0x0
	s_add_nc_u64 s[0:1], s[0:1], 8
	s_delay_alu instid0(VALU_DEP_1) | instskip(NEXT) | instid1(VALU_DEP_1)
	v_mul_lo_u32 v5, v4, s8
	v_sub_nc_u32_e32 v1, v1, v5
	s_wait_kmcnt 0x0
	s_delay_alu instid0(VALU_DEP_1)
	v_mad_u32 v3, v1, s11, v3
	v_mad_u32 v2, v1, s10, v2
	v_mov_b32_e32 v1, v4
	s_cbranch_scc1 .LBB33_26
.LBB33_27:
	s_and_not1_b32 vcc_lo, exec_lo, s6
	s_cbranch_vccnz .LBB33_30
; %bb.28:
	s_clause 0x1
	s_load_b96 s[0:2], s[12:13], 0x4
	s_load_b64 s[4:5], s[12:13], 0xc4
	s_cmp_lt_u32 s30, 2
	s_wait_kmcnt 0x0
	v_mul_hi_u32 v1, s1, v0
	s_delay_alu instid0(VALU_DEP_1) | instskip(NEXT) | instid1(VALU_DEP_1)
	v_add_nc_u32_e32 v1, v0, v1
	v_lshrrev_b32_e32 v1, s2, v1
	s_delay_alu instid0(VALU_DEP_1) | instskip(NEXT) | instid1(VALU_DEP_1)
	v_mul_lo_u32 v2, v1, s0
	v_sub_nc_u32_e32 v2, v0, v2
	s_delay_alu instid0(VALU_DEP_1)
	v_mul_lo_u32 v3, v2, s5
	v_mul_lo_u32 v2, v2, s4
	s_cbranch_scc1 .LBB33_30
; %bb.29:
	s_clause 0x1
	s_load_b96 s[0:2], s[12:13], 0x10
	s_load_b64 s[4:5], s[12:13], 0xcc
	s_wait_kmcnt 0x0
	v_mul_hi_u32 v4, s1, v1
	s_delay_alu instid0(VALU_DEP_1) | instskip(NEXT) | instid1(VALU_DEP_1)
	v_add_nc_u32_e32 v4, v1, v4
	v_lshrrev_b32_e32 v4, s2, v4
	s_delay_alu instid0(VALU_DEP_1) | instskip(NEXT) | instid1(VALU_DEP_1)
	v_mul_lo_u32 v4, v4, s0
	v_sub_nc_u32_e32 v1, v1, v4
	s_delay_alu instid0(VALU_DEP_1)
	v_mad_u32 v2, v1, s4, v2
	v_mad_u32 v3, v1, s5, v3
.LBB33_30:
	v_cmp_ne_u32_e32 vcc_lo, 1, v14
	v_add_nc_u32_e32 v1, 0x80, v0
	s_cbranch_vccnz .LBB33_36
; %bb.31:
	s_cmp_lg_u32 s30, 0
	s_mov_b32 s6, 0
	s_cbranch_scc0 .LBB33_37
; %bb.32:
	s_min_u32 s1, s31, 15
	s_delay_alu instid0(SALU_CYCLE_1)
	s_add_co_i32 s1, s1, 1
	s_cmp_eq_u32 s31, 2
	s_cbranch_scc1 .LBB33_38
; %bb.33:
	v_dual_mov_b32 v4, 0 :: v_dual_mov_b32 v5, 0
	v_mov_b32_e32 v6, v1
	s_and_b32 s0, s1, 28
	s_add_nc_u64 s[2:3], s[12:13], 0xc4
	s_mov_b32 s7, 0
	s_mov_b64 s[4:5], s[12:13]
.LBB33_34:                              ; =>This Inner Loop Header: Depth=1
	s_clause 0x1
	s_load_b256 s[16:23], s[4:5], 0x4
	s_load_b128 s[8:11], s[4:5], 0x24
	s_load_b256 s[36:43], s[2:3], 0x0
	s_add_co_i32 s7, s7, 4
	s_wait_xcnt 0x0
	s_add_nc_u64 s[4:5], s[4:5], 48
	s_cmp_lg_u32 s0, s7
	s_add_nc_u64 s[2:3], s[2:3], 32
	s_wait_kmcnt 0x0
	v_mul_hi_u32 v7, s17, v6
	s_delay_alu instid0(VALU_DEP_1) | instskip(NEXT) | instid1(VALU_DEP_1)
	v_add_nc_u32_e32 v7, v6, v7
	v_lshrrev_b32_e32 v7, s18, v7
	s_delay_alu instid0(VALU_DEP_1) | instskip(NEXT) | instid1(VALU_DEP_1)
	v_mul_hi_u32 v8, s20, v7
	v_add_nc_u32_e32 v8, v7, v8
	s_delay_alu instid0(VALU_DEP_1) | instskip(NEXT) | instid1(VALU_DEP_1)
	v_lshrrev_b32_e32 v8, s21, v8
	v_mul_hi_u32 v9, s23, v8
	s_delay_alu instid0(VALU_DEP_1) | instskip(SKIP_1) | instid1(VALU_DEP_1)
	v_add_nc_u32_e32 v9, v8, v9
	v_mul_lo_u32 v10, v7, s16
	v_sub_nc_u32_e32 v6, v6, v10
	v_mul_lo_u32 v10, v8, s19
	s_delay_alu instid0(VALU_DEP_4) | instskip(NEXT) | instid1(VALU_DEP_3)
	v_lshrrev_b32_e32 v9, s8, v9
	v_mad_u32 v5, v6, s37, v5
	v_mad_u32 v4, v6, s36, v4
	s_delay_alu instid0(VALU_DEP_4) | instskip(NEXT) | instid1(VALU_DEP_4)
	v_sub_nc_u32_e32 v6, v7, v10
	v_mul_hi_u32 v11, s10, v9
	v_mul_lo_u32 v7, v9, s22
	s_delay_alu instid0(VALU_DEP_3) | instskip(SKIP_1) | instid1(VALU_DEP_4)
	v_mad_u32 v5, v6, s39, v5
	v_mad_u32 v4, v6, s38, v4
	v_add_nc_u32_e32 v10, v9, v11
	s_delay_alu instid0(VALU_DEP_1) | instskip(NEXT) | instid1(VALU_DEP_1)
	v_dual_sub_nc_u32 v7, v8, v7 :: v_dual_lshrrev_b32 v6, s11, v10
	v_mad_u32 v5, v7, s41, v5
	s_delay_alu instid0(VALU_DEP_4) | instskip(NEXT) | instid1(VALU_DEP_3)
	v_mad_u32 v4, v7, s40, v4
	v_mul_lo_u32 v8, v6, s9
	s_delay_alu instid0(VALU_DEP_1) | instskip(NEXT) | instid1(VALU_DEP_1)
	v_sub_nc_u32_e32 v7, v9, v8
	v_mad_u32 v5, v7, s43, v5
	s_delay_alu instid0(VALU_DEP_4)
	v_mad_u32 v4, v7, s42, v4
	s_cbranch_scc1 .LBB33_34
; %bb.35:
	s_and_b32 s4, s1, 3
	s_mov_b32 s1, 0
	s_cmp_eq_u32 s4, 0
	s_cbranch_scc0 .LBB33_39
	s_branch .LBB33_41
.LBB33_36:
	s_mov_b32 s6, -1
                                        ; implicit-def: $vgpr5
	s_branch .LBB33_41
.LBB33_37:
	v_dual_mov_b32 v5, 0 :: v_dual_mov_b32 v4, 0
	s_branch .LBB33_41
.LBB33_38:
	v_mov_b64_e32 v[4:5], 0
	v_mov_b32_e32 v6, v1
	s_mov_b32 s0, 0
	s_and_b32 s4, s1, 3
	s_mov_b32 s1, 0
	s_cmp_eq_u32 s4, 0
	s_cbranch_scc1 .LBB33_41
.LBB33_39:
	s_lshl_b32 s2, s0, 3
	s_mov_b32 s3, s1
	s_mul_u64 s[8:9], s[0:1], 12
	s_add_nc_u64 s[2:3], s[12:13], s[2:3]
	s_delay_alu instid0(SALU_CYCLE_1)
	s_add_nc_u64 s[0:1], s[2:3], 0xc4
	s_add_nc_u64 s[2:3], s[12:13], s[8:9]
.LBB33_40:                              ; =>This Inner Loop Header: Depth=1
	s_load_b96 s[8:10], s[2:3], 0x4
	s_add_co_i32 s4, s4, -1
	s_wait_xcnt 0x0
	s_add_nc_u64 s[2:3], s[2:3], 12
	s_cmp_lg_u32 s4, 0
	s_wait_kmcnt 0x0
	v_mul_hi_u32 v7, s9, v6
	s_delay_alu instid0(VALU_DEP_1) | instskip(NEXT) | instid1(VALU_DEP_1)
	v_add_nc_u32_e32 v7, v6, v7
	v_lshrrev_b32_e32 v7, s10, v7
	s_load_b64 s[10:11], s[0:1], 0x0
	s_wait_xcnt 0x0
	s_add_nc_u64 s[0:1], s[0:1], 8
	s_delay_alu instid0(VALU_DEP_1) | instskip(NEXT) | instid1(VALU_DEP_1)
	v_mul_lo_u32 v8, v7, s8
	v_sub_nc_u32_e32 v6, v6, v8
	s_wait_kmcnt 0x0
	s_delay_alu instid0(VALU_DEP_1)
	v_mad_u32 v5, v6, s11, v5
	v_mad_u32 v4, v6, s10, v4
	v_mov_b32_e32 v6, v7
	s_cbranch_scc1 .LBB33_40
.LBB33_41:
	s_and_not1_b32 vcc_lo, exec_lo, s6
	s_cbranch_vccnz .LBB33_44
; %bb.42:
	s_clause 0x1
	s_load_b96 s[0:2], s[12:13], 0x4
	s_load_b64 s[4:5], s[12:13], 0xc4
	s_cmp_lt_u32 s30, 2
	s_wait_kmcnt 0x0
	v_mul_hi_u32 v4, s1, v1
	s_delay_alu instid0(VALU_DEP_1) | instskip(NEXT) | instid1(VALU_DEP_1)
	v_add_nc_u32_e32 v4, v1, v4
	v_lshrrev_b32_e32 v6, s2, v4
	s_delay_alu instid0(VALU_DEP_1) | instskip(NEXT) | instid1(VALU_DEP_1)
	v_mul_lo_u32 v4, v6, s0
	v_sub_nc_u32_e32 v1, v1, v4
	s_delay_alu instid0(VALU_DEP_1)
	v_mul_lo_u32 v5, v1, s5
	v_mul_lo_u32 v4, v1, s4
	s_cbranch_scc1 .LBB33_44
; %bb.43:
	s_clause 0x1
	s_load_b96 s[0:2], s[12:13], 0x10
	s_load_b64 s[4:5], s[12:13], 0xcc
	s_wait_kmcnt 0x0
	v_mul_hi_u32 v1, s1, v6
	s_delay_alu instid0(VALU_DEP_1) | instskip(NEXT) | instid1(VALU_DEP_1)
	v_add_nc_u32_e32 v1, v6, v1
	v_lshrrev_b32_e32 v1, s2, v1
	s_delay_alu instid0(VALU_DEP_1) | instskip(NEXT) | instid1(VALU_DEP_1)
	v_mul_lo_u32 v1, v1, s0
	v_sub_nc_u32_e32 v1, v6, v1
	s_delay_alu instid0(VALU_DEP_1)
	v_mad_u32 v4, v1, s4, v4
	v_mad_u32 v5, v1, s5, v5
.LBB33_44:
	v_cmp_ne_u32_e32 vcc_lo, 1, v14
	v_add_nc_u32_e32 v1, 0x100, v0
	s_cbranch_vccnz .LBB33_50
; %bb.45:
	s_cmp_lg_u32 s30, 0
	s_mov_b32 s6, 0
	s_cbranch_scc0 .LBB33_51
; %bb.46:
	s_min_u32 s1, s31, 15
	s_delay_alu instid0(SALU_CYCLE_1)
	s_add_co_i32 s1, s1, 1
	s_cmp_eq_u32 s31, 2
	s_cbranch_scc1 .LBB33_52
; %bb.47:
	v_dual_mov_b32 v6, 0 :: v_dual_mov_b32 v7, 0
	v_mov_b32_e32 v8, v1
	s_and_b32 s0, s1, 28
	s_add_nc_u64 s[2:3], s[12:13], 0xc4
	s_mov_b32 s7, 0
	s_mov_b64 s[4:5], s[12:13]
.LBB33_48:                              ; =>This Inner Loop Header: Depth=1
	s_clause 0x1
	s_load_b256 s[16:23], s[4:5], 0x4
	s_load_b128 s[8:11], s[4:5], 0x24
	s_load_b256 s[36:43], s[2:3], 0x0
	s_add_co_i32 s7, s7, 4
	s_wait_xcnt 0x0
	s_add_nc_u64 s[4:5], s[4:5], 48
	s_cmp_lg_u32 s0, s7
	s_add_nc_u64 s[2:3], s[2:3], 32
	s_wait_kmcnt 0x0
	v_mul_hi_u32 v9, s17, v8
	s_delay_alu instid0(VALU_DEP_1) | instskip(NEXT) | instid1(VALU_DEP_1)
	v_add_nc_u32_e32 v9, v8, v9
	v_lshrrev_b32_e32 v9, s18, v9
	s_delay_alu instid0(VALU_DEP_1) | instskip(NEXT) | instid1(VALU_DEP_1)
	v_mul_hi_u32 v10, s20, v9
	v_add_nc_u32_e32 v10, v9, v10
	s_delay_alu instid0(VALU_DEP_1) | instskip(NEXT) | instid1(VALU_DEP_1)
	v_lshrrev_b32_e32 v10, s21, v10
	v_mul_hi_u32 v11, s23, v10
	s_delay_alu instid0(VALU_DEP_1) | instskip(SKIP_1) | instid1(VALU_DEP_1)
	v_add_nc_u32_e32 v11, v10, v11
	v_mul_lo_u32 v12, v9, s16
	v_sub_nc_u32_e32 v8, v8, v12
	v_mul_lo_u32 v12, v10, s19
	s_delay_alu instid0(VALU_DEP_4) | instskip(NEXT) | instid1(VALU_DEP_3)
	v_lshrrev_b32_e32 v11, s8, v11
	v_mad_u32 v7, v8, s37, v7
	v_mad_u32 v6, v8, s36, v6
	s_delay_alu instid0(VALU_DEP_4) | instskip(NEXT) | instid1(VALU_DEP_4)
	v_sub_nc_u32_e32 v8, v9, v12
	v_mul_hi_u32 v13, s10, v11
	v_mul_lo_u32 v9, v11, s22
	s_delay_alu instid0(VALU_DEP_3) | instskip(SKIP_1) | instid1(VALU_DEP_4)
	v_mad_u32 v7, v8, s39, v7
	v_mad_u32 v6, v8, s38, v6
	v_add_nc_u32_e32 v12, v11, v13
	s_delay_alu instid0(VALU_DEP_1) | instskip(NEXT) | instid1(VALU_DEP_1)
	v_dual_sub_nc_u32 v9, v10, v9 :: v_dual_lshrrev_b32 v8, s11, v12
	v_mad_u32 v7, v9, s41, v7
	s_delay_alu instid0(VALU_DEP_4) | instskip(NEXT) | instid1(VALU_DEP_3)
	v_mad_u32 v6, v9, s40, v6
	v_mul_lo_u32 v10, v8, s9
	s_delay_alu instid0(VALU_DEP_1) | instskip(NEXT) | instid1(VALU_DEP_1)
	v_sub_nc_u32_e32 v9, v11, v10
	v_mad_u32 v7, v9, s43, v7
	s_delay_alu instid0(VALU_DEP_4)
	v_mad_u32 v6, v9, s42, v6
	s_cbranch_scc1 .LBB33_48
; %bb.49:
	s_and_b32 s4, s1, 3
	s_mov_b32 s1, 0
	s_cmp_eq_u32 s4, 0
	s_cbranch_scc0 .LBB33_53
	s_branch .LBB33_55
.LBB33_50:
	s_mov_b32 s6, -1
                                        ; implicit-def: $vgpr7
	s_branch .LBB33_55
.LBB33_51:
	v_dual_mov_b32 v7, 0 :: v_dual_mov_b32 v6, 0
	s_branch .LBB33_55
.LBB33_52:
	v_mov_b64_e32 v[6:7], 0
	v_mov_b32_e32 v8, v1
	s_mov_b32 s0, 0
	s_and_b32 s4, s1, 3
	s_mov_b32 s1, 0
	s_cmp_eq_u32 s4, 0
	s_cbranch_scc1 .LBB33_55
.LBB33_53:
	s_lshl_b32 s2, s0, 3
	s_mov_b32 s3, s1
	s_mul_u64 s[8:9], s[0:1], 12
	s_add_nc_u64 s[2:3], s[12:13], s[2:3]
	s_delay_alu instid0(SALU_CYCLE_1)
	s_add_nc_u64 s[0:1], s[2:3], 0xc4
	s_add_nc_u64 s[2:3], s[12:13], s[8:9]
.LBB33_54:                              ; =>This Inner Loop Header: Depth=1
	s_load_b96 s[8:10], s[2:3], 0x4
	s_add_co_i32 s4, s4, -1
	s_wait_xcnt 0x0
	s_add_nc_u64 s[2:3], s[2:3], 12
	s_cmp_lg_u32 s4, 0
	s_wait_kmcnt 0x0
	v_mul_hi_u32 v9, s9, v8
	s_delay_alu instid0(VALU_DEP_1) | instskip(NEXT) | instid1(VALU_DEP_1)
	v_add_nc_u32_e32 v9, v8, v9
	v_lshrrev_b32_e32 v9, s10, v9
	s_load_b64 s[10:11], s[0:1], 0x0
	s_wait_xcnt 0x0
	s_add_nc_u64 s[0:1], s[0:1], 8
	s_delay_alu instid0(VALU_DEP_1) | instskip(NEXT) | instid1(VALU_DEP_1)
	v_mul_lo_u32 v10, v9, s8
	v_sub_nc_u32_e32 v8, v8, v10
	s_wait_kmcnt 0x0
	s_delay_alu instid0(VALU_DEP_1)
	v_mad_u32 v7, v8, s11, v7
	v_mad_u32 v6, v8, s10, v6
	v_mov_b32_e32 v8, v9
	s_cbranch_scc1 .LBB33_54
.LBB33_55:
	s_and_not1_b32 vcc_lo, exec_lo, s6
	s_cbranch_vccnz .LBB33_58
; %bb.56:
	s_clause 0x1
	s_load_b96 s[0:2], s[12:13], 0x4
	s_load_b64 s[4:5], s[12:13], 0xc4
	s_cmp_lt_u32 s30, 2
	s_wait_kmcnt 0x0
	v_mul_hi_u32 v6, s1, v1
	s_delay_alu instid0(VALU_DEP_1) | instskip(NEXT) | instid1(VALU_DEP_1)
	v_add_nc_u32_e32 v6, v1, v6
	v_lshrrev_b32_e32 v8, s2, v6
	s_delay_alu instid0(VALU_DEP_1) | instskip(NEXT) | instid1(VALU_DEP_1)
	v_mul_lo_u32 v6, v8, s0
	v_sub_nc_u32_e32 v1, v1, v6
	s_delay_alu instid0(VALU_DEP_1)
	v_mul_lo_u32 v7, v1, s5
	v_mul_lo_u32 v6, v1, s4
	s_cbranch_scc1 .LBB33_58
; %bb.57:
	s_clause 0x1
	s_load_b96 s[0:2], s[12:13], 0x10
	s_load_b64 s[4:5], s[12:13], 0xcc
	s_wait_kmcnt 0x0
	v_mul_hi_u32 v1, s1, v8
	s_delay_alu instid0(VALU_DEP_1) | instskip(NEXT) | instid1(VALU_DEP_1)
	v_add_nc_u32_e32 v1, v8, v1
	v_lshrrev_b32_e32 v1, s2, v1
	s_delay_alu instid0(VALU_DEP_1) | instskip(NEXT) | instid1(VALU_DEP_1)
	v_mul_lo_u32 v1, v1, s0
	v_sub_nc_u32_e32 v1, v8, v1
	s_delay_alu instid0(VALU_DEP_1)
	v_mad_u32 v6, v1, s4, v6
	v_mad_u32 v7, v1, s5, v7
.LBB33_58:
	v_cmp_ne_u32_e32 vcc_lo, 1, v14
	v_add_nc_u32_e32 v1, 0x180, v0
	s_cbranch_vccnz .LBB33_64
; %bb.59:
	s_cmp_lg_u32 s30, 0
	s_mov_b32 s6, 0
	s_cbranch_scc0 .LBB33_65
; %bb.60:
	s_min_u32 s1, s31, 15
	s_delay_alu instid0(SALU_CYCLE_1)
	s_add_co_i32 s1, s1, 1
	s_cmp_eq_u32 s31, 2
	s_cbranch_scc1 .LBB33_66
; %bb.61:
	v_dual_mov_b32 v8, 0 :: v_dual_mov_b32 v9, 0
	v_mov_b32_e32 v10, v1
	s_and_b32 s0, s1, 28
	s_add_nc_u64 s[2:3], s[12:13], 0xc4
	s_mov_b32 s7, 0
	s_mov_b64 s[4:5], s[12:13]
.LBB33_62:                              ; =>This Inner Loop Header: Depth=1
	s_clause 0x1
	s_load_b256 s[16:23], s[4:5], 0x4
	s_load_b128 s[8:11], s[4:5], 0x24
	s_load_b256 s[36:43], s[2:3], 0x0
	s_add_co_i32 s7, s7, 4
	s_wait_xcnt 0x0
	s_add_nc_u64 s[4:5], s[4:5], 48
	s_cmp_lg_u32 s0, s7
	s_add_nc_u64 s[2:3], s[2:3], 32
	s_wait_kmcnt 0x0
	v_mul_hi_u32 v11, s17, v10
	s_delay_alu instid0(VALU_DEP_1) | instskip(NEXT) | instid1(VALU_DEP_1)
	v_add_nc_u32_e32 v11, v10, v11
	v_lshrrev_b32_e32 v11, s18, v11
	s_delay_alu instid0(VALU_DEP_1) | instskip(NEXT) | instid1(VALU_DEP_1)
	v_mul_hi_u32 v12, s20, v11
	v_add_nc_u32_e32 v12, v11, v12
	s_delay_alu instid0(VALU_DEP_1) | instskip(NEXT) | instid1(VALU_DEP_1)
	v_lshrrev_b32_e32 v12, s21, v12
	v_mul_hi_u32 v13, s23, v12
	s_delay_alu instid0(VALU_DEP_1) | instskip(SKIP_1) | instid1(VALU_DEP_1)
	v_add_nc_u32_e32 v13, v12, v13
	v_mul_lo_u32 v15, v11, s16
	v_sub_nc_u32_e32 v10, v10, v15
	v_mul_lo_u32 v15, v12, s19
	s_delay_alu instid0(VALU_DEP_4) | instskip(NEXT) | instid1(VALU_DEP_3)
	v_lshrrev_b32_e32 v13, s8, v13
	v_mad_u32 v9, v10, s37, v9
	v_mad_u32 v8, v10, s36, v8
	s_delay_alu instid0(VALU_DEP_4) | instskip(NEXT) | instid1(VALU_DEP_4)
	v_sub_nc_u32_e32 v10, v11, v15
	v_mul_hi_u32 v17, s10, v13
	v_mul_lo_u32 v11, v13, s22
	s_delay_alu instid0(VALU_DEP_3) | instskip(SKIP_1) | instid1(VALU_DEP_3)
	v_mad_u32 v9, v10, s39, v9
	v_mad_u32 v8, v10, s38, v8
	v_dual_add_nc_u32 v15, v13, v17 :: v_dual_sub_nc_u32 v11, v12, v11
	s_delay_alu instid0(VALU_DEP_1) | instskip(NEXT) | instid1(VALU_DEP_2)
	v_lshrrev_b32_e32 v10, s11, v15
	v_mad_u32 v9, v11, s41, v9
	s_delay_alu instid0(VALU_DEP_4) | instskip(NEXT) | instid1(VALU_DEP_3)
	v_mad_u32 v8, v11, s40, v8
	v_mul_lo_u32 v12, v10, s9
	s_delay_alu instid0(VALU_DEP_1) | instskip(NEXT) | instid1(VALU_DEP_1)
	v_sub_nc_u32_e32 v11, v13, v12
	v_mad_u32 v9, v11, s43, v9
	s_delay_alu instid0(VALU_DEP_4)
	v_mad_u32 v8, v11, s42, v8
	s_cbranch_scc1 .LBB33_62
; %bb.63:
	s_and_b32 s4, s1, 3
	s_mov_b32 s1, 0
	s_cmp_eq_u32 s4, 0
	s_cbranch_scc0 .LBB33_67
	s_branch .LBB33_69
.LBB33_64:
	s_mov_b32 s6, -1
                                        ; implicit-def: $vgpr9
	s_branch .LBB33_69
.LBB33_65:
	v_dual_mov_b32 v9, 0 :: v_dual_mov_b32 v8, 0
	s_branch .LBB33_69
.LBB33_66:
	v_mov_b64_e32 v[8:9], 0
	v_mov_b32_e32 v10, v1
	s_mov_b32 s0, 0
	s_and_b32 s4, s1, 3
	s_mov_b32 s1, 0
	s_cmp_eq_u32 s4, 0
	s_cbranch_scc1 .LBB33_69
.LBB33_67:
	s_lshl_b32 s2, s0, 3
	s_mov_b32 s3, s1
	s_mul_u64 s[8:9], s[0:1], 12
	s_add_nc_u64 s[2:3], s[12:13], s[2:3]
	s_delay_alu instid0(SALU_CYCLE_1)
	s_add_nc_u64 s[0:1], s[2:3], 0xc4
	s_add_nc_u64 s[2:3], s[12:13], s[8:9]
.LBB33_68:                              ; =>This Inner Loop Header: Depth=1
	s_load_b96 s[8:10], s[2:3], 0x4
	s_add_co_i32 s4, s4, -1
	s_wait_xcnt 0x0
	s_add_nc_u64 s[2:3], s[2:3], 12
	s_cmp_lg_u32 s4, 0
	s_wait_kmcnt 0x0
	v_mul_hi_u32 v11, s9, v10
	s_delay_alu instid0(VALU_DEP_1) | instskip(NEXT) | instid1(VALU_DEP_1)
	v_add_nc_u32_e32 v11, v10, v11
	v_lshrrev_b32_e32 v11, s10, v11
	s_load_b64 s[10:11], s[0:1], 0x0
	s_wait_xcnt 0x0
	s_add_nc_u64 s[0:1], s[0:1], 8
	s_delay_alu instid0(VALU_DEP_1) | instskip(NEXT) | instid1(VALU_DEP_1)
	v_mul_lo_u32 v12, v11, s8
	v_sub_nc_u32_e32 v10, v10, v12
	s_wait_kmcnt 0x0
	s_delay_alu instid0(VALU_DEP_1)
	v_mad_u32 v9, v10, s11, v9
	v_mad_u32 v8, v10, s10, v8
	v_mov_b32_e32 v10, v11
	s_cbranch_scc1 .LBB33_68
.LBB33_69:
	s_and_not1_b32 vcc_lo, exec_lo, s6
	s_cbranch_vccnz .LBB33_72
; %bb.70:
	s_clause 0x1
	s_load_b96 s[0:2], s[12:13], 0x4
	s_load_b64 s[4:5], s[12:13], 0xc4
	s_cmp_lt_u32 s30, 2
	s_wait_kmcnt 0x0
	v_mul_hi_u32 v8, s1, v1
	s_delay_alu instid0(VALU_DEP_1) | instskip(NEXT) | instid1(VALU_DEP_1)
	v_add_nc_u32_e32 v8, v1, v8
	v_lshrrev_b32_e32 v10, s2, v8
	s_delay_alu instid0(VALU_DEP_1) | instskip(NEXT) | instid1(VALU_DEP_1)
	v_mul_lo_u32 v8, v10, s0
	v_sub_nc_u32_e32 v1, v1, v8
	s_delay_alu instid0(VALU_DEP_1)
	v_mul_lo_u32 v9, v1, s5
	v_mul_lo_u32 v8, v1, s4
	s_cbranch_scc1 .LBB33_72
; %bb.71:
	s_clause 0x1
	s_load_b96 s[0:2], s[12:13], 0x10
	s_load_b64 s[4:5], s[12:13], 0xcc
	s_wait_kmcnt 0x0
	v_mul_hi_u32 v1, s1, v10
	s_delay_alu instid0(VALU_DEP_1) | instskip(NEXT) | instid1(VALU_DEP_1)
	v_add_nc_u32_e32 v1, v10, v1
	v_lshrrev_b32_e32 v1, s2, v1
	s_delay_alu instid0(VALU_DEP_1) | instskip(NEXT) | instid1(VALU_DEP_1)
	v_mul_lo_u32 v1, v1, s0
	v_sub_nc_u32_e32 v1, v10, v1
	s_delay_alu instid0(VALU_DEP_1)
	v_mad_u32 v8, v1, s4, v8
	v_mad_u32 v9, v1, s5, v9
.LBB33_72:
	v_cmp_ne_u32_e32 vcc_lo, 1, v14
	v_add_nc_u32_e32 v1, 0x200, v0
	s_cbranch_vccnz .LBB33_78
; %bb.73:
	s_cmp_lg_u32 s30, 0
	s_mov_b32 s6, 0
	s_cbranch_scc0 .LBB33_79
; %bb.74:
	s_min_u32 s1, s31, 15
	s_delay_alu instid0(SALU_CYCLE_1)
	s_add_co_i32 s1, s1, 1
	s_cmp_eq_u32 s31, 2
	s_cbranch_scc1 .LBB33_80
; %bb.75:
	v_dual_mov_b32 v10, 0 :: v_dual_mov_b32 v11, 0
	v_mov_b32_e32 v12, v1
	s_and_b32 s0, s1, 28
	s_add_nc_u64 s[2:3], s[12:13], 0xc4
	s_mov_b32 s7, 0
	s_mov_b64 s[4:5], s[12:13]
.LBB33_76:                              ; =>This Inner Loop Header: Depth=1
	s_clause 0x1
	s_load_b256 s[16:23], s[4:5], 0x4
	s_load_b128 s[8:11], s[4:5], 0x24
	s_load_b256 s[36:43], s[2:3], 0x0
	s_add_co_i32 s7, s7, 4
	s_wait_xcnt 0x0
	s_add_nc_u64 s[4:5], s[4:5], 48
	s_cmp_lg_u32 s0, s7
	s_add_nc_u64 s[2:3], s[2:3], 32
	s_wait_kmcnt 0x0
	v_mul_hi_u32 v13, s17, v12
	s_delay_alu instid0(VALU_DEP_1) | instskip(NEXT) | instid1(VALU_DEP_1)
	v_add_nc_u32_e32 v13, v12, v13
	v_lshrrev_b32_e32 v13, s18, v13
	s_delay_alu instid0(VALU_DEP_1) | instskip(NEXT) | instid1(VALU_DEP_1)
	v_mul_lo_u32 v18, v13, s16
	v_sub_nc_u32_e32 v12, v12, v18
	v_mul_hi_u32 v15, s20, v13
	s_delay_alu instid0(VALU_DEP_2) | instskip(SKIP_1) | instid1(VALU_DEP_3)
	v_mad_u32 v11, v12, s37, v11
	v_mad_u32 v10, v12, s36, v10
	v_add_nc_u32_e32 v15, v13, v15
	s_delay_alu instid0(VALU_DEP_1) | instskip(NEXT) | instid1(VALU_DEP_1)
	v_lshrrev_b32_e32 v15, s21, v15
	v_mul_hi_u32 v17, s23, v15
	v_mul_lo_u32 v18, v15, s19
	s_delay_alu instid0(VALU_DEP_1) | instskip(NEXT) | instid1(VALU_DEP_1)
	v_dual_add_nc_u32 v17, v15, v17 :: v_dual_sub_nc_u32 v12, v13, v18
	v_lshrrev_b32_e32 v17, s8, v17
	s_delay_alu instid0(VALU_DEP_2) | instskip(SKIP_1) | instid1(VALU_DEP_3)
	v_mad_u32 v11, v12, s39, v11
	v_mad_u32 v10, v12, s38, v10
	v_mul_hi_u32 v19, s10, v17
	v_mul_lo_u32 v13, v17, s22
	s_delay_alu instid0(VALU_DEP_1) | instskip(NEXT) | instid1(VALU_DEP_1)
	v_dual_add_nc_u32 v18, v17, v19 :: v_dual_sub_nc_u32 v13, v15, v13
	v_lshrrev_b32_e32 v12, s11, v18
	s_delay_alu instid0(VALU_DEP_2) | instskip(SKIP_1) | instid1(VALU_DEP_3)
	v_mad_u32 v11, v13, s41, v11
	v_mad_u32 v10, v13, s40, v10
	v_mul_lo_u32 v15, v12, s9
	s_delay_alu instid0(VALU_DEP_1) | instskip(NEXT) | instid1(VALU_DEP_1)
	v_sub_nc_u32_e32 v13, v17, v15
	v_mad_u32 v11, v13, s43, v11
	s_delay_alu instid0(VALU_DEP_4)
	v_mad_u32 v10, v13, s42, v10
	s_cbranch_scc1 .LBB33_76
; %bb.77:
	s_and_b32 s4, s1, 3
	s_mov_b32 s1, 0
	s_cmp_eq_u32 s4, 0
	s_cbranch_scc0 .LBB33_81
	s_branch .LBB33_83
.LBB33_78:
	s_mov_b32 s6, -1
                                        ; implicit-def: $vgpr11
	s_branch .LBB33_83
.LBB33_79:
	v_dual_mov_b32 v11, 0 :: v_dual_mov_b32 v10, 0
	s_branch .LBB33_83
.LBB33_80:
	v_mov_b64_e32 v[10:11], 0
	v_mov_b32_e32 v12, v1
	s_mov_b32 s0, 0
	s_and_b32 s4, s1, 3
	s_mov_b32 s1, 0
	s_cmp_eq_u32 s4, 0
	s_cbranch_scc1 .LBB33_83
.LBB33_81:
	s_lshl_b32 s2, s0, 3
	s_mov_b32 s3, s1
	s_mul_u64 s[8:9], s[0:1], 12
	s_add_nc_u64 s[2:3], s[12:13], s[2:3]
	s_delay_alu instid0(SALU_CYCLE_1)
	s_add_nc_u64 s[0:1], s[2:3], 0xc4
	s_add_nc_u64 s[2:3], s[12:13], s[8:9]
.LBB33_82:                              ; =>This Inner Loop Header: Depth=1
	s_load_b96 s[8:10], s[2:3], 0x4
	s_add_co_i32 s4, s4, -1
	s_wait_xcnt 0x0
	s_add_nc_u64 s[2:3], s[2:3], 12
	s_cmp_lg_u32 s4, 0
	s_wait_kmcnt 0x0
	v_mul_hi_u32 v13, s9, v12
	s_delay_alu instid0(VALU_DEP_1) | instskip(NEXT) | instid1(VALU_DEP_1)
	v_add_nc_u32_e32 v13, v12, v13
	v_lshrrev_b32_e32 v13, s10, v13
	s_load_b64 s[10:11], s[0:1], 0x0
	s_wait_xcnt 0x0
	s_add_nc_u64 s[0:1], s[0:1], 8
	s_delay_alu instid0(VALU_DEP_1) | instskip(NEXT) | instid1(VALU_DEP_1)
	v_mul_lo_u32 v15, v13, s8
	v_sub_nc_u32_e32 v12, v12, v15
	s_wait_kmcnt 0x0
	s_delay_alu instid0(VALU_DEP_1)
	v_mad_u32 v11, v12, s11, v11
	v_mad_u32 v10, v12, s10, v10
	v_mov_b32_e32 v12, v13
	s_cbranch_scc1 .LBB33_82
.LBB33_83:
	s_and_not1_b32 vcc_lo, exec_lo, s6
	s_cbranch_vccnz .LBB33_86
; %bb.84:
	s_clause 0x1
	s_load_b96 s[0:2], s[12:13], 0x4
	s_load_b64 s[4:5], s[12:13], 0xc4
	s_cmp_lt_u32 s30, 2
	s_wait_kmcnt 0x0
	v_mul_hi_u32 v10, s1, v1
	s_delay_alu instid0(VALU_DEP_1) | instskip(NEXT) | instid1(VALU_DEP_1)
	v_add_nc_u32_e32 v10, v1, v10
	v_lshrrev_b32_e32 v12, s2, v10
	s_delay_alu instid0(VALU_DEP_1) | instskip(NEXT) | instid1(VALU_DEP_1)
	v_mul_lo_u32 v10, v12, s0
	v_sub_nc_u32_e32 v1, v1, v10
	s_delay_alu instid0(VALU_DEP_1)
	v_mul_lo_u32 v11, v1, s5
	v_mul_lo_u32 v10, v1, s4
	s_cbranch_scc1 .LBB33_86
; %bb.85:
	s_clause 0x1
	s_load_b96 s[0:2], s[12:13], 0x10
	s_load_b64 s[4:5], s[12:13], 0xcc
	s_wait_kmcnt 0x0
	v_mul_hi_u32 v1, s1, v12
	s_delay_alu instid0(VALU_DEP_1) | instskip(NEXT) | instid1(VALU_DEP_1)
	v_add_nc_u32_e32 v1, v12, v1
	v_lshrrev_b32_e32 v1, s2, v1
	s_delay_alu instid0(VALU_DEP_1) | instskip(NEXT) | instid1(VALU_DEP_1)
	v_mul_lo_u32 v1, v1, s0
	v_sub_nc_u32_e32 v1, v12, v1
	s_delay_alu instid0(VALU_DEP_1)
	v_mad_u32 v10, v1, s4, v10
	v_mad_u32 v11, v1, s5, v11
.LBB33_86:
	v_cmp_ne_u32_e32 vcc_lo, 1, v14
	v_add_nc_u32_e32 v1, 0x280, v0
	s_cbranch_vccnz .LBB33_92
; %bb.87:
	s_cmp_lg_u32 s30, 0
	s_mov_b32 s6, 0
	s_cbranch_scc0 .LBB33_93
; %bb.88:
	s_min_u32 s1, s31, 15
	s_delay_alu instid0(SALU_CYCLE_1)
	s_add_co_i32 s1, s1, 1
	s_cmp_eq_u32 s31, 2
	s_cbranch_scc1 .LBB33_94
; %bb.89:
	v_dual_mov_b32 v12, 0 :: v_dual_mov_b32 v13, 0
	v_mov_b32_e32 v15, v1
	s_and_b32 s0, s1, 28
	s_add_nc_u64 s[2:3], s[12:13], 0xc4
	s_mov_b32 s7, 0
	s_mov_b64 s[4:5], s[12:13]
.LBB33_90:                              ; =>This Inner Loop Header: Depth=1
	s_clause 0x1
	s_load_b256 s[16:23], s[4:5], 0x4
	s_load_b128 s[8:11], s[4:5], 0x24
	s_load_b256 s[36:43], s[2:3], 0x0
	s_add_co_i32 s7, s7, 4
	s_wait_xcnt 0x0
	s_add_nc_u64 s[4:5], s[4:5], 48
	s_cmp_lg_u32 s0, s7
	s_add_nc_u64 s[2:3], s[2:3], 32
	s_wait_kmcnt 0x0
	v_mul_hi_u32 v17, s17, v15
	s_delay_alu instid0(VALU_DEP_1) | instskip(NEXT) | instid1(VALU_DEP_1)
	v_add_nc_u32_e32 v17, v15, v17
	v_lshrrev_b32_e32 v17, s18, v17
	s_delay_alu instid0(VALU_DEP_1) | instskip(NEXT) | instid1(VALU_DEP_1)
	v_mul_hi_u32 v18, s20, v17
	v_add_nc_u32_e32 v18, v17, v18
	s_delay_alu instid0(VALU_DEP_1) | instskip(NEXT) | instid1(VALU_DEP_1)
	v_lshrrev_b32_e32 v18, s21, v18
	v_mul_hi_u32 v19, s23, v18
	s_delay_alu instid0(VALU_DEP_1) | instskip(SKIP_1) | instid1(VALU_DEP_1)
	v_add_nc_u32_e32 v19, v18, v19
	v_mul_lo_u32 v20, v17, s16
	v_sub_nc_u32_e32 v15, v15, v20
	v_mul_lo_u32 v20, v18, s19
	s_delay_alu instid0(VALU_DEP_4) | instskip(NEXT) | instid1(VALU_DEP_3)
	v_lshrrev_b32_e32 v19, s8, v19
	v_mad_u32 v13, v15, s37, v13
	v_mad_u32 v12, v15, s36, v12
	s_delay_alu instid0(VALU_DEP_4) | instskip(NEXT) | instid1(VALU_DEP_4)
	v_sub_nc_u32_e32 v15, v17, v20
	v_mul_hi_u32 v21, s10, v19
	v_mul_lo_u32 v17, v19, s22
	s_delay_alu instid0(VALU_DEP_3) | instskip(SKIP_1) | instid1(VALU_DEP_4)
	v_mad_u32 v13, v15, s39, v13
	v_mad_u32 v12, v15, s38, v12
	v_add_nc_u32_e32 v20, v19, v21
	s_delay_alu instid0(VALU_DEP_1) | instskip(NEXT) | instid1(VALU_DEP_1)
	v_dual_sub_nc_u32 v17, v18, v17 :: v_dual_lshrrev_b32 v15, s11, v20
	v_mad_u32 v13, v17, s41, v13
	s_delay_alu instid0(VALU_DEP_4) | instskip(NEXT) | instid1(VALU_DEP_3)
	v_mad_u32 v12, v17, s40, v12
	v_mul_lo_u32 v18, v15, s9
	s_delay_alu instid0(VALU_DEP_1) | instskip(NEXT) | instid1(VALU_DEP_1)
	v_sub_nc_u32_e32 v17, v19, v18
	v_mad_u32 v13, v17, s43, v13
	s_delay_alu instid0(VALU_DEP_4)
	v_mad_u32 v12, v17, s42, v12
	s_cbranch_scc1 .LBB33_90
; %bb.91:
	s_and_b32 s4, s1, 3
	s_mov_b32 s1, 0
	s_cmp_eq_u32 s4, 0
	s_cbranch_scc0 .LBB33_95
	s_branch .LBB33_97
.LBB33_92:
	s_mov_b32 s6, -1
                                        ; implicit-def: $vgpr13
	s_branch .LBB33_97
.LBB33_93:
	v_dual_mov_b32 v13, 0 :: v_dual_mov_b32 v12, 0
	s_branch .LBB33_97
.LBB33_94:
	v_mov_b64_e32 v[12:13], 0
	v_mov_b32_e32 v15, v1
	s_mov_b32 s0, 0
	s_and_b32 s4, s1, 3
	s_mov_b32 s1, 0
	s_cmp_eq_u32 s4, 0
	s_cbranch_scc1 .LBB33_97
.LBB33_95:
	s_lshl_b32 s2, s0, 3
	s_mov_b32 s3, s1
	s_mul_u64 s[8:9], s[0:1], 12
	s_add_nc_u64 s[2:3], s[12:13], s[2:3]
	s_delay_alu instid0(SALU_CYCLE_1)
	s_add_nc_u64 s[0:1], s[2:3], 0xc4
	s_add_nc_u64 s[2:3], s[12:13], s[8:9]
.LBB33_96:                              ; =>This Inner Loop Header: Depth=1
	s_load_b96 s[8:10], s[2:3], 0x4
	s_add_co_i32 s4, s4, -1
	s_wait_xcnt 0x0
	s_add_nc_u64 s[2:3], s[2:3], 12
	s_cmp_lg_u32 s4, 0
	s_wait_kmcnt 0x0
	v_mul_hi_u32 v17, s9, v15
	s_delay_alu instid0(VALU_DEP_1) | instskip(NEXT) | instid1(VALU_DEP_1)
	v_add_nc_u32_e32 v17, v15, v17
	v_lshrrev_b32_e32 v17, s10, v17
	s_load_b64 s[10:11], s[0:1], 0x0
	s_wait_xcnt 0x0
	s_add_nc_u64 s[0:1], s[0:1], 8
	s_delay_alu instid0(VALU_DEP_1) | instskip(NEXT) | instid1(VALU_DEP_1)
	v_mul_lo_u32 v18, v17, s8
	v_sub_nc_u32_e32 v15, v15, v18
	s_wait_kmcnt 0x0
	s_delay_alu instid0(VALU_DEP_1)
	v_mad_u32 v13, v15, s11, v13
	v_mad_u32 v12, v15, s10, v12
	v_mov_b32_e32 v15, v17
	s_cbranch_scc1 .LBB33_96
.LBB33_97:
	s_and_not1_b32 vcc_lo, exec_lo, s6
	s_cbranch_vccnz .LBB33_100
; %bb.98:
	s_clause 0x1
	s_load_b96 s[0:2], s[12:13], 0x4
	s_load_b64 s[4:5], s[12:13], 0xc4
	s_cmp_lt_u32 s30, 2
	s_wait_kmcnt 0x0
	v_mul_hi_u32 v12, s1, v1
	s_delay_alu instid0(VALU_DEP_1) | instskip(NEXT) | instid1(VALU_DEP_1)
	v_add_nc_u32_e32 v12, v1, v12
	v_lshrrev_b32_e32 v15, s2, v12
	s_delay_alu instid0(VALU_DEP_1) | instskip(NEXT) | instid1(VALU_DEP_1)
	v_mul_lo_u32 v12, v15, s0
	v_sub_nc_u32_e32 v1, v1, v12
	s_delay_alu instid0(VALU_DEP_1)
	v_mul_lo_u32 v13, v1, s5
	v_mul_lo_u32 v12, v1, s4
	s_cbranch_scc1 .LBB33_100
; %bb.99:
	s_clause 0x1
	s_load_b96 s[0:2], s[12:13], 0x10
	s_load_b64 s[4:5], s[12:13], 0xcc
	s_wait_kmcnt 0x0
	v_mul_hi_u32 v1, s1, v15
	s_delay_alu instid0(VALU_DEP_1) | instskip(NEXT) | instid1(VALU_DEP_1)
	v_add_nc_u32_e32 v1, v15, v1
	v_lshrrev_b32_e32 v1, s2, v1
	s_delay_alu instid0(VALU_DEP_1) | instskip(NEXT) | instid1(VALU_DEP_1)
	v_mul_lo_u32 v1, v1, s0
	v_sub_nc_u32_e32 v1, v15, v1
	s_delay_alu instid0(VALU_DEP_1)
	v_mad_u32 v12, v1, s4, v12
	v_mad_u32 v13, v1, s5, v13
.LBB33_100:
	v_cmp_ne_u32_e32 vcc_lo, 1, v14
	v_add_nc_u32_e32 v15, 0x300, v0
	s_cbranch_vccnz .LBB33_106
; %bb.101:
	s_cmp_lg_u32 s30, 0
	s_mov_b32 s6, 0
	s_cbranch_scc0 .LBB33_107
; %bb.102:
	s_min_u32 s1, s31, 15
	s_delay_alu instid0(SALU_CYCLE_1)
	s_add_co_i32 s1, s1, 1
	s_cmp_eq_u32 s31, 2
	s_cbranch_scc1 .LBB33_108
; %bb.103:
	v_dual_mov_b32 v0, 0 :: v_dual_mov_b32 v1, 0
	v_mov_b32_e32 v17, v15
	s_and_b32 s0, s1, 28
	s_add_nc_u64 s[2:3], s[12:13], 0xc4
	s_mov_b32 s7, 0
	s_mov_b64 s[4:5], s[12:13]
.LBB33_104:                             ; =>This Inner Loop Header: Depth=1
	s_clause 0x1
	s_load_b256 s[16:23], s[4:5], 0x4
	s_load_b128 s[8:11], s[4:5], 0x24
	s_load_b256 s[36:43], s[2:3], 0x0
	s_add_co_i32 s7, s7, 4
	s_wait_xcnt 0x0
	s_add_nc_u64 s[4:5], s[4:5], 48
	s_cmp_lg_u32 s0, s7
	s_add_nc_u64 s[2:3], s[2:3], 32
	s_wait_kmcnt 0x0
	v_mul_hi_u32 v18, s17, v17
	s_delay_alu instid0(VALU_DEP_1) | instskip(NEXT) | instid1(VALU_DEP_1)
	v_add_nc_u32_e32 v18, v17, v18
	v_lshrrev_b32_e32 v18, s18, v18
	s_delay_alu instid0(VALU_DEP_1) | instskip(NEXT) | instid1(VALU_DEP_1)
	v_mul_hi_u32 v19, s20, v18
	v_add_nc_u32_e32 v19, v18, v19
	s_delay_alu instid0(VALU_DEP_1) | instskip(NEXT) | instid1(VALU_DEP_1)
	v_lshrrev_b32_e32 v19, s21, v19
	v_mul_hi_u32 v20, s23, v19
	s_delay_alu instid0(VALU_DEP_1) | instskip(SKIP_1) | instid1(VALU_DEP_1)
	v_add_nc_u32_e32 v20, v19, v20
	v_mul_lo_u32 v21, v18, s16
	v_sub_nc_u32_e32 v17, v17, v21
	v_mul_lo_u32 v21, v19, s19
	s_delay_alu instid0(VALU_DEP_4) | instskip(NEXT) | instid1(VALU_DEP_3)
	v_lshrrev_b32_e32 v20, s8, v20
	v_mad_u32 v1, v17, s37, v1
	v_mad_u32 v0, v17, s36, v0
	s_delay_alu instid0(VALU_DEP_4) | instskip(NEXT) | instid1(VALU_DEP_4)
	v_sub_nc_u32_e32 v17, v18, v21
	v_mul_hi_u32 v22, s10, v20
	v_mul_lo_u32 v18, v20, s22
	s_delay_alu instid0(VALU_DEP_3) | instskip(SKIP_1) | instid1(VALU_DEP_4)
	v_mad_u32 v1, v17, s39, v1
	v_mad_u32 v0, v17, s38, v0
	v_add_nc_u32_e32 v21, v20, v22
	s_delay_alu instid0(VALU_DEP_1) | instskip(NEXT) | instid1(VALU_DEP_1)
	v_dual_sub_nc_u32 v18, v19, v18 :: v_dual_lshrrev_b32 v17, s11, v21
	v_mad_u32 v1, v18, s41, v1
	s_delay_alu instid0(VALU_DEP_4) | instskip(NEXT) | instid1(VALU_DEP_3)
	v_mad_u32 v0, v18, s40, v0
	v_mul_lo_u32 v19, v17, s9
	s_delay_alu instid0(VALU_DEP_1) | instskip(NEXT) | instid1(VALU_DEP_1)
	v_sub_nc_u32_e32 v18, v20, v19
	v_mad_u32 v1, v18, s43, v1
	s_delay_alu instid0(VALU_DEP_4)
	v_mad_u32 v0, v18, s42, v0
	s_cbranch_scc1 .LBB33_104
; %bb.105:
	s_and_b32 s4, s1, 3
	s_mov_b32 s1, 0
	s_cmp_eq_u32 s4, 0
	s_cbranch_scc0 .LBB33_109
	s_branch .LBB33_111
.LBB33_106:
	s_mov_b32 s6, -1
                                        ; implicit-def: $vgpr1
	s_branch .LBB33_111
.LBB33_107:
	v_dual_mov_b32 v1, 0 :: v_dual_mov_b32 v0, 0
	s_branch .LBB33_111
.LBB33_108:
	v_mov_b64_e32 v[0:1], 0
	v_mov_b32_e32 v17, v15
	s_mov_b32 s0, 0
	s_and_b32 s4, s1, 3
	s_mov_b32 s1, 0
	s_cmp_eq_u32 s4, 0
	s_cbranch_scc1 .LBB33_111
.LBB33_109:
	s_lshl_b32 s2, s0, 3
	s_mov_b32 s3, s1
	s_mul_u64 s[8:9], s[0:1], 12
	s_add_nc_u64 s[2:3], s[12:13], s[2:3]
	s_delay_alu instid0(SALU_CYCLE_1)
	s_add_nc_u64 s[0:1], s[2:3], 0xc4
	s_add_nc_u64 s[2:3], s[12:13], s[8:9]
.LBB33_110:                             ; =>This Inner Loop Header: Depth=1
	s_load_b96 s[8:10], s[2:3], 0x4
	s_add_co_i32 s4, s4, -1
	s_wait_xcnt 0x0
	s_add_nc_u64 s[2:3], s[2:3], 12
	s_cmp_lg_u32 s4, 0
	s_wait_kmcnt 0x0
	v_mul_hi_u32 v18, s9, v17
	s_delay_alu instid0(VALU_DEP_1) | instskip(NEXT) | instid1(VALU_DEP_1)
	v_add_nc_u32_e32 v18, v17, v18
	v_lshrrev_b32_e32 v18, s10, v18
	s_load_b64 s[10:11], s[0:1], 0x0
	s_wait_xcnt 0x0
	s_add_nc_u64 s[0:1], s[0:1], 8
	s_delay_alu instid0(VALU_DEP_1) | instskip(NEXT) | instid1(VALU_DEP_1)
	v_mul_lo_u32 v19, v18, s8
	v_sub_nc_u32_e32 v17, v17, v19
	s_wait_kmcnt 0x0
	s_delay_alu instid0(VALU_DEP_1)
	v_mad_u32 v1, v17, s11, v1
	v_mad_u32 v0, v17, s10, v0
	v_mov_b32_e32 v17, v18
	s_cbranch_scc1 .LBB33_110
.LBB33_111:
	s_and_not1_b32 vcc_lo, exec_lo, s6
	s_cbranch_vccnz .LBB33_114
; %bb.112:
	s_clause 0x1
	s_load_b96 s[0:2], s[12:13], 0x4
	s_load_b64 s[4:5], s[12:13], 0xc4
	s_cmp_lt_u32 s30, 2
	s_wait_kmcnt 0x0
	v_mul_hi_u32 v0, s1, v15
	s_delay_alu instid0(VALU_DEP_1) | instskip(NEXT) | instid1(VALU_DEP_1)
	v_add_nc_u32_e32 v0, v15, v0
	v_lshrrev_b32_e32 v17, s2, v0
	s_delay_alu instid0(VALU_DEP_1) | instskip(NEXT) | instid1(VALU_DEP_1)
	v_mul_lo_u32 v0, v17, s0
	v_sub_nc_u32_e32 v0, v15, v0
	s_delay_alu instid0(VALU_DEP_1)
	v_mul_lo_u32 v1, v0, s5
	v_mul_lo_u32 v0, v0, s4
	s_cbranch_scc1 .LBB33_114
; %bb.113:
	s_clause 0x1
	s_load_b96 s[0:2], s[12:13], 0x10
	s_load_b64 s[4:5], s[12:13], 0xcc
	s_wait_kmcnt 0x0
	v_mul_hi_u32 v15, s1, v17
	s_delay_alu instid0(VALU_DEP_1) | instskip(NEXT) | instid1(VALU_DEP_1)
	v_add_nc_u32_e32 v15, v17, v15
	v_lshrrev_b32_e32 v15, s2, v15
	s_delay_alu instid0(VALU_DEP_1) | instskip(NEXT) | instid1(VALU_DEP_1)
	v_mul_lo_u32 v15, v15, s0
	v_sub_nc_u32_e32 v15, v17, v15
	s_delay_alu instid0(VALU_DEP_1)
	v_mad_u32 v0, v15, s4, v0
	v_mad_u32 v1, v15, s5, v1
.LBB33_114:
	v_cmp_ne_u32_e32 vcc_lo, 1, v14
	s_cbranch_vccnz .LBB33_120
; %bb.115:
	s_cmp_lg_u32 s30, 0
	s_mov_b32 s6, 0
	s_cbranch_scc0 .LBB33_121
; %bb.116:
	s_min_u32 s1, s31, 15
	s_delay_alu instid0(SALU_CYCLE_1)
	s_add_co_i32 s1, s1, 1
	s_cmp_eq_u32 s31, 2
	s_cbranch_scc1 .LBB33_122
; %bb.117:
	v_dual_mov_b32 v14, 0 :: v_dual_mov_b32 v15, 0
	v_mov_b32_e32 v17, v16
	s_and_b32 s0, s1, 28
	s_add_nc_u64 s[2:3], s[12:13], 0xc4
	s_mov_b32 s7, 0
	s_mov_b64 s[4:5], s[12:13]
.LBB33_118:                             ; =>This Inner Loop Header: Depth=1
	s_clause 0x1
	s_load_b256 s[16:23], s[4:5], 0x4
	s_load_b128 s[8:11], s[4:5], 0x24
	s_load_b256 s[36:43], s[2:3], 0x0
	s_add_co_i32 s7, s7, 4
	s_wait_xcnt 0x0
	s_add_nc_u64 s[4:5], s[4:5], 48
	s_cmp_lg_u32 s0, s7
	s_add_nc_u64 s[2:3], s[2:3], 32
	s_wait_kmcnt 0x0
	v_mul_hi_u32 v18, s17, v17
	s_delay_alu instid0(VALU_DEP_1) | instskip(NEXT) | instid1(VALU_DEP_1)
	v_add_nc_u32_e32 v18, v17, v18
	v_lshrrev_b32_e32 v18, s18, v18
	s_delay_alu instid0(VALU_DEP_1) | instskip(NEXT) | instid1(VALU_DEP_1)
	v_mul_hi_u32 v19, s20, v18
	v_add_nc_u32_e32 v19, v18, v19
	s_delay_alu instid0(VALU_DEP_1) | instskip(NEXT) | instid1(VALU_DEP_1)
	v_lshrrev_b32_e32 v19, s21, v19
	v_mul_hi_u32 v20, s23, v19
	s_delay_alu instid0(VALU_DEP_1) | instskip(SKIP_1) | instid1(VALU_DEP_1)
	v_add_nc_u32_e32 v20, v19, v20
	v_mul_lo_u32 v21, v18, s16
	v_sub_nc_u32_e32 v17, v17, v21
	v_mul_lo_u32 v21, v19, s19
	s_delay_alu instid0(VALU_DEP_4) | instskip(NEXT) | instid1(VALU_DEP_3)
	v_lshrrev_b32_e32 v20, s8, v20
	v_mad_u32 v15, v17, s37, v15
	v_mad_u32 v14, v17, s36, v14
	s_delay_alu instid0(VALU_DEP_4) | instskip(NEXT) | instid1(VALU_DEP_4)
	v_sub_nc_u32_e32 v17, v18, v21
	v_mul_hi_u32 v22, s10, v20
	v_mul_lo_u32 v18, v20, s22
	s_delay_alu instid0(VALU_DEP_3) | instskip(SKIP_1) | instid1(VALU_DEP_4)
	v_mad_u32 v15, v17, s39, v15
	v_mad_u32 v14, v17, s38, v14
	v_add_nc_u32_e32 v21, v20, v22
	s_delay_alu instid0(VALU_DEP_1) | instskip(NEXT) | instid1(VALU_DEP_1)
	v_dual_sub_nc_u32 v18, v19, v18 :: v_dual_lshrrev_b32 v17, s11, v21
	v_mad_u32 v15, v18, s41, v15
	s_delay_alu instid0(VALU_DEP_4) | instskip(NEXT) | instid1(VALU_DEP_3)
	v_mad_u32 v14, v18, s40, v14
	v_mul_lo_u32 v19, v17, s9
	s_delay_alu instid0(VALU_DEP_1) | instskip(NEXT) | instid1(VALU_DEP_1)
	v_sub_nc_u32_e32 v18, v20, v19
	v_mad_u32 v15, v18, s43, v15
	s_delay_alu instid0(VALU_DEP_4)
	v_mad_u32 v14, v18, s42, v14
	s_cbranch_scc1 .LBB33_118
; %bb.119:
	s_and_b32 s4, s1, 3
	s_mov_b32 s1, 0
	s_cmp_eq_u32 s4, 0
	s_cbranch_scc0 .LBB33_123
	s_branch .LBB33_125
.LBB33_120:
	s_mov_b32 s6, -1
                                        ; implicit-def: $vgpr15
	s_branch .LBB33_125
.LBB33_121:
	v_dual_mov_b32 v15, 0 :: v_dual_mov_b32 v14, 0
	s_branch .LBB33_125
.LBB33_122:
	v_mov_b64_e32 v[14:15], 0
	v_mov_b32_e32 v17, v16
	s_mov_b32 s0, 0
	s_and_b32 s4, s1, 3
	s_mov_b32 s1, 0
	s_cmp_eq_u32 s4, 0
	s_cbranch_scc1 .LBB33_125
.LBB33_123:
	s_lshl_b32 s2, s0, 3
	s_mov_b32 s3, s1
	s_mul_u64 s[8:9], s[0:1], 12
	s_add_nc_u64 s[2:3], s[12:13], s[2:3]
	s_delay_alu instid0(SALU_CYCLE_1)
	s_add_nc_u64 s[0:1], s[2:3], 0xc4
	s_add_nc_u64 s[2:3], s[12:13], s[8:9]
.LBB33_124:                             ; =>This Inner Loop Header: Depth=1
	s_load_b96 s[8:10], s[2:3], 0x4
	s_add_co_i32 s4, s4, -1
	s_wait_xcnt 0x0
	s_add_nc_u64 s[2:3], s[2:3], 12
	s_cmp_lg_u32 s4, 0
	s_wait_kmcnt 0x0
	v_mul_hi_u32 v18, s9, v17
	s_delay_alu instid0(VALU_DEP_1) | instskip(NEXT) | instid1(VALU_DEP_1)
	v_add_nc_u32_e32 v18, v17, v18
	v_lshrrev_b32_e32 v18, s10, v18
	s_load_b64 s[10:11], s[0:1], 0x0
	s_wait_xcnt 0x0
	s_add_nc_u64 s[0:1], s[0:1], 8
	s_delay_alu instid0(VALU_DEP_1) | instskip(NEXT) | instid1(VALU_DEP_1)
	v_mul_lo_u32 v19, v18, s8
	v_sub_nc_u32_e32 v17, v17, v19
	s_wait_kmcnt 0x0
	s_delay_alu instid0(VALU_DEP_1)
	v_mad_u32 v15, v17, s11, v15
	v_mad_u32 v14, v17, s10, v14
	v_mov_b32_e32 v17, v18
	s_cbranch_scc1 .LBB33_124
.LBB33_125:
	s_and_not1_b32 vcc_lo, exec_lo, s6
	s_cbranch_vccnz .LBB33_128
; %bb.126:
	s_clause 0x1
	s_load_b96 s[0:2], s[12:13], 0x4
	s_load_b64 s[4:5], s[12:13], 0xc4
	s_cmp_lt_u32 s30, 2
	s_wait_kmcnt 0x0
	v_mul_hi_u32 v14, s1, v16
	s_delay_alu instid0(VALU_DEP_1) | instskip(NEXT) | instid1(VALU_DEP_1)
	v_add_nc_u32_e32 v14, v16, v14
	v_lshrrev_b32_e32 v17, s2, v14
	s_delay_alu instid0(VALU_DEP_1) | instskip(NEXT) | instid1(VALU_DEP_1)
	v_mul_lo_u32 v14, v17, s0
	v_sub_nc_u32_e32 v14, v16, v14
	s_delay_alu instid0(VALU_DEP_1)
	v_mul_lo_u32 v15, v14, s5
	v_mul_lo_u32 v14, v14, s4
	s_cbranch_scc1 .LBB33_128
; %bb.127:
	s_clause 0x1
	s_load_b96 s[0:2], s[12:13], 0x10
	s_load_b64 s[4:5], s[12:13], 0xcc
	s_wait_kmcnt 0x0
	v_mul_hi_u32 v16, s1, v17
	s_delay_alu instid0(VALU_DEP_1) | instskip(NEXT) | instid1(VALU_DEP_1)
	v_add_nc_u32_e32 v16, v17, v16
	v_lshrrev_b32_e32 v16, s2, v16
	s_delay_alu instid0(VALU_DEP_1) | instskip(NEXT) | instid1(VALU_DEP_1)
	v_mul_lo_u32 v16, v16, s0
	v_sub_nc_u32_e32 v16, v17, v16
	s_delay_alu instid0(VALU_DEP_1)
	v_mad_u32 v14, v16, s4, v14
	v_mad_u32 v15, v16, s5, v15
.LBB33_128:
	s_clause 0x1
	s_load_b128 s[0:3], s[12:13], 0x148
	s_load_b64 s[4:5], s[12:13], 0x158
	s_mov_b32 s6, exec_lo
	s_wait_kmcnt 0x0
	global_load_u16 v3, v3, s[2:3]
	s_wait_loadcnt 0x0
	v_lshlrev_b32_e32 v3, 16, v3
	s_delay_alu instid0(VALU_DEP_1) | instskip(NEXT) | instid1(VALU_DEP_1)
	v_mul_f32_e32 v16, s4, v3
	v_cmpx_nlt_f32_e32 s5, v16
	s_cbranch_execz .LBB33_130
; %bb.129:
	v_mul_f32_e32 v3, 0x3fb8aa3b, v16
	v_cmp_ngt_f32_e32 vcc_lo, 0xc2ce8ed0, v16
	s_mov_b32 s7, 0x3e9b6dac
	s_delay_alu instid0(VALU_DEP_2) | instskip(SKIP_1) | instid1(VALU_DEP_1)
	v_rndne_f32_e32 v17, v3
	v_fma_f32 v18, 0x3fb8aa3b, v16, -v3
	v_dual_sub_f32 v3, v3, v17 :: v_dual_fmamk_f32 v18, v16, 0x32a5705f, v18
	v_cvt_i32_f32_e32 v17, v17
	s_delay_alu instid0(VALU_DEP_2) | instskip(NEXT) | instid1(VALU_DEP_1)
	v_add_f32_e32 v3, v3, v18
	v_exp_f32_e32 v3, v3
	v_nop
	s_delay_alu instid0(TRANS32_DEP_1) | instskip(NEXT) | instid1(VALU_DEP_1)
	v_ldexp_f32 v3, v3, v17
	v_cndmask_b32_e32 v3, 0, v3, vcc_lo
	v_cmp_nlt_f32_e32 vcc_lo, 0x42b17218, v16
	s_delay_alu instid0(VALU_DEP_2) | instskip(NEXT) | instid1(VALU_DEP_1)
	v_cndmask_b32_e32 v32, 0x7f800000, v3, vcc_lo
	v_add_f32_e32 v3, 1.0, v32
	s_delay_alu instid0(VALU_DEP_1) | instskip(NEXT) | instid1(VALU_DEP_1)
	v_cvt_f64_f32_e32 v[16:17], v3
	v_frexp_exp_i32_f64_e32 v16, v[16:17]
	v_frexp_mant_f32_e32 v17, v3
	s_delay_alu instid0(VALU_DEP_1) | instskip(NEXT) | instid1(VALU_DEP_3)
	v_cmp_gt_f32_e32 vcc_lo, 0x3f2aaaab, v17
	v_subrev_co_ci_u32_e64 v22, null, 0, v16, vcc_lo
	s_delay_alu instid0(VALU_DEP_1) | instskip(NEXT) | instid1(VALU_DEP_1)
	v_dual_add_f32 v16, -1.0, v3 :: v_dual_sub_nc_u32 v17, 0, v22
	v_sub_f32_e32 v18, v16, v3
	s_delay_alu instid0(VALU_DEP_2) | instskip(NEXT) | instid1(VALU_DEP_1)
	v_ldexp_f32 v3, v3, v17
	v_dual_add_f32 v18, 1.0, v18 :: v_dual_add_f32 v19, 1.0, v3
	v_dual_add_f32 v21, -1.0, v3 :: v_dual_sub_f32 v16, v32, v16
	v_cmp_neq_f32_e32 vcc_lo, 0x7f800000, v32
	s_delay_alu instid0(VALU_DEP_2) | instskip(NEXT) | instid1(VALU_DEP_1)
	v_dual_add_f32 v16, v16, v18 :: v_dual_add_f32 v18, -1.0, v19
	v_ldexp_f32 v16, v16, v17
	s_delay_alu instid0(VALU_DEP_2) | instskip(NEXT) | instid1(VALU_DEP_1)
	v_dual_sub_f32 v17, v3, v18 :: v_dual_add_f32 v18, 1.0, v21
	v_add_f32_e32 v20, v16, v17
	s_delay_alu instid0(VALU_DEP_1) | instskip(NEXT) | instid1(VALU_DEP_1)
	v_add_f32_e32 v23, v19, v20
	v_rcp_f32_e32 v24, v23
	s_delay_alu instid0(VALU_DEP_3) | instskip(NEXT) | instid1(VALU_DEP_1)
	v_sub_f32_e32 v3, v3, v18
	v_add_f32_e32 v3, v16, v3
	v_sub_f32_e32 v16, v19, v23
	s_delay_alu instid0(VALU_DEP_1)
	v_dual_add_f32 v17, v21, v3 :: v_dual_add_f32 v26, v20, v16
	s_delay_alu instid0(TRANS32_DEP_1) | instid1(VALU_DEP_1)
	v_mul_f32_e32 v25, v17, v24
	v_sub_f32_e32 v27, v21, v17
	s_delay_alu instid0(VALU_DEP_2) | instskip(NEXT) | instid1(VALU_DEP_2)
	v_mul_f32_e32 v18, v23, v25
	v_add_f32_e32 v3, v3, v27
	s_delay_alu instid0(VALU_DEP_2) | instskip(NEXT) | instid1(VALU_DEP_1)
	v_fma_f32 v20, v25, v23, -v18
	v_fmac_f32_e32 v20, v25, v26
	s_delay_alu instid0(VALU_DEP_1) | instskip(NEXT) | instid1(VALU_DEP_1)
	v_add_f32_e32 v16, v18, v20
	v_dual_sub_f32 v19, v17, v16 :: v_dual_mov_b32 v21, v16
	s_delay_alu instid0(VALU_DEP_1) | instskip(NEXT) | instid1(VALU_DEP_1)
	v_pk_add_f32 v[16:17], v[16:17], v[18:19] neg_lo:[0,1] neg_hi:[0,1]
	v_pk_add_f32 v[16:17], v[16:17], v[20:21] neg_lo:[0,1] neg_hi:[0,1]
	s_delay_alu instid0(VALU_DEP_1) | instskip(NEXT) | instid1(VALU_DEP_1)
	v_add_f32_e32 v3, v3, v17
	v_add_f32_e32 v3, v16, v3
	s_delay_alu instid0(VALU_DEP_1) | instskip(NEXT) | instid1(VALU_DEP_1)
	v_add_f32_e32 v17, v19, v3
	v_mul_f32_e32 v27, v24, v17
	s_delay_alu instid0(VALU_DEP_1) | instskip(NEXT) | instid1(VALU_DEP_1)
	v_mul_f32_e32 v20, v23, v27
	v_fma_f32 v18, v27, v23, -v20
	s_delay_alu instid0(VALU_DEP_1) | instskip(NEXT) | instid1(VALU_DEP_1)
	v_fmac_f32_e32 v18, v27, v26
	v_dual_add_f32 v16, v20, v18 :: v_dual_sub_f32 v23, v19, v17
	s_delay_alu instid0(VALU_DEP_1) | instskip(NEXT) | instid1(VALU_DEP_1)
	v_dual_sub_f32 v21, v17, v16 :: v_dual_mov_b32 v19, v16
	v_pk_add_f32 v[16:17], v[16:17], v[20:21] neg_lo:[0,1] neg_hi:[0,1]
	v_add_f32_e32 v20, v25, v27
	s_delay_alu instid0(VALU_DEP_4) | instskip(NEXT) | instid1(VALU_DEP_3)
	v_add_f32_e32 v3, v3, v23
	v_pk_add_f32 v[16:17], v[16:17], v[18:19] neg_lo:[0,1] neg_hi:[0,1]
	v_cvt_f32_i32_e32 v18, v22
	s_delay_alu instid0(VALU_DEP_2) | instskip(NEXT) | instid1(VALU_DEP_1)
	v_add_f32_e32 v3, v3, v17
	v_add_f32_e32 v3, v16, v3
	v_sub_f32_e32 v16, v20, v25
	s_delay_alu instid0(VALU_DEP_1) | instskip(NEXT) | instid1(VALU_DEP_1)
	v_dual_sub_f32 v16, v27, v16 :: v_dual_add_f32 v3, v21, v3
	v_mul_f32_e32 v3, v24, v3
	s_delay_alu instid0(VALU_DEP_1) | instskip(NEXT) | instid1(VALU_DEP_1)
	v_dual_add_f32 v3, v16, v3 :: v_dual_mov_b32 v16, 0x3f317218
	v_add_f32_e32 v21, v20, v3
	s_delay_alu instid0(VALU_DEP_1) | instskip(NEXT) | instid1(VALU_DEP_1)
	v_mul_f32_e32 v17, v21, v21
	v_fmaak_f32 v23, s7, v17, 0x3ecc95a3
	v_mul_f32_e32 v19, v21, v17
	s_delay_alu instid0(VALU_DEP_2) | instskip(NEXT) | instid1(VALU_DEP_1)
	v_fmaak_f32 v17, v17, v23, 0x3f2aaada
	v_pk_mul_f32 v[16:17], v[18:19], v[16:17]
	s_delay_alu instid0(VALU_DEP_1) | instskip(NEXT) | instid1(VALU_DEP_1)
	v_fma_f32 v22, 0x3f317218, v18, -v16
	v_fmamk_f32 v18, v18, 0xb102e308, v22
	v_sub_f32_e32 v22, v21, v20
	s_delay_alu instid0(VALU_DEP_1) | instskip(SKIP_2) | instid1(VALU_DEP_3)
	v_sub_f32_e32 v3, v3, v22
	v_ldexp_f32 v19, v21, 1
	v_mov_b32_e32 v22, v16
	v_ldexp_f32 v3, v3, 1
	s_delay_alu instid0(VALU_DEP_3) | instskip(NEXT) | instid1(VALU_DEP_1)
	v_pk_add_f32 v[20:21], v[16:17], v[18:19]
	v_dual_sub_f32 v19, v21, v19 :: v_dual_mov_b32 v30, v21
	s_delay_alu instid0(VALU_DEP_1) | instskip(NEXT) | instid1(VALU_DEP_3)
	v_sub_f32_e32 v19, v17, v19
	v_pk_add_f32 v[16:17], v[20:21], v[16:17] neg_lo:[0,1] neg_hi:[0,1]
	s_delay_alu instid0(VALU_DEP_2) | instskip(NEXT) | instid1(VALU_DEP_1)
	v_dual_add_f32 v23, v3, v19 :: v_dual_mov_b32 v19, v20
	v_pk_add_f32 v[24:25], v[20:21], v[22:23]
	s_delay_alu instid0(VALU_DEP_1) | instskip(NEXT) | instid1(VALU_DEP_1)
	v_mov_b32_e32 v17, v25
	v_pk_add_f32 v[26:27], v[18:19], v[16:17]
	v_mov_b32_e32 v26, v25
	v_pk_add_f32 v[16:17], v[18:19], v[16:17] neg_lo:[0,1] neg_hi:[0,1]
	s_delay_alu instid0(VALU_DEP_3) | instskip(NEXT) | instid1(VALU_DEP_1)
	v_dual_mov_b32 v22, v27 :: v_dual_mov_b32 v17, v27
	v_pk_add_f32 v[28:29], v[22:23], v[20:21] neg_lo:[0,1] neg_hi:[0,1]
	v_dual_mov_b32 v21, v20 :: v_dual_mov_b32 v20, v23
	s_delay_alu instid0(VALU_DEP_2) | instskip(NEXT) | instid1(VALU_DEP_1)
	v_dual_mov_b32 v3, v28 :: v_dual_mov_b32 v31, v28
	v_pk_add_f32 v[24:25], v[24:25], v[2:3] neg_lo:[0,1] neg_hi:[0,1]
	s_delay_alu instid0(VALU_DEP_2) | instskip(SKIP_1) | instid1(VALU_DEP_2)
	v_pk_add_f32 v[18:19], v[26:27], v[30:31] neg_lo:[0,1] neg_hi:[0,1]
	v_mov_b32_e32 v24, v16
	v_pk_add_f32 v[18:19], v[20:21], v[18:19] neg_lo:[0,1] neg_hi:[0,1]
	s_delay_alu instid0(VALU_DEP_1) | instskip(NEXT) | instid1(VALU_DEP_1)
	v_pk_add_f32 v[20:21], v[24:25], v[18:19]
	v_mov_b32_e32 v24, v21
	s_delay_alu instid0(VALU_DEP_1) | instskip(NEXT) | instid1(VALU_DEP_1)
	v_pk_add_f32 v[24:25], v[20:21], v[24:25]
	v_pk_add_f32 v[22:23], v[22:23], v[24:25]
	s_delay_alu instid0(VALU_DEP_1) | instskip(NEXT) | instid1(VALU_DEP_1)
	v_mov_b32_e32 v21, v22
	v_pk_add_f32 v[26:27], v[20:21], v[16:17] neg_lo:[0,1] neg_hi:[0,1]
	s_delay_alu instid0(VALU_DEP_1) | instskip(NEXT) | instid1(VALU_DEP_1)
	v_sub_f32_e32 v3, v20, v26
	v_sub_f32_e32 v3, v16, v3
	v_mov_b32_e32 v19, v24
	s_delay_alu instid0(VALU_DEP_1) | instskip(NEXT) | instid1(VALU_DEP_1)
	v_pk_add_f32 v[18:19], v[18:19], v[26:27] neg_lo:[0,1] neg_hi:[0,1]
	v_add_f32_e32 v3, v18, v3
	s_delay_alu instid0(VALU_DEP_1) | instskip(NEXT) | instid1(VALU_DEP_1)
	v_add_f32_e32 v3, v3, v19
	v_add_f32_e32 v3, v22, v3
	s_delay_alu instid0(VALU_DEP_1) | instskip(SKIP_1) | instid1(VALU_DEP_2)
	v_cndmask_b32_e32 v3, 0x7f800000, v3, vcc_lo
	v_cmp_gt_f32_e64 vcc_lo, 0x33800000, |v32|
	v_cndmask_b32_e32 v3, v3, v32, vcc_lo
	s_delay_alu instid0(VALU_DEP_1) | instskip(NEXT) | instid1(VALU_DEP_1)
	v_div_scale_f32 v16, null, s4, s4, v3
	v_rcp_f32_e32 v17, v16
	v_nop
	s_delay_alu instid0(TRANS32_DEP_1) | instskip(NEXT) | instid1(VALU_DEP_1)
	v_fma_f32 v18, -v16, v17, 1.0
	v_fmac_f32_e32 v17, v18, v17
	v_div_scale_f32 v18, vcc_lo, v3, s4, v3
	s_delay_alu instid0(VALU_DEP_1) | instskip(NEXT) | instid1(VALU_DEP_1)
	v_mul_f32_e32 v19, v18, v17
	v_fma_f32 v20, -v16, v19, v18
	s_delay_alu instid0(VALU_DEP_1) | instskip(NEXT) | instid1(VALU_DEP_1)
	v_fmac_f32_e32 v19, v20, v17
	v_fma_f32 v16, -v16, v19, v18
	s_delay_alu instid0(VALU_DEP_1) | instskip(NEXT) | instid1(VALU_DEP_1)
	v_div_fmas_f32 v16, v16, v17, v19
	v_div_fixup_f32 v3, v16, s4, v3
.LBB33_130:
	s_or_b32 exec_lo, exec_lo, s6
	global_load_u16 v5, v5, s[2:3]
	s_mov_b32 s6, exec_lo
	s_wait_loadcnt 0x0
	v_lshlrev_b32_e32 v5, 16, v5
	s_delay_alu instid0(VALU_DEP_1) | instskip(NEXT) | instid1(VALU_DEP_1)
	v_mul_f32_e32 v16, s4, v5
	v_cmpx_nlt_f32_e32 s5, v16
	s_cbranch_execz .LBB33_132
; %bb.131:
	v_mul_f32_e32 v5, 0x3fb8aa3b, v16
	v_cmp_ngt_f32_e32 vcc_lo, 0xc2ce8ed0, v16
	s_mov_b32 s7, 0x3e9b6dac
	s_delay_alu instid0(VALU_DEP_2) | instskip(SKIP_1) | instid1(VALU_DEP_1)
	v_rndne_f32_e32 v17, v5
	v_fma_f32 v18, 0x3fb8aa3b, v16, -v5
	v_dual_sub_f32 v5, v5, v17 :: v_dual_fmamk_f32 v18, v16, 0x32a5705f, v18
	v_cvt_i32_f32_e32 v17, v17
	s_delay_alu instid0(VALU_DEP_2) | instskip(NEXT) | instid1(VALU_DEP_1)
	v_add_f32_e32 v5, v5, v18
	v_exp_f32_e32 v5, v5
	v_nop
	s_delay_alu instid0(TRANS32_DEP_1) | instskip(NEXT) | instid1(VALU_DEP_1)
	v_ldexp_f32 v5, v5, v17
	v_cndmask_b32_e32 v5, 0, v5, vcc_lo
	v_cmp_nlt_f32_e32 vcc_lo, 0x42b17218, v16
	s_delay_alu instid0(VALU_DEP_2) | instskip(NEXT) | instid1(VALU_DEP_1)
	v_cndmask_b32_e32 v32, 0x7f800000, v5, vcc_lo
	v_add_f32_e32 v5, 1.0, v32
	s_delay_alu instid0(VALU_DEP_1) | instskip(NEXT) | instid1(VALU_DEP_1)
	v_cvt_f64_f32_e32 v[16:17], v5
	v_frexp_exp_i32_f64_e32 v16, v[16:17]
	v_frexp_mant_f32_e32 v17, v5
	s_delay_alu instid0(VALU_DEP_1) | instskip(NEXT) | instid1(VALU_DEP_3)
	v_cmp_gt_f32_e32 vcc_lo, 0x3f2aaaab, v17
	v_subrev_co_ci_u32_e64 v22, null, 0, v16, vcc_lo
	s_delay_alu instid0(VALU_DEP_1) | instskip(NEXT) | instid1(VALU_DEP_1)
	v_dual_add_f32 v16, -1.0, v5 :: v_dual_sub_nc_u32 v17, 0, v22
	v_sub_f32_e32 v18, v16, v5
	s_delay_alu instid0(VALU_DEP_2) | instskip(NEXT) | instid1(VALU_DEP_1)
	v_ldexp_f32 v5, v5, v17
	v_dual_add_f32 v19, 1.0, v5 :: v_dual_sub_f32 v16, v32, v16
	s_delay_alu instid0(VALU_DEP_3) | instskip(SKIP_1) | instid1(VALU_DEP_2)
	v_dual_add_f32 v21, -1.0, v5 :: v_dual_add_f32 v18, 1.0, v18
	v_cmp_neq_f32_e32 vcc_lo, 0x7f800000, v32
	v_dual_add_f32 v16, v16, v18 :: v_dual_add_f32 v18, -1.0, v19
	s_delay_alu instid0(VALU_DEP_1) | instskip(NEXT) | instid1(VALU_DEP_2)
	v_ldexp_f32 v16, v16, v17
	v_dual_sub_f32 v17, v5, v18 :: v_dual_add_f32 v18, 1.0, v21
	s_delay_alu instid0(VALU_DEP_1) | instskip(NEXT) | instid1(VALU_DEP_1)
	v_dual_add_f32 v20, v16, v17 :: v_dual_sub_f32 v5, v5, v18
	v_dual_add_f32 v23, v19, v20 :: v_dual_add_f32 v5, v16, v5
	s_delay_alu instid0(VALU_DEP_1) | instskip(NEXT) | instid1(VALU_DEP_1)
	v_rcp_f32_e32 v24, v23
	v_dual_add_f32 v17, v21, v5 :: v_dual_sub_f32 v16, v19, v23
	s_delay_alu instid0(VALU_DEP_1) | instskip(NEXT) | instid1(TRANS32_DEP_1)
	v_sub_f32_e32 v27, v21, v17
	v_mul_f32_e32 v25, v17, v24
	s_delay_alu instid0(VALU_DEP_2) | instskip(NEXT) | instid1(VALU_DEP_2)
	v_dual_add_f32 v26, v20, v16 :: v_dual_add_f32 v5, v5, v27
	v_mul_f32_e32 v18, v23, v25
	s_delay_alu instid0(VALU_DEP_1) | instskip(NEXT) | instid1(VALU_DEP_1)
	v_fma_f32 v20, v25, v23, -v18
	v_fmac_f32_e32 v20, v25, v26
	s_delay_alu instid0(VALU_DEP_1) | instskip(NEXT) | instid1(VALU_DEP_1)
	v_add_f32_e32 v16, v18, v20
	v_dual_sub_f32 v19, v17, v16 :: v_dual_mov_b32 v21, v16
	s_delay_alu instid0(VALU_DEP_1) | instskip(NEXT) | instid1(VALU_DEP_1)
	v_pk_add_f32 v[16:17], v[16:17], v[18:19] neg_lo:[0,1] neg_hi:[0,1]
	v_pk_add_f32 v[16:17], v[16:17], v[20:21] neg_lo:[0,1] neg_hi:[0,1]
	s_delay_alu instid0(VALU_DEP_1) | instskip(NEXT) | instid1(VALU_DEP_1)
	v_add_f32_e32 v5, v5, v17
	v_add_f32_e32 v5, v16, v5
	s_delay_alu instid0(VALU_DEP_1) | instskip(NEXT) | instid1(VALU_DEP_1)
	v_add_f32_e32 v17, v19, v5
	v_mul_f32_e32 v27, v24, v17
	s_delay_alu instid0(VALU_DEP_1) | instskip(NEXT) | instid1(VALU_DEP_1)
	v_mul_f32_e32 v20, v23, v27
	v_fma_f32 v18, v27, v23, -v20
	v_sub_f32_e32 v23, v19, v17
	s_delay_alu instid0(VALU_DEP_1) | instskip(NEXT) | instid1(VALU_DEP_1)
	v_dual_fmac_f32 v18, v27, v26 :: v_dual_add_f32 v5, v5, v23
	v_add_f32_e32 v16, v20, v18
	s_delay_alu instid0(VALU_DEP_1) | instskip(NEXT) | instid1(VALU_DEP_1)
	v_dual_sub_f32 v21, v17, v16 :: v_dual_mov_b32 v19, v16
	v_pk_add_f32 v[16:17], v[16:17], v[20:21] neg_lo:[0,1] neg_hi:[0,1]
	s_delay_alu instid0(VALU_DEP_1) | instskip(SKIP_1) | instid1(VALU_DEP_2)
	v_pk_add_f32 v[16:17], v[16:17], v[18:19] neg_lo:[0,1] neg_hi:[0,1]
	v_cvt_f32_i32_e32 v18, v22
	v_add_f32_e32 v5, v5, v17
	s_delay_alu instid0(VALU_DEP_1) | instskip(NEXT) | instid1(VALU_DEP_1)
	v_dual_add_f32 v20, v25, v27 :: v_dual_add_f32 v5, v16, v5
	v_sub_f32_e32 v16, v20, v25
	s_delay_alu instid0(VALU_DEP_1) | instskip(NEXT) | instid1(VALU_DEP_1)
	v_dual_add_f32 v5, v21, v5 :: v_dual_sub_f32 v16, v27, v16
	v_mul_f32_e32 v5, v24, v5
	s_delay_alu instid0(VALU_DEP_1) | instskip(NEXT) | instid1(VALU_DEP_1)
	v_dual_add_f32 v5, v16, v5 :: v_dual_mov_b32 v16, 0x3f317218
	v_add_f32_e32 v21, v20, v5
	s_delay_alu instid0(VALU_DEP_1) | instskip(NEXT) | instid1(VALU_DEP_1)
	v_mul_f32_e32 v17, v21, v21
	v_fmaak_f32 v23, s7, v17, 0x3ecc95a3
	v_mul_f32_e32 v19, v21, v17
	s_delay_alu instid0(VALU_DEP_2) | instskip(NEXT) | instid1(VALU_DEP_1)
	v_fmaak_f32 v17, v17, v23, 0x3f2aaada
	v_pk_mul_f32 v[16:17], v[18:19], v[16:17]
	s_delay_alu instid0(VALU_DEP_1) | instskip(NEXT) | instid1(VALU_DEP_1)
	v_fma_f32 v22, 0x3f317218, v18, -v16
	v_fmamk_f32 v18, v18, 0xb102e308, v22
	v_sub_f32_e32 v22, v21, v20
	s_delay_alu instid0(VALU_DEP_1) | instskip(SKIP_2) | instid1(VALU_DEP_3)
	v_sub_f32_e32 v5, v5, v22
	v_ldexp_f32 v19, v21, 1
	v_mov_b32_e32 v22, v16
	v_ldexp_f32 v5, v5, 1
	s_delay_alu instid0(VALU_DEP_3) | instskip(NEXT) | instid1(VALU_DEP_1)
	v_pk_add_f32 v[20:21], v[16:17], v[18:19]
	v_dual_sub_f32 v19, v21, v19 :: v_dual_mov_b32 v30, v21
	s_delay_alu instid0(VALU_DEP_1) | instskip(NEXT) | instid1(VALU_DEP_3)
	v_sub_f32_e32 v19, v17, v19
	v_pk_add_f32 v[16:17], v[20:21], v[16:17] neg_lo:[0,1] neg_hi:[0,1]
	s_delay_alu instid0(VALU_DEP_2) | instskip(NEXT) | instid1(VALU_DEP_1)
	v_dual_add_f32 v23, v5, v19 :: v_dual_mov_b32 v19, v20
	v_pk_add_f32 v[24:25], v[20:21], v[22:23]
	s_delay_alu instid0(VALU_DEP_1) | instskip(NEXT) | instid1(VALU_DEP_1)
	v_mov_b32_e32 v17, v25
	v_pk_add_f32 v[26:27], v[18:19], v[16:17]
	v_mov_b32_e32 v26, v25
	v_pk_add_f32 v[16:17], v[18:19], v[16:17] neg_lo:[0,1] neg_hi:[0,1]
	s_delay_alu instid0(VALU_DEP_3) | instskip(NEXT) | instid1(VALU_DEP_1)
	v_dual_mov_b32 v22, v27 :: v_dual_mov_b32 v17, v27
	v_pk_add_f32 v[28:29], v[22:23], v[20:21] neg_lo:[0,1] neg_hi:[0,1]
	v_dual_mov_b32 v21, v20 :: v_dual_mov_b32 v20, v23
	s_delay_alu instid0(VALU_DEP_2) | instskip(NEXT) | instid1(VALU_DEP_1)
	v_dual_mov_b32 v5, v28 :: v_dual_mov_b32 v31, v28
	v_pk_add_f32 v[24:25], v[24:25], v[4:5] neg_lo:[0,1] neg_hi:[0,1]
	s_delay_alu instid0(VALU_DEP_2) | instskip(SKIP_1) | instid1(VALU_DEP_2)
	v_pk_add_f32 v[18:19], v[26:27], v[30:31] neg_lo:[0,1] neg_hi:[0,1]
	v_mov_b32_e32 v24, v16
	v_pk_add_f32 v[18:19], v[20:21], v[18:19] neg_lo:[0,1] neg_hi:[0,1]
	s_delay_alu instid0(VALU_DEP_1) | instskip(NEXT) | instid1(VALU_DEP_1)
	v_pk_add_f32 v[20:21], v[24:25], v[18:19]
	v_mov_b32_e32 v24, v21
	s_delay_alu instid0(VALU_DEP_1) | instskip(NEXT) | instid1(VALU_DEP_1)
	v_pk_add_f32 v[24:25], v[20:21], v[24:25]
	v_pk_add_f32 v[22:23], v[22:23], v[24:25]
	s_delay_alu instid0(VALU_DEP_1) | instskip(NEXT) | instid1(VALU_DEP_1)
	v_mov_b32_e32 v21, v22
	v_pk_add_f32 v[26:27], v[20:21], v[16:17] neg_lo:[0,1] neg_hi:[0,1]
	s_delay_alu instid0(VALU_DEP_1) | instskip(NEXT) | instid1(VALU_DEP_1)
	v_sub_f32_e32 v5, v20, v26
	v_sub_f32_e32 v5, v16, v5
	v_mov_b32_e32 v19, v24
	s_delay_alu instid0(VALU_DEP_1) | instskip(NEXT) | instid1(VALU_DEP_1)
	v_pk_add_f32 v[18:19], v[18:19], v[26:27] neg_lo:[0,1] neg_hi:[0,1]
	v_add_f32_e32 v5, v18, v5
	s_delay_alu instid0(VALU_DEP_1) | instskip(NEXT) | instid1(VALU_DEP_1)
	v_add_f32_e32 v5, v5, v19
	v_add_f32_e32 v5, v22, v5
	s_delay_alu instid0(VALU_DEP_1) | instskip(SKIP_1) | instid1(VALU_DEP_2)
	v_cndmask_b32_e32 v5, 0x7f800000, v5, vcc_lo
	v_cmp_gt_f32_e64 vcc_lo, 0x33800000, |v32|
	v_cndmask_b32_e32 v5, v5, v32, vcc_lo
	s_delay_alu instid0(VALU_DEP_1) | instskip(NEXT) | instid1(VALU_DEP_1)
	v_div_scale_f32 v16, null, s4, s4, v5
	v_rcp_f32_e32 v17, v16
	v_nop
	s_delay_alu instid0(TRANS32_DEP_1) | instskip(NEXT) | instid1(VALU_DEP_1)
	v_fma_f32 v18, -v16, v17, 1.0
	v_fmac_f32_e32 v17, v18, v17
	v_div_scale_f32 v18, vcc_lo, v5, s4, v5
	s_delay_alu instid0(VALU_DEP_1) | instskip(NEXT) | instid1(VALU_DEP_1)
	v_mul_f32_e32 v19, v18, v17
	v_fma_f32 v20, -v16, v19, v18
	s_delay_alu instid0(VALU_DEP_1) | instskip(NEXT) | instid1(VALU_DEP_1)
	v_fmac_f32_e32 v19, v20, v17
	v_fma_f32 v16, -v16, v19, v18
	s_delay_alu instid0(VALU_DEP_1) | instskip(NEXT) | instid1(VALU_DEP_1)
	v_div_fmas_f32 v16, v16, v17, v19
	v_div_fixup_f32 v5, v16, s4, v5
.LBB33_132:
	s_or_b32 exec_lo, exec_lo, s6
	global_load_u16 v7, v7, s[2:3]
	s_mov_b32 s6, exec_lo
	s_wait_loadcnt 0x0
	v_lshlrev_b32_e32 v7, 16, v7
	s_delay_alu instid0(VALU_DEP_1) | instskip(NEXT) | instid1(VALU_DEP_1)
	v_mul_f32_e32 v16, s4, v7
	v_cmpx_nlt_f32_e32 s5, v16
	s_cbranch_execz .LBB33_134
; %bb.133:
	v_mul_f32_e32 v7, 0x3fb8aa3b, v16
	v_cmp_ngt_f32_e32 vcc_lo, 0xc2ce8ed0, v16
	s_mov_b32 s7, 0x3e9b6dac
	s_delay_alu instid0(VALU_DEP_2) | instskip(SKIP_1) | instid1(VALU_DEP_1)
	v_rndne_f32_e32 v17, v7
	v_fma_f32 v18, 0x3fb8aa3b, v16, -v7
	v_dual_sub_f32 v7, v7, v17 :: v_dual_fmamk_f32 v18, v16, 0x32a5705f, v18
	v_cvt_i32_f32_e32 v17, v17
	s_delay_alu instid0(VALU_DEP_2) | instskip(NEXT) | instid1(VALU_DEP_1)
	v_add_f32_e32 v7, v7, v18
	v_exp_f32_e32 v7, v7
	v_nop
	s_delay_alu instid0(TRANS32_DEP_1) | instskip(NEXT) | instid1(VALU_DEP_1)
	v_ldexp_f32 v7, v7, v17
	v_cndmask_b32_e32 v7, 0, v7, vcc_lo
	v_cmp_nlt_f32_e32 vcc_lo, 0x42b17218, v16
	s_delay_alu instid0(VALU_DEP_2) | instskip(NEXT) | instid1(VALU_DEP_1)
	v_cndmask_b32_e32 v32, 0x7f800000, v7, vcc_lo
	v_add_f32_e32 v7, 1.0, v32
	s_delay_alu instid0(VALU_DEP_1) | instskip(NEXT) | instid1(VALU_DEP_1)
	v_cvt_f64_f32_e32 v[16:17], v7
	v_frexp_exp_i32_f64_e32 v16, v[16:17]
	v_frexp_mant_f32_e32 v17, v7
	s_delay_alu instid0(VALU_DEP_1) | instskip(NEXT) | instid1(VALU_DEP_3)
	v_cmp_gt_f32_e32 vcc_lo, 0x3f2aaaab, v17
	v_subrev_co_ci_u32_e64 v22, null, 0, v16, vcc_lo
	s_delay_alu instid0(VALU_DEP_1) | instskip(NEXT) | instid1(VALU_DEP_1)
	v_dual_add_f32 v16, -1.0, v7 :: v_dual_sub_nc_u32 v17, 0, v22
	v_sub_f32_e32 v18, v16, v7
	s_delay_alu instid0(VALU_DEP_2) | instskip(NEXT) | instid1(VALU_DEP_1)
	v_ldexp_f32 v7, v7, v17
	v_dual_add_f32 v18, 1.0, v18 :: v_dual_add_f32 v19, 1.0, v7
	v_dual_add_f32 v21, -1.0, v7 :: v_dual_sub_f32 v16, v32, v16
	v_cmp_neq_f32_e32 vcc_lo, 0x7f800000, v32
	s_delay_alu instid0(VALU_DEP_2) | instskip(NEXT) | instid1(VALU_DEP_1)
	v_dual_add_f32 v16, v16, v18 :: v_dual_add_f32 v18, -1.0, v19
	v_ldexp_f32 v16, v16, v17
	s_delay_alu instid0(VALU_DEP_2) | instskip(NEXT) | instid1(VALU_DEP_1)
	v_dual_sub_f32 v17, v7, v18 :: v_dual_add_f32 v18, 1.0, v21
	v_add_f32_e32 v20, v16, v17
	s_delay_alu instid0(VALU_DEP_1) | instskip(NEXT) | instid1(VALU_DEP_1)
	v_add_f32_e32 v23, v19, v20
	v_rcp_f32_e32 v24, v23
	s_delay_alu instid0(VALU_DEP_3) | instskip(NEXT) | instid1(VALU_DEP_1)
	v_sub_f32_e32 v7, v7, v18
	v_add_f32_e32 v7, v16, v7
	v_sub_f32_e32 v16, v19, v23
	s_delay_alu instid0(VALU_DEP_1)
	v_dual_add_f32 v17, v21, v7 :: v_dual_add_f32 v26, v20, v16
	s_delay_alu instid0(TRANS32_DEP_1) | instid1(VALU_DEP_1)
	v_mul_f32_e32 v25, v17, v24
	v_sub_f32_e32 v27, v21, v17
	s_delay_alu instid0(VALU_DEP_2) | instskip(NEXT) | instid1(VALU_DEP_2)
	v_mul_f32_e32 v18, v23, v25
	v_add_f32_e32 v7, v7, v27
	s_delay_alu instid0(VALU_DEP_2) | instskip(NEXT) | instid1(VALU_DEP_1)
	v_fma_f32 v20, v25, v23, -v18
	v_fmac_f32_e32 v20, v25, v26
	s_delay_alu instid0(VALU_DEP_1) | instskip(NEXT) | instid1(VALU_DEP_1)
	v_add_f32_e32 v16, v18, v20
	v_dual_sub_f32 v19, v17, v16 :: v_dual_mov_b32 v21, v16
	s_delay_alu instid0(VALU_DEP_1) | instskip(NEXT) | instid1(VALU_DEP_1)
	v_pk_add_f32 v[16:17], v[16:17], v[18:19] neg_lo:[0,1] neg_hi:[0,1]
	v_pk_add_f32 v[16:17], v[16:17], v[20:21] neg_lo:[0,1] neg_hi:[0,1]
	s_delay_alu instid0(VALU_DEP_1) | instskip(NEXT) | instid1(VALU_DEP_1)
	v_add_f32_e32 v7, v7, v17
	v_add_f32_e32 v7, v16, v7
	s_delay_alu instid0(VALU_DEP_1) | instskip(NEXT) | instid1(VALU_DEP_1)
	v_add_f32_e32 v17, v19, v7
	v_mul_f32_e32 v27, v24, v17
	s_delay_alu instid0(VALU_DEP_1) | instskip(NEXT) | instid1(VALU_DEP_1)
	v_mul_f32_e32 v20, v23, v27
	v_fma_f32 v18, v27, v23, -v20
	s_delay_alu instid0(VALU_DEP_1) | instskip(NEXT) | instid1(VALU_DEP_1)
	v_fmac_f32_e32 v18, v27, v26
	v_dual_add_f32 v16, v20, v18 :: v_dual_sub_f32 v23, v19, v17
	s_delay_alu instid0(VALU_DEP_1) | instskip(NEXT) | instid1(VALU_DEP_1)
	v_dual_sub_f32 v21, v17, v16 :: v_dual_mov_b32 v19, v16
	v_pk_add_f32 v[16:17], v[16:17], v[20:21] neg_lo:[0,1] neg_hi:[0,1]
	v_add_f32_e32 v20, v25, v27
	s_delay_alu instid0(VALU_DEP_4) | instskip(NEXT) | instid1(VALU_DEP_3)
	v_add_f32_e32 v7, v7, v23
	v_pk_add_f32 v[16:17], v[16:17], v[18:19] neg_lo:[0,1] neg_hi:[0,1]
	v_cvt_f32_i32_e32 v18, v22
	s_delay_alu instid0(VALU_DEP_2) | instskip(NEXT) | instid1(VALU_DEP_1)
	v_add_f32_e32 v7, v7, v17
	v_add_f32_e32 v7, v16, v7
	v_sub_f32_e32 v16, v20, v25
	s_delay_alu instid0(VALU_DEP_1) | instskip(NEXT) | instid1(VALU_DEP_1)
	v_dual_sub_f32 v16, v27, v16 :: v_dual_add_f32 v7, v21, v7
	v_mul_f32_e32 v7, v24, v7
	s_delay_alu instid0(VALU_DEP_1) | instskip(NEXT) | instid1(VALU_DEP_1)
	v_dual_add_f32 v7, v16, v7 :: v_dual_mov_b32 v16, 0x3f317218
	v_add_f32_e32 v21, v20, v7
	s_delay_alu instid0(VALU_DEP_1) | instskip(NEXT) | instid1(VALU_DEP_1)
	v_mul_f32_e32 v17, v21, v21
	v_fmaak_f32 v23, s7, v17, 0x3ecc95a3
	v_mul_f32_e32 v19, v21, v17
	s_delay_alu instid0(VALU_DEP_2) | instskip(NEXT) | instid1(VALU_DEP_1)
	v_fmaak_f32 v17, v17, v23, 0x3f2aaada
	v_pk_mul_f32 v[16:17], v[18:19], v[16:17]
	s_delay_alu instid0(VALU_DEP_1) | instskip(NEXT) | instid1(VALU_DEP_1)
	v_fma_f32 v22, 0x3f317218, v18, -v16
	v_fmamk_f32 v18, v18, 0xb102e308, v22
	v_sub_f32_e32 v22, v21, v20
	s_delay_alu instid0(VALU_DEP_1) | instskip(SKIP_2) | instid1(VALU_DEP_3)
	v_sub_f32_e32 v7, v7, v22
	v_ldexp_f32 v19, v21, 1
	v_mov_b32_e32 v22, v16
	v_ldexp_f32 v7, v7, 1
	s_delay_alu instid0(VALU_DEP_3) | instskip(NEXT) | instid1(VALU_DEP_1)
	v_pk_add_f32 v[20:21], v[16:17], v[18:19]
	v_dual_sub_f32 v19, v21, v19 :: v_dual_mov_b32 v30, v21
	s_delay_alu instid0(VALU_DEP_1) | instskip(NEXT) | instid1(VALU_DEP_3)
	v_sub_f32_e32 v19, v17, v19
	v_pk_add_f32 v[16:17], v[20:21], v[16:17] neg_lo:[0,1] neg_hi:[0,1]
	s_delay_alu instid0(VALU_DEP_2) | instskip(NEXT) | instid1(VALU_DEP_1)
	v_dual_add_f32 v23, v7, v19 :: v_dual_mov_b32 v19, v20
	v_pk_add_f32 v[24:25], v[20:21], v[22:23]
	s_delay_alu instid0(VALU_DEP_1) | instskip(NEXT) | instid1(VALU_DEP_1)
	v_mov_b32_e32 v17, v25
	v_pk_add_f32 v[26:27], v[18:19], v[16:17]
	v_mov_b32_e32 v26, v25
	v_pk_add_f32 v[16:17], v[18:19], v[16:17] neg_lo:[0,1] neg_hi:[0,1]
	s_delay_alu instid0(VALU_DEP_3) | instskip(NEXT) | instid1(VALU_DEP_1)
	v_dual_mov_b32 v22, v27 :: v_dual_mov_b32 v17, v27
	v_pk_add_f32 v[28:29], v[22:23], v[20:21] neg_lo:[0,1] neg_hi:[0,1]
	v_dual_mov_b32 v21, v20 :: v_dual_mov_b32 v20, v23
	s_delay_alu instid0(VALU_DEP_2) | instskip(NEXT) | instid1(VALU_DEP_1)
	v_dual_mov_b32 v7, v28 :: v_dual_mov_b32 v31, v28
	v_pk_add_f32 v[24:25], v[24:25], v[6:7] neg_lo:[0,1] neg_hi:[0,1]
	s_delay_alu instid0(VALU_DEP_2) | instskip(SKIP_1) | instid1(VALU_DEP_2)
	v_pk_add_f32 v[18:19], v[26:27], v[30:31] neg_lo:[0,1] neg_hi:[0,1]
	v_mov_b32_e32 v24, v16
	v_pk_add_f32 v[18:19], v[20:21], v[18:19] neg_lo:[0,1] neg_hi:[0,1]
	s_delay_alu instid0(VALU_DEP_1) | instskip(NEXT) | instid1(VALU_DEP_1)
	v_pk_add_f32 v[20:21], v[24:25], v[18:19]
	v_mov_b32_e32 v24, v21
	s_delay_alu instid0(VALU_DEP_1) | instskip(NEXT) | instid1(VALU_DEP_1)
	v_pk_add_f32 v[24:25], v[20:21], v[24:25]
	v_pk_add_f32 v[22:23], v[22:23], v[24:25]
	s_delay_alu instid0(VALU_DEP_1) | instskip(NEXT) | instid1(VALU_DEP_1)
	v_mov_b32_e32 v21, v22
	v_pk_add_f32 v[26:27], v[20:21], v[16:17] neg_lo:[0,1] neg_hi:[0,1]
	s_delay_alu instid0(VALU_DEP_1) | instskip(NEXT) | instid1(VALU_DEP_1)
	v_sub_f32_e32 v7, v20, v26
	v_sub_f32_e32 v7, v16, v7
	v_mov_b32_e32 v19, v24
	s_delay_alu instid0(VALU_DEP_1) | instskip(NEXT) | instid1(VALU_DEP_1)
	v_pk_add_f32 v[18:19], v[18:19], v[26:27] neg_lo:[0,1] neg_hi:[0,1]
	v_add_f32_e32 v7, v18, v7
	s_delay_alu instid0(VALU_DEP_1) | instskip(NEXT) | instid1(VALU_DEP_1)
	v_add_f32_e32 v7, v7, v19
	v_add_f32_e32 v7, v22, v7
	s_delay_alu instid0(VALU_DEP_1) | instskip(SKIP_1) | instid1(VALU_DEP_2)
	v_cndmask_b32_e32 v7, 0x7f800000, v7, vcc_lo
	v_cmp_gt_f32_e64 vcc_lo, 0x33800000, |v32|
	v_cndmask_b32_e32 v7, v7, v32, vcc_lo
	s_delay_alu instid0(VALU_DEP_1) | instskip(NEXT) | instid1(VALU_DEP_1)
	v_div_scale_f32 v16, null, s4, s4, v7
	v_rcp_f32_e32 v17, v16
	v_nop
	s_delay_alu instid0(TRANS32_DEP_1) | instskip(NEXT) | instid1(VALU_DEP_1)
	v_fma_f32 v18, -v16, v17, 1.0
	v_fmac_f32_e32 v17, v18, v17
	v_div_scale_f32 v18, vcc_lo, v7, s4, v7
	s_delay_alu instid0(VALU_DEP_1) | instskip(NEXT) | instid1(VALU_DEP_1)
	v_mul_f32_e32 v19, v18, v17
	v_fma_f32 v20, -v16, v19, v18
	s_delay_alu instid0(VALU_DEP_1) | instskip(NEXT) | instid1(VALU_DEP_1)
	v_fmac_f32_e32 v19, v20, v17
	v_fma_f32 v16, -v16, v19, v18
	s_delay_alu instid0(VALU_DEP_1) | instskip(NEXT) | instid1(VALU_DEP_1)
	v_div_fmas_f32 v16, v16, v17, v19
	v_div_fixup_f32 v7, v16, s4, v7
.LBB33_134:
	s_or_b32 exec_lo, exec_lo, s6
	global_load_u16 v9, v9, s[2:3]
	s_mov_b32 s6, exec_lo
	s_wait_loadcnt 0x0
	v_lshlrev_b32_e32 v9, 16, v9
	s_delay_alu instid0(VALU_DEP_1) | instskip(NEXT) | instid1(VALU_DEP_1)
	v_mul_f32_e32 v16, s4, v9
	v_cmpx_nlt_f32_e32 s5, v16
	s_cbranch_execz .LBB33_136
; %bb.135:
	v_mul_f32_e32 v9, 0x3fb8aa3b, v16
	v_cmp_ngt_f32_e32 vcc_lo, 0xc2ce8ed0, v16
	s_mov_b32 s7, 0x3e9b6dac
	s_delay_alu instid0(VALU_DEP_2) | instskip(SKIP_1) | instid1(VALU_DEP_1)
	v_rndne_f32_e32 v17, v9
	v_fma_f32 v18, 0x3fb8aa3b, v16, -v9
	v_dual_sub_f32 v9, v9, v17 :: v_dual_fmamk_f32 v18, v16, 0x32a5705f, v18
	v_cvt_i32_f32_e32 v17, v17
	s_delay_alu instid0(VALU_DEP_2) | instskip(NEXT) | instid1(VALU_DEP_1)
	v_add_f32_e32 v9, v9, v18
	v_exp_f32_e32 v9, v9
	v_nop
	s_delay_alu instid0(TRANS32_DEP_1) | instskip(NEXT) | instid1(VALU_DEP_1)
	v_ldexp_f32 v9, v9, v17
	v_cndmask_b32_e32 v9, 0, v9, vcc_lo
	v_cmp_nlt_f32_e32 vcc_lo, 0x42b17218, v16
	s_delay_alu instid0(VALU_DEP_2) | instskip(NEXT) | instid1(VALU_DEP_1)
	v_cndmask_b32_e32 v32, 0x7f800000, v9, vcc_lo
	v_add_f32_e32 v9, 1.0, v32
	s_delay_alu instid0(VALU_DEP_1) | instskip(NEXT) | instid1(VALU_DEP_1)
	v_cvt_f64_f32_e32 v[16:17], v9
	v_frexp_exp_i32_f64_e32 v16, v[16:17]
	v_frexp_mant_f32_e32 v17, v9
	s_delay_alu instid0(VALU_DEP_1) | instskip(NEXT) | instid1(VALU_DEP_3)
	v_cmp_gt_f32_e32 vcc_lo, 0x3f2aaaab, v17
	v_subrev_co_ci_u32_e64 v22, null, 0, v16, vcc_lo
	s_delay_alu instid0(VALU_DEP_1) | instskip(NEXT) | instid1(VALU_DEP_1)
	v_dual_add_f32 v16, -1.0, v9 :: v_dual_sub_nc_u32 v17, 0, v22
	v_sub_f32_e32 v18, v16, v9
	s_delay_alu instid0(VALU_DEP_2) | instskip(NEXT) | instid1(VALU_DEP_1)
	v_ldexp_f32 v9, v9, v17
	v_dual_add_f32 v19, 1.0, v9 :: v_dual_sub_f32 v16, v32, v16
	s_delay_alu instid0(VALU_DEP_3) | instskip(SKIP_1) | instid1(VALU_DEP_2)
	v_dual_add_f32 v21, -1.0, v9 :: v_dual_add_f32 v18, 1.0, v18
	v_cmp_neq_f32_e32 vcc_lo, 0x7f800000, v32
	v_dual_add_f32 v16, v16, v18 :: v_dual_add_f32 v18, -1.0, v19
	s_delay_alu instid0(VALU_DEP_1) | instskip(NEXT) | instid1(VALU_DEP_2)
	v_ldexp_f32 v16, v16, v17
	v_dual_sub_f32 v17, v9, v18 :: v_dual_add_f32 v18, 1.0, v21
	s_delay_alu instid0(VALU_DEP_1) | instskip(NEXT) | instid1(VALU_DEP_1)
	v_dual_add_f32 v20, v16, v17 :: v_dual_sub_f32 v9, v9, v18
	v_dual_add_f32 v23, v19, v20 :: v_dual_add_f32 v9, v16, v9
	s_delay_alu instid0(VALU_DEP_1) | instskip(NEXT) | instid1(VALU_DEP_1)
	v_rcp_f32_e32 v24, v23
	v_dual_add_f32 v17, v21, v9 :: v_dual_sub_f32 v16, v19, v23
	s_delay_alu instid0(VALU_DEP_1) | instskip(NEXT) | instid1(TRANS32_DEP_1)
	v_sub_f32_e32 v27, v21, v17
	v_mul_f32_e32 v25, v17, v24
	s_delay_alu instid0(VALU_DEP_2) | instskip(NEXT) | instid1(VALU_DEP_2)
	v_dual_add_f32 v26, v20, v16 :: v_dual_add_f32 v9, v9, v27
	v_mul_f32_e32 v18, v23, v25
	s_delay_alu instid0(VALU_DEP_1) | instskip(NEXT) | instid1(VALU_DEP_1)
	v_fma_f32 v20, v25, v23, -v18
	v_fmac_f32_e32 v20, v25, v26
	s_delay_alu instid0(VALU_DEP_1) | instskip(NEXT) | instid1(VALU_DEP_1)
	v_add_f32_e32 v16, v18, v20
	v_dual_sub_f32 v19, v17, v16 :: v_dual_mov_b32 v21, v16
	s_delay_alu instid0(VALU_DEP_1) | instskip(NEXT) | instid1(VALU_DEP_1)
	v_pk_add_f32 v[16:17], v[16:17], v[18:19] neg_lo:[0,1] neg_hi:[0,1]
	v_pk_add_f32 v[16:17], v[16:17], v[20:21] neg_lo:[0,1] neg_hi:[0,1]
	s_delay_alu instid0(VALU_DEP_1) | instskip(NEXT) | instid1(VALU_DEP_1)
	v_add_f32_e32 v9, v9, v17
	v_add_f32_e32 v9, v16, v9
	s_delay_alu instid0(VALU_DEP_1) | instskip(NEXT) | instid1(VALU_DEP_1)
	v_add_f32_e32 v17, v19, v9
	v_mul_f32_e32 v27, v24, v17
	s_delay_alu instid0(VALU_DEP_1) | instskip(NEXT) | instid1(VALU_DEP_1)
	v_mul_f32_e32 v20, v23, v27
	v_fma_f32 v18, v27, v23, -v20
	v_sub_f32_e32 v23, v19, v17
	s_delay_alu instid0(VALU_DEP_1) | instskip(NEXT) | instid1(VALU_DEP_1)
	v_dual_fmac_f32 v18, v27, v26 :: v_dual_add_f32 v9, v9, v23
	v_add_f32_e32 v16, v20, v18
	s_delay_alu instid0(VALU_DEP_1) | instskip(NEXT) | instid1(VALU_DEP_1)
	v_dual_sub_f32 v21, v17, v16 :: v_dual_mov_b32 v19, v16
	v_pk_add_f32 v[16:17], v[16:17], v[20:21] neg_lo:[0,1] neg_hi:[0,1]
	s_delay_alu instid0(VALU_DEP_1) | instskip(SKIP_1) | instid1(VALU_DEP_2)
	v_pk_add_f32 v[16:17], v[16:17], v[18:19] neg_lo:[0,1] neg_hi:[0,1]
	v_cvt_f32_i32_e32 v18, v22
	v_add_f32_e32 v9, v9, v17
	s_delay_alu instid0(VALU_DEP_1) | instskip(NEXT) | instid1(VALU_DEP_1)
	v_dual_add_f32 v20, v25, v27 :: v_dual_add_f32 v9, v16, v9
	v_sub_f32_e32 v16, v20, v25
	s_delay_alu instid0(VALU_DEP_1) | instskip(NEXT) | instid1(VALU_DEP_1)
	v_dual_add_f32 v9, v21, v9 :: v_dual_sub_f32 v16, v27, v16
	v_mul_f32_e32 v9, v24, v9
	s_delay_alu instid0(VALU_DEP_1) | instskip(NEXT) | instid1(VALU_DEP_1)
	v_dual_add_f32 v9, v16, v9 :: v_dual_mov_b32 v16, 0x3f317218
	v_add_f32_e32 v21, v20, v9
	s_delay_alu instid0(VALU_DEP_1) | instskip(NEXT) | instid1(VALU_DEP_1)
	v_mul_f32_e32 v17, v21, v21
	v_fmaak_f32 v23, s7, v17, 0x3ecc95a3
	v_mul_f32_e32 v19, v21, v17
	s_delay_alu instid0(VALU_DEP_2) | instskip(NEXT) | instid1(VALU_DEP_1)
	v_fmaak_f32 v17, v17, v23, 0x3f2aaada
	v_pk_mul_f32 v[16:17], v[18:19], v[16:17]
	s_delay_alu instid0(VALU_DEP_1) | instskip(NEXT) | instid1(VALU_DEP_1)
	v_fma_f32 v22, 0x3f317218, v18, -v16
	v_fmamk_f32 v18, v18, 0xb102e308, v22
	v_sub_f32_e32 v22, v21, v20
	s_delay_alu instid0(VALU_DEP_1) | instskip(SKIP_2) | instid1(VALU_DEP_3)
	v_sub_f32_e32 v9, v9, v22
	v_ldexp_f32 v19, v21, 1
	v_mov_b32_e32 v22, v16
	v_ldexp_f32 v9, v9, 1
	s_delay_alu instid0(VALU_DEP_3) | instskip(NEXT) | instid1(VALU_DEP_1)
	v_pk_add_f32 v[20:21], v[16:17], v[18:19]
	v_dual_sub_f32 v19, v21, v19 :: v_dual_mov_b32 v30, v21
	s_delay_alu instid0(VALU_DEP_1) | instskip(NEXT) | instid1(VALU_DEP_3)
	v_sub_f32_e32 v19, v17, v19
	v_pk_add_f32 v[16:17], v[20:21], v[16:17] neg_lo:[0,1] neg_hi:[0,1]
	s_delay_alu instid0(VALU_DEP_2) | instskip(NEXT) | instid1(VALU_DEP_1)
	v_dual_add_f32 v23, v9, v19 :: v_dual_mov_b32 v19, v20
	v_pk_add_f32 v[24:25], v[20:21], v[22:23]
	s_delay_alu instid0(VALU_DEP_1) | instskip(NEXT) | instid1(VALU_DEP_1)
	v_mov_b32_e32 v17, v25
	v_pk_add_f32 v[26:27], v[18:19], v[16:17]
	v_mov_b32_e32 v26, v25
	v_pk_add_f32 v[16:17], v[18:19], v[16:17] neg_lo:[0,1] neg_hi:[0,1]
	s_delay_alu instid0(VALU_DEP_3) | instskip(NEXT) | instid1(VALU_DEP_1)
	v_dual_mov_b32 v22, v27 :: v_dual_mov_b32 v17, v27
	v_pk_add_f32 v[28:29], v[22:23], v[20:21] neg_lo:[0,1] neg_hi:[0,1]
	v_dual_mov_b32 v21, v20 :: v_dual_mov_b32 v20, v23
	s_delay_alu instid0(VALU_DEP_2) | instskip(NEXT) | instid1(VALU_DEP_1)
	v_dual_mov_b32 v9, v28 :: v_dual_mov_b32 v31, v28
	v_pk_add_f32 v[24:25], v[24:25], v[8:9] neg_lo:[0,1] neg_hi:[0,1]
	s_delay_alu instid0(VALU_DEP_2) | instskip(SKIP_1) | instid1(VALU_DEP_2)
	v_pk_add_f32 v[18:19], v[26:27], v[30:31] neg_lo:[0,1] neg_hi:[0,1]
	v_mov_b32_e32 v24, v16
	v_pk_add_f32 v[18:19], v[20:21], v[18:19] neg_lo:[0,1] neg_hi:[0,1]
	s_delay_alu instid0(VALU_DEP_1) | instskip(NEXT) | instid1(VALU_DEP_1)
	v_pk_add_f32 v[20:21], v[24:25], v[18:19]
	v_mov_b32_e32 v24, v21
	s_delay_alu instid0(VALU_DEP_1) | instskip(NEXT) | instid1(VALU_DEP_1)
	v_pk_add_f32 v[24:25], v[20:21], v[24:25]
	v_pk_add_f32 v[22:23], v[22:23], v[24:25]
	s_delay_alu instid0(VALU_DEP_1) | instskip(NEXT) | instid1(VALU_DEP_1)
	v_mov_b32_e32 v21, v22
	v_pk_add_f32 v[26:27], v[20:21], v[16:17] neg_lo:[0,1] neg_hi:[0,1]
	s_delay_alu instid0(VALU_DEP_1) | instskip(NEXT) | instid1(VALU_DEP_1)
	v_sub_f32_e32 v9, v20, v26
	v_sub_f32_e32 v9, v16, v9
	v_mov_b32_e32 v19, v24
	s_delay_alu instid0(VALU_DEP_1) | instskip(NEXT) | instid1(VALU_DEP_1)
	v_pk_add_f32 v[18:19], v[18:19], v[26:27] neg_lo:[0,1] neg_hi:[0,1]
	v_add_f32_e32 v9, v18, v9
	s_delay_alu instid0(VALU_DEP_1) | instskip(NEXT) | instid1(VALU_DEP_1)
	v_add_f32_e32 v9, v9, v19
	v_add_f32_e32 v9, v22, v9
	s_delay_alu instid0(VALU_DEP_1) | instskip(SKIP_1) | instid1(VALU_DEP_2)
	v_cndmask_b32_e32 v9, 0x7f800000, v9, vcc_lo
	v_cmp_gt_f32_e64 vcc_lo, 0x33800000, |v32|
	v_cndmask_b32_e32 v9, v9, v32, vcc_lo
	s_delay_alu instid0(VALU_DEP_1) | instskip(NEXT) | instid1(VALU_DEP_1)
	v_div_scale_f32 v16, null, s4, s4, v9
	v_rcp_f32_e32 v17, v16
	v_nop
	s_delay_alu instid0(TRANS32_DEP_1) | instskip(NEXT) | instid1(VALU_DEP_1)
	v_fma_f32 v18, -v16, v17, 1.0
	v_fmac_f32_e32 v17, v18, v17
	v_div_scale_f32 v18, vcc_lo, v9, s4, v9
	s_delay_alu instid0(VALU_DEP_1) | instskip(NEXT) | instid1(VALU_DEP_1)
	v_mul_f32_e32 v19, v18, v17
	v_fma_f32 v20, -v16, v19, v18
	s_delay_alu instid0(VALU_DEP_1) | instskip(NEXT) | instid1(VALU_DEP_1)
	v_fmac_f32_e32 v19, v20, v17
	v_fma_f32 v16, -v16, v19, v18
	s_delay_alu instid0(VALU_DEP_1) | instskip(NEXT) | instid1(VALU_DEP_1)
	v_div_fmas_f32 v16, v16, v17, v19
	v_div_fixup_f32 v9, v16, s4, v9
.LBB33_136:
	s_or_b32 exec_lo, exec_lo, s6
	global_load_u16 v11, v11, s[2:3]
	s_mov_b32 s6, exec_lo
	s_wait_loadcnt 0x0
	v_lshlrev_b32_e32 v11, 16, v11
	s_delay_alu instid0(VALU_DEP_1) | instskip(NEXT) | instid1(VALU_DEP_1)
	v_mul_f32_e32 v16, s4, v11
	v_cmpx_nlt_f32_e32 s5, v16
	s_cbranch_execz .LBB33_138
; %bb.137:
	v_mul_f32_e32 v11, 0x3fb8aa3b, v16
	v_cmp_ngt_f32_e32 vcc_lo, 0xc2ce8ed0, v16
	s_mov_b32 s7, 0x3e9b6dac
	s_delay_alu instid0(VALU_DEP_2) | instskip(SKIP_1) | instid1(VALU_DEP_1)
	v_rndne_f32_e32 v17, v11
	v_fma_f32 v18, 0x3fb8aa3b, v16, -v11
	v_dual_sub_f32 v11, v11, v17 :: v_dual_fmamk_f32 v18, v16, 0x32a5705f, v18
	v_cvt_i32_f32_e32 v17, v17
	s_delay_alu instid0(VALU_DEP_2) | instskip(NEXT) | instid1(VALU_DEP_1)
	v_add_f32_e32 v11, v11, v18
	v_exp_f32_e32 v11, v11
	v_nop
	s_delay_alu instid0(TRANS32_DEP_1) | instskip(NEXT) | instid1(VALU_DEP_1)
	v_ldexp_f32 v11, v11, v17
	v_cndmask_b32_e32 v11, 0, v11, vcc_lo
	v_cmp_nlt_f32_e32 vcc_lo, 0x42b17218, v16
	s_delay_alu instid0(VALU_DEP_2) | instskip(NEXT) | instid1(VALU_DEP_1)
	v_cndmask_b32_e32 v32, 0x7f800000, v11, vcc_lo
	v_add_f32_e32 v11, 1.0, v32
	s_delay_alu instid0(VALU_DEP_1) | instskip(NEXT) | instid1(VALU_DEP_1)
	v_cvt_f64_f32_e32 v[16:17], v11
	v_frexp_exp_i32_f64_e32 v16, v[16:17]
	v_frexp_mant_f32_e32 v17, v11
	s_delay_alu instid0(VALU_DEP_1) | instskip(NEXT) | instid1(VALU_DEP_3)
	v_cmp_gt_f32_e32 vcc_lo, 0x3f2aaaab, v17
	v_subrev_co_ci_u32_e64 v22, null, 0, v16, vcc_lo
	s_delay_alu instid0(VALU_DEP_1) | instskip(NEXT) | instid1(VALU_DEP_1)
	v_dual_add_f32 v16, -1.0, v11 :: v_dual_sub_nc_u32 v17, 0, v22
	v_sub_f32_e32 v18, v16, v11
	s_delay_alu instid0(VALU_DEP_2) | instskip(NEXT) | instid1(VALU_DEP_1)
	v_ldexp_f32 v11, v11, v17
	v_dual_add_f32 v18, 1.0, v18 :: v_dual_add_f32 v19, 1.0, v11
	v_dual_add_f32 v21, -1.0, v11 :: v_dual_sub_f32 v16, v32, v16
	v_cmp_neq_f32_e32 vcc_lo, 0x7f800000, v32
	s_delay_alu instid0(VALU_DEP_2) | instskip(NEXT) | instid1(VALU_DEP_1)
	v_dual_add_f32 v16, v16, v18 :: v_dual_add_f32 v18, -1.0, v19
	v_ldexp_f32 v16, v16, v17
	s_delay_alu instid0(VALU_DEP_2) | instskip(NEXT) | instid1(VALU_DEP_1)
	v_dual_sub_f32 v17, v11, v18 :: v_dual_add_f32 v18, 1.0, v21
	v_add_f32_e32 v20, v16, v17
	s_delay_alu instid0(VALU_DEP_1) | instskip(NEXT) | instid1(VALU_DEP_1)
	v_add_f32_e32 v23, v19, v20
	v_rcp_f32_e32 v24, v23
	s_delay_alu instid0(VALU_DEP_3) | instskip(NEXT) | instid1(VALU_DEP_1)
	v_sub_f32_e32 v11, v11, v18
	v_add_f32_e32 v11, v16, v11
	v_sub_f32_e32 v16, v19, v23
	s_delay_alu instid0(VALU_DEP_1)
	v_dual_add_f32 v17, v21, v11 :: v_dual_add_f32 v26, v20, v16
	s_delay_alu instid0(TRANS32_DEP_1) | instid1(VALU_DEP_1)
	v_mul_f32_e32 v25, v17, v24
	v_sub_f32_e32 v27, v21, v17
	s_delay_alu instid0(VALU_DEP_2) | instskip(NEXT) | instid1(VALU_DEP_2)
	v_mul_f32_e32 v18, v23, v25
	v_add_f32_e32 v11, v11, v27
	s_delay_alu instid0(VALU_DEP_2) | instskip(NEXT) | instid1(VALU_DEP_1)
	v_fma_f32 v20, v25, v23, -v18
	v_fmac_f32_e32 v20, v25, v26
	s_delay_alu instid0(VALU_DEP_1) | instskip(NEXT) | instid1(VALU_DEP_1)
	v_add_f32_e32 v16, v18, v20
	v_dual_sub_f32 v19, v17, v16 :: v_dual_mov_b32 v21, v16
	s_delay_alu instid0(VALU_DEP_1) | instskip(NEXT) | instid1(VALU_DEP_1)
	v_pk_add_f32 v[16:17], v[16:17], v[18:19] neg_lo:[0,1] neg_hi:[0,1]
	v_pk_add_f32 v[16:17], v[16:17], v[20:21] neg_lo:[0,1] neg_hi:[0,1]
	s_delay_alu instid0(VALU_DEP_1) | instskip(NEXT) | instid1(VALU_DEP_1)
	v_add_f32_e32 v11, v11, v17
	v_add_f32_e32 v11, v16, v11
	s_delay_alu instid0(VALU_DEP_1) | instskip(NEXT) | instid1(VALU_DEP_1)
	v_add_f32_e32 v17, v19, v11
	v_mul_f32_e32 v27, v24, v17
	s_delay_alu instid0(VALU_DEP_1) | instskip(NEXT) | instid1(VALU_DEP_1)
	v_mul_f32_e32 v20, v23, v27
	v_fma_f32 v18, v27, v23, -v20
	s_delay_alu instid0(VALU_DEP_1) | instskip(NEXT) | instid1(VALU_DEP_1)
	v_fmac_f32_e32 v18, v27, v26
	v_dual_add_f32 v16, v20, v18 :: v_dual_sub_f32 v23, v19, v17
	s_delay_alu instid0(VALU_DEP_1) | instskip(NEXT) | instid1(VALU_DEP_1)
	v_dual_sub_f32 v21, v17, v16 :: v_dual_mov_b32 v19, v16
	v_pk_add_f32 v[16:17], v[16:17], v[20:21] neg_lo:[0,1] neg_hi:[0,1]
	v_add_f32_e32 v20, v25, v27
	s_delay_alu instid0(VALU_DEP_4) | instskip(NEXT) | instid1(VALU_DEP_3)
	v_add_f32_e32 v11, v11, v23
	v_pk_add_f32 v[16:17], v[16:17], v[18:19] neg_lo:[0,1] neg_hi:[0,1]
	v_cvt_f32_i32_e32 v18, v22
	s_delay_alu instid0(VALU_DEP_2) | instskip(NEXT) | instid1(VALU_DEP_1)
	v_add_f32_e32 v11, v11, v17
	v_add_f32_e32 v11, v16, v11
	v_sub_f32_e32 v16, v20, v25
	s_delay_alu instid0(VALU_DEP_1) | instskip(NEXT) | instid1(VALU_DEP_1)
	v_dual_sub_f32 v16, v27, v16 :: v_dual_add_f32 v11, v21, v11
	v_mul_f32_e32 v11, v24, v11
	s_delay_alu instid0(VALU_DEP_1) | instskip(NEXT) | instid1(VALU_DEP_1)
	v_dual_add_f32 v11, v16, v11 :: v_dual_mov_b32 v16, 0x3f317218
	v_add_f32_e32 v21, v20, v11
	s_delay_alu instid0(VALU_DEP_1) | instskip(NEXT) | instid1(VALU_DEP_1)
	v_mul_f32_e32 v17, v21, v21
	v_fmaak_f32 v23, s7, v17, 0x3ecc95a3
	v_mul_f32_e32 v19, v21, v17
	s_delay_alu instid0(VALU_DEP_2) | instskip(NEXT) | instid1(VALU_DEP_1)
	v_fmaak_f32 v17, v17, v23, 0x3f2aaada
	v_pk_mul_f32 v[16:17], v[18:19], v[16:17]
	s_delay_alu instid0(VALU_DEP_1) | instskip(NEXT) | instid1(VALU_DEP_1)
	v_fma_f32 v22, 0x3f317218, v18, -v16
	v_fmamk_f32 v18, v18, 0xb102e308, v22
	v_sub_f32_e32 v22, v21, v20
	s_delay_alu instid0(VALU_DEP_1) | instskip(SKIP_2) | instid1(VALU_DEP_3)
	v_sub_f32_e32 v11, v11, v22
	v_ldexp_f32 v19, v21, 1
	v_mov_b32_e32 v22, v16
	v_ldexp_f32 v11, v11, 1
	s_delay_alu instid0(VALU_DEP_3) | instskip(NEXT) | instid1(VALU_DEP_1)
	v_pk_add_f32 v[20:21], v[16:17], v[18:19]
	v_dual_sub_f32 v19, v21, v19 :: v_dual_mov_b32 v30, v21
	s_delay_alu instid0(VALU_DEP_1) | instskip(NEXT) | instid1(VALU_DEP_3)
	v_sub_f32_e32 v19, v17, v19
	v_pk_add_f32 v[16:17], v[20:21], v[16:17] neg_lo:[0,1] neg_hi:[0,1]
	s_delay_alu instid0(VALU_DEP_2) | instskip(NEXT) | instid1(VALU_DEP_1)
	v_dual_add_f32 v23, v11, v19 :: v_dual_mov_b32 v19, v20
	v_pk_add_f32 v[24:25], v[20:21], v[22:23]
	s_delay_alu instid0(VALU_DEP_1) | instskip(NEXT) | instid1(VALU_DEP_1)
	v_mov_b32_e32 v17, v25
	v_pk_add_f32 v[26:27], v[18:19], v[16:17]
	v_mov_b32_e32 v26, v25
	v_pk_add_f32 v[16:17], v[18:19], v[16:17] neg_lo:[0,1] neg_hi:[0,1]
	s_delay_alu instid0(VALU_DEP_3) | instskip(NEXT) | instid1(VALU_DEP_1)
	v_dual_mov_b32 v22, v27 :: v_dual_mov_b32 v17, v27
	v_pk_add_f32 v[28:29], v[22:23], v[20:21] neg_lo:[0,1] neg_hi:[0,1]
	v_dual_mov_b32 v21, v20 :: v_dual_mov_b32 v20, v23
	s_delay_alu instid0(VALU_DEP_2) | instskip(NEXT) | instid1(VALU_DEP_1)
	v_dual_mov_b32 v11, v28 :: v_dual_mov_b32 v31, v28
	v_pk_add_f32 v[24:25], v[24:25], v[10:11] neg_lo:[0,1] neg_hi:[0,1]
	s_delay_alu instid0(VALU_DEP_2) | instskip(SKIP_1) | instid1(VALU_DEP_2)
	v_pk_add_f32 v[18:19], v[26:27], v[30:31] neg_lo:[0,1] neg_hi:[0,1]
	v_mov_b32_e32 v24, v16
	v_pk_add_f32 v[18:19], v[20:21], v[18:19] neg_lo:[0,1] neg_hi:[0,1]
	s_delay_alu instid0(VALU_DEP_1) | instskip(NEXT) | instid1(VALU_DEP_1)
	v_pk_add_f32 v[20:21], v[24:25], v[18:19]
	v_mov_b32_e32 v24, v21
	s_delay_alu instid0(VALU_DEP_1) | instskip(NEXT) | instid1(VALU_DEP_1)
	v_pk_add_f32 v[24:25], v[20:21], v[24:25]
	v_pk_add_f32 v[22:23], v[22:23], v[24:25]
	s_delay_alu instid0(VALU_DEP_1) | instskip(NEXT) | instid1(VALU_DEP_1)
	v_mov_b32_e32 v21, v22
	v_pk_add_f32 v[26:27], v[20:21], v[16:17] neg_lo:[0,1] neg_hi:[0,1]
	s_delay_alu instid0(VALU_DEP_1) | instskip(NEXT) | instid1(VALU_DEP_1)
	v_sub_f32_e32 v11, v20, v26
	v_sub_f32_e32 v11, v16, v11
	v_mov_b32_e32 v19, v24
	s_delay_alu instid0(VALU_DEP_1) | instskip(NEXT) | instid1(VALU_DEP_1)
	v_pk_add_f32 v[18:19], v[18:19], v[26:27] neg_lo:[0,1] neg_hi:[0,1]
	v_add_f32_e32 v11, v18, v11
	s_delay_alu instid0(VALU_DEP_1) | instskip(NEXT) | instid1(VALU_DEP_1)
	v_add_f32_e32 v11, v11, v19
	v_add_f32_e32 v11, v22, v11
	s_delay_alu instid0(VALU_DEP_1) | instskip(SKIP_1) | instid1(VALU_DEP_2)
	v_cndmask_b32_e32 v11, 0x7f800000, v11, vcc_lo
	v_cmp_gt_f32_e64 vcc_lo, 0x33800000, |v32|
	v_cndmask_b32_e32 v11, v11, v32, vcc_lo
	s_delay_alu instid0(VALU_DEP_1) | instskip(NEXT) | instid1(VALU_DEP_1)
	v_div_scale_f32 v16, null, s4, s4, v11
	v_rcp_f32_e32 v17, v16
	v_nop
	s_delay_alu instid0(TRANS32_DEP_1) | instskip(NEXT) | instid1(VALU_DEP_1)
	v_fma_f32 v18, -v16, v17, 1.0
	v_fmac_f32_e32 v17, v18, v17
	v_div_scale_f32 v18, vcc_lo, v11, s4, v11
	s_delay_alu instid0(VALU_DEP_1) | instskip(NEXT) | instid1(VALU_DEP_1)
	v_mul_f32_e32 v19, v18, v17
	v_fma_f32 v20, -v16, v19, v18
	s_delay_alu instid0(VALU_DEP_1) | instskip(NEXT) | instid1(VALU_DEP_1)
	v_fmac_f32_e32 v19, v20, v17
	v_fma_f32 v16, -v16, v19, v18
	s_delay_alu instid0(VALU_DEP_1) | instskip(NEXT) | instid1(VALU_DEP_1)
	v_div_fmas_f32 v16, v16, v17, v19
	v_div_fixup_f32 v11, v16, s4, v11
.LBB33_138:
	s_or_b32 exec_lo, exec_lo, s6
	global_load_u16 v13, v13, s[2:3]
	s_mov_b32 s6, exec_lo
	s_wait_loadcnt 0x0
	v_lshlrev_b32_e32 v13, 16, v13
	s_delay_alu instid0(VALU_DEP_1) | instskip(NEXT) | instid1(VALU_DEP_1)
	v_mul_f32_e32 v16, s4, v13
	v_cmpx_nlt_f32_e32 s5, v16
	s_cbranch_execz .LBB33_140
; %bb.139:
	v_mul_f32_e32 v13, 0x3fb8aa3b, v16
	v_cmp_ngt_f32_e32 vcc_lo, 0xc2ce8ed0, v16
	s_mov_b32 s7, 0x3e9b6dac
	s_delay_alu instid0(VALU_DEP_2) | instskip(SKIP_1) | instid1(VALU_DEP_1)
	v_rndne_f32_e32 v17, v13
	v_fma_f32 v18, 0x3fb8aa3b, v16, -v13
	v_dual_sub_f32 v13, v13, v17 :: v_dual_fmamk_f32 v18, v16, 0x32a5705f, v18
	v_cvt_i32_f32_e32 v17, v17
	s_delay_alu instid0(VALU_DEP_2) | instskip(NEXT) | instid1(VALU_DEP_1)
	v_add_f32_e32 v13, v13, v18
	v_exp_f32_e32 v13, v13
	v_nop
	s_delay_alu instid0(TRANS32_DEP_1) | instskip(NEXT) | instid1(VALU_DEP_1)
	v_ldexp_f32 v13, v13, v17
	v_cndmask_b32_e32 v13, 0, v13, vcc_lo
	v_cmp_nlt_f32_e32 vcc_lo, 0x42b17218, v16
	s_delay_alu instid0(VALU_DEP_2) | instskip(NEXT) | instid1(VALU_DEP_1)
	v_cndmask_b32_e32 v32, 0x7f800000, v13, vcc_lo
	v_add_f32_e32 v13, 1.0, v32
	s_delay_alu instid0(VALU_DEP_1) | instskip(NEXT) | instid1(VALU_DEP_1)
	v_cvt_f64_f32_e32 v[16:17], v13
	v_frexp_exp_i32_f64_e32 v16, v[16:17]
	v_frexp_mant_f32_e32 v17, v13
	s_delay_alu instid0(VALU_DEP_1) | instskip(NEXT) | instid1(VALU_DEP_3)
	v_cmp_gt_f32_e32 vcc_lo, 0x3f2aaaab, v17
	v_subrev_co_ci_u32_e64 v22, null, 0, v16, vcc_lo
	s_delay_alu instid0(VALU_DEP_1) | instskip(NEXT) | instid1(VALU_DEP_1)
	v_dual_add_f32 v16, -1.0, v13 :: v_dual_sub_nc_u32 v17, 0, v22
	v_sub_f32_e32 v18, v16, v13
	s_delay_alu instid0(VALU_DEP_2) | instskip(NEXT) | instid1(VALU_DEP_1)
	v_ldexp_f32 v13, v13, v17
	v_dual_add_f32 v19, 1.0, v13 :: v_dual_sub_f32 v16, v32, v16
	s_delay_alu instid0(VALU_DEP_3) | instskip(SKIP_1) | instid1(VALU_DEP_2)
	v_dual_add_f32 v21, -1.0, v13 :: v_dual_add_f32 v18, 1.0, v18
	v_cmp_neq_f32_e32 vcc_lo, 0x7f800000, v32
	v_dual_add_f32 v16, v16, v18 :: v_dual_add_f32 v18, -1.0, v19
	s_delay_alu instid0(VALU_DEP_1) | instskip(NEXT) | instid1(VALU_DEP_2)
	v_ldexp_f32 v16, v16, v17
	v_dual_sub_f32 v17, v13, v18 :: v_dual_add_f32 v18, 1.0, v21
	s_delay_alu instid0(VALU_DEP_1) | instskip(NEXT) | instid1(VALU_DEP_1)
	v_dual_add_f32 v20, v16, v17 :: v_dual_sub_f32 v13, v13, v18
	v_dual_add_f32 v23, v19, v20 :: v_dual_add_f32 v13, v16, v13
	s_delay_alu instid0(VALU_DEP_1) | instskip(NEXT) | instid1(VALU_DEP_1)
	v_rcp_f32_e32 v24, v23
	v_dual_add_f32 v17, v21, v13 :: v_dual_sub_f32 v16, v19, v23
	s_delay_alu instid0(VALU_DEP_1) | instskip(NEXT) | instid1(TRANS32_DEP_1)
	v_sub_f32_e32 v27, v21, v17
	v_mul_f32_e32 v25, v17, v24
	s_delay_alu instid0(VALU_DEP_2) | instskip(NEXT) | instid1(VALU_DEP_2)
	v_dual_add_f32 v26, v20, v16 :: v_dual_add_f32 v13, v13, v27
	v_mul_f32_e32 v18, v23, v25
	s_delay_alu instid0(VALU_DEP_1) | instskip(NEXT) | instid1(VALU_DEP_1)
	v_fma_f32 v20, v25, v23, -v18
	v_fmac_f32_e32 v20, v25, v26
	s_delay_alu instid0(VALU_DEP_1) | instskip(NEXT) | instid1(VALU_DEP_1)
	v_add_f32_e32 v16, v18, v20
	v_dual_sub_f32 v19, v17, v16 :: v_dual_mov_b32 v21, v16
	s_delay_alu instid0(VALU_DEP_1) | instskip(NEXT) | instid1(VALU_DEP_1)
	v_pk_add_f32 v[16:17], v[16:17], v[18:19] neg_lo:[0,1] neg_hi:[0,1]
	v_pk_add_f32 v[16:17], v[16:17], v[20:21] neg_lo:[0,1] neg_hi:[0,1]
	s_delay_alu instid0(VALU_DEP_1) | instskip(NEXT) | instid1(VALU_DEP_1)
	v_add_f32_e32 v13, v13, v17
	v_add_f32_e32 v13, v16, v13
	s_delay_alu instid0(VALU_DEP_1) | instskip(NEXT) | instid1(VALU_DEP_1)
	v_add_f32_e32 v17, v19, v13
	v_mul_f32_e32 v27, v24, v17
	s_delay_alu instid0(VALU_DEP_1) | instskip(NEXT) | instid1(VALU_DEP_1)
	v_mul_f32_e32 v20, v23, v27
	v_fma_f32 v18, v27, v23, -v20
	v_sub_f32_e32 v23, v19, v17
	s_delay_alu instid0(VALU_DEP_1) | instskip(NEXT) | instid1(VALU_DEP_1)
	v_dual_fmac_f32 v18, v27, v26 :: v_dual_add_f32 v13, v13, v23
	v_add_f32_e32 v16, v20, v18
	s_delay_alu instid0(VALU_DEP_1) | instskip(NEXT) | instid1(VALU_DEP_1)
	v_dual_sub_f32 v21, v17, v16 :: v_dual_mov_b32 v19, v16
	v_pk_add_f32 v[16:17], v[16:17], v[20:21] neg_lo:[0,1] neg_hi:[0,1]
	s_delay_alu instid0(VALU_DEP_1) | instskip(SKIP_1) | instid1(VALU_DEP_2)
	v_pk_add_f32 v[16:17], v[16:17], v[18:19] neg_lo:[0,1] neg_hi:[0,1]
	v_cvt_f32_i32_e32 v18, v22
	v_add_f32_e32 v13, v13, v17
	s_delay_alu instid0(VALU_DEP_1) | instskip(NEXT) | instid1(VALU_DEP_1)
	v_dual_add_f32 v20, v25, v27 :: v_dual_add_f32 v13, v16, v13
	v_sub_f32_e32 v16, v20, v25
	s_delay_alu instid0(VALU_DEP_1) | instskip(NEXT) | instid1(VALU_DEP_1)
	v_dual_add_f32 v13, v21, v13 :: v_dual_sub_f32 v16, v27, v16
	v_mul_f32_e32 v13, v24, v13
	s_delay_alu instid0(VALU_DEP_1) | instskip(NEXT) | instid1(VALU_DEP_1)
	v_dual_add_f32 v13, v16, v13 :: v_dual_mov_b32 v16, 0x3f317218
	v_add_f32_e32 v21, v20, v13
	s_delay_alu instid0(VALU_DEP_1) | instskip(NEXT) | instid1(VALU_DEP_1)
	v_mul_f32_e32 v17, v21, v21
	v_fmaak_f32 v23, s7, v17, 0x3ecc95a3
	v_mul_f32_e32 v19, v21, v17
	s_delay_alu instid0(VALU_DEP_2) | instskip(NEXT) | instid1(VALU_DEP_1)
	v_fmaak_f32 v17, v17, v23, 0x3f2aaada
	v_pk_mul_f32 v[16:17], v[18:19], v[16:17]
	s_delay_alu instid0(VALU_DEP_1) | instskip(NEXT) | instid1(VALU_DEP_1)
	v_fma_f32 v22, 0x3f317218, v18, -v16
	v_fmamk_f32 v18, v18, 0xb102e308, v22
	v_sub_f32_e32 v22, v21, v20
	s_delay_alu instid0(VALU_DEP_1) | instskip(SKIP_2) | instid1(VALU_DEP_3)
	v_sub_f32_e32 v13, v13, v22
	v_ldexp_f32 v19, v21, 1
	v_mov_b32_e32 v22, v16
	v_ldexp_f32 v13, v13, 1
	s_delay_alu instid0(VALU_DEP_3) | instskip(NEXT) | instid1(VALU_DEP_1)
	v_pk_add_f32 v[20:21], v[16:17], v[18:19]
	v_dual_sub_f32 v19, v21, v19 :: v_dual_mov_b32 v30, v21
	s_delay_alu instid0(VALU_DEP_1) | instskip(NEXT) | instid1(VALU_DEP_3)
	v_sub_f32_e32 v19, v17, v19
	v_pk_add_f32 v[16:17], v[20:21], v[16:17] neg_lo:[0,1] neg_hi:[0,1]
	s_delay_alu instid0(VALU_DEP_2) | instskip(NEXT) | instid1(VALU_DEP_1)
	v_dual_add_f32 v23, v13, v19 :: v_dual_mov_b32 v19, v20
	v_pk_add_f32 v[24:25], v[20:21], v[22:23]
	s_delay_alu instid0(VALU_DEP_1) | instskip(NEXT) | instid1(VALU_DEP_1)
	v_mov_b32_e32 v17, v25
	v_pk_add_f32 v[26:27], v[18:19], v[16:17]
	v_mov_b32_e32 v26, v25
	v_pk_add_f32 v[16:17], v[18:19], v[16:17] neg_lo:[0,1] neg_hi:[0,1]
	s_delay_alu instid0(VALU_DEP_3) | instskip(NEXT) | instid1(VALU_DEP_1)
	v_dual_mov_b32 v22, v27 :: v_dual_mov_b32 v17, v27
	v_pk_add_f32 v[28:29], v[22:23], v[20:21] neg_lo:[0,1] neg_hi:[0,1]
	v_dual_mov_b32 v21, v20 :: v_dual_mov_b32 v20, v23
	s_delay_alu instid0(VALU_DEP_2) | instskip(NEXT) | instid1(VALU_DEP_1)
	v_dual_mov_b32 v13, v28 :: v_dual_mov_b32 v31, v28
	v_pk_add_f32 v[24:25], v[24:25], v[12:13] neg_lo:[0,1] neg_hi:[0,1]
	s_delay_alu instid0(VALU_DEP_2) | instskip(SKIP_1) | instid1(VALU_DEP_2)
	v_pk_add_f32 v[18:19], v[26:27], v[30:31] neg_lo:[0,1] neg_hi:[0,1]
	v_mov_b32_e32 v24, v16
	v_pk_add_f32 v[18:19], v[20:21], v[18:19] neg_lo:[0,1] neg_hi:[0,1]
	s_delay_alu instid0(VALU_DEP_1) | instskip(NEXT) | instid1(VALU_DEP_1)
	v_pk_add_f32 v[20:21], v[24:25], v[18:19]
	v_mov_b32_e32 v24, v21
	s_delay_alu instid0(VALU_DEP_1) | instskip(NEXT) | instid1(VALU_DEP_1)
	v_pk_add_f32 v[24:25], v[20:21], v[24:25]
	v_pk_add_f32 v[22:23], v[22:23], v[24:25]
	s_delay_alu instid0(VALU_DEP_1) | instskip(NEXT) | instid1(VALU_DEP_1)
	v_mov_b32_e32 v21, v22
	v_pk_add_f32 v[26:27], v[20:21], v[16:17] neg_lo:[0,1] neg_hi:[0,1]
	s_delay_alu instid0(VALU_DEP_1) | instskip(NEXT) | instid1(VALU_DEP_1)
	v_sub_f32_e32 v13, v20, v26
	v_sub_f32_e32 v13, v16, v13
	v_mov_b32_e32 v19, v24
	s_delay_alu instid0(VALU_DEP_1) | instskip(NEXT) | instid1(VALU_DEP_1)
	v_pk_add_f32 v[18:19], v[18:19], v[26:27] neg_lo:[0,1] neg_hi:[0,1]
	v_add_f32_e32 v13, v18, v13
	s_delay_alu instid0(VALU_DEP_1) | instskip(NEXT) | instid1(VALU_DEP_1)
	v_add_f32_e32 v13, v13, v19
	v_add_f32_e32 v13, v22, v13
	s_delay_alu instid0(VALU_DEP_1) | instskip(SKIP_1) | instid1(VALU_DEP_2)
	v_cndmask_b32_e32 v13, 0x7f800000, v13, vcc_lo
	v_cmp_gt_f32_e64 vcc_lo, 0x33800000, |v32|
	v_cndmask_b32_e32 v13, v13, v32, vcc_lo
	s_delay_alu instid0(VALU_DEP_1) | instskip(NEXT) | instid1(VALU_DEP_1)
	v_div_scale_f32 v16, null, s4, s4, v13
	v_rcp_f32_e32 v17, v16
	v_nop
	s_delay_alu instid0(TRANS32_DEP_1) | instskip(NEXT) | instid1(VALU_DEP_1)
	v_fma_f32 v18, -v16, v17, 1.0
	v_fmac_f32_e32 v17, v18, v17
	v_div_scale_f32 v18, vcc_lo, v13, s4, v13
	s_delay_alu instid0(VALU_DEP_1) | instskip(NEXT) | instid1(VALU_DEP_1)
	v_mul_f32_e32 v19, v18, v17
	v_fma_f32 v20, -v16, v19, v18
	s_delay_alu instid0(VALU_DEP_1) | instskip(NEXT) | instid1(VALU_DEP_1)
	v_fmac_f32_e32 v19, v20, v17
	v_fma_f32 v16, -v16, v19, v18
	s_delay_alu instid0(VALU_DEP_1) | instskip(NEXT) | instid1(VALU_DEP_1)
	v_div_fmas_f32 v16, v16, v17, v19
	v_div_fixup_f32 v13, v16, s4, v13
.LBB33_140:
	s_or_b32 exec_lo, exec_lo, s6
	global_load_u16 v1, v1, s[2:3]
	s_mov_b32 s6, exec_lo
	s_wait_loadcnt 0x0
	v_lshlrev_b32_e32 v1, 16, v1
	s_delay_alu instid0(VALU_DEP_1) | instskip(NEXT) | instid1(VALU_DEP_1)
	v_mul_f32_e32 v16, s4, v1
	v_cmpx_nlt_f32_e32 s5, v16
	s_cbranch_execz .LBB33_142
; %bb.141:
	v_mul_f32_e32 v1, 0x3fb8aa3b, v16
	v_cmp_ngt_f32_e32 vcc_lo, 0xc2ce8ed0, v16
	s_mov_b32 s7, 0x3e9b6dac
	s_delay_alu instid0(VALU_DEP_2) | instskip(SKIP_1) | instid1(VALU_DEP_1)
	v_rndne_f32_e32 v17, v1
	v_fma_f32 v18, 0x3fb8aa3b, v16, -v1
	v_dual_sub_f32 v1, v1, v17 :: v_dual_fmamk_f32 v18, v16, 0x32a5705f, v18
	v_cvt_i32_f32_e32 v17, v17
	s_delay_alu instid0(VALU_DEP_2) | instskip(NEXT) | instid1(VALU_DEP_1)
	v_add_f32_e32 v1, v1, v18
	v_exp_f32_e32 v1, v1
	v_nop
	s_delay_alu instid0(TRANS32_DEP_1) | instskip(NEXT) | instid1(VALU_DEP_1)
	v_ldexp_f32 v1, v1, v17
	v_cndmask_b32_e32 v1, 0, v1, vcc_lo
	v_cmp_nlt_f32_e32 vcc_lo, 0x42b17218, v16
	s_delay_alu instid0(VALU_DEP_2) | instskip(NEXT) | instid1(VALU_DEP_1)
	v_cndmask_b32_e32 v32, 0x7f800000, v1, vcc_lo
	v_add_f32_e32 v1, 1.0, v32
	s_delay_alu instid0(VALU_DEP_1) | instskip(NEXT) | instid1(VALU_DEP_1)
	v_cvt_f64_f32_e32 v[16:17], v1
	v_frexp_exp_i32_f64_e32 v16, v[16:17]
	v_frexp_mant_f32_e32 v17, v1
	s_delay_alu instid0(VALU_DEP_1) | instskip(NEXT) | instid1(VALU_DEP_3)
	v_cmp_gt_f32_e32 vcc_lo, 0x3f2aaaab, v17
	v_subrev_co_ci_u32_e64 v22, null, 0, v16, vcc_lo
	s_delay_alu instid0(VALU_DEP_1) | instskip(NEXT) | instid1(VALU_DEP_1)
	v_dual_add_f32 v16, -1.0, v1 :: v_dual_sub_nc_u32 v17, 0, v22
	v_sub_f32_e32 v18, v16, v1
	s_delay_alu instid0(VALU_DEP_2) | instskip(NEXT) | instid1(VALU_DEP_1)
	v_ldexp_f32 v1, v1, v17
	v_dual_add_f32 v19, 1.0, v1 :: v_dual_sub_f32 v16, v32, v16
	s_delay_alu instid0(VALU_DEP_3) | instskip(SKIP_1) | instid1(VALU_DEP_2)
	v_dual_add_f32 v21, -1.0, v1 :: v_dual_add_f32 v18, 1.0, v18
	v_cmp_neq_f32_e32 vcc_lo, 0x7f800000, v32
	v_dual_add_f32 v16, v16, v18 :: v_dual_add_f32 v18, -1.0, v19
	s_delay_alu instid0(VALU_DEP_1) | instskip(NEXT) | instid1(VALU_DEP_2)
	v_ldexp_f32 v16, v16, v17
	v_dual_sub_f32 v17, v1, v18 :: v_dual_add_f32 v18, 1.0, v21
	s_delay_alu instid0(VALU_DEP_1) | instskip(NEXT) | instid1(VALU_DEP_1)
	v_dual_add_f32 v20, v16, v17 :: v_dual_sub_f32 v1, v1, v18
	v_dual_add_f32 v23, v19, v20 :: v_dual_add_f32 v1, v16, v1
	s_delay_alu instid0(VALU_DEP_1) | instskip(NEXT) | instid1(VALU_DEP_1)
	v_rcp_f32_e32 v24, v23
	v_dual_add_f32 v17, v21, v1 :: v_dual_sub_f32 v16, v19, v23
	s_delay_alu instid0(VALU_DEP_1) | instskip(NEXT) | instid1(TRANS32_DEP_1)
	v_sub_f32_e32 v27, v21, v17
	v_mul_f32_e32 v25, v17, v24
	s_delay_alu instid0(VALU_DEP_2) | instskip(NEXT) | instid1(VALU_DEP_2)
	v_dual_add_f32 v26, v20, v16 :: v_dual_add_f32 v1, v1, v27
	v_mul_f32_e32 v18, v23, v25
	s_delay_alu instid0(VALU_DEP_1) | instskip(NEXT) | instid1(VALU_DEP_1)
	v_fma_f32 v20, v25, v23, -v18
	v_fmac_f32_e32 v20, v25, v26
	s_delay_alu instid0(VALU_DEP_1) | instskip(NEXT) | instid1(VALU_DEP_1)
	v_add_f32_e32 v16, v18, v20
	v_dual_sub_f32 v19, v17, v16 :: v_dual_mov_b32 v21, v16
	s_delay_alu instid0(VALU_DEP_1) | instskip(NEXT) | instid1(VALU_DEP_1)
	v_pk_add_f32 v[16:17], v[16:17], v[18:19] neg_lo:[0,1] neg_hi:[0,1]
	v_pk_add_f32 v[16:17], v[16:17], v[20:21] neg_lo:[0,1] neg_hi:[0,1]
	s_delay_alu instid0(VALU_DEP_1) | instskip(NEXT) | instid1(VALU_DEP_1)
	v_add_f32_e32 v1, v1, v17
	v_add_f32_e32 v1, v16, v1
	s_delay_alu instid0(VALU_DEP_1) | instskip(NEXT) | instid1(VALU_DEP_1)
	v_add_f32_e32 v17, v19, v1
	v_mul_f32_e32 v27, v24, v17
	s_delay_alu instid0(VALU_DEP_1) | instskip(NEXT) | instid1(VALU_DEP_1)
	v_mul_f32_e32 v20, v23, v27
	v_fma_f32 v18, v27, v23, -v20
	v_sub_f32_e32 v23, v19, v17
	s_delay_alu instid0(VALU_DEP_1) | instskip(NEXT) | instid1(VALU_DEP_1)
	v_dual_fmac_f32 v18, v27, v26 :: v_dual_add_f32 v1, v1, v23
	v_add_f32_e32 v16, v20, v18
	s_delay_alu instid0(VALU_DEP_1) | instskip(NEXT) | instid1(VALU_DEP_1)
	v_dual_sub_f32 v21, v17, v16 :: v_dual_mov_b32 v19, v16
	v_pk_add_f32 v[16:17], v[16:17], v[20:21] neg_lo:[0,1] neg_hi:[0,1]
	s_delay_alu instid0(VALU_DEP_1) | instskip(SKIP_1) | instid1(VALU_DEP_2)
	v_pk_add_f32 v[16:17], v[16:17], v[18:19] neg_lo:[0,1] neg_hi:[0,1]
	v_cvt_f32_i32_e32 v18, v22
	v_add_f32_e32 v1, v1, v17
	s_delay_alu instid0(VALU_DEP_1) | instskip(NEXT) | instid1(VALU_DEP_1)
	v_dual_add_f32 v20, v25, v27 :: v_dual_add_f32 v1, v16, v1
	v_sub_f32_e32 v16, v20, v25
	s_delay_alu instid0(VALU_DEP_1) | instskip(NEXT) | instid1(VALU_DEP_1)
	v_dual_add_f32 v1, v21, v1 :: v_dual_sub_f32 v16, v27, v16
	v_mul_f32_e32 v1, v24, v1
	s_delay_alu instid0(VALU_DEP_1) | instskip(NEXT) | instid1(VALU_DEP_1)
	v_dual_add_f32 v1, v16, v1 :: v_dual_mov_b32 v16, 0x3f317218
	v_add_f32_e32 v21, v20, v1
	s_delay_alu instid0(VALU_DEP_1) | instskip(NEXT) | instid1(VALU_DEP_1)
	v_mul_f32_e32 v17, v21, v21
	v_fmaak_f32 v23, s7, v17, 0x3ecc95a3
	v_mul_f32_e32 v19, v21, v17
	s_delay_alu instid0(VALU_DEP_2) | instskip(NEXT) | instid1(VALU_DEP_1)
	v_fmaak_f32 v17, v17, v23, 0x3f2aaada
	v_pk_mul_f32 v[16:17], v[18:19], v[16:17]
	s_delay_alu instid0(VALU_DEP_1) | instskip(NEXT) | instid1(VALU_DEP_1)
	v_fma_f32 v22, 0x3f317218, v18, -v16
	v_fmamk_f32 v18, v18, 0xb102e308, v22
	v_sub_f32_e32 v22, v21, v20
	s_delay_alu instid0(VALU_DEP_1) | instskip(SKIP_2) | instid1(VALU_DEP_3)
	v_sub_f32_e32 v1, v1, v22
	v_ldexp_f32 v19, v21, 1
	v_mov_b32_e32 v22, v16
	v_ldexp_f32 v1, v1, 1
	s_delay_alu instid0(VALU_DEP_3) | instskip(NEXT) | instid1(VALU_DEP_1)
	v_pk_add_f32 v[20:21], v[16:17], v[18:19]
	v_dual_sub_f32 v19, v21, v19 :: v_dual_mov_b32 v30, v21
	s_delay_alu instid0(VALU_DEP_1) | instskip(NEXT) | instid1(VALU_DEP_3)
	v_sub_f32_e32 v19, v17, v19
	v_pk_add_f32 v[16:17], v[20:21], v[16:17] neg_lo:[0,1] neg_hi:[0,1]
	s_delay_alu instid0(VALU_DEP_2) | instskip(NEXT) | instid1(VALU_DEP_1)
	v_dual_add_f32 v23, v1, v19 :: v_dual_mov_b32 v19, v20
	v_pk_add_f32 v[24:25], v[20:21], v[22:23]
	s_delay_alu instid0(VALU_DEP_1) | instskip(NEXT) | instid1(VALU_DEP_1)
	v_mov_b32_e32 v17, v25
	v_pk_add_f32 v[26:27], v[18:19], v[16:17]
	v_mov_b32_e32 v26, v25
	v_pk_add_f32 v[16:17], v[18:19], v[16:17] neg_lo:[0,1] neg_hi:[0,1]
	s_delay_alu instid0(VALU_DEP_3) | instskip(NEXT) | instid1(VALU_DEP_1)
	v_dual_mov_b32 v22, v27 :: v_dual_mov_b32 v17, v27
	v_pk_add_f32 v[28:29], v[22:23], v[20:21] neg_lo:[0,1] neg_hi:[0,1]
	v_dual_mov_b32 v21, v20 :: v_dual_mov_b32 v20, v23
	s_delay_alu instid0(VALU_DEP_2) | instskip(NEXT) | instid1(VALU_DEP_1)
	v_dual_mov_b32 v1, v28 :: v_dual_mov_b32 v31, v28
	v_pk_add_f32 v[24:25], v[24:25], v[0:1] neg_lo:[0,1] neg_hi:[0,1]
	s_delay_alu instid0(VALU_DEP_2) | instskip(SKIP_1) | instid1(VALU_DEP_2)
	v_pk_add_f32 v[18:19], v[26:27], v[30:31] neg_lo:[0,1] neg_hi:[0,1]
	v_mov_b32_e32 v24, v16
	v_pk_add_f32 v[18:19], v[20:21], v[18:19] neg_lo:[0,1] neg_hi:[0,1]
	s_delay_alu instid0(VALU_DEP_1) | instskip(NEXT) | instid1(VALU_DEP_1)
	v_pk_add_f32 v[20:21], v[24:25], v[18:19]
	v_mov_b32_e32 v24, v21
	s_delay_alu instid0(VALU_DEP_1) | instskip(NEXT) | instid1(VALU_DEP_1)
	v_pk_add_f32 v[24:25], v[20:21], v[24:25]
	v_pk_add_f32 v[22:23], v[22:23], v[24:25]
	s_delay_alu instid0(VALU_DEP_1) | instskip(NEXT) | instid1(VALU_DEP_1)
	v_mov_b32_e32 v21, v22
	v_pk_add_f32 v[26:27], v[20:21], v[16:17] neg_lo:[0,1] neg_hi:[0,1]
	s_delay_alu instid0(VALU_DEP_1) | instskip(NEXT) | instid1(VALU_DEP_1)
	v_sub_f32_e32 v1, v20, v26
	v_sub_f32_e32 v1, v16, v1
	v_mov_b32_e32 v19, v24
	s_delay_alu instid0(VALU_DEP_1) | instskip(NEXT) | instid1(VALU_DEP_1)
	v_pk_add_f32 v[18:19], v[18:19], v[26:27] neg_lo:[0,1] neg_hi:[0,1]
	v_add_f32_e32 v1, v18, v1
	s_delay_alu instid0(VALU_DEP_1) | instskip(NEXT) | instid1(VALU_DEP_1)
	v_add_f32_e32 v1, v1, v19
	v_add_f32_e32 v1, v22, v1
	s_delay_alu instid0(VALU_DEP_1) | instskip(SKIP_1) | instid1(VALU_DEP_2)
	v_cndmask_b32_e32 v1, 0x7f800000, v1, vcc_lo
	v_cmp_gt_f32_e64 vcc_lo, 0x33800000, |v32|
	v_cndmask_b32_e32 v1, v1, v32, vcc_lo
	s_delay_alu instid0(VALU_DEP_1) | instskip(NEXT) | instid1(VALU_DEP_1)
	v_div_scale_f32 v16, null, s4, s4, v1
	v_rcp_f32_e32 v17, v16
	v_nop
	s_delay_alu instid0(TRANS32_DEP_1) | instskip(NEXT) | instid1(VALU_DEP_1)
	v_fma_f32 v18, -v16, v17, 1.0
	v_fmac_f32_e32 v17, v18, v17
	v_div_scale_f32 v18, vcc_lo, v1, s4, v1
	s_delay_alu instid0(VALU_DEP_1) | instskip(NEXT) | instid1(VALU_DEP_1)
	v_mul_f32_e32 v19, v18, v17
	v_fma_f32 v20, -v16, v19, v18
	s_delay_alu instid0(VALU_DEP_1) | instskip(NEXT) | instid1(VALU_DEP_1)
	v_fmac_f32_e32 v19, v20, v17
	v_fma_f32 v16, -v16, v19, v18
	s_delay_alu instid0(VALU_DEP_1) | instskip(NEXT) | instid1(VALU_DEP_1)
	v_div_fmas_f32 v16, v16, v17, v19
	v_div_fixup_f32 v1, v16, s4, v1
.LBB33_142:
	s_or_b32 exec_lo, exec_lo, s6
	global_load_u16 v15, v15, s[2:3]
	s_wait_xcnt 0x0
	s_mov_b32 s2, exec_lo
	s_wait_loadcnt 0x0
	v_lshlrev_b32_e32 v15, 16, v15
	s_delay_alu instid0(VALU_DEP_1) | instskip(NEXT) | instid1(VALU_DEP_1)
	v_mul_f32_e32 v16, s4, v15
	v_cmpx_nlt_f32_e32 s5, v16
	s_cbranch_execz .LBB33_144
; %bb.143:
	v_mul_f32_e32 v15, 0x3fb8aa3b, v16
	v_cmp_ngt_f32_e32 vcc_lo, 0xc2ce8ed0, v16
	s_mov_b32 s3, 0x3e9b6dac
	s_delay_alu instid0(VALU_DEP_2) | instskip(SKIP_1) | instid1(VALU_DEP_1)
	v_rndne_f32_e32 v17, v15
	v_fma_f32 v18, 0x3fb8aa3b, v16, -v15
	v_dual_sub_f32 v15, v15, v17 :: v_dual_fmamk_f32 v18, v16, 0x32a5705f, v18
	v_cvt_i32_f32_e32 v17, v17
	s_delay_alu instid0(VALU_DEP_2) | instskip(NEXT) | instid1(VALU_DEP_1)
	v_add_f32_e32 v15, v15, v18
	v_exp_f32_e32 v15, v15
	v_nop
	s_delay_alu instid0(TRANS32_DEP_1) | instskip(NEXT) | instid1(VALU_DEP_1)
	v_ldexp_f32 v15, v15, v17
	v_cndmask_b32_e32 v15, 0, v15, vcc_lo
	v_cmp_nlt_f32_e32 vcc_lo, 0x42b17218, v16
	s_delay_alu instid0(VALU_DEP_2) | instskip(NEXT) | instid1(VALU_DEP_1)
	v_cndmask_b32_e32 v32, 0x7f800000, v15, vcc_lo
	v_add_f32_e32 v15, 1.0, v32
	s_delay_alu instid0(VALU_DEP_1) | instskip(NEXT) | instid1(VALU_DEP_1)
	v_cvt_f64_f32_e32 v[16:17], v15
	v_frexp_exp_i32_f64_e32 v16, v[16:17]
	v_frexp_mant_f32_e32 v17, v15
	s_delay_alu instid0(VALU_DEP_1) | instskip(NEXT) | instid1(VALU_DEP_3)
	v_cmp_gt_f32_e32 vcc_lo, 0x3f2aaaab, v17
	v_subrev_co_ci_u32_e64 v22, null, 0, v16, vcc_lo
	s_delay_alu instid0(VALU_DEP_1) | instskip(NEXT) | instid1(VALU_DEP_1)
	v_dual_add_f32 v16, -1.0, v15 :: v_dual_sub_nc_u32 v17, 0, v22
	v_sub_f32_e32 v18, v16, v15
	s_delay_alu instid0(VALU_DEP_2) | instskip(NEXT) | instid1(VALU_DEP_1)
	v_ldexp_f32 v15, v15, v17
	v_dual_add_f32 v18, 1.0, v18 :: v_dual_add_f32 v19, 1.0, v15
	v_dual_add_f32 v21, -1.0, v15 :: v_dual_sub_f32 v16, v32, v16
	v_cmp_neq_f32_e32 vcc_lo, 0x7f800000, v32
	s_delay_alu instid0(VALU_DEP_2) | instskip(NEXT) | instid1(VALU_DEP_1)
	v_dual_add_f32 v16, v16, v18 :: v_dual_add_f32 v18, -1.0, v19
	v_ldexp_f32 v16, v16, v17
	s_delay_alu instid0(VALU_DEP_2) | instskip(NEXT) | instid1(VALU_DEP_1)
	v_dual_sub_f32 v17, v15, v18 :: v_dual_add_f32 v18, 1.0, v21
	v_add_f32_e32 v20, v16, v17
	s_delay_alu instid0(VALU_DEP_1) | instskip(NEXT) | instid1(VALU_DEP_1)
	v_add_f32_e32 v23, v19, v20
	v_rcp_f32_e32 v24, v23
	s_delay_alu instid0(VALU_DEP_3) | instskip(NEXT) | instid1(VALU_DEP_1)
	v_sub_f32_e32 v15, v15, v18
	v_add_f32_e32 v15, v16, v15
	v_sub_f32_e32 v16, v19, v23
	s_delay_alu instid0(VALU_DEP_1)
	v_dual_add_f32 v17, v21, v15 :: v_dual_add_f32 v26, v20, v16
	s_delay_alu instid0(TRANS32_DEP_1) | instid1(VALU_DEP_1)
	v_mul_f32_e32 v25, v17, v24
	v_sub_f32_e32 v27, v21, v17
	s_delay_alu instid0(VALU_DEP_2) | instskip(NEXT) | instid1(VALU_DEP_2)
	v_mul_f32_e32 v18, v23, v25
	v_add_f32_e32 v15, v15, v27
	s_delay_alu instid0(VALU_DEP_2) | instskip(NEXT) | instid1(VALU_DEP_1)
	v_fma_f32 v20, v25, v23, -v18
	v_fmac_f32_e32 v20, v25, v26
	s_delay_alu instid0(VALU_DEP_1) | instskip(NEXT) | instid1(VALU_DEP_1)
	v_add_f32_e32 v16, v18, v20
	v_dual_sub_f32 v19, v17, v16 :: v_dual_mov_b32 v21, v16
	s_delay_alu instid0(VALU_DEP_1) | instskip(NEXT) | instid1(VALU_DEP_1)
	v_pk_add_f32 v[16:17], v[16:17], v[18:19] neg_lo:[0,1] neg_hi:[0,1]
	v_pk_add_f32 v[16:17], v[16:17], v[20:21] neg_lo:[0,1] neg_hi:[0,1]
	s_delay_alu instid0(VALU_DEP_1) | instskip(NEXT) | instid1(VALU_DEP_1)
	v_add_f32_e32 v15, v15, v17
	v_add_f32_e32 v15, v16, v15
	s_delay_alu instid0(VALU_DEP_1) | instskip(NEXT) | instid1(VALU_DEP_1)
	v_add_f32_e32 v17, v19, v15
	v_mul_f32_e32 v27, v24, v17
	s_delay_alu instid0(VALU_DEP_1) | instskip(NEXT) | instid1(VALU_DEP_1)
	v_mul_f32_e32 v20, v23, v27
	v_fma_f32 v18, v27, v23, -v20
	s_delay_alu instid0(VALU_DEP_1) | instskip(NEXT) | instid1(VALU_DEP_1)
	v_fmac_f32_e32 v18, v27, v26
	v_dual_add_f32 v16, v20, v18 :: v_dual_sub_f32 v23, v19, v17
	s_delay_alu instid0(VALU_DEP_1) | instskip(NEXT) | instid1(VALU_DEP_1)
	v_dual_sub_f32 v21, v17, v16 :: v_dual_mov_b32 v19, v16
	v_pk_add_f32 v[16:17], v[16:17], v[20:21] neg_lo:[0,1] neg_hi:[0,1]
	v_add_f32_e32 v20, v25, v27
	s_delay_alu instid0(VALU_DEP_4) | instskip(NEXT) | instid1(VALU_DEP_3)
	v_add_f32_e32 v15, v15, v23
	v_pk_add_f32 v[16:17], v[16:17], v[18:19] neg_lo:[0,1] neg_hi:[0,1]
	v_cvt_f32_i32_e32 v18, v22
	s_delay_alu instid0(VALU_DEP_2) | instskip(NEXT) | instid1(VALU_DEP_1)
	v_add_f32_e32 v15, v15, v17
	v_add_f32_e32 v15, v16, v15
	v_sub_f32_e32 v16, v20, v25
	s_delay_alu instid0(VALU_DEP_1) | instskip(NEXT) | instid1(VALU_DEP_1)
	v_dual_sub_f32 v16, v27, v16 :: v_dual_add_f32 v15, v21, v15
	v_mul_f32_e32 v15, v24, v15
	s_delay_alu instid0(VALU_DEP_1) | instskip(NEXT) | instid1(VALU_DEP_1)
	v_dual_add_f32 v15, v16, v15 :: v_dual_mov_b32 v16, 0x3f317218
	v_add_f32_e32 v21, v20, v15
	s_delay_alu instid0(VALU_DEP_1) | instskip(NEXT) | instid1(VALU_DEP_1)
	v_mul_f32_e32 v17, v21, v21
	v_fmaak_f32 v23, s3, v17, 0x3ecc95a3
	v_mul_f32_e32 v19, v21, v17
	s_delay_alu instid0(VALU_DEP_2) | instskip(NEXT) | instid1(VALU_DEP_1)
	v_fmaak_f32 v17, v17, v23, 0x3f2aaada
	v_pk_mul_f32 v[16:17], v[18:19], v[16:17]
	s_delay_alu instid0(VALU_DEP_1) | instskip(NEXT) | instid1(VALU_DEP_1)
	v_fma_f32 v22, 0x3f317218, v18, -v16
	v_fmamk_f32 v18, v18, 0xb102e308, v22
	v_sub_f32_e32 v22, v21, v20
	s_delay_alu instid0(VALU_DEP_1) | instskip(SKIP_2) | instid1(VALU_DEP_3)
	v_sub_f32_e32 v15, v15, v22
	v_ldexp_f32 v19, v21, 1
	v_mov_b32_e32 v22, v16
	v_ldexp_f32 v15, v15, 1
	s_delay_alu instid0(VALU_DEP_3) | instskip(NEXT) | instid1(VALU_DEP_1)
	v_pk_add_f32 v[20:21], v[16:17], v[18:19]
	v_dual_sub_f32 v19, v21, v19 :: v_dual_mov_b32 v30, v21
	s_delay_alu instid0(VALU_DEP_1) | instskip(NEXT) | instid1(VALU_DEP_3)
	v_sub_f32_e32 v19, v17, v19
	v_pk_add_f32 v[16:17], v[20:21], v[16:17] neg_lo:[0,1] neg_hi:[0,1]
	s_delay_alu instid0(VALU_DEP_2) | instskip(NEXT) | instid1(VALU_DEP_1)
	v_dual_add_f32 v23, v15, v19 :: v_dual_mov_b32 v19, v20
	v_pk_add_f32 v[24:25], v[20:21], v[22:23]
	s_delay_alu instid0(VALU_DEP_1) | instskip(NEXT) | instid1(VALU_DEP_1)
	v_mov_b32_e32 v17, v25
	v_pk_add_f32 v[26:27], v[18:19], v[16:17]
	v_mov_b32_e32 v26, v25
	v_pk_add_f32 v[16:17], v[18:19], v[16:17] neg_lo:[0,1] neg_hi:[0,1]
	s_delay_alu instid0(VALU_DEP_3) | instskip(NEXT) | instid1(VALU_DEP_1)
	v_dual_mov_b32 v22, v27 :: v_dual_mov_b32 v17, v27
	v_pk_add_f32 v[28:29], v[22:23], v[20:21] neg_lo:[0,1] neg_hi:[0,1]
	v_dual_mov_b32 v21, v20 :: v_dual_mov_b32 v20, v23
	s_delay_alu instid0(VALU_DEP_2) | instskip(NEXT) | instid1(VALU_DEP_1)
	v_dual_mov_b32 v15, v28 :: v_dual_mov_b32 v31, v28
	v_pk_add_f32 v[24:25], v[24:25], v[14:15] neg_lo:[0,1] neg_hi:[0,1]
	s_delay_alu instid0(VALU_DEP_2) | instskip(SKIP_1) | instid1(VALU_DEP_2)
	v_pk_add_f32 v[18:19], v[26:27], v[30:31] neg_lo:[0,1] neg_hi:[0,1]
	v_mov_b32_e32 v24, v16
	v_pk_add_f32 v[18:19], v[20:21], v[18:19] neg_lo:[0,1] neg_hi:[0,1]
	s_delay_alu instid0(VALU_DEP_1) | instskip(NEXT) | instid1(VALU_DEP_1)
	v_pk_add_f32 v[20:21], v[24:25], v[18:19]
	v_mov_b32_e32 v24, v21
	s_delay_alu instid0(VALU_DEP_1) | instskip(NEXT) | instid1(VALU_DEP_1)
	v_pk_add_f32 v[24:25], v[20:21], v[24:25]
	v_pk_add_f32 v[22:23], v[22:23], v[24:25]
	s_delay_alu instid0(VALU_DEP_1) | instskip(NEXT) | instid1(VALU_DEP_1)
	v_mov_b32_e32 v21, v22
	v_pk_add_f32 v[26:27], v[20:21], v[16:17] neg_lo:[0,1] neg_hi:[0,1]
	s_delay_alu instid0(VALU_DEP_1) | instskip(NEXT) | instid1(VALU_DEP_1)
	v_sub_f32_e32 v15, v20, v26
	v_sub_f32_e32 v15, v16, v15
	v_mov_b32_e32 v19, v24
	s_delay_alu instid0(VALU_DEP_1) | instskip(NEXT) | instid1(VALU_DEP_1)
	v_pk_add_f32 v[18:19], v[18:19], v[26:27] neg_lo:[0,1] neg_hi:[0,1]
	v_add_f32_e32 v15, v18, v15
	s_delay_alu instid0(VALU_DEP_1) | instskip(NEXT) | instid1(VALU_DEP_1)
	v_add_f32_e32 v15, v15, v19
	v_add_f32_e32 v15, v22, v15
	s_delay_alu instid0(VALU_DEP_1) | instskip(SKIP_1) | instid1(VALU_DEP_2)
	v_cndmask_b32_e32 v15, 0x7f800000, v15, vcc_lo
	v_cmp_gt_f32_e64 vcc_lo, 0x33800000, |v32|
	v_cndmask_b32_e32 v15, v15, v32, vcc_lo
	s_delay_alu instid0(VALU_DEP_1) | instskip(NEXT) | instid1(VALU_DEP_1)
	v_div_scale_f32 v16, null, s4, s4, v15
	v_rcp_f32_e32 v17, v16
	v_nop
	s_delay_alu instid0(TRANS32_DEP_1) | instskip(NEXT) | instid1(VALU_DEP_1)
	v_fma_f32 v18, -v16, v17, 1.0
	v_fmac_f32_e32 v17, v18, v17
	v_div_scale_f32 v18, vcc_lo, v15, s4, v15
	s_delay_alu instid0(VALU_DEP_1) | instskip(NEXT) | instid1(VALU_DEP_1)
	v_mul_f32_e32 v19, v18, v17
	v_fma_f32 v20, -v16, v19, v18
	s_delay_alu instid0(VALU_DEP_1) | instskip(NEXT) | instid1(VALU_DEP_1)
	v_fmac_f32_e32 v19, v20, v17
	v_fma_f32 v16, -v16, v19, v18
	s_delay_alu instid0(VALU_DEP_1) | instskip(NEXT) | instid1(VALU_DEP_1)
	v_div_fmas_f32 v16, v16, v17, v19
	v_div_fixup_f32 v15, v16, s4, v15
.LBB33_144:
	s_or_b32 exec_lo, exec_lo, s2
	v_bfe_u32 v16, v1, 16, 1
	v_bfe_u32 v17, v13, 16, 1
	;; [unrolled: 1-line block ×3, first 2 shown]
	v_cmp_o_f32_e32 vcc_lo, v1, v1
	v_bfe_u32 v19, v9, 16, 1
	v_add3_u32 v16, v1, v16, 0x7fff
	v_add3_u32 v17, v13, v17, 0x7fff
	;; [unrolled: 1-line block ×3, first 2 shown]
	v_bfe_u32 v20, v7, 16, 1
	v_add3_u32 v19, v9, v19, 0x7fff
	s_delay_alu instid0(VALU_DEP_4) | instskip(NEXT) | instid1(VALU_DEP_1)
	v_dual_lshrrev_b32 v16, 16, v16 :: v_dual_lshrrev_b32 v17, 16, v17
	v_dual_cndmask_b32 v1, 0x7fc0, v16 :: v_dual_lshrrev_b32 v18, 16, v18
	v_cmp_o_f32_e32 vcc_lo, v13, v13
	v_bfe_u32 v16, v5, 16, 1
	s_delay_alu instid0(VALU_DEP_4) | instskip(SKIP_2) | instid1(VALU_DEP_4)
	v_cndmask_b32_e32 v13, 0x7fc0, v17, vcc_lo
	v_cmp_o_f32_e32 vcc_lo, v11, v11
	v_bfe_u32 v17, v3, 16, 1
	v_add3_u32 v16, v5, v16, 0x7fff
	v_dual_cndmask_b32 v11, 0x7fc0, v18 :: v_dual_lshrrev_b32 v18, 16, v19
	v_cmp_o_f32_e32 vcc_lo, v9, v9
	v_add3_u32 v19, v7, v20, 0x7fff
	v_add3_u32 v17, v3, v17, 0x7fff
	v_lshrrev_b32_e32 v16, 16, v16
	v_bfe_u32 v20, v15, 16, 1
	v_cndmask_b32_e32 v9, 0x7fc0, v18, vcc_lo
	v_cmp_o_f32_e32 vcc_lo, v5, v5
	v_dual_lshrrev_b32 v19, 16, v19 :: v_dual_lshrrev_b32 v17, 16, v17
	s_delay_alu instid0(VALU_DEP_4) | instskip(SKIP_2) | instid1(VALU_DEP_3)
	v_add3_u32 v18, v15, v20, 0x7fff
	v_cndmask_b32_e32 v5, 0x7fc0, v16, vcc_lo
	v_cmp_o_f32_e32 vcc_lo, v3, v3
	v_dual_cndmask_b32 v3, 0x7fc0, v17 :: v_dual_lshrrev_b32 v16, 16, v18
	v_cmp_o_f32_e32 vcc_lo, v7, v7
	v_cndmask_b32_e32 v7, 0x7fc0, v19, vcc_lo
	v_cmp_o_f32_e32 vcc_lo, v15, v15
	s_delay_alu instid0(VALU_DEP_4)
	v_cndmask_b32_e32 v15, 0x7fc0, v16, vcc_lo
	s_clause 0x7
	global_store_b16 v2, v3, s[0:1]
	global_store_b16 v4, v5, s[0:1]
	;; [unrolled: 1-line block ×8, first 2 shown]
	s_endpgm
.LBB33_145:
	v_dual_mov_b32 v3, 0 :: v_dual_mov_b32 v2, 0
	s_branch .LBB33_151
.LBB33_146:
	v_dual_mov_b32 v3, 0 :: v_dual_mov_b32 v2, 0
	s_branch .LBB33_169
.LBB33_147:
	v_mov_b64_e32 v[2:3], 0
	v_mov_b32_e32 v1, v0
	s_mov_b32 s24, 0
.LBB33_148:
	s_and_b32 s16, s16, 3
	s_mov_b32 s25, 0
	s_cmp_eq_u32 s16, 0
	s_cbranch_scc1 .LBB33_151
; %bb.149:
	s_lshl_b32 s26, s24, 3
	s_mov_b32 s27, s25
	s_mul_u64 s[28:29], s[24:25], 12
	s_add_nc_u64 s[26:27], s[12:13], s[26:27]
	s_delay_alu instid0(SALU_CYCLE_1)
	s_add_nc_u64 s[24:25], s[26:27], 0xc4
	s_add_nc_u64 s[26:27], s[12:13], s[28:29]
.LBB33_150:                             ; =>This Inner Loop Header: Depth=1
	s_load_b96 s[40:42], s[26:27], 0x4
	s_load_b64 s[28:29], s[24:25], 0x0
	s_add_co_i32 s16, s16, -1
	s_wait_xcnt 0x0
	s_add_nc_u64 s[26:27], s[26:27], 12
	s_cmp_lg_u32 s16, 0
	s_add_nc_u64 s[24:25], s[24:25], 8
	s_wait_kmcnt 0x0
	v_mul_hi_u32 v4, s41, v1
	s_delay_alu instid0(VALU_DEP_1) | instskip(NEXT) | instid1(VALU_DEP_1)
	v_add_nc_u32_e32 v4, v1, v4
	v_lshrrev_b32_e32 v4, s42, v4
	s_delay_alu instid0(VALU_DEP_1) | instskip(NEXT) | instid1(VALU_DEP_1)
	v_mul_lo_u32 v5, v4, s40
	v_sub_nc_u32_e32 v1, v1, v5
	s_delay_alu instid0(VALU_DEP_1)
	v_mad_u32 v3, v1, s29, v3
	v_mad_u32 v2, v1, s28, v2
	v_mov_b32_e32 v1, v4
	s_cbranch_scc1 .LBB33_150
.LBB33_151:
	s_cbranch_execnz .LBB33_154
.LBB33_152:
	v_mov_b32_e32 v1, 0
	s_and_not1_b32 vcc_lo, exec_lo, s35
	s_delay_alu instid0(VALU_DEP_1) | instskip(NEXT) | instid1(VALU_DEP_1)
	v_mul_u64_e32 v[2:3], s[18:19], v[0:1]
	v_add_nc_u32_e32 v2, v0, v3
	s_delay_alu instid0(VALU_DEP_1) | instskip(NEXT) | instid1(VALU_DEP_1)
	v_lshrrev_b32_e32 v4, s6, v2
	v_mul_lo_u32 v2, v4, s4
	s_delay_alu instid0(VALU_DEP_1) | instskip(NEXT) | instid1(VALU_DEP_1)
	v_sub_nc_u32_e32 v2, v0, v2
	v_mul_lo_u32 v3, v2, s9
	v_mul_lo_u32 v2, v2, s8
	s_cbranch_vccnz .LBB33_154
; %bb.153:
	v_mov_b32_e32 v5, v1
	s_delay_alu instid0(VALU_DEP_1) | instskip(NEXT) | instid1(VALU_DEP_1)
	v_mul_u64_e32 v[6:7], s[20:21], v[4:5]
	v_add_nc_u32_e32 v1, v4, v7
	s_delay_alu instid0(VALU_DEP_1) | instskip(NEXT) | instid1(VALU_DEP_1)
	v_lshrrev_b32_e32 v1, s17, v1
	v_mul_lo_u32 v1, v1, s7
	s_delay_alu instid0(VALU_DEP_1) | instskip(NEXT) | instid1(VALU_DEP_1)
	v_sub_nc_u32_e32 v1, v4, v1
	v_mad_u32 v2, v1, s10, v2
	v_mad_u32 v3, v1, s11, v3
.LBB33_154:
	global_load_u16 v1, v3, s[2:3]
	s_mov_b32 s16, exec_lo
	s_wait_loadcnt 0x0
	v_lshlrev_b32_e32 v3, 16, v1
	s_delay_alu instid0(VALU_DEP_1) | instskip(NEXT) | instid1(VALU_DEP_1)
	v_mul_f32_e32 v1, s14, v3
	v_cmpx_nlt_f32_e32 s15, v1
	s_cbranch_execz .LBB33_156
; %bb.155:
	v_mul_f32_e32 v3, 0x3fb8aa3b, v1
	v_cmp_ngt_f32_e32 vcc_lo, 0xc2ce8ed0, v1
	s_mov_b32 s24, 0x3e9b6dac
	s_delay_alu instid0(VALU_DEP_2) | instskip(SKIP_1) | instid1(VALU_DEP_2)
	v_rndne_f32_e32 v4, v3
	v_fma_f32 v5, 0x3fb8aa3b, v1, -v3
	v_sub_f32_e32 v3, v3, v4
	s_delay_alu instid0(VALU_DEP_2) | instskip(SKIP_1) | instid1(VALU_DEP_2)
	v_fmamk_f32 v5, v1, 0x32a5705f, v5
	v_cvt_i32_f32_e32 v4, v4
	v_add_f32_e32 v3, v3, v5
	s_delay_alu instid0(VALU_DEP_1) | instskip(SKIP_1) | instid1(TRANS32_DEP_1)
	v_exp_f32_e32 v3, v3
	v_nop
	v_ldexp_f32 v3, v3, v4
	s_delay_alu instid0(VALU_DEP_1) | instskip(SKIP_1) | instid1(VALU_DEP_2)
	v_cndmask_b32_e32 v3, 0, v3, vcc_lo
	v_cmp_nlt_f32_e32 vcc_lo, 0x42b17218, v1
	v_cndmask_b32_e32 v3, 0x7f800000, v3, vcc_lo
	s_delay_alu instid0(VALU_DEP_1) | instskip(NEXT) | instid1(VALU_DEP_1)
	v_add_f32_e32 v1, 1.0, v3
	v_cvt_f64_f32_e32 v[4:5], v1
	s_delay_alu instid0(VALU_DEP_1) | instskip(SKIP_1) | instid1(VALU_DEP_1)
	v_frexp_exp_i32_f64_e32 v4, v[4:5]
	v_frexp_mant_f32_e32 v5, v1
	v_cmp_gt_f32_e32 vcc_lo, 0x3f2aaaab, v5
	s_delay_alu instid0(VALU_DEP_3) | instskip(NEXT) | instid1(VALU_DEP_1)
	v_subrev_co_ci_u32_e64 v10, null, 0, v4, vcc_lo
	v_dual_add_f32 v4, -1.0, v1 :: v_dual_sub_nc_u32 v5, 0, v10
	s_delay_alu instid0(VALU_DEP_1) | instskip(NEXT) | instid1(VALU_DEP_2)
	v_dual_sub_f32 v6, v4, v1 :: v_dual_sub_f32 v4, v3, v4
	v_ldexp_f32 v1, v1, v5
	s_delay_alu instid0(VALU_DEP_1) | instskip(NEXT) | instid1(VALU_DEP_1)
	v_dual_add_f32 v6, 1.0, v6 :: v_dual_add_f32 v7, 1.0, v1
	v_dual_add_f32 v9, -1.0, v1 :: v_dual_add_f32 v4, v4, v6
	v_cmp_neq_f32_e32 vcc_lo, 0x7f800000, v3
	s_delay_alu instid0(VALU_DEP_3) | instskip(NEXT) | instid1(VALU_DEP_3)
	v_add_f32_e32 v6, -1.0, v7
	v_ldexp_f32 v4, v4, v5
	s_delay_alu instid0(VALU_DEP_2) | instskip(NEXT) | instid1(VALU_DEP_1)
	v_dual_sub_f32 v5, v1, v6 :: v_dual_add_f32 v6, 1.0, v9
	v_dual_add_f32 v8, v4, v5 :: v_dual_sub_f32 v1, v1, v6
	s_delay_alu instid0(VALU_DEP_1) | instskip(NEXT) | instid1(VALU_DEP_1)
	v_dual_add_f32 v11, v7, v8 :: v_dual_add_f32 v1, v4, v1
	v_rcp_f32_e32 v12, v11
	s_delay_alu instid0(VALU_DEP_1) | instskip(NEXT) | instid1(VALU_DEP_1)
	v_dual_add_f32 v5, v9, v1 :: v_dual_sub_f32 v4, v7, v11
	v_sub_f32_e32 v15, v9, v5
	s_delay_alu instid0(TRANS32_DEP_1) | instskip(NEXT) | instid1(VALU_DEP_2)
	v_mul_f32_e32 v13, v5, v12
	v_dual_add_f32 v14, v8, v4 :: v_dual_add_f32 v1, v1, v15
	s_delay_alu instid0(VALU_DEP_2) | instskip(NEXT) | instid1(VALU_DEP_1)
	v_mul_f32_e32 v6, v11, v13
	v_fma_f32 v8, v13, v11, -v6
	s_delay_alu instid0(VALU_DEP_1) | instskip(NEXT) | instid1(VALU_DEP_1)
	v_fmac_f32_e32 v8, v13, v14
	v_add_f32_e32 v4, v6, v8
	s_delay_alu instid0(VALU_DEP_1) | instskip(NEXT) | instid1(VALU_DEP_1)
	v_dual_sub_f32 v7, v5, v4 :: v_dual_mov_b32 v9, v4
	v_pk_add_f32 v[4:5], v[4:5], v[6:7] neg_lo:[0,1] neg_hi:[0,1]
	s_delay_alu instid0(VALU_DEP_1) | instskip(NEXT) | instid1(VALU_DEP_1)
	v_pk_add_f32 v[4:5], v[4:5], v[8:9] neg_lo:[0,1] neg_hi:[0,1]
	v_add_f32_e32 v1, v1, v5
	s_delay_alu instid0(VALU_DEP_1) | instskip(NEXT) | instid1(VALU_DEP_1)
	v_add_f32_e32 v1, v4, v1
	v_add_f32_e32 v5, v7, v1
	s_delay_alu instid0(VALU_DEP_1) | instskip(NEXT) | instid1(VALU_DEP_1)
	v_mul_f32_e32 v15, v12, v5
	v_mul_f32_e32 v8, v11, v15
	s_delay_alu instid0(VALU_DEP_1) | instskip(SKIP_1) | instid1(VALU_DEP_1)
	v_fma_f32 v6, v15, v11, -v8
	v_sub_f32_e32 v11, v7, v5
	v_dual_fmac_f32 v6, v15, v14 :: v_dual_add_f32 v1, v1, v11
	s_delay_alu instid0(VALU_DEP_1) | instskip(NEXT) | instid1(VALU_DEP_1)
	v_add_f32_e32 v4, v8, v6
	v_dual_sub_f32 v9, v5, v4 :: v_dual_mov_b32 v7, v4
	s_delay_alu instid0(VALU_DEP_1) | instskip(NEXT) | instid1(VALU_DEP_1)
	v_pk_add_f32 v[4:5], v[4:5], v[8:9] neg_lo:[0,1] neg_hi:[0,1]
	v_pk_add_f32 v[4:5], v[4:5], v[6:7] neg_lo:[0,1] neg_hi:[0,1]
	v_cvt_f32_i32_e32 v6, v10
	s_delay_alu instid0(VALU_DEP_2) | instskip(NEXT) | instid1(VALU_DEP_1)
	v_add_f32_e32 v1, v1, v5
	v_dual_add_f32 v8, v13, v15 :: v_dual_add_f32 v1, v4, v1
	s_delay_alu instid0(VALU_DEP_1) | instskip(NEXT) | instid1(VALU_DEP_1)
	v_sub_f32_e32 v4, v8, v13
	v_dual_add_f32 v1, v9, v1 :: v_dual_sub_f32 v4, v15, v4
	s_delay_alu instid0(VALU_DEP_1) | instskip(NEXT) | instid1(VALU_DEP_1)
	v_mul_f32_e32 v1, v12, v1
	v_dual_add_f32 v1, v4, v1 :: v_dual_mov_b32 v4, 0x3f317218
	s_delay_alu instid0(VALU_DEP_1) | instskip(NEXT) | instid1(VALU_DEP_1)
	v_add_f32_e32 v9, v8, v1
	v_mul_f32_e32 v5, v9, v9
	s_delay_alu instid0(VALU_DEP_1) | instskip(SKIP_1) | instid1(VALU_DEP_2)
	v_fmaak_f32 v11, s24, v5, 0x3ecc95a3
	v_mul_f32_e32 v7, v9, v5
	v_fmaak_f32 v5, v5, v11, 0x3f2aaada
	s_delay_alu instid0(VALU_DEP_1) | instskip(NEXT) | instid1(VALU_DEP_1)
	v_pk_mul_f32 v[4:5], v[6:7], v[4:5]
	v_fma_f32 v10, 0x3f317218, v6, -v4
	s_delay_alu instid0(VALU_DEP_1) | instskip(SKIP_1) | instid1(VALU_DEP_1)
	v_fmamk_f32 v6, v6, 0xb102e308, v10
	v_sub_f32_e32 v10, v9, v8
	v_sub_f32_e32 v1, v1, v10
	v_ldexp_f32 v7, v9, 1
	v_mov_b32_e32 v10, v4
	s_delay_alu instid0(VALU_DEP_3) | instskip(NEXT) | instid1(VALU_DEP_3)
	v_ldexp_f32 v1, v1, 1
	v_pk_add_f32 v[8:9], v[4:5], v[6:7]
	s_delay_alu instid0(VALU_DEP_1) | instskip(NEXT) | instid1(VALU_DEP_1)
	v_dual_sub_f32 v7, v9, v7 :: v_dual_mov_b32 v18, v9
	v_sub_f32_e32 v7, v5, v7
	s_delay_alu instid0(VALU_DEP_3) | instskip(NEXT) | instid1(VALU_DEP_2)
	v_pk_add_f32 v[4:5], v[8:9], v[4:5] neg_lo:[0,1] neg_hi:[0,1]
	v_dual_add_f32 v11, v1, v7 :: v_dual_mov_b32 v7, v8
	s_delay_alu instid0(VALU_DEP_1) | instskip(NEXT) | instid1(VALU_DEP_1)
	v_pk_add_f32 v[12:13], v[8:9], v[10:11]
	v_mov_b32_e32 v5, v13
	s_delay_alu instid0(VALU_DEP_1) | instskip(SKIP_2) | instid1(VALU_DEP_3)
	v_pk_add_f32 v[14:15], v[6:7], v[4:5]
	v_mov_b32_e32 v14, v13
	v_pk_add_f32 v[4:5], v[6:7], v[4:5] neg_lo:[0,1] neg_hi:[0,1]
	v_dual_mov_b32 v10, v15 :: v_dual_mov_b32 v5, v15
	s_delay_alu instid0(VALU_DEP_1) | instskip(SKIP_1) | instid1(VALU_DEP_2)
	v_pk_add_f32 v[16:17], v[10:11], v[8:9] neg_lo:[0,1] neg_hi:[0,1]
	v_dual_mov_b32 v9, v8 :: v_dual_mov_b32 v8, v11
	v_dual_mov_b32 v1, v16 :: v_dual_mov_b32 v19, v16
	s_delay_alu instid0(VALU_DEP_1) | instskip(NEXT) | instid1(VALU_DEP_2)
	v_pk_add_f32 v[12:13], v[12:13], v[0:1] neg_lo:[0,1] neg_hi:[0,1]
	v_pk_add_f32 v[6:7], v[14:15], v[18:19] neg_lo:[0,1] neg_hi:[0,1]
	v_mov_b32_e32 v12, v4
	s_delay_alu instid0(VALU_DEP_2) | instskip(NEXT) | instid1(VALU_DEP_1)
	v_pk_add_f32 v[6:7], v[8:9], v[6:7] neg_lo:[0,1] neg_hi:[0,1]
	v_pk_add_f32 v[8:9], v[12:13], v[6:7]
	s_delay_alu instid0(VALU_DEP_1) | instskip(NEXT) | instid1(VALU_DEP_1)
	v_mov_b32_e32 v12, v9
	v_pk_add_f32 v[12:13], v[8:9], v[12:13]
	s_delay_alu instid0(VALU_DEP_1) | instskip(NEXT) | instid1(VALU_DEP_1)
	v_pk_add_f32 v[10:11], v[10:11], v[12:13]
	v_mov_b32_e32 v9, v10
	s_delay_alu instid0(VALU_DEP_1) | instskip(NEXT) | instid1(VALU_DEP_1)
	v_pk_add_f32 v[14:15], v[8:9], v[4:5] neg_lo:[0,1] neg_hi:[0,1]
	v_sub_f32_e32 v1, v8, v14
	s_delay_alu instid0(VALU_DEP_1) | instskip(SKIP_1) | instid1(VALU_DEP_1)
	v_sub_f32_e32 v1, v4, v1
	v_mov_b32_e32 v7, v12
	v_pk_add_f32 v[6:7], v[6:7], v[14:15] neg_lo:[0,1] neg_hi:[0,1]
	s_delay_alu instid0(VALU_DEP_1) | instskip(NEXT) | instid1(VALU_DEP_1)
	v_add_f32_e32 v1, v6, v1
	v_add_f32_e32 v1, v1, v7
	s_delay_alu instid0(VALU_DEP_1) | instskip(NEXT) | instid1(VALU_DEP_1)
	v_add_f32_e32 v1, v10, v1
	v_cndmask_b32_e32 v1, 0x7f800000, v1, vcc_lo
	v_cmp_gt_f32_e64 vcc_lo, 0x33800000, |v3|
	s_delay_alu instid0(VALU_DEP_2) | instskip(NEXT) | instid1(VALU_DEP_1)
	v_cndmask_b32_e32 v1, v1, v3, vcc_lo
	v_div_scale_f32 v3, null, s14, s14, v1
	s_delay_alu instid0(VALU_DEP_1) | instskip(SKIP_1) | instid1(TRANS32_DEP_1)
	v_rcp_f32_e32 v4, v3
	v_nop
	v_fma_f32 v5, -v3, v4, 1.0
	s_delay_alu instid0(VALU_DEP_1) | instskip(SKIP_1) | instid1(VALU_DEP_1)
	v_fmac_f32_e32 v4, v5, v4
	v_div_scale_f32 v5, vcc_lo, v1, s14, v1
	v_mul_f32_e32 v6, v5, v4
	s_delay_alu instid0(VALU_DEP_1) | instskip(NEXT) | instid1(VALU_DEP_1)
	v_fma_f32 v7, -v3, v6, v5
	v_fmac_f32_e32 v6, v7, v4
	s_delay_alu instid0(VALU_DEP_1) | instskip(NEXT) | instid1(VALU_DEP_1)
	v_fma_f32 v3, -v3, v6, v5
	v_div_fmas_f32 v3, v3, v4, v6
	s_delay_alu instid0(VALU_DEP_1)
	v_div_fixup_f32 v3, v3, s14, v1
.LBB33_156:
	s_or_b32 exec_lo, exec_lo, s16
	s_delay_alu instid0(VALU_DEP_1) | instskip(SKIP_2) | instid1(VALU_DEP_3)
	v_bfe_u32 v1, v3, 16, 1
	v_cmp_o_f32_e32 vcc_lo, v3, v3
	v_add_nc_u32_e32 v0, 0x80, v0
	v_add3_u32 v1, v3, v1, 0x7fff
	s_delay_alu instid0(VALU_DEP_1) | instskip(NEXT) | instid1(VALU_DEP_1)
	v_lshrrev_b32_e32 v1, 16, v1
	v_cndmask_b32_e32 v1, 0x7fc0, v1, vcc_lo
	global_store_b16 v2, v1, s[0:1]
	s_wait_xcnt 0x0
	s_or_b32 exec_lo, exec_lo, s5
	s_delay_alu instid0(SALU_CYCLE_1)
	s_mov_b32 s5, exec_lo
	v_cmpx_gt_i32_e64 s36, v0
	s_cbranch_execnz .LBB33_15
.LBB33_157:
	s_or_b32 exec_lo, exec_lo, s5
	s_delay_alu instid0(SALU_CYCLE_1)
	s_mov_b32 s5, exec_lo
	v_cmpx_gt_i32_e64 s36, v0
	s_cbranch_execz .LBB33_175
.LBB33_158:
	s_and_not1_b32 vcc_lo, exec_lo, s33
	s_cbranch_vccnz .LBB33_163
; %bb.159:
	s_and_not1_b32 vcc_lo, exec_lo, s38
	s_cbranch_vccnz .LBB33_164
; %bb.160:
	s_add_co_i32 s16, s37, 1
	s_cmp_eq_u32 s31, 2
	s_cbranch_scc1 .LBB33_183
; %bb.161:
	v_dual_mov_b32 v2, 0 :: v_dual_mov_b32 v3, 0
	v_mov_b32_e32 v1, v0
	s_and_b32 s24, s16, 28
	s_mov_b32 s25, 0
	s_mov_b64 s[26:27], s[12:13]
	s_mov_b64 s[28:29], s[22:23]
.LBB33_162:                             ; =>This Inner Loop Header: Depth=1
	s_clause 0x1
	s_load_b256 s[40:47], s[26:27], 0x4
	s_load_b128 s[56:59], s[26:27], 0x24
	s_load_b256 s[48:55], s[28:29], 0x0
	s_add_co_i32 s25, s25, 4
	s_wait_xcnt 0x0
	s_add_nc_u64 s[26:27], s[26:27], 48
	s_cmp_eq_u32 s24, s25
	s_add_nc_u64 s[28:29], s[28:29], 32
	s_wait_kmcnt 0x0
	v_mul_hi_u32 v4, s41, v1
	s_delay_alu instid0(VALU_DEP_1) | instskip(NEXT) | instid1(VALU_DEP_1)
	v_add_nc_u32_e32 v4, v1, v4
	v_lshrrev_b32_e32 v4, s42, v4
	s_delay_alu instid0(VALU_DEP_1) | instskip(NEXT) | instid1(VALU_DEP_1)
	v_mul_hi_u32 v5, s44, v4
	v_add_nc_u32_e32 v5, v4, v5
	s_delay_alu instid0(VALU_DEP_1) | instskip(NEXT) | instid1(VALU_DEP_1)
	v_lshrrev_b32_e32 v5, s45, v5
	v_mul_hi_u32 v6, s47, v5
	s_delay_alu instid0(VALU_DEP_1) | instskip(SKIP_1) | instid1(VALU_DEP_1)
	v_add_nc_u32_e32 v6, v5, v6
	v_mul_lo_u32 v7, v4, s40
	v_sub_nc_u32_e32 v1, v1, v7
	v_mul_lo_u32 v7, v5, s43
	s_delay_alu instid0(VALU_DEP_4) | instskip(NEXT) | instid1(VALU_DEP_3)
	v_lshrrev_b32_e32 v6, s56, v6
	v_mad_u32 v3, v1, s49, v3
	v_mad_u32 v1, v1, s48, v2
	s_delay_alu instid0(VALU_DEP_4) | instskip(NEXT) | instid1(VALU_DEP_4)
	v_sub_nc_u32_e32 v2, v4, v7
	v_mul_hi_u32 v8, s58, v6
	v_mul_lo_u32 v4, v6, s46
	s_delay_alu instid0(VALU_DEP_3) | instskip(SKIP_1) | instid1(VALU_DEP_4)
	v_mad_u32 v3, v2, s51, v3
	v_mad_u32 v2, v2, s50, v1
	v_add_nc_u32_e32 v7, v6, v8
	s_delay_alu instid0(VALU_DEP_1) | instskip(NEXT) | instid1(VALU_DEP_1)
	v_dual_sub_nc_u32 v4, v5, v4 :: v_dual_lshrrev_b32 v1, s59, v7
	v_mad_u32 v3, v4, s53, v3
	s_delay_alu instid0(VALU_DEP_4) | instskip(NEXT) | instid1(VALU_DEP_3)
	v_mad_u32 v2, v4, s52, v2
	v_mul_lo_u32 v5, v1, s57
	s_delay_alu instid0(VALU_DEP_1) | instskip(NEXT) | instid1(VALU_DEP_1)
	v_sub_nc_u32_e32 v4, v6, v5
	v_mad_u32 v3, v4, s55, v3
	s_delay_alu instid0(VALU_DEP_4)
	v_mad_u32 v2, v4, s54, v2
	s_cbranch_scc0 .LBB33_162
	s_branch .LBB33_184
.LBB33_163:
                                        ; implicit-def: $vgpr3
	s_branch .LBB33_188
.LBB33_164:
	v_dual_mov_b32 v3, 0 :: v_dual_mov_b32 v2, 0
	s_branch .LBB33_187
.LBB33_165:
	v_mov_b64_e32 v[2:3], 0
	v_mov_b32_e32 v1, v0
	s_mov_b32 s24, 0
.LBB33_166:
	s_and_b32 s16, s16, 3
	s_mov_b32 s25, 0
	s_cmp_eq_u32 s16, 0
	s_cbranch_scc1 .LBB33_169
; %bb.167:
	s_lshl_b32 s26, s24, 3
	s_mov_b32 s27, s25
	s_mul_u64 s[28:29], s[24:25], 12
	s_add_nc_u64 s[26:27], s[12:13], s[26:27]
	s_delay_alu instid0(SALU_CYCLE_1)
	s_add_nc_u64 s[24:25], s[26:27], 0xc4
	s_add_nc_u64 s[26:27], s[12:13], s[28:29]
.LBB33_168:                             ; =>This Inner Loop Header: Depth=1
	s_load_b96 s[40:42], s[26:27], 0x4
	s_load_b64 s[28:29], s[24:25], 0x0
	s_add_co_i32 s16, s16, -1
	s_wait_xcnt 0x0
	s_add_nc_u64 s[26:27], s[26:27], 12
	s_cmp_lg_u32 s16, 0
	s_add_nc_u64 s[24:25], s[24:25], 8
	s_wait_kmcnt 0x0
	v_mul_hi_u32 v4, s41, v1
	s_delay_alu instid0(VALU_DEP_1) | instskip(NEXT) | instid1(VALU_DEP_1)
	v_add_nc_u32_e32 v4, v1, v4
	v_lshrrev_b32_e32 v4, s42, v4
	s_delay_alu instid0(VALU_DEP_1) | instskip(NEXT) | instid1(VALU_DEP_1)
	v_mul_lo_u32 v5, v4, s40
	v_sub_nc_u32_e32 v1, v1, v5
	s_delay_alu instid0(VALU_DEP_1)
	v_mad_u32 v3, v1, s29, v3
	v_mad_u32 v2, v1, s28, v2
	v_mov_b32_e32 v1, v4
	s_cbranch_scc1 .LBB33_168
.LBB33_169:
	s_cbranch_execnz .LBB33_172
.LBB33_170:
	v_mov_b32_e32 v1, 0
	s_and_not1_b32 vcc_lo, exec_lo, s35
	s_delay_alu instid0(VALU_DEP_1) | instskip(NEXT) | instid1(VALU_DEP_1)
	v_mul_u64_e32 v[2:3], s[18:19], v[0:1]
	v_add_nc_u32_e32 v2, v0, v3
	s_delay_alu instid0(VALU_DEP_1) | instskip(NEXT) | instid1(VALU_DEP_1)
	v_lshrrev_b32_e32 v4, s6, v2
	v_mul_lo_u32 v2, v4, s4
	s_delay_alu instid0(VALU_DEP_1) | instskip(NEXT) | instid1(VALU_DEP_1)
	v_sub_nc_u32_e32 v2, v0, v2
	v_mul_lo_u32 v3, v2, s9
	v_mul_lo_u32 v2, v2, s8
	s_cbranch_vccnz .LBB33_172
; %bb.171:
	v_mov_b32_e32 v5, v1
	s_delay_alu instid0(VALU_DEP_1) | instskip(NEXT) | instid1(VALU_DEP_1)
	v_mul_u64_e32 v[6:7], s[20:21], v[4:5]
	v_add_nc_u32_e32 v1, v4, v7
	s_delay_alu instid0(VALU_DEP_1) | instskip(NEXT) | instid1(VALU_DEP_1)
	v_lshrrev_b32_e32 v1, s17, v1
	v_mul_lo_u32 v1, v1, s7
	s_delay_alu instid0(VALU_DEP_1) | instskip(NEXT) | instid1(VALU_DEP_1)
	v_sub_nc_u32_e32 v1, v4, v1
	v_mad_u32 v2, v1, s10, v2
	v_mad_u32 v3, v1, s11, v3
.LBB33_172:
	global_load_u16 v1, v3, s[2:3]
	s_mov_b32 s16, exec_lo
	s_wait_loadcnt 0x0
	v_lshlrev_b32_e32 v3, 16, v1
	s_delay_alu instid0(VALU_DEP_1) | instskip(NEXT) | instid1(VALU_DEP_1)
	v_mul_f32_e32 v1, s14, v3
	v_cmpx_nlt_f32_e32 s15, v1
	s_cbranch_execz .LBB33_174
; %bb.173:
	v_mul_f32_e32 v3, 0x3fb8aa3b, v1
	v_cmp_ngt_f32_e32 vcc_lo, 0xc2ce8ed0, v1
	s_mov_b32 s24, 0x3e9b6dac
	s_delay_alu instid0(VALU_DEP_2) | instskip(SKIP_1) | instid1(VALU_DEP_2)
	v_rndne_f32_e32 v4, v3
	v_fma_f32 v5, 0x3fb8aa3b, v1, -v3
	v_sub_f32_e32 v3, v3, v4
	s_delay_alu instid0(VALU_DEP_2) | instskip(SKIP_1) | instid1(VALU_DEP_2)
	v_fmamk_f32 v5, v1, 0x32a5705f, v5
	v_cvt_i32_f32_e32 v4, v4
	v_add_f32_e32 v3, v3, v5
	s_delay_alu instid0(VALU_DEP_1) | instskip(SKIP_1) | instid1(TRANS32_DEP_1)
	v_exp_f32_e32 v3, v3
	v_nop
	v_ldexp_f32 v3, v3, v4
	s_delay_alu instid0(VALU_DEP_1) | instskip(SKIP_1) | instid1(VALU_DEP_2)
	v_cndmask_b32_e32 v3, 0, v3, vcc_lo
	v_cmp_nlt_f32_e32 vcc_lo, 0x42b17218, v1
	v_cndmask_b32_e32 v3, 0x7f800000, v3, vcc_lo
	s_delay_alu instid0(VALU_DEP_1) | instskip(NEXT) | instid1(VALU_DEP_1)
	v_add_f32_e32 v1, 1.0, v3
	v_cvt_f64_f32_e32 v[4:5], v1
	s_delay_alu instid0(VALU_DEP_1) | instskip(SKIP_1) | instid1(VALU_DEP_1)
	v_frexp_exp_i32_f64_e32 v4, v[4:5]
	v_frexp_mant_f32_e32 v5, v1
	v_cmp_gt_f32_e32 vcc_lo, 0x3f2aaaab, v5
	s_delay_alu instid0(VALU_DEP_3) | instskip(NEXT) | instid1(VALU_DEP_1)
	v_subrev_co_ci_u32_e64 v10, null, 0, v4, vcc_lo
	v_dual_add_f32 v4, -1.0, v1 :: v_dual_sub_nc_u32 v5, 0, v10
	s_delay_alu instid0(VALU_DEP_1) | instskip(NEXT) | instid1(VALU_DEP_2)
	v_dual_sub_f32 v6, v4, v1 :: v_dual_sub_f32 v4, v3, v4
	v_ldexp_f32 v1, v1, v5
	s_delay_alu instid0(VALU_DEP_1) | instskip(NEXT) | instid1(VALU_DEP_1)
	v_dual_add_f32 v6, 1.0, v6 :: v_dual_add_f32 v7, 1.0, v1
	v_dual_add_f32 v9, -1.0, v1 :: v_dual_add_f32 v4, v4, v6
	v_cmp_neq_f32_e32 vcc_lo, 0x7f800000, v3
	s_delay_alu instid0(VALU_DEP_3) | instskip(NEXT) | instid1(VALU_DEP_3)
	v_add_f32_e32 v6, -1.0, v7
	v_ldexp_f32 v4, v4, v5
	s_delay_alu instid0(VALU_DEP_2) | instskip(NEXT) | instid1(VALU_DEP_1)
	v_dual_sub_f32 v5, v1, v6 :: v_dual_add_f32 v6, 1.0, v9
	v_dual_add_f32 v8, v4, v5 :: v_dual_sub_f32 v1, v1, v6
	s_delay_alu instid0(VALU_DEP_1) | instskip(NEXT) | instid1(VALU_DEP_1)
	v_dual_add_f32 v11, v7, v8 :: v_dual_add_f32 v1, v4, v1
	v_rcp_f32_e32 v12, v11
	s_delay_alu instid0(VALU_DEP_1) | instskip(NEXT) | instid1(VALU_DEP_1)
	v_dual_add_f32 v5, v9, v1 :: v_dual_sub_f32 v4, v7, v11
	v_sub_f32_e32 v15, v9, v5
	s_delay_alu instid0(TRANS32_DEP_1) | instskip(NEXT) | instid1(VALU_DEP_2)
	v_mul_f32_e32 v13, v5, v12
	v_dual_add_f32 v14, v8, v4 :: v_dual_add_f32 v1, v1, v15
	s_delay_alu instid0(VALU_DEP_2) | instskip(NEXT) | instid1(VALU_DEP_1)
	v_mul_f32_e32 v6, v11, v13
	v_fma_f32 v8, v13, v11, -v6
	s_delay_alu instid0(VALU_DEP_1) | instskip(NEXT) | instid1(VALU_DEP_1)
	v_fmac_f32_e32 v8, v13, v14
	v_add_f32_e32 v4, v6, v8
	s_delay_alu instid0(VALU_DEP_1) | instskip(NEXT) | instid1(VALU_DEP_1)
	v_dual_sub_f32 v7, v5, v4 :: v_dual_mov_b32 v9, v4
	v_pk_add_f32 v[4:5], v[4:5], v[6:7] neg_lo:[0,1] neg_hi:[0,1]
	s_delay_alu instid0(VALU_DEP_1) | instskip(NEXT) | instid1(VALU_DEP_1)
	v_pk_add_f32 v[4:5], v[4:5], v[8:9] neg_lo:[0,1] neg_hi:[0,1]
	v_add_f32_e32 v1, v1, v5
	s_delay_alu instid0(VALU_DEP_1) | instskip(NEXT) | instid1(VALU_DEP_1)
	v_add_f32_e32 v1, v4, v1
	v_add_f32_e32 v5, v7, v1
	s_delay_alu instid0(VALU_DEP_1) | instskip(NEXT) | instid1(VALU_DEP_1)
	v_mul_f32_e32 v15, v12, v5
	v_mul_f32_e32 v8, v11, v15
	s_delay_alu instid0(VALU_DEP_1) | instskip(SKIP_1) | instid1(VALU_DEP_1)
	v_fma_f32 v6, v15, v11, -v8
	v_sub_f32_e32 v11, v7, v5
	v_dual_fmac_f32 v6, v15, v14 :: v_dual_add_f32 v1, v1, v11
	s_delay_alu instid0(VALU_DEP_1) | instskip(NEXT) | instid1(VALU_DEP_1)
	v_add_f32_e32 v4, v8, v6
	v_dual_sub_f32 v9, v5, v4 :: v_dual_mov_b32 v7, v4
	s_delay_alu instid0(VALU_DEP_1) | instskip(NEXT) | instid1(VALU_DEP_1)
	v_pk_add_f32 v[4:5], v[4:5], v[8:9] neg_lo:[0,1] neg_hi:[0,1]
	v_pk_add_f32 v[4:5], v[4:5], v[6:7] neg_lo:[0,1] neg_hi:[0,1]
	v_cvt_f32_i32_e32 v6, v10
	s_delay_alu instid0(VALU_DEP_2) | instskip(NEXT) | instid1(VALU_DEP_1)
	v_add_f32_e32 v1, v1, v5
	v_dual_add_f32 v8, v13, v15 :: v_dual_add_f32 v1, v4, v1
	s_delay_alu instid0(VALU_DEP_1) | instskip(NEXT) | instid1(VALU_DEP_1)
	v_sub_f32_e32 v4, v8, v13
	v_dual_add_f32 v1, v9, v1 :: v_dual_sub_f32 v4, v15, v4
	s_delay_alu instid0(VALU_DEP_1) | instskip(NEXT) | instid1(VALU_DEP_1)
	v_mul_f32_e32 v1, v12, v1
	v_dual_add_f32 v1, v4, v1 :: v_dual_mov_b32 v4, 0x3f317218
	s_delay_alu instid0(VALU_DEP_1) | instskip(NEXT) | instid1(VALU_DEP_1)
	v_add_f32_e32 v9, v8, v1
	v_mul_f32_e32 v5, v9, v9
	s_delay_alu instid0(VALU_DEP_1) | instskip(SKIP_1) | instid1(VALU_DEP_2)
	v_fmaak_f32 v11, s24, v5, 0x3ecc95a3
	v_mul_f32_e32 v7, v9, v5
	v_fmaak_f32 v5, v5, v11, 0x3f2aaada
	s_delay_alu instid0(VALU_DEP_1) | instskip(NEXT) | instid1(VALU_DEP_1)
	v_pk_mul_f32 v[4:5], v[6:7], v[4:5]
	v_fma_f32 v10, 0x3f317218, v6, -v4
	s_delay_alu instid0(VALU_DEP_1) | instskip(SKIP_1) | instid1(VALU_DEP_1)
	v_fmamk_f32 v6, v6, 0xb102e308, v10
	v_sub_f32_e32 v10, v9, v8
	v_sub_f32_e32 v1, v1, v10
	v_ldexp_f32 v7, v9, 1
	v_mov_b32_e32 v10, v4
	s_delay_alu instid0(VALU_DEP_3) | instskip(NEXT) | instid1(VALU_DEP_3)
	v_ldexp_f32 v1, v1, 1
	v_pk_add_f32 v[8:9], v[4:5], v[6:7]
	s_delay_alu instid0(VALU_DEP_1) | instskip(NEXT) | instid1(VALU_DEP_1)
	v_dual_sub_f32 v7, v9, v7 :: v_dual_mov_b32 v18, v9
	v_sub_f32_e32 v7, v5, v7
	s_delay_alu instid0(VALU_DEP_3) | instskip(NEXT) | instid1(VALU_DEP_2)
	v_pk_add_f32 v[4:5], v[8:9], v[4:5] neg_lo:[0,1] neg_hi:[0,1]
	v_dual_add_f32 v11, v1, v7 :: v_dual_mov_b32 v7, v8
	s_delay_alu instid0(VALU_DEP_1) | instskip(NEXT) | instid1(VALU_DEP_1)
	v_pk_add_f32 v[12:13], v[8:9], v[10:11]
	v_mov_b32_e32 v5, v13
	s_delay_alu instid0(VALU_DEP_1) | instskip(SKIP_2) | instid1(VALU_DEP_3)
	v_pk_add_f32 v[14:15], v[6:7], v[4:5]
	v_mov_b32_e32 v14, v13
	v_pk_add_f32 v[4:5], v[6:7], v[4:5] neg_lo:[0,1] neg_hi:[0,1]
	v_dual_mov_b32 v10, v15 :: v_dual_mov_b32 v5, v15
	s_delay_alu instid0(VALU_DEP_1) | instskip(SKIP_1) | instid1(VALU_DEP_2)
	v_pk_add_f32 v[16:17], v[10:11], v[8:9] neg_lo:[0,1] neg_hi:[0,1]
	v_dual_mov_b32 v9, v8 :: v_dual_mov_b32 v8, v11
	v_dual_mov_b32 v1, v16 :: v_dual_mov_b32 v19, v16
	s_delay_alu instid0(VALU_DEP_1) | instskip(NEXT) | instid1(VALU_DEP_2)
	v_pk_add_f32 v[12:13], v[12:13], v[0:1] neg_lo:[0,1] neg_hi:[0,1]
	v_pk_add_f32 v[6:7], v[14:15], v[18:19] neg_lo:[0,1] neg_hi:[0,1]
	v_mov_b32_e32 v12, v4
	s_delay_alu instid0(VALU_DEP_2) | instskip(NEXT) | instid1(VALU_DEP_1)
	v_pk_add_f32 v[6:7], v[8:9], v[6:7] neg_lo:[0,1] neg_hi:[0,1]
	v_pk_add_f32 v[8:9], v[12:13], v[6:7]
	s_delay_alu instid0(VALU_DEP_1) | instskip(NEXT) | instid1(VALU_DEP_1)
	v_mov_b32_e32 v12, v9
	v_pk_add_f32 v[12:13], v[8:9], v[12:13]
	s_delay_alu instid0(VALU_DEP_1) | instskip(NEXT) | instid1(VALU_DEP_1)
	v_pk_add_f32 v[10:11], v[10:11], v[12:13]
	v_mov_b32_e32 v9, v10
	s_delay_alu instid0(VALU_DEP_1) | instskip(NEXT) | instid1(VALU_DEP_1)
	v_pk_add_f32 v[14:15], v[8:9], v[4:5] neg_lo:[0,1] neg_hi:[0,1]
	v_sub_f32_e32 v1, v8, v14
	s_delay_alu instid0(VALU_DEP_1) | instskip(SKIP_1) | instid1(VALU_DEP_1)
	v_sub_f32_e32 v1, v4, v1
	v_mov_b32_e32 v7, v12
	v_pk_add_f32 v[6:7], v[6:7], v[14:15] neg_lo:[0,1] neg_hi:[0,1]
	s_delay_alu instid0(VALU_DEP_1) | instskip(NEXT) | instid1(VALU_DEP_1)
	v_add_f32_e32 v1, v6, v1
	v_add_f32_e32 v1, v1, v7
	s_delay_alu instid0(VALU_DEP_1) | instskip(NEXT) | instid1(VALU_DEP_1)
	v_add_f32_e32 v1, v10, v1
	v_cndmask_b32_e32 v1, 0x7f800000, v1, vcc_lo
	v_cmp_gt_f32_e64 vcc_lo, 0x33800000, |v3|
	s_delay_alu instid0(VALU_DEP_2) | instskip(NEXT) | instid1(VALU_DEP_1)
	v_cndmask_b32_e32 v1, v1, v3, vcc_lo
	v_div_scale_f32 v3, null, s14, s14, v1
	s_delay_alu instid0(VALU_DEP_1) | instskip(SKIP_1) | instid1(TRANS32_DEP_1)
	v_rcp_f32_e32 v4, v3
	v_nop
	v_fma_f32 v5, -v3, v4, 1.0
	s_delay_alu instid0(VALU_DEP_1) | instskip(SKIP_1) | instid1(VALU_DEP_1)
	v_fmac_f32_e32 v4, v5, v4
	v_div_scale_f32 v5, vcc_lo, v1, s14, v1
	v_mul_f32_e32 v6, v5, v4
	s_delay_alu instid0(VALU_DEP_1) | instskip(NEXT) | instid1(VALU_DEP_1)
	v_fma_f32 v7, -v3, v6, v5
	v_fmac_f32_e32 v6, v7, v4
	s_delay_alu instid0(VALU_DEP_1) | instskip(NEXT) | instid1(VALU_DEP_1)
	v_fma_f32 v3, -v3, v6, v5
	v_div_fmas_f32 v3, v3, v4, v6
	s_delay_alu instid0(VALU_DEP_1)
	v_div_fixup_f32 v3, v3, s14, v1
.LBB33_174:
	s_or_b32 exec_lo, exec_lo, s16
	s_delay_alu instid0(VALU_DEP_1) | instskip(SKIP_2) | instid1(VALU_DEP_3)
	v_bfe_u32 v1, v3, 16, 1
	v_cmp_o_f32_e32 vcc_lo, v3, v3
	v_add_nc_u32_e32 v0, 0x80, v0
	v_add3_u32 v1, v3, v1, 0x7fff
	s_delay_alu instid0(VALU_DEP_1) | instskip(NEXT) | instid1(VALU_DEP_1)
	v_lshrrev_b32_e32 v1, 16, v1
	v_cndmask_b32_e32 v1, 0x7fc0, v1, vcc_lo
	global_store_b16 v2, v1, s[0:1]
	s_wait_xcnt 0x0
	s_or_b32 exec_lo, exec_lo, s5
	s_delay_alu instid0(SALU_CYCLE_1)
	s_mov_b32 s5, exec_lo
	v_cmpx_gt_i32_e64 s36, v0
	s_cbranch_execnz .LBB33_158
.LBB33_175:
	s_or_b32 exec_lo, exec_lo, s5
	s_delay_alu instid0(SALU_CYCLE_1)
	s_mov_b32 s5, exec_lo
	v_cmpx_gt_i32_e64 s36, v0
	s_cbranch_execz .LBB33_193
.LBB33_176:
	s_and_not1_b32 vcc_lo, exec_lo, s33
	s_cbranch_vccnz .LBB33_181
; %bb.177:
	s_and_not1_b32 vcc_lo, exec_lo, s38
	s_cbranch_vccnz .LBB33_182
; %bb.178:
	s_add_co_i32 s16, s37, 1
	s_cmp_eq_u32 s31, 2
	s_cbranch_scc1 .LBB33_201
; %bb.179:
	v_dual_mov_b32 v2, 0 :: v_dual_mov_b32 v3, 0
	v_mov_b32_e32 v1, v0
	s_and_b32 s24, s16, 28
	s_mov_b32 s25, 0
	s_mov_b64 s[26:27], s[12:13]
	s_mov_b64 s[28:29], s[22:23]
.LBB33_180:                             ; =>This Inner Loop Header: Depth=1
	s_clause 0x1
	s_load_b256 s[40:47], s[26:27], 0x4
	s_load_b128 s[56:59], s[26:27], 0x24
	s_load_b256 s[48:55], s[28:29], 0x0
	s_add_co_i32 s25, s25, 4
	s_wait_xcnt 0x0
	s_add_nc_u64 s[26:27], s[26:27], 48
	s_cmp_eq_u32 s24, s25
	s_add_nc_u64 s[28:29], s[28:29], 32
	s_wait_kmcnt 0x0
	v_mul_hi_u32 v4, s41, v1
	s_delay_alu instid0(VALU_DEP_1) | instskip(NEXT) | instid1(VALU_DEP_1)
	v_add_nc_u32_e32 v4, v1, v4
	v_lshrrev_b32_e32 v4, s42, v4
	s_delay_alu instid0(VALU_DEP_1) | instskip(NEXT) | instid1(VALU_DEP_1)
	v_mul_hi_u32 v5, s44, v4
	v_add_nc_u32_e32 v5, v4, v5
	s_delay_alu instid0(VALU_DEP_1) | instskip(NEXT) | instid1(VALU_DEP_1)
	v_lshrrev_b32_e32 v5, s45, v5
	v_mul_hi_u32 v6, s47, v5
	s_delay_alu instid0(VALU_DEP_1) | instskip(SKIP_1) | instid1(VALU_DEP_1)
	v_add_nc_u32_e32 v6, v5, v6
	v_mul_lo_u32 v7, v4, s40
	v_sub_nc_u32_e32 v1, v1, v7
	v_mul_lo_u32 v7, v5, s43
	s_delay_alu instid0(VALU_DEP_4) | instskip(NEXT) | instid1(VALU_DEP_3)
	v_lshrrev_b32_e32 v6, s56, v6
	v_mad_u32 v3, v1, s49, v3
	v_mad_u32 v1, v1, s48, v2
	s_delay_alu instid0(VALU_DEP_4) | instskip(NEXT) | instid1(VALU_DEP_4)
	v_sub_nc_u32_e32 v2, v4, v7
	v_mul_hi_u32 v8, s58, v6
	v_mul_lo_u32 v4, v6, s46
	s_delay_alu instid0(VALU_DEP_3) | instskip(SKIP_1) | instid1(VALU_DEP_4)
	v_mad_u32 v3, v2, s51, v3
	v_mad_u32 v2, v2, s50, v1
	v_add_nc_u32_e32 v7, v6, v8
	s_delay_alu instid0(VALU_DEP_1) | instskip(NEXT) | instid1(VALU_DEP_1)
	v_dual_sub_nc_u32 v4, v5, v4 :: v_dual_lshrrev_b32 v1, s59, v7
	v_mad_u32 v3, v4, s53, v3
	s_delay_alu instid0(VALU_DEP_4) | instskip(NEXT) | instid1(VALU_DEP_3)
	v_mad_u32 v2, v4, s52, v2
	v_mul_lo_u32 v5, v1, s57
	s_delay_alu instid0(VALU_DEP_1) | instskip(NEXT) | instid1(VALU_DEP_1)
	v_sub_nc_u32_e32 v4, v6, v5
	v_mad_u32 v3, v4, s55, v3
	s_delay_alu instid0(VALU_DEP_4)
	v_mad_u32 v2, v4, s54, v2
	s_cbranch_scc0 .LBB33_180
	s_branch .LBB33_202
.LBB33_181:
                                        ; implicit-def: $vgpr3
	s_branch .LBB33_206
.LBB33_182:
	v_dual_mov_b32 v3, 0 :: v_dual_mov_b32 v2, 0
	s_branch .LBB33_205
.LBB33_183:
	v_mov_b64_e32 v[2:3], 0
	v_mov_b32_e32 v1, v0
	s_mov_b32 s24, 0
.LBB33_184:
	s_and_b32 s16, s16, 3
	s_mov_b32 s25, 0
	s_cmp_eq_u32 s16, 0
	s_cbranch_scc1 .LBB33_187
; %bb.185:
	s_lshl_b32 s26, s24, 3
	s_mov_b32 s27, s25
	s_mul_u64 s[28:29], s[24:25], 12
	s_add_nc_u64 s[26:27], s[12:13], s[26:27]
	s_delay_alu instid0(SALU_CYCLE_1)
	s_add_nc_u64 s[24:25], s[26:27], 0xc4
	s_add_nc_u64 s[26:27], s[12:13], s[28:29]
.LBB33_186:                             ; =>This Inner Loop Header: Depth=1
	s_load_b96 s[40:42], s[26:27], 0x4
	s_load_b64 s[28:29], s[24:25], 0x0
	s_add_co_i32 s16, s16, -1
	s_wait_xcnt 0x0
	s_add_nc_u64 s[26:27], s[26:27], 12
	s_cmp_lg_u32 s16, 0
	s_add_nc_u64 s[24:25], s[24:25], 8
	s_wait_kmcnt 0x0
	v_mul_hi_u32 v4, s41, v1
	s_delay_alu instid0(VALU_DEP_1) | instskip(NEXT) | instid1(VALU_DEP_1)
	v_add_nc_u32_e32 v4, v1, v4
	v_lshrrev_b32_e32 v4, s42, v4
	s_delay_alu instid0(VALU_DEP_1) | instskip(NEXT) | instid1(VALU_DEP_1)
	v_mul_lo_u32 v5, v4, s40
	v_sub_nc_u32_e32 v1, v1, v5
	s_delay_alu instid0(VALU_DEP_1)
	v_mad_u32 v3, v1, s29, v3
	v_mad_u32 v2, v1, s28, v2
	v_mov_b32_e32 v1, v4
	s_cbranch_scc1 .LBB33_186
.LBB33_187:
	s_cbranch_execnz .LBB33_190
.LBB33_188:
	v_mov_b32_e32 v1, 0
	s_and_not1_b32 vcc_lo, exec_lo, s35
	s_delay_alu instid0(VALU_DEP_1) | instskip(NEXT) | instid1(VALU_DEP_1)
	v_mul_u64_e32 v[2:3], s[18:19], v[0:1]
	v_add_nc_u32_e32 v2, v0, v3
	s_delay_alu instid0(VALU_DEP_1) | instskip(NEXT) | instid1(VALU_DEP_1)
	v_lshrrev_b32_e32 v4, s6, v2
	v_mul_lo_u32 v2, v4, s4
	s_delay_alu instid0(VALU_DEP_1) | instskip(NEXT) | instid1(VALU_DEP_1)
	v_sub_nc_u32_e32 v2, v0, v2
	v_mul_lo_u32 v3, v2, s9
	v_mul_lo_u32 v2, v2, s8
	s_cbranch_vccnz .LBB33_190
; %bb.189:
	v_mov_b32_e32 v5, v1
	s_delay_alu instid0(VALU_DEP_1) | instskip(NEXT) | instid1(VALU_DEP_1)
	v_mul_u64_e32 v[6:7], s[20:21], v[4:5]
	v_add_nc_u32_e32 v1, v4, v7
	s_delay_alu instid0(VALU_DEP_1) | instskip(NEXT) | instid1(VALU_DEP_1)
	v_lshrrev_b32_e32 v1, s17, v1
	v_mul_lo_u32 v1, v1, s7
	s_delay_alu instid0(VALU_DEP_1) | instskip(NEXT) | instid1(VALU_DEP_1)
	v_sub_nc_u32_e32 v1, v4, v1
	v_mad_u32 v2, v1, s10, v2
	v_mad_u32 v3, v1, s11, v3
.LBB33_190:
	global_load_u16 v1, v3, s[2:3]
	s_mov_b32 s16, exec_lo
	s_wait_loadcnt 0x0
	v_lshlrev_b32_e32 v3, 16, v1
	s_delay_alu instid0(VALU_DEP_1) | instskip(NEXT) | instid1(VALU_DEP_1)
	v_mul_f32_e32 v1, s14, v3
	v_cmpx_nlt_f32_e32 s15, v1
	s_cbranch_execz .LBB33_192
; %bb.191:
	v_mul_f32_e32 v3, 0x3fb8aa3b, v1
	v_cmp_ngt_f32_e32 vcc_lo, 0xc2ce8ed0, v1
	s_mov_b32 s24, 0x3e9b6dac
	s_delay_alu instid0(VALU_DEP_2) | instskip(SKIP_1) | instid1(VALU_DEP_2)
	v_rndne_f32_e32 v4, v3
	v_fma_f32 v5, 0x3fb8aa3b, v1, -v3
	v_sub_f32_e32 v3, v3, v4
	s_delay_alu instid0(VALU_DEP_2) | instskip(SKIP_1) | instid1(VALU_DEP_2)
	v_fmamk_f32 v5, v1, 0x32a5705f, v5
	v_cvt_i32_f32_e32 v4, v4
	v_add_f32_e32 v3, v3, v5
	s_delay_alu instid0(VALU_DEP_1) | instskip(SKIP_1) | instid1(TRANS32_DEP_1)
	v_exp_f32_e32 v3, v3
	v_nop
	v_ldexp_f32 v3, v3, v4
	s_delay_alu instid0(VALU_DEP_1) | instskip(SKIP_1) | instid1(VALU_DEP_2)
	v_cndmask_b32_e32 v3, 0, v3, vcc_lo
	v_cmp_nlt_f32_e32 vcc_lo, 0x42b17218, v1
	v_cndmask_b32_e32 v3, 0x7f800000, v3, vcc_lo
	s_delay_alu instid0(VALU_DEP_1) | instskip(NEXT) | instid1(VALU_DEP_1)
	v_add_f32_e32 v1, 1.0, v3
	v_cvt_f64_f32_e32 v[4:5], v1
	s_delay_alu instid0(VALU_DEP_1) | instskip(SKIP_1) | instid1(VALU_DEP_1)
	v_frexp_exp_i32_f64_e32 v4, v[4:5]
	v_frexp_mant_f32_e32 v5, v1
	v_cmp_gt_f32_e32 vcc_lo, 0x3f2aaaab, v5
	s_delay_alu instid0(VALU_DEP_3) | instskip(NEXT) | instid1(VALU_DEP_1)
	v_subrev_co_ci_u32_e64 v10, null, 0, v4, vcc_lo
	v_dual_add_f32 v4, -1.0, v1 :: v_dual_sub_nc_u32 v5, 0, v10
	s_delay_alu instid0(VALU_DEP_1) | instskip(NEXT) | instid1(VALU_DEP_2)
	v_dual_sub_f32 v6, v4, v1 :: v_dual_sub_f32 v4, v3, v4
	v_ldexp_f32 v1, v1, v5
	s_delay_alu instid0(VALU_DEP_1) | instskip(NEXT) | instid1(VALU_DEP_1)
	v_dual_add_f32 v6, 1.0, v6 :: v_dual_add_f32 v7, 1.0, v1
	v_dual_add_f32 v9, -1.0, v1 :: v_dual_add_f32 v4, v4, v6
	v_cmp_neq_f32_e32 vcc_lo, 0x7f800000, v3
	s_delay_alu instid0(VALU_DEP_3) | instskip(NEXT) | instid1(VALU_DEP_3)
	v_add_f32_e32 v6, -1.0, v7
	v_ldexp_f32 v4, v4, v5
	s_delay_alu instid0(VALU_DEP_2) | instskip(NEXT) | instid1(VALU_DEP_1)
	v_dual_sub_f32 v5, v1, v6 :: v_dual_add_f32 v6, 1.0, v9
	v_dual_add_f32 v8, v4, v5 :: v_dual_sub_f32 v1, v1, v6
	s_delay_alu instid0(VALU_DEP_1) | instskip(NEXT) | instid1(VALU_DEP_1)
	v_dual_add_f32 v11, v7, v8 :: v_dual_add_f32 v1, v4, v1
	v_rcp_f32_e32 v12, v11
	s_delay_alu instid0(VALU_DEP_1) | instskip(NEXT) | instid1(VALU_DEP_1)
	v_dual_add_f32 v5, v9, v1 :: v_dual_sub_f32 v4, v7, v11
	v_sub_f32_e32 v15, v9, v5
	s_delay_alu instid0(TRANS32_DEP_1) | instskip(NEXT) | instid1(VALU_DEP_2)
	v_mul_f32_e32 v13, v5, v12
	v_dual_add_f32 v14, v8, v4 :: v_dual_add_f32 v1, v1, v15
	s_delay_alu instid0(VALU_DEP_2) | instskip(NEXT) | instid1(VALU_DEP_1)
	v_mul_f32_e32 v6, v11, v13
	v_fma_f32 v8, v13, v11, -v6
	s_delay_alu instid0(VALU_DEP_1) | instskip(NEXT) | instid1(VALU_DEP_1)
	v_fmac_f32_e32 v8, v13, v14
	v_add_f32_e32 v4, v6, v8
	s_delay_alu instid0(VALU_DEP_1) | instskip(NEXT) | instid1(VALU_DEP_1)
	v_dual_sub_f32 v7, v5, v4 :: v_dual_mov_b32 v9, v4
	v_pk_add_f32 v[4:5], v[4:5], v[6:7] neg_lo:[0,1] neg_hi:[0,1]
	s_delay_alu instid0(VALU_DEP_1) | instskip(NEXT) | instid1(VALU_DEP_1)
	v_pk_add_f32 v[4:5], v[4:5], v[8:9] neg_lo:[0,1] neg_hi:[0,1]
	v_add_f32_e32 v1, v1, v5
	s_delay_alu instid0(VALU_DEP_1) | instskip(NEXT) | instid1(VALU_DEP_1)
	v_add_f32_e32 v1, v4, v1
	v_add_f32_e32 v5, v7, v1
	s_delay_alu instid0(VALU_DEP_1) | instskip(NEXT) | instid1(VALU_DEP_1)
	v_mul_f32_e32 v15, v12, v5
	v_mul_f32_e32 v8, v11, v15
	s_delay_alu instid0(VALU_DEP_1) | instskip(SKIP_1) | instid1(VALU_DEP_1)
	v_fma_f32 v6, v15, v11, -v8
	v_sub_f32_e32 v11, v7, v5
	v_dual_fmac_f32 v6, v15, v14 :: v_dual_add_f32 v1, v1, v11
	s_delay_alu instid0(VALU_DEP_1) | instskip(NEXT) | instid1(VALU_DEP_1)
	v_add_f32_e32 v4, v8, v6
	v_dual_sub_f32 v9, v5, v4 :: v_dual_mov_b32 v7, v4
	s_delay_alu instid0(VALU_DEP_1) | instskip(NEXT) | instid1(VALU_DEP_1)
	v_pk_add_f32 v[4:5], v[4:5], v[8:9] neg_lo:[0,1] neg_hi:[0,1]
	v_pk_add_f32 v[4:5], v[4:5], v[6:7] neg_lo:[0,1] neg_hi:[0,1]
	v_cvt_f32_i32_e32 v6, v10
	s_delay_alu instid0(VALU_DEP_2) | instskip(NEXT) | instid1(VALU_DEP_1)
	v_add_f32_e32 v1, v1, v5
	v_dual_add_f32 v8, v13, v15 :: v_dual_add_f32 v1, v4, v1
	s_delay_alu instid0(VALU_DEP_1) | instskip(NEXT) | instid1(VALU_DEP_1)
	v_sub_f32_e32 v4, v8, v13
	v_dual_add_f32 v1, v9, v1 :: v_dual_sub_f32 v4, v15, v4
	s_delay_alu instid0(VALU_DEP_1) | instskip(NEXT) | instid1(VALU_DEP_1)
	v_mul_f32_e32 v1, v12, v1
	v_dual_add_f32 v1, v4, v1 :: v_dual_mov_b32 v4, 0x3f317218
	s_delay_alu instid0(VALU_DEP_1) | instskip(NEXT) | instid1(VALU_DEP_1)
	v_add_f32_e32 v9, v8, v1
	v_mul_f32_e32 v5, v9, v9
	s_delay_alu instid0(VALU_DEP_1) | instskip(SKIP_1) | instid1(VALU_DEP_2)
	v_fmaak_f32 v11, s24, v5, 0x3ecc95a3
	v_mul_f32_e32 v7, v9, v5
	v_fmaak_f32 v5, v5, v11, 0x3f2aaada
	s_delay_alu instid0(VALU_DEP_1) | instskip(NEXT) | instid1(VALU_DEP_1)
	v_pk_mul_f32 v[4:5], v[6:7], v[4:5]
	v_fma_f32 v10, 0x3f317218, v6, -v4
	s_delay_alu instid0(VALU_DEP_1) | instskip(SKIP_1) | instid1(VALU_DEP_1)
	v_fmamk_f32 v6, v6, 0xb102e308, v10
	v_sub_f32_e32 v10, v9, v8
	v_sub_f32_e32 v1, v1, v10
	v_ldexp_f32 v7, v9, 1
	v_mov_b32_e32 v10, v4
	s_delay_alu instid0(VALU_DEP_3) | instskip(NEXT) | instid1(VALU_DEP_3)
	v_ldexp_f32 v1, v1, 1
	v_pk_add_f32 v[8:9], v[4:5], v[6:7]
	s_delay_alu instid0(VALU_DEP_1) | instskip(NEXT) | instid1(VALU_DEP_1)
	v_dual_sub_f32 v7, v9, v7 :: v_dual_mov_b32 v18, v9
	v_sub_f32_e32 v7, v5, v7
	s_delay_alu instid0(VALU_DEP_3) | instskip(NEXT) | instid1(VALU_DEP_2)
	v_pk_add_f32 v[4:5], v[8:9], v[4:5] neg_lo:[0,1] neg_hi:[0,1]
	v_dual_add_f32 v11, v1, v7 :: v_dual_mov_b32 v7, v8
	s_delay_alu instid0(VALU_DEP_1) | instskip(NEXT) | instid1(VALU_DEP_1)
	v_pk_add_f32 v[12:13], v[8:9], v[10:11]
	v_mov_b32_e32 v5, v13
	s_delay_alu instid0(VALU_DEP_1) | instskip(SKIP_2) | instid1(VALU_DEP_3)
	v_pk_add_f32 v[14:15], v[6:7], v[4:5]
	v_mov_b32_e32 v14, v13
	v_pk_add_f32 v[4:5], v[6:7], v[4:5] neg_lo:[0,1] neg_hi:[0,1]
	v_dual_mov_b32 v10, v15 :: v_dual_mov_b32 v5, v15
	s_delay_alu instid0(VALU_DEP_1) | instskip(SKIP_1) | instid1(VALU_DEP_2)
	v_pk_add_f32 v[16:17], v[10:11], v[8:9] neg_lo:[0,1] neg_hi:[0,1]
	v_dual_mov_b32 v9, v8 :: v_dual_mov_b32 v8, v11
	v_dual_mov_b32 v1, v16 :: v_dual_mov_b32 v19, v16
	s_delay_alu instid0(VALU_DEP_1) | instskip(NEXT) | instid1(VALU_DEP_2)
	v_pk_add_f32 v[12:13], v[12:13], v[0:1] neg_lo:[0,1] neg_hi:[0,1]
	v_pk_add_f32 v[6:7], v[14:15], v[18:19] neg_lo:[0,1] neg_hi:[0,1]
	v_mov_b32_e32 v12, v4
	s_delay_alu instid0(VALU_DEP_2) | instskip(NEXT) | instid1(VALU_DEP_1)
	v_pk_add_f32 v[6:7], v[8:9], v[6:7] neg_lo:[0,1] neg_hi:[0,1]
	v_pk_add_f32 v[8:9], v[12:13], v[6:7]
	s_delay_alu instid0(VALU_DEP_1) | instskip(NEXT) | instid1(VALU_DEP_1)
	v_mov_b32_e32 v12, v9
	v_pk_add_f32 v[12:13], v[8:9], v[12:13]
	s_delay_alu instid0(VALU_DEP_1) | instskip(NEXT) | instid1(VALU_DEP_1)
	v_pk_add_f32 v[10:11], v[10:11], v[12:13]
	v_mov_b32_e32 v9, v10
	s_delay_alu instid0(VALU_DEP_1) | instskip(NEXT) | instid1(VALU_DEP_1)
	v_pk_add_f32 v[14:15], v[8:9], v[4:5] neg_lo:[0,1] neg_hi:[0,1]
	v_sub_f32_e32 v1, v8, v14
	s_delay_alu instid0(VALU_DEP_1) | instskip(SKIP_1) | instid1(VALU_DEP_1)
	v_sub_f32_e32 v1, v4, v1
	v_mov_b32_e32 v7, v12
	v_pk_add_f32 v[6:7], v[6:7], v[14:15] neg_lo:[0,1] neg_hi:[0,1]
	s_delay_alu instid0(VALU_DEP_1) | instskip(NEXT) | instid1(VALU_DEP_1)
	v_add_f32_e32 v1, v6, v1
	v_add_f32_e32 v1, v1, v7
	s_delay_alu instid0(VALU_DEP_1) | instskip(NEXT) | instid1(VALU_DEP_1)
	v_add_f32_e32 v1, v10, v1
	v_cndmask_b32_e32 v1, 0x7f800000, v1, vcc_lo
	v_cmp_gt_f32_e64 vcc_lo, 0x33800000, |v3|
	s_delay_alu instid0(VALU_DEP_2) | instskip(NEXT) | instid1(VALU_DEP_1)
	v_cndmask_b32_e32 v1, v1, v3, vcc_lo
	v_div_scale_f32 v3, null, s14, s14, v1
	s_delay_alu instid0(VALU_DEP_1) | instskip(SKIP_1) | instid1(TRANS32_DEP_1)
	v_rcp_f32_e32 v4, v3
	v_nop
	v_fma_f32 v5, -v3, v4, 1.0
	s_delay_alu instid0(VALU_DEP_1) | instskip(SKIP_1) | instid1(VALU_DEP_1)
	v_fmac_f32_e32 v4, v5, v4
	v_div_scale_f32 v5, vcc_lo, v1, s14, v1
	v_mul_f32_e32 v6, v5, v4
	s_delay_alu instid0(VALU_DEP_1) | instskip(NEXT) | instid1(VALU_DEP_1)
	v_fma_f32 v7, -v3, v6, v5
	v_fmac_f32_e32 v6, v7, v4
	s_delay_alu instid0(VALU_DEP_1) | instskip(NEXT) | instid1(VALU_DEP_1)
	v_fma_f32 v3, -v3, v6, v5
	v_div_fmas_f32 v3, v3, v4, v6
	s_delay_alu instid0(VALU_DEP_1)
	v_div_fixup_f32 v3, v3, s14, v1
.LBB33_192:
	s_or_b32 exec_lo, exec_lo, s16
	s_delay_alu instid0(VALU_DEP_1) | instskip(SKIP_2) | instid1(VALU_DEP_3)
	v_bfe_u32 v1, v3, 16, 1
	v_cmp_o_f32_e32 vcc_lo, v3, v3
	v_add_nc_u32_e32 v0, 0x80, v0
	v_add3_u32 v1, v3, v1, 0x7fff
	s_delay_alu instid0(VALU_DEP_1) | instskip(NEXT) | instid1(VALU_DEP_1)
	v_lshrrev_b32_e32 v1, 16, v1
	v_cndmask_b32_e32 v1, 0x7fc0, v1, vcc_lo
	global_store_b16 v2, v1, s[0:1]
	s_wait_xcnt 0x0
	s_or_b32 exec_lo, exec_lo, s5
	s_delay_alu instid0(SALU_CYCLE_1)
	s_mov_b32 s5, exec_lo
	v_cmpx_gt_i32_e64 s36, v0
	s_cbranch_execnz .LBB33_176
.LBB33_193:
	s_or_b32 exec_lo, exec_lo, s5
	s_delay_alu instid0(SALU_CYCLE_1)
	s_mov_b32 s5, exec_lo
	v_cmpx_gt_i32_e64 s36, v0
	s_cbranch_execz .LBB33_211
.LBB33_194:
	s_and_not1_b32 vcc_lo, exec_lo, s33
	s_cbranch_vccnz .LBB33_199
; %bb.195:
	s_and_not1_b32 vcc_lo, exec_lo, s38
	s_cbranch_vccnz .LBB33_200
; %bb.196:
	s_add_co_i32 s16, s37, 1
	s_cmp_eq_u32 s31, 2
	s_cbranch_scc1 .LBB33_219
; %bb.197:
	v_dual_mov_b32 v2, 0 :: v_dual_mov_b32 v3, 0
	v_mov_b32_e32 v1, v0
	s_and_b32 s24, s16, 28
	s_mov_b32 s25, 0
	s_mov_b64 s[26:27], s[12:13]
	s_mov_b64 s[28:29], s[22:23]
.LBB33_198:                             ; =>This Inner Loop Header: Depth=1
	s_clause 0x1
	s_load_b256 s[40:47], s[26:27], 0x4
	s_load_b128 s[56:59], s[26:27], 0x24
	s_load_b256 s[48:55], s[28:29], 0x0
	s_add_co_i32 s25, s25, 4
	s_wait_xcnt 0x0
	s_add_nc_u64 s[26:27], s[26:27], 48
	s_cmp_eq_u32 s24, s25
	s_add_nc_u64 s[28:29], s[28:29], 32
	s_wait_kmcnt 0x0
	v_mul_hi_u32 v4, s41, v1
	s_delay_alu instid0(VALU_DEP_1) | instskip(NEXT) | instid1(VALU_DEP_1)
	v_add_nc_u32_e32 v4, v1, v4
	v_lshrrev_b32_e32 v4, s42, v4
	s_delay_alu instid0(VALU_DEP_1) | instskip(NEXT) | instid1(VALU_DEP_1)
	v_mul_hi_u32 v5, s44, v4
	v_add_nc_u32_e32 v5, v4, v5
	s_delay_alu instid0(VALU_DEP_1) | instskip(NEXT) | instid1(VALU_DEP_1)
	v_lshrrev_b32_e32 v5, s45, v5
	v_mul_hi_u32 v6, s47, v5
	s_delay_alu instid0(VALU_DEP_1) | instskip(SKIP_1) | instid1(VALU_DEP_1)
	v_add_nc_u32_e32 v6, v5, v6
	v_mul_lo_u32 v7, v4, s40
	v_sub_nc_u32_e32 v1, v1, v7
	v_mul_lo_u32 v7, v5, s43
	s_delay_alu instid0(VALU_DEP_4) | instskip(NEXT) | instid1(VALU_DEP_3)
	v_lshrrev_b32_e32 v6, s56, v6
	v_mad_u32 v3, v1, s49, v3
	v_mad_u32 v1, v1, s48, v2
	s_delay_alu instid0(VALU_DEP_4) | instskip(NEXT) | instid1(VALU_DEP_4)
	v_sub_nc_u32_e32 v2, v4, v7
	v_mul_hi_u32 v8, s58, v6
	v_mul_lo_u32 v4, v6, s46
	s_delay_alu instid0(VALU_DEP_3) | instskip(SKIP_1) | instid1(VALU_DEP_4)
	v_mad_u32 v3, v2, s51, v3
	v_mad_u32 v2, v2, s50, v1
	v_add_nc_u32_e32 v7, v6, v8
	s_delay_alu instid0(VALU_DEP_1) | instskip(NEXT) | instid1(VALU_DEP_1)
	v_dual_sub_nc_u32 v4, v5, v4 :: v_dual_lshrrev_b32 v1, s59, v7
	v_mad_u32 v3, v4, s53, v3
	s_delay_alu instid0(VALU_DEP_4) | instskip(NEXT) | instid1(VALU_DEP_3)
	v_mad_u32 v2, v4, s52, v2
	v_mul_lo_u32 v5, v1, s57
	s_delay_alu instid0(VALU_DEP_1) | instskip(NEXT) | instid1(VALU_DEP_1)
	v_sub_nc_u32_e32 v4, v6, v5
	v_mad_u32 v3, v4, s55, v3
	s_delay_alu instid0(VALU_DEP_4)
	v_mad_u32 v2, v4, s54, v2
	s_cbranch_scc0 .LBB33_198
	s_branch .LBB33_220
.LBB33_199:
                                        ; implicit-def: $vgpr3
	s_branch .LBB33_224
.LBB33_200:
	v_dual_mov_b32 v3, 0 :: v_dual_mov_b32 v2, 0
	s_branch .LBB33_223
.LBB33_201:
	v_mov_b64_e32 v[2:3], 0
	v_mov_b32_e32 v1, v0
	s_mov_b32 s24, 0
.LBB33_202:
	s_and_b32 s16, s16, 3
	s_mov_b32 s25, 0
	s_cmp_eq_u32 s16, 0
	s_cbranch_scc1 .LBB33_205
; %bb.203:
	s_lshl_b32 s26, s24, 3
	s_mov_b32 s27, s25
	s_mul_u64 s[28:29], s[24:25], 12
	s_add_nc_u64 s[26:27], s[12:13], s[26:27]
	s_delay_alu instid0(SALU_CYCLE_1)
	s_add_nc_u64 s[24:25], s[26:27], 0xc4
	s_add_nc_u64 s[26:27], s[12:13], s[28:29]
.LBB33_204:                             ; =>This Inner Loop Header: Depth=1
	s_load_b96 s[40:42], s[26:27], 0x4
	s_load_b64 s[28:29], s[24:25], 0x0
	s_add_co_i32 s16, s16, -1
	s_wait_xcnt 0x0
	s_add_nc_u64 s[26:27], s[26:27], 12
	s_cmp_lg_u32 s16, 0
	s_add_nc_u64 s[24:25], s[24:25], 8
	s_wait_kmcnt 0x0
	v_mul_hi_u32 v4, s41, v1
	s_delay_alu instid0(VALU_DEP_1) | instskip(NEXT) | instid1(VALU_DEP_1)
	v_add_nc_u32_e32 v4, v1, v4
	v_lshrrev_b32_e32 v4, s42, v4
	s_delay_alu instid0(VALU_DEP_1) | instskip(NEXT) | instid1(VALU_DEP_1)
	v_mul_lo_u32 v5, v4, s40
	v_sub_nc_u32_e32 v1, v1, v5
	s_delay_alu instid0(VALU_DEP_1)
	v_mad_u32 v3, v1, s29, v3
	v_mad_u32 v2, v1, s28, v2
	v_mov_b32_e32 v1, v4
	s_cbranch_scc1 .LBB33_204
.LBB33_205:
	s_cbranch_execnz .LBB33_208
.LBB33_206:
	v_mov_b32_e32 v1, 0
	s_and_not1_b32 vcc_lo, exec_lo, s35
	s_delay_alu instid0(VALU_DEP_1) | instskip(NEXT) | instid1(VALU_DEP_1)
	v_mul_u64_e32 v[2:3], s[18:19], v[0:1]
	v_add_nc_u32_e32 v2, v0, v3
	s_delay_alu instid0(VALU_DEP_1) | instskip(NEXT) | instid1(VALU_DEP_1)
	v_lshrrev_b32_e32 v4, s6, v2
	v_mul_lo_u32 v2, v4, s4
	s_delay_alu instid0(VALU_DEP_1) | instskip(NEXT) | instid1(VALU_DEP_1)
	v_sub_nc_u32_e32 v2, v0, v2
	v_mul_lo_u32 v3, v2, s9
	v_mul_lo_u32 v2, v2, s8
	s_cbranch_vccnz .LBB33_208
; %bb.207:
	v_mov_b32_e32 v5, v1
	s_delay_alu instid0(VALU_DEP_1) | instskip(NEXT) | instid1(VALU_DEP_1)
	v_mul_u64_e32 v[6:7], s[20:21], v[4:5]
	v_add_nc_u32_e32 v1, v4, v7
	s_delay_alu instid0(VALU_DEP_1) | instskip(NEXT) | instid1(VALU_DEP_1)
	v_lshrrev_b32_e32 v1, s17, v1
	v_mul_lo_u32 v1, v1, s7
	s_delay_alu instid0(VALU_DEP_1) | instskip(NEXT) | instid1(VALU_DEP_1)
	v_sub_nc_u32_e32 v1, v4, v1
	v_mad_u32 v2, v1, s10, v2
	v_mad_u32 v3, v1, s11, v3
.LBB33_208:
	global_load_u16 v1, v3, s[2:3]
	s_mov_b32 s16, exec_lo
	s_wait_loadcnt 0x0
	v_lshlrev_b32_e32 v3, 16, v1
	s_delay_alu instid0(VALU_DEP_1) | instskip(NEXT) | instid1(VALU_DEP_1)
	v_mul_f32_e32 v1, s14, v3
	v_cmpx_nlt_f32_e32 s15, v1
	s_cbranch_execz .LBB33_210
; %bb.209:
	v_mul_f32_e32 v3, 0x3fb8aa3b, v1
	v_cmp_ngt_f32_e32 vcc_lo, 0xc2ce8ed0, v1
	s_mov_b32 s24, 0x3e9b6dac
	s_delay_alu instid0(VALU_DEP_2) | instskip(SKIP_1) | instid1(VALU_DEP_2)
	v_rndne_f32_e32 v4, v3
	v_fma_f32 v5, 0x3fb8aa3b, v1, -v3
	v_sub_f32_e32 v3, v3, v4
	s_delay_alu instid0(VALU_DEP_2) | instskip(SKIP_1) | instid1(VALU_DEP_2)
	v_fmamk_f32 v5, v1, 0x32a5705f, v5
	v_cvt_i32_f32_e32 v4, v4
	v_add_f32_e32 v3, v3, v5
	s_delay_alu instid0(VALU_DEP_1) | instskip(SKIP_1) | instid1(TRANS32_DEP_1)
	v_exp_f32_e32 v3, v3
	v_nop
	v_ldexp_f32 v3, v3, v4
	s_delay_alu instid0(VALU_DEP_1) | instskip(SKIP_1) | instid1(VALU_DEP_2)
	v_cndmask_b32_e32 v3, 0, v3, vcc_lo
	v_cmp_nlt_f32_e32 vcc_lo, 0x42b17218, v1
	v_cndmask_b32_e32 v3, 0x7f800000, v3, vcc_lo
	s_delay_alu instid0(VALU_DEP_1) | instskip(NEXT) | instid1(VALU_DEP_1)
	v_add_f32_e32 v1, 1.0, v3
	v_cvt_f64_f32_e32 v[4:5], v1
	s_delay_alu instid0(VALU_DEP_1) | instskip(SKIP_1) | instid1(VALU_DEP_1)
	v_frexp_exp_i32_f64_e32 v4, v[4:5]
	v_frexp_mant_f32_e32 v5, v1
	v_cmp_gt_f32_e32 vcc_lo, 0x3f2aaaab, v5
	s_delay_alu instid0(VALU_DEP_3) | instskip(NEXT) | instid1(VALU_DEP_1)
	v_subrev_co_ci_u32_e64 v10, null, 0, v4, vcc_lo
	v_dual_add_f32 v4, -1.0, v1 :: v_dual_sub_nc_u32 v5, 0, v10
	s_delay_alu instid0(VALU_DEP_1) | instskip(NEXT) | instid1(VALU_DEP_2)
	v_dual_sub_f32 v6, v4, v1 :: v_dual_sub_f32 v4, v3, v4
	v_ldexp_f32 v1, v1, v5
	s_delay_alu instid0(VALU_DEP_1) | instskip(NEXT) | instid1(VALU_DEP_1)
	v_dual_add_f32 v6, 1.0, v6 :: v_dual_add_f32 v7, 1.0, v1
	v_dual_add_f32 v9, -1.0, v1 :: v_dual_add_f32 v4, v4, v6
	v_cmp_neq_f32_e32 vcc_lo, 0x7f800000, v3
	s_delay_alu instid0(VALU_DEP_3) | instskip(NEXT) | instid1(VALU_DEP_3)
	v_add_f32_e32 v6, -1.0, v7
	v_ldexp_f32 v4, v4, v5
	s_delay_alu instid0(VALU_DEP_2) | instskip(NEXT) | instid1(VALU_DEP_1)
	v_dual_sub_f32 v5, v1, v6 :: v_dual_add_f32 v6, 1.0, v9
	v_dual_add_f32 v8, v4, v5 :: v_dual_sub_f32 v1, v1, v6
	s_delay_alu instid0(VALU_DEP_1) | instskip(NEXT) | instid1(VALU_DEP_1)
	v_dual_add_f32 v11, v7, v8 :: v_dual_add_f32 v1, v4, v1
	v_rcp_f32_e32 v12, v11
	s_delay_alu instid0(VALU_DEP_1) | instskip(NEXT) | instid1(VALU_DEP_1)
	v_dual_add_f32 v5, v9, v1 :: v_dual_sub_f32 v4, v7, v11
	v_sub_f32_e32 v15, v9, v5
	s_delay_alu instid0(TRANS32_DEP_1) | instskip(NEXT) | instid1(VALU_DEP_2)
	v_mul_f32_e32 v13, v5, v12
	v_dual_add_f32 v14, v8, v4 :: v_dual_add_f32 v1, v1, v15
	s_delay_alu instid0(VALU_DEP_2) | instskip(NEXT) | instid1(VALU_DEP_1)
	v_mul_f32_e32 v6, v11, v13
	v_fma_f32 v8, v13, v11, -v6
	s_delay_alu instid0(VALU_DEP_1) | instskip(NEXT) | instid1(VALU_DEP_1)
	v_fmac_f32_e32 v8, v13, v14
	v_add_f32_e32 v4, v6, v8
	s_delay_alu instid0(VALU_DEP_1) | instskip(NEXT) | instid1(VALU_DEP_1)
	v_dual_sub_f32 v7, v5, v4 :: v_dual_mov_b32 v9, v4
	v_pk_add_f32 v[4:5], v[4:5], v[6:7] neg_lo:[0,1] neg_hi:[0,1]
	s_delay_alu instid0(VALU_DEP_1) | instskip(NEXT) | instid1(VALU_DEP_1)
	v_pk_add_f32 v[4:5], v[4:5], v[8:9] neg_lo:[0,1] neg_hi:[0,1]
	v_add_f32_e32 v1, v1, v5
	s_delay_alu instid0(VALU_DEP_1) | instskip(NEXT) | instid1(VALU_DEP_1)
	v_add_f32_e32 v1, v4, v1
	v_add_f32_e32 v5, v7, v1
	s_delay_alu instid0(VALU_DEP_1) | instskip(NEXT) | instid1(VALU_DEP_1)
	v_mul_f32_e32 v15, v12, v5
	v_mul_f32_e32 v8, v11, v15
	s_delay_alu instid0(VALU_DEP_1) | instskip(SKIP_1) | instid1(VALU_DEP_1)
	v_fma_f32 v6, v15, v11, -v8
	v_sub_f32_e32 v11, v7, v5
	v_dual_fmac_f32 v6, v15, v14 :: v_dual_add_f32 v1, v1, v11
	s_delay_alu instid0(VALU_DEP_1) | instskip(NEXT) | instid1(VALU_DEP_1)
	v_add_f32_e32 v4, v8, v6
	v_dual_sub_f32 v9, v5, v4 :: v_dual_mov_b32 v7, v4
	s_delay_alu instid0(VALU_DEP_1) | instskip(NEXT) | instid1(VALU_DEP_1)
	v_pk_add_f32 v[4:5], v[4:5], v[8:9] neg_lo:[0,1] neg_hi:[0,1]
	v_pk_add_f32 v[4:5], v[4:5], v[6:7] neg_lo:[0,1] neg_hi:[0,1]
	v_cvt_f32_i32_e32 v6, v10
	s_delay_alu instid0(VALU_DEP_2) | instskip(NEXT) | instid1(VALU_DEP_1)
	v_add_f32_e32 v1, v1, v5
	v_dual_add_f32 v8, v13, v15 :: v_dual_add_f32 v1, v4, v1
	s_delay_alu instid0(VALU_DEP_1) | instskip(NEXT) | instid1(VALU_DEP_1)
	v_sub_f32_e32 v4, v8, v13
	v_dual_add_f32 v1, v9, v1 :: v_dual_sub_f32 v4, v15, v4
	s_delay_alu instid0(VALU_DEP_1) | instskip(NEXT) | instid1(VALU_DEP_1)
	v_mul_f32_e32 v1, v12, v1
	v_dual_add_f32 v1, v4, v1 :: v_dual_mov_b32 v4, 0x3f317218
	s_delay_alu instid0(VALU_DEP_1) | instskip(NEXT) | instid1(VALU_DEP_1)
	v_add_f32_e32 v9, v8, v1
	v_mul_f32_e32 v5, v9, v9
	s_delay_alu instid0(VALU_DEP_1) | instskip(SKIP_1) | instid1(VALU_DEP_2)
	v_fmaak_f32 v11, s24, v5, 0x3ecc95a3
	v_mul_f32_e32 v7, v9, v5
	v_fmaak_f32 v5, v5, v11, 0x3f2aaada
	s_delay_alu instid0(VALU_DEP_1) | instskip(NEXT) | instid1(VALU_DEP_1)
	v_pk_mul_f32 v[4:5], v[6:7], v[4:5]
	v_fma_f32 v10, 0x3f317218, v6, -v4
	s_delay_alu instid0(VALU_DEP_1) | instskip(SKIP_1) | instid1(VALU_DEP_1)
	v_fmamk_f32 v6, v6, 0xb102e308, v10
	v_sub_f32_e32 v10, v9, v8
	v_sub_f32_e32 v1, v1, v10
	v_ldexp_f32 v7, v9, 1
	v_mov_b32_e32 v10, v4
	s_delay_alu instid0(VALU_DEP_3) | instskip(NEXT) | instid1(VALU_DEP_3)
	v_ldexp_f32 v1, v1, 1
	v_pk_add_f32 v[8:9], v[4:5], v[6:7]
	s_delay_alu instid0(VALU_DEP_1) | instskip(NEXT) | instid1(VALU_DEP_1)
	v_dual_sub_f32 v7, v9, v7 :: v_dual_mov_b32 v18, v9
	v_sub_f32_e32 v7, v5, v7
	s_delay_alu instid0(VALU_DEP_3) | instskip(NEXT) | instid1(VALU_DEP_2)
	v_pk_add_f32 v[4:5], v[8:9], v[4:5] neg_lo:[0,1] neg_hi:[0,1]
	v_dual_add_f32 v11, v1, v7 :: v_dual_mov_b32 v7, v8
	s_delay_alu instid0(VALU_DEP_1) | instskip(NEXT) | instid1(VALU_DEP_1)
	v_pk_add_f32 v[12:13], v[8:9], v[10:11]
	v_mov_b32_e32 v5, v13
	s_delay_alu instid0(VALU_DEP_1) | instskip(SKIP_2) | instid1(VALU_DEP_3)
	v_pk_add_f32 v[14:15], v[6:7], v[4:5]
	v_mov_b32_e32 v14, v13
	v_pk_add_f32 v[4:5], v[6:7], v[4:5] neg_lo:[0,1] neg_hi:[0,1]
	v_dual_mov_b32 v10, v15 :: v_dual_mov_b32 v5, v15
	s_delay_alu instid0(VALU_DEP_1) | instskip(SKIP_1) | instid1(VALU_DEP_2)
	v_pk_add_f32 v[16:17], v[10:11], v[8:9] neg_lo:[0,1] neg_hi:[0,1]
	v_dual_mov_b32 v9, v8 :: v_dual_mov_b32 v8, v11
	v_dual_mov_b32 v1, v16 :: v_dual_mov_b32 v19, v16
	s_delay_alu instid0(VALU_DEP_1) | instskip(NEXT) | instid1(VALU_DEP_2)
	v_pk_add_f32 v[12:13], v[12:13], v[0:1] neg_lo:[0,1] neg_hi:[0,1]
	v_pk_add_f32 v[6:7], v[14:15], v[18:19] neg_lo:[0,1] neg_hi:[0,1]
	v_mov_b32_e32 v12, v4
	s_delay_alu instid0(VALU_DEP_2) | instskip(NEXT) | instid1(VALU_DEP_1)
	v_pk_add_f32 v[6:7], v[8:9], v[6:7] neg_lo:[0,1] neg_hi:[0,1]
	v_pk_add_f32 v[8:9], v[12:13], v[6:7]
	s_delay_alu instid0(VALU_DEP_1) | instskip(NEXT) | instid1(VALU_DEP_1)
	v_mov_b32_e32 v12, v9
	v_pk_add_f32 v[12:13], v[8:9], v[12:13]
	s_delay_alu instid0(VALU_DEP_1) | instskip(NEXT) | instid1(VALU_DEP_1)
	v_pk_add_f32 v[10:11], v[10:11], v[12:13]
	v_mov_b32_e32 v9, v10
	s_delay_alu instid0(VALU_DEP_1) | instskip(NEXT) | instid1(VALU_DEP_1)
	v_pk_add_f32 v[14:15], v[8:9], v[4:5] neg_lo:[0,1] neg_hi:[0,1]
	v_sub_f32_e32 v1, v8, v14
	s_delay_alu instid0(VALU_DEP_1) | instskip(SKIP_1) | instid1(VALU_DEP_1)
	v_sub_f32_e32 v1, v4, v1
	v_mov_b32_e32 v7, v12
	v_pk_add_f32 v[6:7], v[6:7], v[14:15] neg_lo:[0,1] neg_hi:[0,1]
	s_delay_alu instid0(VALU_DEP_1) | instskip(NEXT) | instid1(VALU_DEP_1)
	v_add_f32_e32 v1, v6, v1
	v_add_f32_e32 v1, v1, v7
	s_delay_alu instid0(VALU_DEP_1) | instskip(NEXT) | instid1(VALU_DEP_1)
	v_add_f32_e32 v1, v10, v1
	v_cndmask_b32_e32 v1, 0x7f800000, v1, vcc_lo
	v_cmp_gt_f32_e64 vcc_lo, 0x33800000, |v3|
	s_delay_alu instid0(VALU_DEP_2) | instskip(NEXT) | instid1(VALU_DEP_1)
	v_cndmask_b32_e32 v1, v1, v3, vcc_lo
	v_div_scale_f32 v3, null, s14, s14, v1
	s_delay_alu instid0(VALU_DEP_1) | instskip(SKIP_1) | instid1(TRANS32_DEP_1)
	v_rcp_f32_e32 v4, v3
	v_nop
	v_fma_f32 v5, -v3, v4, 1.0
	s_delay_alu instid0(VALU_DEP_1) | instskip(SKIP_1) | instid1(VALU_DEP_1)
	v_fmac_f32_e32 v4, v5, v4
	v_div_scale_f32 v5, vcc_lo, v1, s14, v1
	v_mul_f32_e32 v6, v5, v4
	s_delay_alu instid0(VALU_DEP_1) | instskip(NEXT) | instid1(VALU_DEP_1)
	v_fma_f32 v7, -v3, v6, v5
	v_fmac_f32_e32 v6, v7, v4
	s_delay_alu instid0(VALU_DEP_1) | instskip(NEXT) | instid1(VALU_DEP_1)
	v_fma_f32 v3, -v3, v6, v5
	v_div_fmas_f32 v3, v3, v4, v6
	s_delay_alu instid0(VALU_DEP_1)
	v_div_fixup_f32 v3, v3, s14, v1
.LBB33_210:
	s_or_b32 exec_lo, exec_lo, s16
	s_delay_alu instid0(VALU_DEP_1) | instskip(SKIP_2) | instid1(VALU_DEP_3)
	v_bfe_u32 v1, v3, 16, 1
	v_cmp_o_f32_e32 vcc_lo, v3, v3
	v_add_nc_u32_e32 v0, 0x80, v0
	v_add3_u32 v1, v3, v1, 0x7fff
	s_delay_alu instid0(VALU_DEP_1) | instskip(NEXT) | instid1(VALU_DEP_1)
	v_lshrrev_b32_e32 v1, 16, v1
	v_cndmask_b32_e32 v1, 0x7fc0, v1, vcc_lo
	global_store_b16 v2, v1, s[0:1]
	s_wait_xcnt 0x0
	s_or_b32 exec_lo, exec_lo, s5
	s_delay_alu instid0(SALU_CYCLE_1)
	s_mov_b32 s5, exec_lo
	v_cmpx_gt_i32_e64 s36, v0
	s_cbranch_execnz .LBB33_194
.LBB33_211:
	s_or_b32 exec_lo, exec_lo, s5
	s_delay_alu instid0(SALU_CYCLE_1)
	s_mov_b32 s5, exec_lo
	v_cmpx_gt_i32_e64 s36, v0
	s_cbranch_execz .LBB33_229
.LBB33_212:
	s_and_not1_b32 vcc_lo, exec_lo, s33
	s_cbranch_vccnz .LBB33_217
; %bb.213:
	s_and_not1_b32 vcc_lo, exec_lo, s38
	s_cbranch_vccnz .LBB33_218
; %bb.214:
	s_add_co_i32 s16, s37, 1
	s_cmp_eq_u32 s31, 2
	s_cbranch_scc1 .LBB33_237
; %bb.215:
	v_dual_mov_b32 v2, 0 :: v_dual_mov_b32 v3, 0
	v_mov_b32_e32 v1, v0
	s_and_b32 s24, s16, 28
	s_mov_b32 s25, 0
	s_mov_b64 s[26:27], s[12:13]
	s_mov_b64 s[28:29], s[22:23]
.LBB33_216:                             ; =>This Inner Loop Header: Depth=1
	s_clause 0x1
	s_load_b256 s[40:47], s[26:27], 0x4
	s_load_b128 s[56:59], s[26:27], 0x24
	s_load_b256 s[48:55], s[28:29], 0x0
	s_add_co_i32 s25, s25, 4
	s_wait_xcnt 0x0
	s_add_nc_u64 s[26:27], s[26:27], 48
	s_cmp_eq_u32 s24, s25
	s_add_nc_u64 s[28:29], s[28:29], 32
	s_wait_kmcnt 0x0
	v_mul_hi_u32 v4, s41, v1
	s_delay_alu instid0(VALU_DEP_1) | instskip(NEXT) | instid1(VALU_DEP_1)
	v_add_nc_u32_e32 v4, v1, v4
	v_lshrrev_b32_e32 v4, s42, v4
	s_delay_alu instid0(VALU_DEP_1) | instskip(NEXT) | instid1(VALU_DEP_1)
	v_mul_hi_u32 v5, s44, v4
	v_add_nc_u32_e32 v5, v4, v5
	s_delay_alu instid0(VALU_DEP_1) | instskip(NEXT) | instid1(VALU_DEP_1)
	v_lshrrev_b32_e32 v5, s45, v5
	v_mul_hi_u32 v6, s47, v5
	s_delay_alu instid0(VALU_DEP_1) | instskip(SKIP_1) | instid1(VALU_DEP_1)
	v_add_nc_u32_e32 v6, v5, v6
	v_mul_lo_u32 v7, v4, s40
	v_sub_nc_u32_e32 v1, v1, v7
	v_mul_lo_u32 v7, v5, s43
	s_delay_alu instid0(VALU_DEP_4) | instskip(NEXT) | instid1(VALU_DEP_3)
	v_lshrrev_b32_e32 v6, s56, v6
	v_mad_u32 v3, v1, s49, v3
	v_mad_u32 v1, v1, s48, v2
	s_delay_alu instid0(VALU_DEP_4) | instskip(NEXT) | instid1(VALU_DEP_4)
	v_sub_nc_u32_e32 v2, v4, v7
	v_mul_hi_u32 v8, s58, v6
	v_mul_lo_u32 v4, v6, s46
	s_delay_alu instid0(VALU_DEP_3) | instskip(SKIP_1) | instid1(VALU_DEP_4)
	v_mad_u32 v3, v2, s51, v3
	v_mad_u32 v2, v2, s50, v1
	v_add_nc_u32_e32 v7, v6, v8
	s_delay_alu instid0(VALU_DEP_1) | instskip(NEXT) | instid1(VALU_DEP_1)
	v_dual_sub_nc_u32 v4, v5, v4 :: v_dual_lshrrev_b32 v1, s59, v7
	v_mad_u32 v3, v4, s53, v3
	s_delay_alu instid0(VALU_DEP_4) | instskip(NEXT) | instid1(VALU_DEP_3)
	v_mad_u32 v2, v4, s52, v2
	v_mul_lo_u32 v5, v1, s57
	s_delay_alu instid0(VALU_DEP_1) | instskip(NEXT) | instid1(VALU_DEP_1)
	v_sub_nc_u32_e32 v4, v6, v5
	v_mad_u32 v3, v4, s55, v3
	s_delay_alu instid0(VALU_DEP_4)
	v_mad_u32 v2, v4, s54, v2
	s_cbranch_scc0 .LBB33_216
	s_branch .LBB33_238
.LBB33_217:
                                        ; implicit-def: $vgpr3
	s_branch .LBB33_242
.LBB33_218:
	v_dual_mov_b32 v3, 0 :: v_dual_mov_b32 v2, 0
	s_branch .LBB33_241
.LBB33_219:
	v_mov_b64_e32 v[2:3], 0
	v_mov_b32_e32 v1, v0
	s_mov_b32 s24, 0
.LBB33_220:
	s_and_b32 s16, s16, 3
	s_mov_b32 s25, 0
	s_cmp_eq_u32 s16, 0
	s_cbranch_scc1 .LBB33_223
; %bb.221:
	s_lshl_b32 s26, s24, 3
	s_mov_b32 s27, s25
	s_mul_u64 s[28:29], s[24:25], 12
	s_add_nc_u64 s[26:27], s[12:13], s[26:27]
	s_delay_alu instid0(SALU_CYCLE_1)
	s_add_nc_u64 s[24:25], s[26:27], 0xc4
	s_add_nc_u64 s[26:27], s[12:13], s[28:29]
.LBB33_222:                             ; =>This Inner Loop Header: Depth=1
	s_load_b96 s[40:42], s[26:27], 0x4
	s_load_b64 s[28:29], s[24:25], 0x0
	s_add_co_i32 s16, s16, -1
	s_wait_xcnt 0x0
	s_add_nc_u64 s[26:27], s[26:27], 12
	s_cmp_lg_u32 s16, 0
	s_add_nc_u64 s[24:25], s[24:25], 8
	s_wait_kmcnt 0x0
	v_mul_hi_u32 v4, s41, v1
	s_delay_alu instid0(VALU_DEP_1) | instskip(NEXT) | instid1(VALU_DEP_1)
	v_add_nc_u32_e32 v4, v1, v4
	v_lshrrev_b32_e32 v4, s42, v4
	s_delay_alu instid0(VALU_DEP_1) | instskip(NEXT) | instid1(VALU_DEP_1)
	v_mul_lo_u32 v5, v4, s40
	v_sub_nc_u32_e32 v1, v1, v5
	s_delay_alu instid0(VALU_DEP_1)
	v_mad_u32 v3, v1, s29, v3
	v_mad_u32 v2, v1, s28, v2
	v_mov_b32_e32 v1, v4
	s_cbranch_scc1 .LBB33_222
.LBB33_223:
	s_cbranch_execnz .LBB33_226
.LBB33_224:
	v_mov_b32_e32 v1, 0
	s_and_not1_b32 vcc_lo, exec_lo, s35
	s_delay_alu instid0(VALU_DEP_1) | instskip(NEXT) | instid1(VALU_DEP_1)
	v_mul_u64_e32 v[2:3], s[18:19], v[0:1]
	v_add_nc_u32_e32 v2, v0, v3
	s_delay_alu instid0(VALU_DEP_1) | instskip(NEXT) | instid1(VALU_DEP_1)
	v_lshrrev_b32_e32 v4, s6, v2
	v_mul_lo_u32 v2, v4, s4
	s_delay_alu instid0(VALU_DEP_1) | instskip(NEXT) | instid1(VALU_DEP_1)
	v_sub_nc_u32_e32 v2, v0, v2
	v_mul_lo_u32 v3, v2, s9
	v_mul_lo_u32 v2, v2, s8
	s_cbranch_vccnz .LBB33_226
; %bb.225:
	v_mov_b32_e32 v5, v1
	s_delay_alu instid0(VALU_DEP_1) | instskip(NEXT) | instid1(VALU_DEP_1)
	v_mul_u64_e32 v[6:7], s[20:21], v[4:5]
	v_add_nc_u32_e32 v1, v4, v7
	s_delay_alu instid0(VALU_DEP_1) | instskip(NEXT) | instid1(VALU_DEP_1)
	v_lshrrev_b32_e32 v1, s17, v1
	v_mul_lo_u32 v1, v1, s7
	s_delay_alu instid0(VALU_DEP_1) | instskip(NEXT) | instid1(VALU_DEP_1)
	v_sub_nc_u32_e32 v1, v4, v1
	v_mad_u32 v2, v1, s10, v2
	v_mad_u32 v3, v1, s11, v3
.LBB33_226:
	global_load_u16 v1, v3, s[2:3]
	s_mov_b32 s16, exec_lo
	s_wait_loadcnt 0x0
	v_lshlrev_b32_e32 v3, 16, v1
	s_delay_alu instid0(VALU_DEP_1) | instskip(NEXT) | instid1(VALU_DEP_1)
	v_mul_f32_e32 v1, s14, v3
	v_cmpx_nlt_f32_e32 s15, v1
	s_cbranch_execz .LBB33_228
; %bb.227:
	v_mul_f32_e32 v3, 0x3fb8aa3b, v1
	v_cmp_ngt_f32_e32 vcc_lo, 0xc2ce8ed0, v1
	s_mov_b32 s24, 0x3e9b6dac
	s_delay_alu instid0(VALU_DEP_2) | instskip(SKIP_1) | instid1(VALU_DEP_2)
	v_rndne_f32_e32 v4, v3
	v_fma_f32 v5, 0x3fb8aa3b, v1, -v3
	v_sub_f32_e32 v3, v3, v4
	s_delay_alu instid0(VALU_DEP_2) | instskip(SKIP_1) | instid1(VALU_DEP_2)
	v_fmamk_f32 v5, v1, 0x32a5705f, v5
	v_cvt_i32_f32_e32 v4, v4
	v_add_f32_e32 v3, v3, v5
	s_delay_alu instid0(VALU_DEP_1) | instskip(SKIP_1) | instid1(TRANS32_DEP_1)
	v_exp_f32_e32 v3, v3
	v_nop
	v_ldexp_f32 v3, v3, v4
	s_delay_alu instid0(VALU_DEP_1) | instskip(SKIP_1) | instid1(VALU_DEP_2)
	v_cndmask_b32_e32 v3, 0, v3, vcc_lo
	v_cmp_nlt_f32_e32 vcc_lo, 0x42b17218, v1
	v_cndmask_b32_e32 v3, 0x7f800000, v3, vcc_lo
	s_delay_alu instid0(VALU_DEP_1) | instskip(NEXT) | instid1(VALU_DEP_1)
	v_add_f32_e32 v1, 1.0, v3
	v_cvt_f64_f32_e32 v[4:5], v1
	s_delay_alu instid0(VALU_DEP_1) | instskip(SKIP_1) | instid1(VALU_DEP_1)
	v_frexp_exp_i32_f64_e32 v4, v[4:5]
	v_frexp_mant_f32_e32 v5, v1
	v_cmp_gt_f32_e32 vcc_lo, 0x3f2aaaab, v5
	s_delay_alu instid0(VALU_DEP_3) | instskip(NEXT) | instid1(VALU_DEP_1)
	v_subrev_co_ci_u32_e64 v10, null, 0, v4, vcc_lo
	v_dual_add_f32 v4, -1.0, v1 :: v_dual_sub_nc_u32 v5, 0, v10
	s_delay_alu instid0(VALU_DEP_1) | instskip(NEXT) | instid1(VALU_DEP_2)
	v_dual_sub_f32 v6, v4, v1 :: v_dual_sub_f32 v4, v3, v4
	v_ldexp_f32 v1, v1, v5
	s_delay_alu instid0(VALU_DEP_1) | instskip(NEXT) | instid1(VALU_DEP_1)
	v_dual_add_f32 v6, 1.0, v6 :: v_dual_add_f32 v7, 1.0, v1
	v_dual_add_f32 v9, -1.0, v1 :: v_dual_add_f32 v4, v4, v6
	v_cmp_neq_f32_e32 vcc_lo, 0x7f800000, v3
	s_delay_alu instid0(VALU_DEP_3) | instskip(NEXT) | instid1(VALU_DEP_3)
	v_add_f32_e32 v6, -1.0, v7
	v_ldexp_f32 v4, v4, v5
	s_delay_alu instid0(VALU_DEP_2) | instskip(NEXT) | instid1(VALU_DEP_1)
	v_dual_sub_f32 v5, v1, v6 :: v_dual_add_f32 v6, 1.0, v9
	v_dual_add_f32 v8, v4, v5 :: v_dual_sub_f32 v1, v1, v6
	s_delay_alu instid0(VALU_DEP_1) | instskip(NEXT) | instid1(VALU_DEP_1)
	v_dual_add_f32 v11, v7, v8 :: v_dual_add_f32 v1, v4, v1
	v_rcp_f32_e32 v12, v11
	s_delay_alu instid0(VALU_DEP_1) | instskip(NEXT) | instid1(VALU_DEP_1)
	v_dual_add_f32 v5, v9, v1 :: v_dual_sub_f32 v4, v7, v11
	v_sub_f32_e32 v15, v9, v5
	s_delay_alu instid0(TRANS32_DEP_1) | instskip(NEXT) | instid1(VALU_DEP_2)
	v_mul_f32_e32 v13, v5, v12
	v_dual_add_f32 v14, v8, v4 :: v_dual_add_f32 v1, v1, v15
	s_delay_alu instid0(VALU_DEP_2) | instskip(NEXT) | instid1(VALU_DEP_1)
	v_mul_f32_e32 v6, v11, v13
	v_fma_f32 v8, v13, v11, -v6
	s_delay_alu instid0(VALU_DEP_1) | instskip(NEXT) | instid1(VALU_DEP_1)
	v_fmac_f32_e32 v8, v13, v14
	v_add_f32_e32 v4, v6, v8
	s_delay_alu instid0(VALU_DEP_1) | instskip(NEXT) | instid1(VALU_DEP_1)
	v_dual_sub_f32 v7, v5, v4 :: v_dual_mov_b32 v9, v4
	v_pk_add_f32 v[4:5], v[4:5], v[6:7] neg_lo:[0,1] neg_hi:[0,1]
	s_delay_alu instid0(VALU_DEP_1) | instskip(NEXT) | instid1(VALU_DEP_1)
	v_pk_add_f32 v[4:5], v[4:5], v[8:9] neg_lo:[0,1] neg_hi:[0,1]
	v_add_f32_e32 v1, v1, v5
	s_delay_alu instid0(VALU_DEP_1) | instskip(NEXT) | instid1(VALU_DEP_1)
	v_add_f32_e32 v1, v4, v1
	v_add_f32_e32 v5, v7, v1
	s_delay_alu instid0(VALU_DEP_1) | instskip(NEXT) | instid1(VALU_DEP_1)
	v_mul_f32_e32 v15, v12, v5
	v_mul_f32_e32 v8, v11, v15
	s_delay_alu instid0(VALU_DEP_1) | instskip(SKIP_1) | instid1(VALU_DEP_1)
	v_fma_f32 v6, v15, v11, -v8
	v_sub_f32_e32 v11, v7, v5
	v_dual_fmac_f32 v6, v15, v14 :: v_dual_add_f32 v1, v1, v11
	s_delay_alu instid0(VALU_DEP_1) | instskip(NEXT) | instid1(VALU_DEP_1)
	v_add_f32_e32 v4, v8, v6
	v_dual_sub_f32 v9, v5, v4 :: v_dual_mov_b32 v7, v4
	s_delay_alu instid0(VALU_DEP_1) | instskip(NEXT) | instid1(VALU_DEP_1)
	v_pk_add_f32 v[4:5], v[4:5], v[8:9] neg_lo:[0,1] neg_hi:[0,1]
	v_pk_add_f32 v[4:5], v[4:5], v[6:7] neg_lo:[0,1] neg_hi:[0,1]
	v_cvt_f32_i32_e32 v6, v10
	s_delay_alu instid0(VALU_DEP_2) | instskip(NEXT) | instid1(VALU_DEP_1)
	v_add_f32_e32 v1, v1, v5
	v_dual_add_f32 v8, v13, v15 :: v_dual_add_f32 v1, v4, v1
	s_delay_alu instid0(VALU_DEP_1) | instskip(NEXT) | instid1(VALU_DEP_1)
	v_sub_f32_e32 v4, v8, v13
	v_dual_add_f32 v1, v9, v1 :: v_dual_sub_f32 v4, v15, v4
	s_delay_alu instid0(VALU_DEP_1) | instskip(NEXT) | instid1(VALU_DEP_1)
	v_mul_f32_e32 v1, v12, v1
	v_dual_add_f32 v1, v4, v1 :: v_dual_mov_b32 v4, 0x3f317218
	s_delay_alu instid0(VALU_DEP_1) | instskip(NEXT) | instid1(VALU_DEP_1)
	v_add_f32_e32 v9, v8, v1
	v_mul_f32_e32 v5, v9, v9
	s_delay_alu instid0(VALU_DEP_1) | instskip(SKIP_1) | instid1(VALU_DEP_2)
	v_fmaak_f32 v11, s24, v5, 0x3ecc95a3
	v_mul_f32_e32 v7, v9, v5
	v_fmaak_f32 v5, v5, v11, 0x3f2aaada
	s_delay_alu instid0(VALU_DEP_1) | instskip(NEXT) | instid1(VALU_DEP_1)
	v_pk_mul_f32 v[4:5], v[6:7], v[4:5]
	v_fma_f32 v10, 0x3f317218, v6, -v4
	s_delay_alu instid0(VALU_DEP_1) | instskip(SKIP_1) | instid1(VALU_DEP_1)
	v_fmamk_f32 v6, v6, 0xb102e308, v10
	v_sub_f32_e32 v10, v9, v8
	v_sub_f32_e32 v1, v1, v10
	v_ldexp_f32 v7, v9, 1
	v_mov_b32_e32 v10, v4
	s_delay_alu instid0(VALU_DEP_3) | instskip(NEXT) | instid1(VALU_DEP_3)
	v_ldexp_f32 v1, v1, 1
	v_pk_add_f32 v[8:9], v[4:5], v[6:7]
	s_delay_alu instid0(VALU_DEP_1) | instskip(NEXT) | instid1(VALU_DEP_1)
	v_dual_sub_f32 v7, v9, v7 :: v_dual_mov_b32 v18, v9
	v_sub_f32_e32 v7, v5, v7
	s_delay_alu instid0(VALU_DEP_3) | instskip(NEXT) | instid1(VALU_DEP_2)
	v_pk_add_f32 v[4:5], v[8:9], v[4:5] neg_lo:[0,1] neg_hi:[0,1]
	v_dual_add_f32 v11, v1, v7 :: v_dual_mov_b32 v7, v8
	s_delay_alu instid0(VALU_DEP_1) | instskip(NEXT) | instid1(VALU_DEP_1)
	v_pk_add_f32 v[12:13], v[8:9], v[10:11]
	v_mov_b32_e32 v5, v13
	s_delay_alu instid0(VALU_DEP_1) | instskip(SKIP_2) | instid1(VALU_DEP_3)
	v_pk_add_f32 v[14:15], v[6:7], v[4:5]
	v_mov_b32_e32 v14, v13
	v_pk_add_f32 v[4:5], v[6:7], v[4:5] neg_lo:[0,1] neg_hi:[0,1]
	v_dual_mov_b32 v10, v15 :: v_dual_mov_b32 v5, v15
	s_delay_alu instid0(VALU_DEP_1) | instskip(SKIP_1) | instid1(VALU_DEP_2)
	v_pk_add_f32 v[16:17], v[10:11], v[8:9] neg_lo:[0,1] neg_hi:[0,1]
	v_dual_mov_b32 v9, v8 :: v_dual_mov_b32 v8, v11
	v_dual_mov_b32 v1, v16 :: v_dual_mov_b32 v19, v16
	s_delay_alu instid0(VALU_DEP_1) | instskip(NEXT) | instid1(VALU_DEP_2)
	v_pk_add_f32 v[12:13], v[12:13], v[0:1] neg_lo:[0,1] neg_hi:[0,1]
	v_pk_add_f32 v[6:7], v[14:15], v[18:19] neg_lo:[0,1] neg_hi:[0,1]
	v_mov_b32_e32 v12, v4
	s_delay_alu instid0(VALU_DEP_2) | instskip(NEXT) | instid1(VALU_DEP_1)
	v_pk_add_f32 v[6:7], v[8:9], v[6:7] neg_lo:[0,1] neg_hi:[0,1]
	v_pk_add_f32 v[8:9], v[12:13], v[6:7]
	s_delay_alu instid0(VALU_DEP_1) | instskip(NEXT) | instid1(VALU_DEP_1)
	v_mov_b32_e32 v12, v9
	v_pk_add_f32 v[12:13], v[8:9], v[12:13]
	s_delay_alu instid0(VALU_DEP_1) | instskip(NEXT) | instid1(VALU_DEP_1)
	v_pk_add_f32 v[10:11], v[10:11], v[12:13]
	v_mov_b32_e32 v9, v10
	s_delay_alu instid0(VALU_DEP_1) | instskip(NEXT) | instid1(VALU_DEP_1)
	v_pk_add_f32 v[14:15], v[8:9], v[4:5] neg_lo:[0,1] neg_hi:[0,1]
	v_sub_f32_e32 v1, v8, v14
	s_delay_alu instid0(VALU_DEP_1) | instskip(SKIP_1) | instid1(VALU_DEP_1)
	v_sub_f32_e32 v1, v4, v1
	v_mov_b32_e32 v7, v12
	v_pk_add_f32 v[6:7], v[6:7], v[14:15] neg_lo:[0,1] neg_hi:[0,1]
	s_delay_alu instid0(VALU_DEP_1) | instskip(NEXT) | instid1(VALU_DEP_1)
	v_add_f32_e32 v1, v6, v1
	v_add_f32_e32 v1, v1, v7
	s_delay_alu instid0(VALU_DEP_1) | instskip(NEXT) | instid1(VALU_DEP_1)
	v_add_f32_e32 v1, v10, v1
	v_cndmask_b32_e32 v1, 0x7f800000, v1, vcc_lo
	v_cmp_gt_f32_e64 vcc_lo, 0x33800000, |v3|
	s_delay_alu instid0(VALU_DEP_2) | instskip(NEXT) | instid1(VALU_DEP_1)
	v_cndmask_b32_e32 v1, v1, v3, vcc_lo
	v_div_scale_f32 v3, null, s14, s14, v1
	s_delay_alu instid0(VALU_DEP_1) | instskip(SKIP_1) | instid1(TRANS32_DEP_1)
	v_rcp_f32_e32 v4, v3
	v_nop
	v_fma_f32 v5, -v3, v4, 1.0
	s_delay_alu instid0(VALU_DEP_1) | instskip(SKIP_1) | instid1(VALU_DEP_1)
	v_fmac_f32_e32 v4, v5, v4
	v_div_scale_f32 v5, vcc_lo, v1, s14, v1
	v_mul_f32_e32 v6, v5, v4
	s_delay_alu instid0(VALU_DEP_1) | instskip(NEXT) | instid1(VALU_DEP_1)
	v_fma_f32 v7, -v3, v6, v5
	v_fmac_f32_e32 v6, v7, v4
	s_delay_alu instid0(VALU_DEP_1) | instskip(NEXT) | instid1(VALU_DEP_1)
	v_fma_f32 v3, -v3, v6, v5
	v_div_fmas_f32 v3, v3, v4, v6
	s_delay_alu instid0(VALU_DEP_1)
	v_div_fixup_f32 v3, v3, s14, v1
.LBB33_228:
	s_or_b32 exec_lo, exec_lo, s16
	s_delay_alu instid0(VALU_DEP_1) | instskip(SKIP_2) | instid1(VALU_DEP_3)
	v_bfe_u32 v1, v3, 16, 1
	v_cmp_o_f32_e32 vcc_lo, v3, v3
	v_add_nc_u32_e32 v0, 0x80, v0
	v_add3_u32 v1, v3, v1, 0x7fff
	s_delay_alu instid0(VALU_DEP_1) | instskip(NEXT) | instid1(VALU_DEP_1)
	v_lshrrev_b32_e32 v1, 16, v1
	v_cndmask_b32_e32 v1, 0x7fc0, v1, vcc_lo
	global_store_b16 v2, v1, s[0:1]
	s_wait_xcnt 0x0
	s_or_b32 exec_lo, exec_lo, s5
	s_delay_alu instid0(SALU_CYCLE_1)
	s_mov_b32 s5, exec_lo
	v_cmpx_gt_i32_e64 s36, v0
	s_cbranch_execnz .LBB33_212
.LBB33_229:
	s_or_b32 exec_lo, exec_lo, s5
	s_delay_alu instid0(SALU_CYCLE_1)
	s_mov_b32 s5, exec_lo
	v_cmpx_gt_i32_e64 s36, v0
	s_cbranch_execz .LBB33_247
.LBB33_230:
	s_and_not1_b32 vcc_lo, exec_lo, s33
	s_cbranch_vccnz .LBB33_235
; %bb.231:
	s_and_not1_b32 vcc_lo, exec_lo, s38
	s_cbranch_vccnz .LBB33_236
; %bb.232:
	s_add_co_i32 s16, s37, 1
	s_cmp_eq_u32 s31, 2
	s_cbranch_scc1 .LBB33_250
; %bb.233:
	v_dual_mov_b32 v2, 0 :: v_dual_mov_b32 v3, 0
	v_mov_b32_e32 v1, v0
	s_and_b32 s24, s16, 28
	s_mov_b32 s25, 0
	s_mov_b64 s[26:27], s[12:13]
	s_mov_b64 s[28:29], s[22:23]
.LBB33_234:                             ; =>This Inner Loop Header: Depth=1
	s_clause 0x1
	s_load_b256 s[40:47], s[26:27], 0x4
	s_load_b128 s[56:59], s[26:27], 0x24
	s_load_b256 s[48:55], s[28:29], 0x0
	s_add_co_i32 s25, s25, 4
	s_wait_xcnt 0x0
	s_add_nc_u64 s[26:27], s[26:27], 48
	s_cmp_eq_u32 s24, s25
	s_add_nc_u64 s[28:29], s[28:29], 32
	s_wait_kmcnt 0x0
	v_mul_hi_u32 v4, s41, v1
	s_delay_alu instid0(VALU_DEP_1) | instskip(NEXT) | instid1(VALU_DEP_1)
	v_add_nc_u32_e32 v4, v1, v4
	v_lshrrev_b32_e32 v4, s42, v4
	s_delay_alu instid0(VALU_DEP_1) | instskip(NEXT) | instid1(VALU_DEP_1)
	v_mul_hi_u32 v5, s44, v4
	v_add_nc_u32_e32 v5, v4, v5
	s_delay_alu instid0(VALU_DEP_1) | instskip(NEXT) | instid1(VALU_DEP_1)
	v_lshrrev_b32_e32 v5, s45, v5
	v_mul_hi_u32 v6, s47, v5
	s_delay_alu instid0(VALU_DEP_1) | instskip(SKIP_1) | instid1(VALU_DEP_1)
	v_add_nc_u32_e32 v6, v5, v6
	v_mul_lo_u32 v7, v4, s40
	v_sub_nc_u32_e32 v1, v1, v7
	v_mul_lo_u32 v7, v5, s43
	s_delay_alu instid0(VALU_DEP_4) | instskip(NEXT) | instid1(VALU_DEP_3)
	v_lshrrev_b32_e32 v6, s56, v6
	v_mad_u32 v3, v1, s49, v3
	v_mad_u32 v1, v1, s48, v2
	s_delay_alu instid0(VALU_DEP_4) | instskip(NEXT) | instid1(VALU_DEP_4)
	v_sub_nc_u32_e32 v2, v4, v7
	v_mul_hi_u32 v8, s58, v6
	v_mul_lo_u32 v4, v6, s46
	s_delay_alu instid0(VALU_DEP_3) | instskip(SKIP_1) | instid1(VALU_DEP_4)
	v_mad_u32 v3, v2, s51, v3
	v_mad_u32 v2, v2, s50, v1
	v_add_nc_u32_e32 v7, v6, v8
	s_delay_alu instid0(VALU_DEP_1) | instskip(NEXT) | instid1(VALU_DEP_1)
	v_dual_sub_nc_u32 v4, v5, v4 :: v_dual_lshrrev_b32 v1, s59, v7
	v_mad_u32 v3, v4, s53, v3
	s_delay_alu instid0(VALU_DEP_4) | instskip(NEXT) | instid1(VALU_DEP_3)
	v_mad_u32 v2, v4, s52, v2
	v_mul_lo_u32 v5, v1, s57
	s_delay_alu instid0(VALU_DEP_1) | instskip(NEXT) | instid1(VALU_DEP_1)
	v_sub_nc_u32_e32 v4, v6, v5
	v_mad_u32 v3, v4, s55, v3
	s_delay_alu instid0(VALU_DEP_4)
	v_mad_u32 v2, v4, s54, v2
	s_cbranch_scc0 .LBB33_234
	s_branch .LBB33_251
.LBB33_235:
                                        ; implicit-def: $vgpr3
	s_branch .LBB33_255
.LBB33_236:
	v_dual_mov_b32 v3, 0 :: v_dual_mov_b32 v2, 0
	s_branch .LBB33_254
.LBB33_237:
	v_mov_b64_e32 v[2:3], 0
	v_mov_b32_e32 v1, v0
	s_mov_b32 s24, 0
.LBB33_238:
	s_and_b32 s16, s16, 3
	s_mov_b32 s25, 0
	s_cmp_eq_u32 s16, 0
	s_cbranch_scc1 .LBB33_241
; %bb.239:
	s_lshl_b32 s26, s24, 3
	s_mov_b32 s27, s25
	s_mul_u64 s[28:29], s[24:25], 12
	s_add_nc_u64 s[26:27], s[12:13], s[26:27]
	s_delay_alu instid0(SALU_CYCLE_1)
	s_add_nc_u64 s[24:25], s[26:27], 0xc4
	s_add_nc_u64 s[26:27], s[12:13], s[28:29]
.LBB33_240:                             ; =>This Inner Loop Header: Depth=1
	s_load_b96 s[40:42], s[26:27], 0x4
	s_load_b64 s[28:29], s[24:25], 0x0
	s_add_co_i32 s16, s16, -1
	s_wait_xcnt 0x0
	s_add_nc_u64 s[26:27], s[26:27], 12
	s_cmp_lg_u32 s16, 0
	s_add_nc_u64 s[24:25], s[24:25], 8
	s_wait_kmcnt 0x0
	v_mul_hi_u32 v4, s41, v1
	s_delay_alu instid0(VALU_DEP_1) | instskip(NEXT) | instid1(VALU_DEP_1)
	v_add_nc_u32_e32 v4, v1, v4
	v_lshrrev_b32_e32 v4, s42, v4
	s_delay_alu instid0(VALU_DEP_1) | instskip(NEXT) | instid1(VALU_DEP_1)
	v_mul_lo_u32 v5, v4, s40
	v_sub_nc_u32_e32 v1, v1, v5
	s_delay_alu instid0(VALU_DEP_1)
	v_mad_u32 v3, v1, s29, v3
	v_mad_u32 v2, v1, s28, v2
	v_mov_b32_e32 v1, v4
	s_cbranch_scc1 .LBB33_240
.LBB33_241:
	s_cbranch_execnz .LBB33_244
.LBB33_242:
	v_mov_b32_e32 v1, 0
	s_and_not1_b32 vcc_lo, exec_lo, s35
	s_delay_alu instid0(VALU_DEP_1) | instskip(NEXT) | instid1(VALU_DEP_1)
	v_mul_u64_e32 v[2:3], s[18:19], v[0:1]
	v_add_nc_u32_e32 v2, v0, v3
	s_delay_alu instid0(VALU_DEP_1) | instskip(NEXT) | instid1(VALU_DEP_1)
	v_lshrrev_b32_e32 v4, s6, v2
	v_mul_lo_u32 v2, v4, s4
	s_delay_alu instid0(VALU_DEP_1) | instskip(NEXT) | instid1(VALU_DEP_1)
	v_sub_nc_u32_e32 v2, v0, v2
	v_mul_lo_u32 v3, v2, s9
	v_mul_lo_u32 v2, v2, s8
	s_cbranch_vccnz .LBB33_244
; %bb.243:
	v_mov_b32_e32 v5, v1
	s_delay_alu instid0(VALU_DEP_1) | instskip(NEXT) | instid1(VALU_DEP_1)
	v_mul_u64_e32 v[6:7], s[20:21], v[4:5]
	v_add_nc_u32_e32 v1, v4, v7
	s_delay_alu instid0(VALU_DEP_1) | instskip(NEXT) | instid1(VALU_DEP_1)
	v_lshrrev_b32_e32 v1, s17, v1
	v_mul_lo_u32 v1, v1, s7
	s_delay_alu instid0(VALU_DEP_1) | instskip(NEXT) | instid1(VALU_DEP_1)
	v_sub_nc_u32_e32 v1, v4, v1
	v_mad_u32 v2, v1, s10, v2
	v_mad_u32 v3, v1, s11, v3
.LBB33_244:
	global_load_u16 v1, v3, s[2:3]
	s_mov_b32 s16, exec_lo
	s_wait_loadcnt 0x0
	v_lshlrev_b32_e32 v3, 16, v1
	s_delay_alu instid0(VALU_DEP_1) | instskip(NEXT) | instid1(VALU_DEP_1)
	v_mul_f32_e32 v1, s14, v3
	v_cmpx_nlt_f32_e32 s15, v1
	s_cbranch_execz .LBB33_246
; %bb.245:
	v_mul_f32_e32 v3, 0x3fb8aa3b, v1
	v_cmp_ngt_f32_e32 vcc_lo, 0xc2ce8ed0, v1
	s_mov_b32 s24, 0x3e9b6dac
	s_delay_alu instid0(VALU_DEP_2) | instskip(SKIP_1) | instid1(VALU_DEP_2)
	v_rndne_f32_e32 v4, v3
	v_fma_f32 v5, 0x3fb8aa3b, v1, -v3
	v_sub_f32_e32 v3, v3, v4
	s_delay_alu instid0(VALU_DEP_2) | instskip(SKIP_1) | instid1(VALU_DEP_2)
	v_fmamk_f32 v5, v1, 0x32a5705f, v5
	v_cvt_i32_f32_e32 v4, v4
	v_add_f32_e32 v3, v3, v5
	s_delay_alu instid0(VALU_DEP_1) | instskip(SKIP_1) | instid1(TRANS32_DEP_1)
	v_exp_f32_e32 v3, v3
	v_nop
	v_ldexp_f32 v3, v3, v4
	s_delay_alu instid0(VALU_DEP_1) | instskip(SKIP_1) | instid1(VALU_DEP_2)
	v_cndmask_b32_e32 v3, 0, v3, vcc_lo
	v_cmp_nlt_f32_e32 vcc_lo, 0x42b17218, v1
	v_cndmask_b32_e32 v3, 0x7f800000, v3, vcc_lo
	s_delay_alu instid0(VALU_DEP_1) | instskip(NEXT) | instid1(VALU_DEP_1)
	v_add_f32_e32 v1, 1.0, v3
	v_cvt_f64_f32_e32 v[4:5], v1
	s_delay_alu instid0(VALU_DEP_1) | instskip(SKIP_1) | instid1(VALU_DEP_1)
	v_frexp_exp_i32_f64_e32 v4, v[4:5]
	v_frexp_mant_f32_e32 v5, v1
	v_cmp_gt_f32_e32 vcc_lo, 0x3f2aaaab, v5
	s_delay_alu instid0(VALU_DEP_3) | instskip(NEXT) | instid1(VALU_DEP_1)
	v_subrev_co_ci_u32_e64 v10, null, 0, v4, vcc_lo
	v_dual_add_f32 v4, -1.0, v1 :: v_dual_sub_nc_u32 v5, 0, v10
	s_delay_alu instid0(VALU_DEP_1) | instskip(NEXT) | instid1(VALU_DEP_2)
	v_dual_sub_f32 v6, v4, v1 :: v_dual_sub_f32 v4, v3, v4
	v_ldexp_f32 v1, v1, v5
	s_delay_alu instid0(VALU_DEP_1) | instskip(NEXT) | instid1(VALU_DEP_1)
	v_dual_add_f32 v6, 1.0, v6 :: v_dual_add_f32 v7, 1.0, v1
	v_dual_add_f32 v9, -1.0, v1 :: v_dual_add_f32 v4, v4, v6
	v_cmp_neq_f32_e32 vcc_lo, 0x7f800000, v3
	s_delay_alu instid0(VALU_DEP_3) | instskip(NEXT) | instid1(VALU_DEP_3)
	v_add_f32_e32 v6, -1.0, v7
	v_ldexp_f32 v4, v4, v5
	s_delay_alu instid0(VALU_DEP_2) | instskip(NEXT) | instid1(VALU_DEP_1)
	v_dual_sub_f32 v5, v1, v6 :: v_dual_add_f32 v6, 1.0, v9
	v_dual_add_f32 v8, v4, v5 :: v_dual_sub_f32 v1, v1, v6
	s_delay_alu instid0(VALU_DEP_1) | instskip(NEXT) | instid1(VALU_DEP_1)
	v_dual_add_f32 v11, v7, v8 :: v_dual_add_f32 v1, v4, v1
	v_rcp_f32_e32 v12, v11
	s_delay_alu instid0(VALU_DEP_1) | instskip(NEXT) | instid1(VALU_DEP_1)
	v_dual_add_f32 v5, v9, v1 :: v_dual_sub_f32 v4, v7, v11
	v_sub_f32_e32 v15, v9, v5
	s_delay_alu instid0(TRANS32_DEP_1) | instskip(NEXT) | instid1(VALU_DEP_2)
	v_mul_f32_e32 v13, v5, v12
	v_dual_add_f32 v14, v8, v4 :: v_dual_add_f32 v1, v1, v15
	s_delay_alu instid0(VALU_DEP_2) | instskip(NEXT) | instid1(VALU_DEP_1)
	v_mul_f32_e32 v6, v11, v13
	v_fma_f32 v8, v13, v11, -v6
	s_delay_alu instid0(VALU_DEP_1) | instskip(NEXT) | instid1(VALU_DEP_1)
	v_fmac_f32_e32 v8, v13, v14
	v_add_f32_e32 v4, v6, v8
	s_delay_alu instid0(VALU_DEP_1) | instskip(NEXT) | instid1(VALU_DEP_1)
	v_dual_sub_f32 v7, v5, v4 :: v_dual_mov_b32 v9, v4
	v_pk_add_f32 v[4:5], v[4:5], v[6:7] neg_lo:[0,1] neg_hi:[0,1]
	s_delay_alu instid0(VALU_DEP_1) | instskip(NEXT) | instid1(VALU_DEP_1)
	v_pk_add_f32 v[4:5], v[4:5], v[8:9] neg_lo:[0,1] neg_hi:[0,1]
	v_add_f32_e32 v1, v1, v5
	s_delay_alu instid0(VALU_DEP_1) | instskip(NEXT) | instid1(VALU_DEP_1)
	v_add_f32_e32 v1, v4, v1
	v_add_f32_e32 v5, v7, v1
	s_delay_alu instid0(VALU_DEP_1) | instskip(NEXT) | instid1(VALU_DEP_1)
	v_mul_f32_e32 v15, v12, v5
	v_mul_f32_e32 v8, v11, v15
	s_delay_alu instid0(VALU_DEP_1) | instskip(SKIP_1) | instid1(VALU_DEP_1)
	v_fma_f32 v6, v15, v11, -v8
	v_sub_f32_e32 v11, v7, v5
	v_dual_fmac_f32 v6, v15, v14 :: v_dual_add_f32 v1, v1, v11
	s_delay_alu instid0(VALU_DEP_1) | instskip(NEXT) | instid1(VALU_DEP_1)
	v_add_f32_e32 v4, v8, v6
	v_dual_sub_f32 v9, v5, v4 :: v_dual_mov_b32 v7, v4
	s_delay_alu instid0(VALU_DEP_1) | instskip(NEXT) | instid1(VALU_DEP_1)
	v_pk_add_f32 v[4:5], v[4:5], v[8:9] neg_lo:[0,1] neg_hi:[0,1]
	v_pk_add_f32 v[4:5], v[4:5], v[6:7] neg_lo:[0,1] neg_hi:[0,1]
	v_cvt_f32_i32_e32 v6, v10
	s_delay_alu instid0(VALU_DEP_2) | instskip(NEXT) | instid1(VALU_DEP_1)
	v_add_f32_e32 v1, v1, v5
	v_dual_add_f32 v8, v13, v15 :: v_dual_add_f32 v1, v4, v1
	s_delay_alu instid0(VALU_DEP_1) | instskip(NEXT) | instid1(VALU_DEP_1)
	v_sub_f32_e32 v4, v8, v13
	v_dual_add_f32 v1, v9, v1 :: v_dual_sub_f32 v4, v15, v4
	s_delay_alu instid0(VALU_DEP_1) | instskip(NEXT) | instid1(VALU_DEP_1)
	v_mul_f32_e32 v1, v12, v1
	v_dual_add_f32 v1, v4, v1 :: v_dual_mov_b32 v4, 0x3f317218
	s_delay_alu instid0(VALU_DEP_1) | instskip(NEXT) | instid1(VALU_DEP_1)
	v_add_f32_e32 v9, v8, v1
	v_mul_f32_e32 v5, v9, v9
	s_delay_alu instid0(VALU_DEP_1) | instskip(SKIP_1) | instid1(VALU_DEP_2)
	v_fmaak_f32 v11, s24, v5, 0x3ecc95a3
	v_mul_f32_e32 v7, v9, v5
	v_fmaak_f32 v5, v5, v11, 0x3f2aaada
	s_delay_alu instid0(VALU_DEP_1) | instskip(NEXT) | instid1(VALU_DEP_1)
	v_pk_mul_f32 v[4:5], v[6:7], v[4:5]
	v_fma_f32 v10, 0x3f317218, v6, -v4
	s_delay_alu instid0(VALU_DEP_1) | instskip(SKIP_1) | instid1(VALU_DEP_1)
	v_fmamk_f32 v6, v6, 0xb102e308, v10
	v_sub_f32_e32 v10, v9, v8
	v_sub_f32_e32 v1, v1, v10
	v_ldexp_f32 v7, v9, 1
	v_mov_b32_e32 v10, v4
	s_delay_alu instid0(VALU_DEP_3) | instskip(NEXT) | instid1(VALU_DEP_3)
	v_ldexp_f32 v1, v1, 1
	v_pk_add_f32 v[8:9], v[4:5], v[6:7]
	s_delay_alu instid0(VALU_DEP_1) | instskip(NEXT) | instid1(VALU_DEP_1)
	v_dual_sub_f32 v7, v9, v7 :: v_dual_mov_b32 v18, v9
	v_sub_f32_e32 v7, v5, v7
	s_delay_alu instid0(VALU_DEP_3) | instskip(NEXT) | instid1(VALU_DEP_2)
	v_pk_add_f32 v[4:5], v[8:9], v[4:5] neg_lo:[0,1] neg_hi:[0,1]
	v_dual_add_f32 v11, v1, v7 :: v_dual_mov_b32 v7, v8
	s_delay_alu instid0(VALU_DEP_1) | instskip(NEXT) | instid1(VALU_DEP_1)
	v_pk_add_f32 v[12:13], v[8:9], v[10:11]
	v_mov_b32_e32 v5, v13
	s_delay_alu instid0(VALU_DEP_1) | instskip(SKIP_2) | instid1(VALU_DEP_3)
	v_pk_add_f32 v[14:15], v[6:7], v[4:5]
	v_mov_b32_e32 v14, v13
	v_pk_add_f32 v[4:5], v[6:7], v[4:5] neg_lo:[0,1] neg_hi:[0,1]
	v_dual_mov_b32 v10, v15 :: v_dual_mov_b32 v5, v15
	s_delay_alu instid0(VALU_DEP_1) | instskip(SKIP_1) | instid1(VALU_DEP_2)
	v_pk_add_f32 v[16:17], v[10:11], v[8:9] neg_lo:[0,1] neg_hi:[0,1]
	v_dual_mov_b32 v9, v8 :: v_dual_mov_b32 v8, v11
	v_dual_mov_b32 v1, v16 :: v_dual_mov_b32 v19, v16
	s_delay_alu instid0(VALU_DEP_1) | instskip(NEXT) | instid1(VALU_DEP_2)
	v_pk_add_f32 v[12:13], v[12:13], v[0:1] neg_lo:[0,1] neg_hi:[0,1]
	v_pk_add_f32 v[6:7], v[14:15], v[18:19] neg_lo:[0,1] neg_hi:[0,1]
	v_mov_b32_e32 v12, v4
	s_delay_alu instid0(VALU_DEP_2) | instskip(NEXT) | instid1(VALU_DEP_1)
	v_pk_add_f32 v[6:7], v[8:9], v[6:7] neg_lo:[0,1] neg_hi:[0,1]
	v_pk_add_f32 v[8:9], v[12:13], v[6:7]
	s_delay_alu instid0(VALU_DEP_1) | instskip(NEXT) | instid1(VALU_DEP_1)
	v_mov_b32_e32 v12, v9
	v_pk_add_f32 v[12:13], v[8:9], v[12:13]
	s_delay_alu instid0(VALU_DEP_1) | instskip(NEXT) | instid1(VALU_DEP_1)
	v_pk_add_f32 v[10:11], v[10:11], v[12:13]
	v_mov_b32_e32 v9, v10
	s_delay_alu instid0(VALU_DEP_1) | instskip(NEXT) | instid1(VALU_DEP_1)
	v_pk_add_f32 v[14:15], v[8:9], v[4:5] neg_lo:[0,1] neg_hi:[0,1]
	v_sub_f32_e32 v1, v8, v14
	s_delay_alu instid0(VALU_DEP_1) | instskip(SKIP_1) | instid1(VALU_DEP_1)
	v_sub_f32_e32 v1, v4, v1
	v_mov_b32_e32 v7, v12
	v_pk_add_f32 v[6:7], v[6:7], v[14:15] neg_lo:[0,1] neg_hi:[0,1]
	s_delay_alu instid0(VALU_DEP_1) | instskip(NEXT) | instid1(VALU_DEP_1)
	v_add_f32_e32 v1, v6, v1
	v_add_f32_e32 v1, v1, v7
	s_delay_alu instid0(VALU_DEP_1) | instskip(NEXT) | instid1(VALU_DEP_1)
	v_add_f32_e32 v1, v10, v1
	v_cndmask_b32_e32 v1, 0x7f800000, v1, vcc_lo
	v_cmp_gt_f32_e64 vcc_lo, 0x33800000, |v3|
	s_delay_alu instid0(VALU_DEP_2) | instskip(NEXT) | instid1(VALU_DEP_1)
	v_cndmask_b32_e32 v1, v1, v3, vcc_lo
	v_div_scale_f32 v3, null, s14, s14, v1
	s_delay_alu instid0(VALU_DEP_1) | instskip(SKIP_1) | instid1(TRANS32_DEP_1)
	v_rcp_f32_e32 v4, v3
	v_nop
	v_fma_f32 v5, -v3, v4, 1.0
	s_delay_alu instid0(VALU_DEP_1) | instskip(SKIP_1) | instid1(VALU_DEP_1)
	v_fmac_f32_e32 v4, v5, v4
	v_div_scale_f32 v5, vcc_lo, v1, s14, v1
	v_mul_f32_e32 v6, v5, v4
	s_delay_alu instid0(VALU_DEP_1) | instskip(NEXT) | instid1(VALU_DEP_1)
	v_fma_f32 v7, -v3, v6, v5
	v_fmac_f32_e32 v6, v7, v4
	s_delay_alu instid0(VALU_DEP_1) | instskip(NEXT) | instid1(VALU_DEP_1)
	v_fma_f32 v3, -v3, v6, v5
	v_div_fmas_f32 v3, v3, v4, v6
	s_delay_alu instid0(VALU_DEP_1)
	v_div_fixup_f32 v3, v3, s14, v1
.LBB33_246:
	s_or_b32 exec_lo, exec_lo, s16
	s_delay_alu instid0(VALU_DEP_1) | instskip(SKIP_2) | instid1(VALU_DEP_3)
	v_bfe_u32 v1, v3, 16, 1
	v_cmp_o_f32_e32 vcc_lo, v3, v3
	v_add_nc_u32_e32 v0, 0x80, v0
	v_add3_u32 v1, v3, v1, 0x7fff
	s_delay_alu instid0(VALU_DEP_1) | instskip(NEXT) | instid1(VALU_DEP_1)
	v_lshrrev_b32_e32 v1, 16, v1
	v_cndmask_b32_e32 v1, 0x7fc0, v1, vcc_lo
	global_store_b16 v2, v1, s[0:1]
	s_wait_xcnt 0x0
	s_or_b32 exec_lo, exec_lo, s5
	s_delay_alu instid0(SALU_CYCLE_1)
	s_mov_b32 s5, exec_lo
	v_cmpx_gt_i32_e64 s36, v0
	s_cbranch_execnz .LBB33_230
.LBB33_247:
	s_or_b32 exec_lo, exec_lo, s5
	s_delay_alu instid0(SALU_CYCLE_1)
	s_mov_b32 s5, exec_lo
	v_cmpx_gt_i32_e64 s36, v0
	s_cbranch_execnz .LBB33_260
.LBB33_248:
	s_or_b32 exec_lo, exec_lo, s5
                                        ; implicit-def: $vgpr16
                                        ; implicit-def: $vgpr0
	s_and_not1_saveexec_b32 s0, s34
	s_cbranch_execnz .LBB33_8
.LBB33_249:
	s_endpgm
.LBB33_250:
	v_mov_b64_e32 v[2:3], 0
	v_mov_b32_e32 v1, v0
	s_mov_b32 s24, 0
.LBB33_251:
	s_and_b32 s16, s16, 3
	s_mov_b32 s25, 0
	s_cmp_eq_u32 s16, 0
	s_cbranch_scc1 .LBB33_254
; %bb.252:
	s_lshl_b32 s26, s24, 3
	s_mov_b32 s27, s25
	s_mul_u64 s[28:29], s[24:25], 12
	s_add_nc_u64 s[26:27], s[12:13], s[26:27]
	s_delay_alu instid0(SALU_CYCLE_1)
	s_add_nc_u64 s[24:25], s[26:27], 0xc4
	s_add_nc_u64 s[26:27], s[12:13], s[28:29]
.LBB33_253:                             ; =>This Inner Loop Header: Depth=1
	s_load_b96 s[40:42], s[26:27], 0x4
	s_load_b64 s[28:29], s[24:25], 0x0
	s_add_co_i32 s16, s16, -1
	s_wait_xcnt 0x0
	s_add_nc_u64 s[26:27], s[26:27], 12
	s_cmp_lg_u32 s16, 0
	s_add_nc_u64 s[24:25], s[24:25], 8
	s_wait_kmcnt 0x0
	v_mul_hi_u32 v4, s41, v1
	s_delay_alu instid0(VALU_DEP_1) | instskip(NEXT) | instid1(VALU_DEP_1)
	v_add_nc_u32_e32 v4, v1, v4
	v_lshrrev_b32_e32 v4, s42, v4
	s_delay_alu instid0(VALU_DEP_1) | instskip(NEXT) | instid1(VALU_DEP_1)
	v_mul_lo_u32 v5, v4, s40
	v_sub_nc_u32_e32 v1, v1, v5
	s_delay_alu instid0(VALU_DEP_1)
	v_mad_u32 v3, v1, s29, v3
	v_mad_u32 v2, v1, s28, v2
	v_mov_b32_e32 v1, v4
	s_cbranch_scc1 .LBB33_253
.LBB33_254:
	s_cbranch_execnz .LBB33_257
.LBB33_255:
	v_mov_b32_e32 v1, 0
	s_and_not1_b32 vcc_lo, exec_lo, s35
	s_delay_alu instid0(VALU_DEP_1) | instskip(NEXT) | instid1(VALU_DEP_1)
	v_mul_u64_e32 v[2:3], s[18:19], v[0:1]
	v_add_nc_u32_e32 v2, v0, v3
	s_delay_alu instid0(VALU_DEP_1) | instskip(NEXT) | instid1(VALU_DEP_1)
	v_lshrrev_b32_e32 v4, s6, v2
	v_mul_lo_u32 v2, v4, s4
	s_delay_alu instid0(VALU_DEP_1) | instskip(NEXT) | instid1(VALU_DEP_1)
	v_sub_nc_u32_e32 v2, v0, v2
	v_mul_lo_u32 v3, v2, s9
	v_mul_lo_u32 v2, v2, s8
	s_cbranch_vccnz .LBB33_257
; %bb.256:
	v_mov_b32_e32 v5, v1
	s_delay_alu instid0(VALU_DEP_1) | instskip(NEXT) | instid1(VALU_DEP_1)
	v_mul_u64_e32 v[6:7], s[20:21], v[4:5]
	v_add_nc_u32_e32 v1, v4, v7
	s_delay_alu instid0(VALU_DEP_1) | instskip(NEXT) | instid1(VALU_DEP_1)
	v_lshrrev_b32_e32 v1, s17, v1
	v_mul_lo_u32 v1, v1, s7
	s_delay_alu instid0(VALU_DEP_1) | instskip(NEXT) | instid1(VALU_DEP_1)
	v_sub_nc_u32_e32 v1, v4, v1
	v_mad_u32 v2, v1, s10, v2
	v_mad_u32 v3, v1, s11, v3
.LBB33_257:
	global_load_u16 v1, v3, s[2:3]
	s_mov_b32 s16, exec_lo
	s_wait_loadcnt 0x0
	v_lshlrev_b32_e32 v3, 16, v1
	s_delay_alu instid0(VALU_DEP_1) | instskip(NEXT) | instid1(VALU_DEP_1)
	v_mul_f32_e32 v1, s14, v3
	v_cmpx_nlt_f32_e32 s15, v1
	s_cbranch_execz .LBB33_259
; %bb.258:
	v_mul_f32_e32 v3, 0x3fb8aa3b, v1
	v_cmp_ngt_f32_e32 vcc_lo, 0xc2ce8ed0, v1
	s_mov_b32 s24, 0x3e9b6dac
	s_delay_alu instid0(VALU_DEP_2) | instskip(SKIP_1) | instid1(VALU_DEP_2)
	v_rndne_f32_e32 v4, v3
	v_fma_f32 v5, 0x3fb8aa3b, v1, -v3
	v_sub_f32_e32 v3, v3, v4
	s_delay_alu instid0(VALU_DEP_2) | instskip(SKIP_1) | instid1(VALU_DEP_2)
	v_fmamk_f32 v5, v1, 0x32a5705f, v5
	v_cvt_i32_f32_e32 v4, v4
	v_add_f32_e32 v3, v3, v5
	s_delay_alu instid0(VALU_DEP_1) | instskip(SKIP_1) | instid1(TRANS32_DEP_1)
	v_exp_f32_e32 v3, v3
	v_nop
	v_ldexp_f32 v3, v3, v4
	s_delay_alu instid0(VALU_DEP_1) | instskip(SKIP_1) | instid1(VALU_DEP_2)
	v_cndmask_b32_e32 v3, 0, v3, vcc_lo
	v_cmp_nlt_f32_e32 vcc_lo, 0x42b17218, v1
	v_cndmask_b32_e32 v3, 0x7f800000, v3, vcc_lo
	s_delay_alu instid0(VALU_DEP_1) | instskip(NEXT) | instid1(VALU_DEP_1)
	v_add_f32_e32 v1, 1.0, v3
	v_cvt_f64_f32_e32 v[4:5], v1
	s_delay_alu instid0(VALU_DEP_1) | instskip(SKIP_1) | instid1(VALU_DEP_1)
	v_frexp_exp_i32_f64_e32 v4, v[4:5]
	v_frexp_mant_f32_e32 v5, v1
	v_cmp_gt_f32_e32 vcc_lo, 0x3f2aaaab, v5
	s_delay_alu instid0(VALU_DEP_3) | instskip(NEXT) | instid1(VALU_DEP_1)
	v_subrev_co_ci_u32_e64 v10, null, 0, v4, vcc_lo
	v_dual_add_f32 v4, -1.0, v1 :: v_dual_sub_nc_u32 v5, 0, v10
	s_delay_alu instid0(VALU_DEP_1) | instskip(NEXT) | instid1(VALU_DEP_2)
	v_dual_sub_f32 v6, v4, v1 :: v_dual_sub_f32 v4, v3, v4
	v_ldexp_f32 v1, v1, v5
	s_delay_alu instid0(VALU_DEP_1) | instskip(NEXT) | instid1(VALU_DEP_1)
	v_dual_add_f32 v6, 1.0, v6 :: v_dual_add_f32 v7, 1.0, v1
	v_dual_add_f32 v9, -1.0, v1 :: v_dual_add_f32 v4, v4, v6
	v_cmp_neq_f32_e32 vcc_lo, 0x7f800000, v3
	s_delay_alu instid0(VALU_DEP_3) | instskip(NEXT) | instid1(VALU_DEP_3)
	v_add_f32_e32 v6, -1.0, v7
	v_ldexp_f32 v4, v4, v5
	s_delay_alu instid0(VALU_DEP_2) | instskip(NEXT) | instid1(VALU_DEP_1)
	v_dual_sub_f32 v5, v1, v6 :: v_dual_add_f32 v6, 1.0, v9
	v_dual_add_f32 v8, v4, v5 :: v_dual_sub_f32 v1, v1, v6
	s_delay_alu instid0(VALU_DEP_1) | instskip(NEXT) | instid1(VALU_DEP_1)
	v_dual_add_f32 v11, v7, v8 :: v_dual_add_f32 v1, v4, v1
	v_rcp_f32_e32 v12, v11
	s_delay_alu instid0(VALU_DEP_1) | instskip(NEXT) | instid1(VALU_DEP_1)
	v_dual_add_f32 v5, v9, v1 :: v_dual_sub_f32 v4, v7, v11
	v_sub_f32_e32 v15, v9, v5
	s_delay_alu instid0(TRANS32_DEP_1) | instskip(NEXT) | instid1(VALU_DEP_2)
	v_mul_f32_e32 v13, v5, v12
	v_dual_add_f32 v14, v8, v4 :: v_dual_add_f32 v1, v1, v15
	s_delay_alu instid0(VALU_DEP_2) | instskip(NEXT) | instid1(VALU_DEP_1)
	v_mul_f32_e32 v6, v11, v13
	v_fma_f32 v8, v13, v11, -v6
	s_delay_alu instid0(VALU_DEP_1) | instskip(NEXT) | instid1(VALU_DEP_1)
	v_fmac_f32_e32 v8, v13, v14
	v_add_f32_e32 v4, v6, v8
	s_delay_alu instid0(VALU_DEP_1) | instskip(NEXT) | instid1(VALU_DEP_1)
	v_dual_sub_f32 v7, v5, v4 :: v_dual_mov_b32 v9, v4
	v_pk_add_f32 v[4:5], v[4:5], v[6:7] neg_lo:[0,1] neg_hi:[0,1]
	s_delay_alu instid0(VALU_DEP_1) | instskip(NEXT) | instid1(VALU_DEP_1)
	v_pk_add_f32 v[4:5], v[4:5], v[8:9] neg_lo:[0,1] neg_hi:[0,1]
	v_add_f32_e32 v1, v1, v5
	s_delay_alu instid0(VALU_DEP_1) | instskip(NEXT) | instid1(VALU_DEP_1)
	v_add_f32_e32 v1, v4, v1
	v_add_f32_e32 v5, v7, v1
	s_delay_alu instid0(VALU_DEP_1) | instskip(NEXT) | instid1(VALU_DEP_1)
	v_mul_f32_e32 v15, v12, v5
	v_mul_f32_e32 v8, v11, v15
	s_delay_alu instid0(VALU_DEP_1) | instskip(SKIP_1) | instid1(VALU_DEP_1)
	v_fma_f32 v6, v15, v11, -v8
	v_sub_f32_e32 v11, v7, v5
	v_dual_fmac_f32 v6, v15, v14 :: v_dual_add_f32 v1, v1, v11
	s_delay_alu instid0(VALU_DEP_1) | instskip(NEXT) | instid1(VALU_DEP_1)
	v_add_f32_e32 v4, v8, v6
	v_dual_sub_f32 v9, v5, v4 :: v_dual_mov_b32 v7, v4
	s_delay_alu instid0(VALU_DEP_1) | instskip(NEXT) | instid1(VALU_DEP_1)
	v_pk_add_f32 v[4:5], v[4:5], v[8:9] neg_lo:[0,1] neg_hi:[0,1]
	v_pk_add_f32 v[4:5], v[4:5], v[6:7] neg_lo:[0,1] neg_hi:[0,1]
	v_cvt_f32_i32_e32 v6, v10
	s_delay_alu instid0(VALU_DEP_2) | instskip(NEXT) | instid1(VALU_DEP_1)
	v_add_f32_e32 v1, v1, v5
	v_dual_add_f32 v8, v13, v15 :: v_dual_add_f32 v1, v4, v1
	s_delay_alu instid0(VALU_DEP_1) | instskip(NEXT) | instid1(VALU_DEP_1)
	v_sub_f32_e32 v4, v8, v13
	v_dual_add_f32 v1, v9, v1 :: v_dual_sub_f32 v4, v15, v4
	s_delay_alu instid0(VALU_DEP_1) | instskip(NEXT) | instid1(VALU_DEP_1)
	v_mul_f32_e32 v1, v12, v1
	v_dual_add_f32 v1, v4, v1 :: v_dual_mov_b32 v4, 0x3f317218
	s_delay_alu instid0(VALU_DEP_1) | instskip(NEXT) | instid1(VALU_DEP_1)
	v_add_f32_e32 v9, v8, v1
	v_mul_f32_e32 v5, v9, v9
	s_delay_alu instid0(VALU_DEP_1) | instskip(SKIP_1) | instid1(VALU_DEP_2)
	v_fmaak_f32 v11, s24, v5, 0x3ecc95a3
	v_mul_f32_e32 v7, v9, v5
	v_fmaak_f32 v5, v5, v11, 0x3f2aaada
	s_delay_alu instid0(VALU_DEP_1) | instskip(NEXT) | instid1(VALU_DEP_1)
	v_pk_mul_f32 v[4:5], v[6:7], v[4:5]
	v_fma_f32 v10, 0x3f317218, v6, -v4
	s_delay_alu instid0(VALU_DEP_1) | instskip(SKIP_1) | instid1(VALU_DEP_1)
	v_fmamk_f32 v6, v6, 0xb102e308, v10
	v_sub_f32_e32 v10, v9, v8
	v_sub_f32_e32 v1, v1, v10
	v_ldexp_f32 v7, v9, 1
	v_mov_b32_e32 v10, v4
	s_delay_alu instid0(VALU_DEP_3) | instskip(NEXT) | instid1(VALU_DEP_3)
	v_ldexp_f32 v1, v1, 1
	v_pk_add_f32 v[8:9], v[4:5], v[6:7]
	s_delay_alu instid0(VALU_DEP_1) | instskip(NEXT) | instid1(VALU_DEP_1)
	v_dual_sub_f32 v7, v9, v7 :: v_dual_mov_b32 v18, v9
	v_sub_f32_e32 v7, v5, v7
	s_delay_alu instid0(VALU_DEP_3) | instskip(NEXT) | instid1(VALU_DEP_2)
	v_pk_add_f32 v[4:5], v[8:9], v[4:5] neg_lo:[0,1] neg_hi:[0,1]
	v_dual_add_f32 v11, v1, v7 :: v_dual_mov_b32 v7, v8
	s_delay_alu instid0(VALU_DEP_1) | instskip(NEXT) | instid1(VALU_DEP_1)
	v_pk_add_f32 v[12:13], v[8:9], v[10:11]
	v_mov_b32_e32 v5, v13
	s_delay_alu instid0(VALU_DEP_1) | instskip(SKIP_2) | instid1(VALU_DEP_3)
	v_pk_add_f32 v[14:15], v[6:7], v[4:5]
	v_mov_b32_e32 v14, v13
	v_pk_add_f32 v[4:5], v[6:7], v[4:5] neg_lo:[0,1] neg_hi:[0,1]
	v_dual_mov_b32 v10, v15 :: v_dual_mov_b32 v5, v15
	s_delay_alu instid0(VALU_DEP_1) | instskip(SKIP_1) | instid1(VALU_DEP_2)
	v_pk_add_f32 v[16:17], v[10:11], v[8:9] neg_lo:[0,1] neg_hi:[0,1]
	v_dual_mov_b32 v9, v8 :: v_dual_mov_b32 v8, v11
	v_dual_mov_b32 v1, v16 :: v_dual_mov_b32 v19, v16
	s_delay_alu instid0(VALU_DEP_1) | instskip(NEXT) | instid1(VALU_DEP_2)
	v_pk_add_f32 v[12:13], v[12:13], v[0:1] neg_lo:[0,1] neg_hi:[0,1]
	v_pk_add_f32 v[6:7], v[14:15], v[18:19] neg_lo:[0,1] neg_hi:[0,1]
	v_mov_b32_e32 v12, v4
	s_delay_alu instid0(VALU_DEP_2) | instskip(NEXT) | instid1(VALU_DEP_1)
	v_pk_add_f32 v[6:7], v[8:9], v[6:7] neg_lo:[0,1] neg_hi:[0,1]
	v_pk_add_f32 v[8:9], v[12:13], v[6:7]
	s_delay_alu instid0(VALU_DEP_1) | instskip(NEXT) | instid1(VALU_DEP_1)
	v_mov_b32_e32 v12, v9
	v_pk_add_f32 v[12:13], v[8:9], v[12:13]
	s_delay_alu instid0(VALU_DEP_1) | instskip(NEXT) | instid1(VALU_DEP_1)
	v_pk_add_f32 v[10:11], v[10:11], v[12:13]
	v_mov_b32_e32 v9, v10
	s_delay_alu instid0(VALU_DEP_1) | instskip(NEXT) | instid1(VALU_DEP_1)
	v_pk_add_f32 v[14:15], v[8:9], v[4:5] neg_lo:[0,1] neg_hi:[0,1]
	v_sub_f32_e32 v1, v8, v14
	s_delay_alu instid0(VALU_DEP_1) | instskip(SKIP_1) | instid1(VALU_DEP_1)
	v_sub_f32_e32 v1, v4, v1
	v_mov_b32_e32 v7, v12
	v_pk_add_f32 v[6:7], v[6:7], v[14:15] neg_lo:[0,1] neg_hi:[0,1]
	s_delay_alu instid0(VALU_DEP_1) | instskip(NEXT) | instid1(VALU_DEP_1)
	v_add_f32_e32 v1, v6, v1
	v_add_f32_e32 v1, v1, v7
	s_delay_alu instid0(VALU_DEP_1) | instskip(NEXT) | instid1(VALU_DEP_1)
	v_add_f32_e32 v1, v10, v1
	v_cndmask_b32_e32 v1, 0x7f800000, v1, vcc_lo
	v_cmp_gt_f32_e64 vcc_lo, 0x33800000, |v3|
	s_delay_alu instid0(VALU_DEP_2) | instskip(NEXT) | instid1(VALU_DEP_1)
	v_cndmask_b32_e32 v1, v1, v3, vcc_lo
	v_div_scale_f32 v3, null, s14, s14, v1
	s_delay_alu instid0(VALU_DEP_1) | instskip(SKIP_1) | instid1(TRANS32_DEP_1)
	v_rcp_f32_e32 v4, v3
	v_nop
	v_fma_f32 v5, -v3, v4, 1.0
	s_delay_alu instid0(VALU_DEP_1) | instskip(SKIP_1) | instid1(VALU_DEP_1)
	v_fmac_f32_e32 v4, v5, v4
	v_div_scale_f32 v5, vcc_lo, v1, s14, v1
	v_mul_f32_e32 v6, v5, v4
	s_delay_alu instid0(VALU_DEP_1) | instskip(NEXT) | instid1(VALU_DEP_1)
	v_fma_f32 v7, -v3, v6, v5
	v_fmac_f32_e32 v6, v7, v4
	s_delay_alu instid0(VALU_DEP_1) | instskip(NEXT) | instid1(VALU_DEP_1)
	v_fma_f32 v3, -v3, v6, v5
	v_div_fmas_f32 v3, v3, v4, v6
	s_delay_alu instid0(VALU_DEP_1)
	v_div_fixup_f32 v3, v3, s14, v1
.LBB33_259:
	s_or_b32 exec_lo, exec_lo, s16
	s_delay_alu instid0(VALU_DEP_1) | instskip(SKIP_2) | instid1(VALU_DEP_3)
	v_bfe_u32 v1, v3, 16, 1
	v_cmp_o_f32_e32 vcc_lo, v3, v3
	v_add_nc_u32_e32 v0, 0x80, v0
	v_add3_u32 v1, v3, v1, 0x7fff
	s_delay_alu instid0(VALU_DEP_1) | instskip(NEXT) | instid1(VALU_DEP_1)
	v_lshrrev_b32_e32 v1, 16, v1
	v_cndmask_b32_e32 v1, 0x7fc0, v1, vcc_lo
	global_store_b16 v2, v1, s[0:1]
	s_wait_xcnt 0x0
	s_or_b32 exec_lo, exec_lo, s5
	s_delay_alu instid0(SALU_CYCLE_1)
	s_mov_b32 s5, exec_lo
	v_cmpx_gt_i32_e64 s36, v0
	s_cbranch_execz .LBB33_248
.LBB33_260:
	s_and_not1_b32 vcc_lo, exec_lo, s33
	s_cbranch_vccnz .LBB33_265
; %bb.261:
	s_and_not1_b32 vcc_lo, exec_lo, s38
	s_cbranch_vccnz .LBB33_266
; %bb.262:
	s_add_co_i32 s37, s37, 1
	s_cmp_eq_u32 s31, 2
	s_cbranch_scc1 .LBB33_267
; %bb.263:
	v_dual_mov_b32 v2, 0 :: v_dual_mov_b32 v3, 0
	v_mov_b32_e32 v1, v0
	s_and_b32 s24, s37, 28
	s_mov_b32 s16, 0
	s_mov_b64 s[26:27], s[12:13]
.LBB33_264:                             ; =>This Inner Loop Header: Depth=1
	s_clause 0x1
	s_load_b256 s[40:47], s[26:27], 0x4
	s_load_b128 s[56:59], s[26:27], 0x24
	s_load_b256 s[48:55], s[22:23], 0x0
	s_add_co_i32 s16, s16, 4
	s_wait_xcnt 0x0
	s_add_nc_u64 s[26:27], s[26:27], 48
	s_cmp_eq_u32 s24, s16
	s_add_nc_u64 s[22:23], s[22:23], 32
	s_wait_kmcnt 0x0
	v_mul_hi_u32 v4, s41, v1
	s_delay_alu instid0(VALU_DEP_1) | instskip(NEXT) | instid1(VALU_DEP_1)
	v_add_nc_u32_e32 v4, v1, v4
	v_lshrrev_b32_e32 v4, s42, v4
	s_delay_alu instid0(VALU_DEP_1) | instskip(NEXT) | instid1(VALU_DEP_1)
	v_mul_hi_u32 v5, s44, v4
	v_add_nc_u32_e32 v5, v4, v5
	s_delay_alu instid0(VALU_DEP_1) | instskip(NEXT) | instid1(VALU_DEP_1)
	v_lshrrev_b32_e32 v5, s45, v5
	v_mul_hi_u32 v6, s47, v5
	s_delay_alu instid0(VALU_DEP_1) | instskip(SKIP_1) | instid1(VALU_DEP_1)
	v_add_nc_u32_e32 v6, v5, v6
	v_mul_lo_u32 v7, v4, s40
	v_sub_nc_u32_e32 v1, v1, v7
	v_mul_lo_u32 v7, v5, s43
	s_delay_alu instid0(VALU_DEP_4) | instskip(NEXT) | instid1(VALU_DEP_3)
	v_lshrrev_b32_e32 v6, s56, v6
	v_mad_u32 v3, v1, s49, v3
	v_mad_u32 v1, v1, s48, v2
	s_delay_alu instid0(VALU_DEP_4) | instskip(NEXT) | instid1(VALU_DEP_4)
	v_sub_nc_u32_e32 v2, v4, v7
	v_mul_hi_u32 v8, s58, v6
	v_mul_lo_u32 v4, v6, s46
	s_delay_alu instid0(VALU_DEP_3) | instskip(SKIP_1) | instid1(VALU_DEP_4)
	v_mad_u32 v3, v2, s51, v3
	v_mad_u32 v2, v2, s50, v1
	v_add_nc_u32_e32 v7, v6, v8
	s_delay_alu instid0(VALU_DEP_1) | instskip(NEXT) | instid1(VALU_DEP_1)
	v_dual_sub_nc_u32 v4, v5, v4 :: v_dual_lshrrev_b32 v1, s59, v7
	v_mad_u32 v3, v4, s53, v3
	s_delay_alu instid0(VALU_DEP_4) | instskip(NEXT) | instid1(VALU_DEP_3)
	v_mad_u32 v2, v4, s52, v2
	v_mul_lo_u32 v5, v1, s57
	s_delay_alu instid0(VALU_DEP_1) | instskip(NEXT) | instid1(VALU_DEP_1)
	v_sub_nc_u32_e32 v4, v6, v5
	v_mad_u32 v3, v4, s55, v3
	s_delay_alu instid0(VALU_DEP_4)
	v_mad_u32 v2, v4, s54, v2
	s_cbranch_scc0 .LBB33_264
	s_branch .LBB33_268
.LBB33_265:
                                        ; implicit-def: $vgpr3
	s_branch .LBB33_272
.LBB33_266:
	v_dual_mov_b32 v3, 0 :: v_dual_mov_b32 v2, 0
	s_branch .LBB33_271
.LBB33_267:
	v_mov_b64_e32 v[2:3], 0
	v_mov_b32_e32 v1, v0
	s_mov_b32 s24, 0
.LBB33_268:
	s_and_b32 s16, s37, 3
	s_mov_b32 s25, 0
	s_cmp_eq_u32 s16, 0
	s_cbranch_scc1 .LBB33_271
; %bb.269:
	s_lshl_b32 s22, s24, 3
	s_mov_b32 s23, s25
	s_mul_u64 s[24:25], s[24:25], 12
	s_add_nc_u64 s[22:23], s[12:13], s[22:23]
	s_add_nc_u64 s[24:25], s[12:13], s[24:25]
	;; [unrolled: 1-line block ×3, first 2 shown]
.LBB33_270:                             ; =>This Inner Loop Header: Depth=1
	s_load_b96 s[36:38], s[24:25], 0x4
	s_load_b64 s[26:27], s[22:23], 0x0
	s_add_co_i32 s16, s16, -1
	s_wait_xcnt 0x0
	s_add_nc_u64 s[24:25], s[24:25], 12
	s_cmp_lg_u32 s16, 0
	s_add_nc_u64 s[22:23], s[22:23], 8
	s_wait_kmcnt 0x0
	v_mul_hi_u32 v4, s37, v1
	s_delay_alu instid0(VALU_DEP_1) | instskip(NEXT) | instid1(VALU_DEP_1)
	v_add_nc_u32_e32 v4, v1, v4
	v_lshrrev_b32_e32 v4, s38, v4
	s_delay_alu instid0(VALU_DEP_1) | instskip(NEXT) | instid1(VALU_DEP_1)
	v_mul_lo_u32 v5, v4, s36
	v_sub_nc_u32_e32 v1, v1, v5
	s_delay_alu instid0(VALU_DEP_1)
	v_mad_u32 v3, v1, s27, v3
	v_mad_u32 v2, v1, s26, v2
	v_mov_b32_e32 v1, v4
	s_cbranch_scc1 .LBB33_270
.LBB33_271:
	s_cbranch_execnz .LBB33_274
.LBB33_272:
	v_mov_b32_e32 v1, 0
	s_and_not1_b32 vcc_lo, exec_lo, s35
	s_delay_alu instid0(VALU_DEP_1) | instskip(NEXT) | instid1(VALU_DEP_1)
	v_mul_u64_e32 v[2:3], s[18:19], v[0:1]
	v_add_nc_u32_e32 v2, v0, v3
	s_delay_alu instid0(VALU_DEP_1) | instskip(NEXT) | instid1(VALU_DEP_1)
	v_lshrrev_b32_e32 v4, s6, v2
	v_mul_lo_u32 v2, v4, s4
	s_delay_alu instid0(VALU_DEP_1) | instskip(NEXT) | instid1(VALU_DEP_1)
	v_sub_nc_u32_e32 v0, v0, v2
	v_mul_lo_u32 v3, v0, s9
	v_mul_lo_u32 v2, v0, s8
	s_cbranch_vccnz .LBB33_274
; %bb.273:
	v_mov_b32_e32 v5, v1
	s_delay_alu instid0(VALU_DEP_1) | instskip(NEXT) | instid1(VALU_DEP_1)
	v_mul_u64_e32 v[0:1], s[20:21], v[4:5]
	v_add_nc_u32_e32 v0, v4, v1
	s_delay_alu instid0(VALU_DEP_1) | instskip(NEXT) | instid1(VALU_DEP_1)
	v_lshrrev_b32_e32 v0, s17, v0
	v_mul_lo_u32 v0, v0, s7
	s_delay_alu instid0(VALU_DEP_1) | instskip(NEXT) | instid1(VALU_DEP_1)
	v_sub_nc_u32_e32 v0, v4, v0
	v_mad_u32 v2, v0, s10, v2
	v_mad_u32 v3, v0, s11, v3
.LBB33_274:
	global_load_u16 v0, v3, s[2:3]
	s_wait_xcnt 0x0
	s_mov_b32 s2, exec_lo
	s_wait_loadcnt 0x0
	v_lshlrev_b32_e32 v1, 16, v0
	s_delay_alu instid0(VALU_DEP_1) | instskip(NEXT) | instid1(VALU_DEP_1)
	v_mul_f32_e32 v0, s14, v1
	v_cmpx_nlt_f32_e32 s15, v0
	s_cbranch_execz .LBB33_276
; %bb.275:
	v_mul_f32_e32 v1, 0x3fb8aa3b, v0
	v_cmp_ngt_f32_e32 vcc_lo, 0xc2ce8ed0, v0
	s_mov_b32 s3, 0x3e9b6dac
	s_delay_alu instid0(VALU_DEP_2) | instskip(SKIP_1) | instid1(VALU_DEP_1)
	v_rndne_f32_e32 v3, v1
	v_fma_f32 v4, 0x3fb8aa3b, v0, -v1
	v_dual_sub_f32 v1, v1, v3 :: v_dual_fmamk_f32 v4, v0, 0x32a5705f, v4
	v_cvt_i32_f32_e32 v3, v3
	s_delay_alu instid0(VALU_DEP_2) | instskip(NEXT) | instid1(VALU_DEP_1)
	v_add_f32_e32 v1, v1, v4
	v_exp_f32_e32 v1, v1
	v_nop
	s_delay_alu instid0(TRANS32_DEP_1) | instskip(NEXT) | instid1(VALU_DEP_1)
	v_ldexp_f32 v1, v1, v3
	v_cndmask_b32_e32 v1, 0, v1, vcc_lo
	v_cmp_nlt_f32_e32 vcc_lo, 0x42b17218, v0
	s_delay_alu instid0(VALU_DEP_2) | instskip(NEXT) | instid1(VALU_DEP_1)
	v_cndmask_b32_e32 v18, 0x7f800000, v1, vcc_lo
	v_add_f32_e32 v3, 1.0, v18
	s_delay_alu instid0(VALU_DEP_1) | instskip(NEXT) | instid1(VALU_DEP_1)
	v_cvt_f64_f32_e32 v[0:1], v3
	v_frexp_exp_i32_f64_e32 v0, v[0:1]
	v_frexp_mant_f32_e32 v1, v3
	s_delay_alu instid0(VALU_DEP_1) | instskip(NEXT) | instid1(VALU_DEP_3)
	v_cmp_gt_f32_e32 vcc_lo, 0x3f2aaaab, v1
	v_subrev_co_ci_u32_e64 v8, null, 0, v0, vcc_lo
	s_delay_alu instid0(VALU_DEP_1) | instskip(SKIP_1) | instid1(VALU_DEP_2)
	v_dual_add_f32 v0, -1.0, v3 :: v_dual_sub_nc_u32 v1, 0, v8
	v_cmp_neq_f32_e32 vcc_lo, 0x7f800000, v18
	v_sub_f32_e32 v4, v0, v3
	s_delay_alu instid0(VALU_DEP_3) | instskip(SKIP_1) | instid1(VALU_DEP_2)
	v_ldexp_f32 v3, v3, v1
	v_sub_f32_e32 v0, v18, v0
	v_dual_add_f32 v4, 1.0, v4 :: v_dual_add_f32 v7, -1.0, v3
	s_delay_alu instid0(VALU_DEP_1) | instskip(NEXT) | instid1(VALU_DEP_1)
	v_dual_add_f32 v5, 1.0, v3 :: v_dual_add_f32 v0, v0, v4
	v_add_f32_e32 v4, -1.0, v5
	s_delay_alu instid0(VALU_DEP_2) | instskip(NEXT) | instid1(VALU_DEP_2)
	v_ldexp_f32 v0, v0, v1
	v_dual_sub_f32 v1, v3, v4 :: v_dual_add_f32 v4, 1.0, v7
	s_delay_alu instid0(VALU_DEP_1) | instskip(NEXT) | instid1(VALU_DEP_1)
	v_dual_add_f32 v6, v0, v1 :: v_dual_sub_f32 v1, v3, v4
	v_dual_add_f32 v3, v5, v6 :: v_dual_add_f32 v9, v0, v1
	s_delay_alu instid0(VALU_DEP_1) | instskip(NEXT) | instid1(VALU_DEP_1)
	v_rcp_f32_e32 v10, v3
	v_dual_add_f32 v1, v7, v9 :: v_dual_sub_f32 v0, v5, v3
	s_delay_alu instid0(TRANS32_DEP_1) | instid1(VALU_DEP_1)
	v_dual_sub_f32 v13, v7, v1 :: v_dual_mul_f32 v11, v1, v10
	s_delay_alu instid0(VALU_DEP_1) | instskip(NEXT) | instid1(VALU_DEP_1)
	v_dual_add_f32 v12, v6, v0 :: v_dual_mul_f32 v4, v3, v11
	v_fma_f32 v6, v11, v3, -v4
	s_delay_alu instid0(VALU_DEP_1) | instskip(NEXT) | instid1(VALU_DEP_1)
	v_fmac_f32_e32 v6, v11, v12
	v_add_f32_e32 v0, v4, v6
	s_delay_alu instid0(VALU_DEP_1) | instskip(NEXT) | instid1(VALU_DEP_1)
	v_dual_sub_f32 v5, v1, v0 :: v_dual_mov_b32 v7, v0
	v_pk_add_f32 v[0:1], v[0:1], v[4:5] neg_lo:[0,1] neg_hi:[0,1]
	v_add_f32_e32 v4, v9, v13
	s_delay_alu instid0(VALU_DEP_2) | instskip(NEXT) | instid1(VALU_DEP_1)
	v_pk_add_f32 v[0:1], v[0:1], v[6:7] neg_lo:[0,1] neg_hi:[0,1]
	v_add_f32_e32 v1, v4, v1
	s_delay_alu instid0(VALU_DEP_1) | instskip(NEXT) | instid1(VALU_DEP_1)
	v_add_f32_e32 v9, v0, v1
	v_add_f32_e32 v1, v5, v9
	s_delay_alu instid0(VALU_DEP_1) | instskip(NEXT) | instid1(VALU_DEP_1)
	v_mul_f32_e32 v13, v10, v1
	v_mul_f32_e32 v6, v3, v13
	s_delay_alu instid0(VALU_DEP_1) | instskip(NEXT) | instid1(VALU_DEP_1)
	v_fma_f32 v4, v13, v3, -v6
	v_fmac_f32_e32 v4, v13, v12
	s_delay_alu instid0(VALU_DEP_1) | instskip(NEXT) | instid1(VALU_DEP_1)
	v_dual_add_f32 v0, v6, v4 :: v_dual_sub_f32 v3, v5, v1
	v_dual_sub_f32 v7, v1, v0 :: v_dual_mov_b32 v5, v0
	s_delay_alu instid0(VALU_DEP_2) | instskip(NEXT) | instid1(VALU_DEP_2)
	v_add_f32_e32 v3, v9, v3
	v_pk_add_f32 v[0:1], v[0:1], v[6:7] neg_lo:[0,1] neg_hi:[0,1]
	s_delay_alu instid0(VALU_DEP_1) | instskip(SKIP_1) | instid1(VALU_DEP_2)
	v_pk_add_f32 v[0:1], v[0:1], v[4:5] neg_lo:[0,1] neg_hi:[0,1]
	v_cvt_f32_i32_e32 v4, v8
	v_add_f32_e32 v1, v3, v1
	s_delay_alu instid0(VALU_DEP_1) | instskip(NEXT) | instid1(VALU_DEP_1)
	v_add_f32_e32 v0, v0, v1
	v_add_f32_e32 v0, v7, v0
	s_delay_alu instid0(VALU_DEP_1) | instskip(NEXT) | instid1(VALU_DEP_1)
	v_dual_mul_f32 v0, v10, v0 :: v_dual_add_f32 v3, v11, v13
	v_sub_f32_e32 v1, v3, v11
	s_delay_alu instid0(VALU_DEP_1) | instskip(NEXT) | instid1(VALU_DEP_1)
	v_sub_f32_e32 v1, v13, v1
	v_dual_add_f32 v9, v1, v0 :: v_dual_mov_b32 v0, 0x3f317218
	s_delay_alu instid0(VALU_DEP_1) | instskip(NEXT) | instid1(VALU_DEP_1)
	v_add_f32_e32 v6, v3, v9
	v_dual_mul_f32 v1, v6, v6 :: v_dual_sub_f32 v3, v6, v3
	s_delay_alu instid0(VALU_DEP_1) | instskip(SKIP_1) | instid1(VALU_DEP_1)
	v_mul_f32_e32 v5, v6, v1
	v_fmaak_f32 v7, s3, v1, 0x3ecc95a3
	v_fmaak_f32 v1, v1, v7, 0x3f2aaada
	s_delay_alu instid0(VALU_DEP_1) | instskip(SKIP_1) | instid1(VALU_DEP_2)
	v_pk_mul_f32 v[0:1], v[4:5], v[0:1]
	v_ldexp_f32 v5, v6, 1
	v_fma_f32 v7, 0x3f317218, v4, -v0
	v_mov_b32_e32 v8, v0
	s_delay_alu instid0(VALU_DEP_2) | instskip(NEXT) | instid1(VALU_DEP_1)
	v_fmamk_f32 v4, v4, 0xb102e308, v7
	v_pk_add_f32 v[6:7], v[0:1], v[4:5]
	s_delay_alu instid0(VALU_DEP_1) | instskip(NEXT) | instid1(VALU_DEP_1)
	v_dual_sub_f32 v3, v9, v3 :: v_dual_sub_f32 v5, v7, v5
	v_ldexp_f32 v3, v3, 1
	s_delay_alu instid0(VALU_DEP_2) | instskip(NEXT) | instid1(VALU_DEP_4)
	v_dual_mov_b32 v16, v7 :: v_dual_sub_f32 v5, v1, v5
	v_pk_add_f32 v[0:1], v[6:7], v[0:1] neg_lo:[0,1] neg_hi:[0,1]
	s_delay_alu instid0(VALU_DEP_2) | instskip(NEXT) | instid1(VALU_DEP_1)
	v_dual_add_f32 v9, v3, v5 :: v_dual_mov_b32 v5, v6
	v_pk_add_f32 v[10:11], v[6:7], v[8:9]
	s_delay_alu instid0(VALU_DEP_1) | instskip(NEXT) | instid1(VALU_DEP_1)
	v_mov_b32_e32 v1, v11
	v_pk_add_f32 v[12:13], v[4:5], v[0:1]
	v_mov_b32_e32 v12, v11
	v_pk_add_f32 v[0:1], v[4:5], v[0:1] neg_lo:[0,1] neg_hi:[0,1]
	s_delay_alu instid0(VALU_DEP_3) | instskip(NEXT) | instid1(VALU_DEP_1)
	v_dual_mov_b32 v8, v13 :: v_dual_mov_b32 v1, v13
	v_pk_add_f32 v[14:15], v[8:9], v[6:7] neg_lo:[0,1] neg_hi:[0,1]
	v_dual_mov_b32 v7, v6 :: v_dual_mov_b32 v6, v9
	s_delay_alu instid0(VALU_DEP_2) | instskip(NEXT) | instid1(VALU_DEP_1)
	v_dual_mov_b32 v3, v14 :: v_dual_mov_b32 v17, v14
	v_pk_add_f32 v[10:11], v[10:11], v[2:3] neg_lo:[0,1] neg_hi:[0,1]
	s_delay_alu instid0(VALU_DEP_2) | instskip(SKIP_1) | instid1(VALU_DEP_2)
	v_pk_add_f32 v[4:5], v[12:13], v[16:17] neg_lo:[0,1] neg_hi:[0,1]
	v_mov_b32_e32 v10, v0
	v_pk_add_f32 v[4:5], v[6:7], v[4:5] neg_lo:[0,1] neg_hi:[0,1]
	s_delay_alu instid0(VALU_DEP_1) | instskip(NEXT) | instid1(VALU_DEP_1)
	v_pk_add_f32 v[6:7], v[10:11], v[4:5]
	v_mov_b32_e32 v10, v7
	s_delay_alu instid0(VALU_DEP_1) | instskip(NEXT) | instid1(VALU_DEP_1)
	v_pk_add_f32 v[10:11], v[6:7], v[10:11]
	v_pk_add_f32 v[8:9], v[8:9], v[10:11]
	s_delay_alu instid0(VALU_DEP_1) | instskip(NEXT) | instid1(VALU_DEP_1)
	v_mov_b32_e32 v7, v8
	v_pk_add_f32 v[12:13], v[6:7], v[0:1] neg_lo:[0,1] neg_hi:[0,1]
	s_delay_alu instid0(VALU_DEP_1) | instskip(NEXT) | instid1(VALU_DEP_1)
	v_sub_f32_e32 v1, v6, v12
	v_dual_mov_b32 v5, v10 :: v_dual_sub_f32 v0, v0, v1
	s_delay_alu instid0(VALU_DEP_1) | instskip(NEXT) | instid1(VALU_DEP_1)
	v_pk_add_f32 v[4:5], v[4:5], v[12:13] neg_lo:[0,1] neg_hi:[0,1]
	v_add_f32_e32 v0, v4, v0
	s_delay_alu instid0(VALU_DEP_1) | instskip(NEXT) | instid1(VALU_DEP_1)
	v_add_f32_e32 v0, v0, v5
	v_add_f32_e32 v0, v8, v0
	s_delay_alu instid0(VALU_DEP_1) | instskip(SKIP_1) | instid1(VALU_DEP_2)
	v_cndmask_b32_e32 v0, 0x7f800000, v0, vcc_lo
	v_cmp_gt_f32_e64 vcc_lo, 0x33800000, |v18|
	v_cndmask_b32_e32 v0, v0, v18, vcc_lo
	s_delay_alu instid0(VALU_DEP_1) | instskip(NEXT) | instid1(VALU_DEP_1)
	v_div_scale_f32 v1, null, s14, s14, v0
	v_rcp_f32_e32 v3, v1
	v_nop
	s_delay_alu instid0(TRANS32_DEP_1) | instskip(NEXT) | instid1(VALU_DEP_1)
	v_fma_f32 v4, -v1, v3, 1.0
	v_fmac_f32_e32 v3, v4, v3
	v_div_scale_f32 v4, vcc_lo, v0, s14, v0
	s_delay_alu instid0(VALU_DEP_1) | instskip(NEXT) | instid1(VALU_DEP_1)
	v_mul_f32_e32 v5, v4, v3
	v_fma_f32 v6, -v1, v5, v4
	s_delay_alu instid0(VALU_DEP_1) | instskip(NEXT) | instid1(VALU_DEP_1)
	v_fmac_f32_e32 v5, v6, v3
	v_fma_f32 v1, -v1, v5, v4
	s_delay_alu instid0(VALU_DEP_1) | instskip(NEXT) | instid1(VALU_DEP_1)
	v_div_fmas_f32 v1, v1, v3, v5
	v_div_fixup_f32 v1, v1, s14, v0
.LBB33_276:
	s_or_b32 exec_lo, exec_lo, s2
	s_delay_alu instid0(VALU_DEP_1) | instskip(SKIP_1) | instid1(VALU_DEP_2)
	v_bfe_u32 v0, v1, 16, 1
	v_cmp_o_f32_e32 vcc_lo, v1, v1
	v_add3_u32 v0, v1, v0, 0x7fff
	s_delay_alu instid0(VALU_DEP_1) | instskip(NEXT) | instid1(VALU_DEP_1)
	v_lshrrev_b32_e32 v0, 16, v0
	v_cndmask_b32_e32 v0, 0x7fc0, v0, vcc_lo
	global_store_b16 v2, v0, s[0:1]
	s_wait_xcnt 0x0
	s_or_b32 exec_lo, exec_lo, s5
                                        ; implicit-def: $vgpr16
                                        ; implicit-def: $vgpr0
	s_and_not1_saveexec_b32 s0, s34
	s_cbranch_execz .LBB33_249
	s_branch .LBB33_8
	.section	.rodata,"a",@progbits
	.p2align	6, 0x0
	.amdhsa_kernel _ZN2at6native32elementwise_kernel_manual_unrollILi128ELi8EZNS0_22gpu_kernel_impl_nocastIZZZNS0_12_GLOBAL__N_115softplus_kernelERNS_18TensorIteratorBaseERKN3c106ScalarES9_ENKUlvE_clEvENKUlvE2_clEvEUlNS6_8BFloat16EE_EEvS5_RKT_EUlibE_EEviT1_
		.amdhsa_group_segment_fixed_size 0
		.amdhsa_private_segment_fixed_size 0
		.amdhsa_kernarg_size 360
		.amdhsa_user_sgpr_count 2
		.amdhsa_user_sgpr_dispatch_ptr 0
		.amdhsa_user_sgpr_queue_ptr 0
		.amdhsa_user_sgpr_kernarg_segment_ptr 1
		.amdhsa_user_sgpr_dispatch_id 0
		.amdhsa_user_sgpr_kernarg_preload_length 0
		.amdhsa_user_sgpr_kernarg_preload_offset 0
		.amdhsa_user_sgpr_private_segment_size 0
		.amdhsa_wavefront_size32 1
		.amdhsa_uses_dynamic_stack 0
		.amdhsa_enable_private_segment 0
		.amdhsa_system_sgpr_workgroup_id_x 1
		.amdhsa_system_sgpr_workgroup_id_y 0
		.amdhsa_system_sgpr_workgroup_id_z 0
		.amdhsa_system_sgpr_workgroup_info 0
		.amdhsa_system_vgpr_workitem_id 0
		.amdhsa_next_free_vgpr 33
		.amdhsa_next_free_sgpr 60
		.amdhsa_named_barrier_count 0
		.amdhsa_reserve_vcc 1
		.amdhsa_float_round_mode_32 0
		.amdhsa_float_round_mode_16_64 0
		.amdhsa_float_denorm_mode_32 3
		.amdhsa_float_denorm_mode_16_64 3
		.amdhsa_fp16_overflow 0
		.amdhsa_memory_ordered 1
		.amdhsa_forward_progress 1
		.amdhsa_inst_pref_size 231
		.amdhsa_round_robin_scheduling 0
		.amdhsa_exception_fp_ieee_invalid_op 0
		.amdhsa_exception_fp_denorm_src 0
		.amdhsa_exception_fp_ieee_div_zero 0
		.amdhsa_exception_fp_ieee_overflow 0
		.amdhsa_exception_fp_ieee_underflow 0
		.amdhsa_exception_fp_ieee_inexact 0
		.amdhsa_exception_int_div_zero 0
	.end_amdhsa_kernel
	.section	.text._ZN2at6native32elementwise_kernel_manual_unrollILi128ELi8EZNS0_22gpu_kernel_impl_nocastIZZZNS0_12_GLOBAL__N_115softplus_kernelERNS_18TensorIteratorBaseERKN3c106ScalarES9_ENKUlvE_clEvENKUlvE2_clEvEUlNS6_8BFloat16EE_EEvS5_RKT_EUlibE_EEviT1_,"axG",@progbits,_ZN2at6native32elementwise_kernel_manual_unrollILi128ELi8EZNS0_22gpu_kernel_impl_nocastIZZZNS0_12_GLOBAL__N_115softplus_kernelERNS_18TensorIteratorBaseERKN3c106ScalarES9_ENKUlvE_clEvENKUlvE2_clEvEUlNS6_8BFloat16EE_EEvS5_RKT_EUlibE_EEviT1_,comdat
.Lfunc_end33:
	.size	_ZN2at6native32elementwise_kernel_manual_unrollILi128ELi8EZNS0_22gpu_kernel_impl_nocastIZZZNS0_12_GLOBAL__N_115softplus_kernelERNS_18TensorIteratorBaseERKN3c106ScalarES9_ENKUlvE_clEvENKUlvE2_clEvEUlNS6_8BFloat16EE_EEvS5_RKT_EUlibE_EEviT1_, .Lfunc_end33-_ZN2at6native32elementwise_kernel_manual_unrollILi128ELi8EZNS0_22gpu_kernel_impl_nocastIZZZNS0_12_GLOBAL__N_115softplus_kernelERNS_18TensorIteratorBaseERKN3c106ScalarES9_ENKUlvE_clEvENKUlvE2_clEvEUlNS6_8BFloat16EE_EEvS5_RKT_EUlibE_EEviT1_
                                        ; -- End function
	.set _ZN2at6native32elementwise_kernel_manual_unrollILi128ELi8EZNS0_22gpu_kernel_impl_nocastIZZZNS0_12_GLOBAL__N_115softplus_kernelERNS_18TensorIteratorBaseERKN3c106ScalarES9_ENKUlvE_clEvENKUlvE2_clEvEUlNS6_8BFloat16EE_EEvS5_RKT_EUlibE_EEviT1_.num_vgpr, 33
	.set _ZN2at6native32elementwise_kernel_manual_unrollILi128ELi8EZNS0_22gpu_kernel_impl_nocastIZZZNS0_12_GLOBAL__N_115softplus_kernelERNS_18TensorIteratorBaseERKN3c106ScalarES9_ENKUlvE_clEvENKUlvE2_clEvEUlNS6_8BFloat16EE_EEvS5_RKT_EUlibE_EEviT1_.num_agpr, 0
	.set _ZN2at6native32elementwise_kernel_manual_unrollILi128ELi8EZNS0_22gpu_kernel_impl_nocastIZZZNS0_12_GLOBAL__N_115softplus_kernelERNS_18TensorIteratorBaseERKN3c106ScalarES9_ENKUlvE_clEvENKUlvE2_clEvEUlNS6_8BFloat16EE_EEvS5_RKT_EUlibE_EEviT1_.numbered_sgpr, 60
	.set _ZN2at6native32elementwise_kernel_manual_unrollILi128ELi8EZNS0_22gpu_kernel_impl_nocastIZZZNS0_12_GLOBAL__N_115softplus_kernelERNS_18TensorIteratorBaseERKN3c106ScalarES9_ENKUlvE_clEvENKUlvE2_clEvEUlNS6_8BFloat16EE_EEvS5_RKT_EUlibE_EEviT1_.num_named_barrier, 0
	.set _ZN2at6native32elementwise_kernel_manual_unrollILi128ELi8EZNS0_22gpu_kernel_impl_nocastIZZZNS0_12_GLOBAL__N_115softplus_kernelERNS_18TensorIteratorBaseERKN3c106ScalarES9_ENKUlvE_clEvENKUlvE2_clEvEUlNS6_8BFloat16EE_EEvS5_RKT_EUlibE_EEviT1_.private_seg_size, 0
	.set _ZN2at6native32elementwise_kernel_manual_unrollILi128ELi8EZNS0_22gpu_kernel_impl_nocastIZZZNS0_12_GLOBAL__N_115softplus_kernelERNS_18TensorIteratorBaseERKN3c106ScalarES9_ENKUlvE_clEvENKUlvE2_clEvEUlNS6_8BFloat16EE_EEvS5_RKT_EUlibE_EEviT1_.uses_vcc, 1
	.set _ZN2at6native32elementwise_kernel_manual_unrollILi128ELi8EZNS0_22gpu_kernel_impl_nocastIZZZNS0_12_GLOBAL__N_115softplus_kernelERNS_18TensorIteratorBaseERKN3c106ScalarES9_ENKUlvE_clEvENKUlvE2_clEvEUlNS6_8BFloat16EE_EEvS5_RKT_EUlibE_EEviT1_.uses_flat_scratch, 0
	.set _ZN2at6native32elementwise_kernel_manual_unrollILi128ELi8EZNS0_22gpu_kernel_impl_nocastIZZZNS0_12_GLOBAL__N_115softplus_kernelERNS_18TensorIteratorBaseERKN3c106ScalarES9_ENKUlvE_clEvENKUlvE2_clEvEUlNS6_8BFloat16EE_EEvS5_RKT_EUlibE_EEviT1_.has_dyn_sized_stack, 0
	.set _ZN2at6native32elementwise_kernel_manual_unrollILi128ELi8EZNS0_22gpu_kernel_impl_nocastIZZZNS0_12_GLOBAL__N_115softplus_kernelERNS_18TensorIteratorBaseERKN3c106ScalarES9_ENKUlvE_clEvENKUlvE2_clEvEUlNS6_8BFloat16EE_EEvS5_RKT_EUlibE_EEviT1_.has_recursion, 0
	.set _ZN2at6native32elementwise_kernel_manual_unrollILi128ELi8EZNS0_22gpu_kernel_impl_nocastIZZZNS0_12_GLOBAL__N_115softplus_kernelERNS_18TensorIteratorBaseERKN3c106ScalarES9_ENKUlvE_clEvENKUlvE2_clEvEUlNS6_8BFloat16EE_EEvS5_RKT_EUlibE_EEviT1_.has_indirect_call, 0
	.section	.AMDGPU.csdata,"",@progbits
; Kernel info:
; codeLenInByte = 29452
; TotalNumSgprs: 62
; NumVgprs: 33
; ScratchSize: 0
; MemoryBound: 0
; FloatMode: 240
; IeeeMode: 1
; LDSByteSize: 0 bytes/workgroup (compile time only)
; SGPRBlocks: 0
; VGPRBlocks: 2
; NumSGPRsForWavesPerEU: 62
; NumVGPRsForWavesPerEU: 33
; NamedBarCnt: 0
; Occupancy: 16
; WaveLimiterHint : 1
; COMPUTE_PGM_RSRC2:SCRATCH_EN: 0
; COMPUTE_PGM_RSRC2:USER_SGPR: 2
; COMPUTE_PGM_RSRC2:TRAP_HANDLER: 0
; COMPUTE_PGM_RSRC2:TGID_X_EN: 1
; COMPUTE_PGM_RSRC2:TGID_Y_EN: 0
; COMPUTE_PGM_RSRC2:TGID_Z_EN: 0
; COMPUTE_PGM_RSRC2:TIDIG_COMP_CNT: 0
	.section	.text._ZN2at6native32elementwise_kernel_manual_unrollILi128ELi4EZNS0_15gpu_kernel_implIZZZNS0_12_GLOBAL__N_115softplus_kernelERNS_18TensorIteratorBaseERKN3c106ScalarES9_ENKUlvE_clEvENKUlvE2_clEvEUlNS6_8BFloat16EE_EEvS5_RKT_EUlibE_EEviT1_,"axG",@progbits,_ZN2at6native32elementwise_kernel_manual_unrollILi128ELi4EZNS0_15gpu_kernel_implIZZZNS0_12_GLOBAL__N_115softplus_kernelERNS_18TensorIteratorBaseERKN3c106ScalarES9_ENKUlvE_clEvENKUlvE2_clEvEUlNS6_8BFloat16EE_EEvS5_RKT_EUlibE_EEviT1_,comdat
	.globl	_ZN2at6native32elementwise_kernel_manual_unrollILi128ELi4EZNS0_15gpu_kernel_implIZZZNS0_12_GLOBAL__N_115softplus_kernelERNS_18TensorIteratorBaseERKN3c106ScalarES9_ENKUlvE_clEvENKUlvE2_clEvEUlNS6_8BFloat16EE_EEvS5_RKT_EUlibE_EEviT1_ ; -- Begin function _ZN2at6native32elementwise_kernel_manual_unrollILi128ELi4EZNS0_15gpu_kernel_implIZZZNS0_12_GLOBAL__N_115softplus_kernelERNS_18TensorIteratorBaseERKN3c106ScalarES9_ENKUlvE_clEvENKUlvE2_clEvEUlNS6_8BFloat16EE_EEvS5_RKT_EUlibE_EEviT1_
	.p2align	8
	.type	_ZN2at6native32elementwise_kernel_manual_unrollILi128ELi4EZNS0_15gpu_kernel_implIZZZNS0_12_GLOBAL__N_115softplus_kernelERNS_18TensorIteratorBaseERKN3c106ScalarES9_ENKUlvE_clEvENKUlvE2_clEvEUlNS6_8BFloat16EE_EEvS5_RKT_EUlibE_EEviT1_,@function
_ZN2at6native32elementwise_kernel_manual_unrollILi128ELi4EZNS0_15gpu_kernel_implIZZZNS0_12_GLOBAL__N_115softplus_kernelERNS_18TensorIteratorBaseERKN3c106ScalarES9_ENKUlvE_clEvENKUlvE2_clEvEUlNS6_8BFloat16EE_EEvS5_RKT_EUlibE_EEviT1_: ; @_ZN2at6native32elementwise_kernel_manual_unrollILi128ELi4EZNS0_15gpu_kernel_implIZZZNS0_12_GLOBAL__N_115softplus_kernelERNS_18TensorIteratorBaseERKN3c106ScalarES9_ENKUlvE_clEvENKUlvE2_clEvEUlNS6_8BFloat16EE_EEvS5_RKT_EUlibE_EEviT1_
; %bb.0:
	s_load_b32 s2, s[0:1], 0x28
	s_bfe_u32 s3, ttmp6, 0x4000c
	s_clause 0x1
	s_load_b32 s14, s[0:1], 0x0
	s_load_b256 s[4:11], s[0:1], 0x8
	s_add_co_i32 s3, s3, 1
	s_and_b32 s12, ttmp6, 15
	s_wait_xcnt 0x0
	s_mul_i32 s0, ttmp9, s3
	s_getreg_b32 s13, hwreg(HW_REG_IB_STS2, 6, 4)
	s_add_co_i32 s12, s12, s0
	s_mov_b32 s1, 0
	s_wait_kmcnt 0x0
	s_bfe_u32 s3, s2, 0x80008
	s_cmp_eq_u32 s13, 0
	s_mov_b32 s13, 0
	s_cselect_b32 s0, ttmp9, s12
	s_delay_alu instid0(SALU_CYCLE_1) | instskip(SKIP_1) | instid1(VALU_DEP_1)
	v_lshl_or_b32 v4, s0, 9, v0
	s_mov_b32 s0, exec_lo
	v_or_b32_e32 v0, 0x180, v4
	s_delay_alu instid0(VALU_DEP_1)
	v_cmpx_le_i32_e64 s14, v0
	s_xor_b32 s12, exec_lo, s0
	s_cbranch_execz .LBB34_1039
; %bb.1:
	s_mov_b32 s19, -1
	s_mov_b32 s17, 0
	s_mov_b32 s15, 0
	s_mov_b32 s16, exec_lo
	v_cmpx_gt_i32_e64 s14, v4
	s_cbranch_execz .LBB34_254
; %bb.2:
	v_mul_lo_u32 v0, v4, s9
	s_and_b32 s0, 0xffff, s3
	s_delay_alu instid0(SALU_CYCLE_1) | instskip(NEXT) | instid1(VALU_DEP_1)
	s_cmp_lt_i32 s0, 11
	v_ashrrev_i32_e32 v1, 31, v0
	s_delay_alu instid0(VALU_DEP_1)
	v_add_nc_u64_e32 v[0:1], s[6:7], v[0:1]
	s_cbranch_scc1 .LBB34_9
; %bb.3:
	s_cmp_gt_i32 s0, 25
	s_cbranch_scc0 .LBB34_20
; %bb.4:
	s_cmp_gt_i32 s0, 28
	s_cbranch_scc0 .LBB34_23
	;; [unrolled: 3-line block ×4, first 2 shown]
; %bb.7:
	s_cmp_eq_u32 s0, 46
	s_mov_b32 s18, 0
	s_cbranch_scc0 .LBB34_29
; %bb.8:
	global_load_b32 v2, v[0:1], off
	s_mov_b32 s13, -1
	s_branch .LBB34_31
.LBB34_9:
                                        ; implicit-def: $vgpr2
	s_cbranch_execnz .LBB34_204
.LBB34_10:
	s_and_not1_b32 vcc_lo, exec_lo, s13
	s_cbranch_vccnz .LBB34_251
.LBB34_11:
	s_wait_loadcnt 0x0
	s_delay_alu instid0(VALU_DEP_1) | instskip(SKIP_1) | instid1(VALU_DEP_1)
	v_lshlrev_b32_e32 v2, 16, v2
	s_mov_b32 s0, exec_lo
	v_mul_f32_e32 v0, s10, v2
	s_delay_alu instid0(VALU_DEP_1)
	v_cmpx_nlt_f32_e32 s11, v0
	s_cbranch_execz .LBB34_13
; %bb.12:
	v_mul_f32_e32 v1, 0x3fb8aa3b, v0
	v_cmp_ngt_f32_e32 vcc_lo, 0xc2ce8ed0, v0
	s_mov_b32 s13, 0x3e9b6dac
	s_delay_alu instid0(VALU_DEP_2) | instskip(SKIP_1) | instid1(VALU_DEP_2)
	v_rndne_f32_e32 v2, v1
	v_fma_f32 v3, 0x3fb8aa3b, v0, -v1
	v_sub_f32_e32 v1, v1, v2
	s_delay_alu instid0(VALU_DEP_2) | instskip(SKIP_1) | instid1(VALU_DEP_2)
	v_fmamk_f32 v3, v0, 0x32a5705f, v3
	v_cvt_i32_f32_e32 v2, v2
	v_add_f32_e32 v1, v1, v3
	s_delay_alu instid0(VALU_DEP_1) | instskip(SKIP_1) | instid1(TRANS32_DEP_1)
	v_exp_f32_e32 v1, v1
	v_nop
	v_ldexp_f32 v1, v1, v2
	s_delay_alu instid0(VALU_DEP_1) | instskip(SKIP_1) | instid1(VALU_DEP_2)
	v_cndmask_b32_e32 v1, 0, v1, vcc_lo
	v_cmp_nlt_f32_e32 vcc_lo, 0x42b17218, v0
	v_cndmask_b32_e32 v18, 0x7f800000, v1, vcc_lo
	s_delay_alu instid0(VALU_DEP_1) | instskip(NEXT) | instid1(VALU_DEP_1)
	v_add_f32_e32 v2, 1.0, v18
	v_cvt_f64_f32_e32 v[0:1], v2
	s_delay_alu instid0(VALU_DEP_1) | instskip(SKIP_1) | instid1(VALU_DEP_1)
	v_frexp_exp_i32_f64_e32 v0, v[0:1]
	v_frexp_mant_f32_e32 v1, v2
	v_cmp_gt_f32_e32 vcc_lo, 0x3f2aaaab, v1
	s_delay_alu instid0(VALU_DEP_3) | instskip(NEXT) | instid1(VALU_DEP_1)
	v_subrev_co_ci_u32_e64 v5, null, 0, v0, vcc_lo
	v_dual_add_f32 v0, -1.0, v2 :: v_dual_sub_nc_u32 v1, 0, v5
	s_delay_alu instid0(VALU_DEP_1) | instskip(NEXT) | instid1(VALU_DEP_2)
	v_dual_sub_f32 v3, v0, v2 :: v_dual_sub_f32 v0, v18, v0
	v_ldexp_f32 v2, v2, v1
	s_delay_alu instid0(VALU_DEP_1) | instskip(NEXT) | instid1(VALU_DEP_1)
	v_dual_add_f32 v3, 1.0, v3 :: v_dual_add_f32 v6, 1.0, v2
	v_dual_add_f32 v7, -1.0, v2 :: v_dual_add_f32 v0, v0, v3
	s_delay_alu instid0(VALU_DEP_2) | instskip(SKIP_1) | instid1(VALU_DEP_3)
	v_add_f32_e32 v3, -1.0, v6
	v_cmp_neq_f32_e32 vcc_lo, 0x7f800000, v18
	v_ldexp_f32 v0, v0, v1
	s_delay_alu instid0(VALU_DEP_3) | instskip(NEXT) | instid1(VALU_DEP_1)
	v_sub_f32_e32 v1, v2, v3
	v_dual_add_f32 v3, 1.0, v7 :: v_dual_add_f32 v8, v0, v1
	s_delay_alu instid0(VALU_DEP_1) | instskip(NEXT) | instid1(VALU_DEP_1)
	v_sub_f32_e32 v1, v2, v3
	v_dual_add_f32 v9, v6, v8 :: v_dual_add_f32 v10, v0, v1
	s_delay_alu instid0(VALU_DEP_1) | instskip(NEXT) | instid1(VALU_DEP_1)
	v_rcp_f32_e32 v11, v9
	v_dual_add_f32 v1, v7, v10 :: v_dual_sub_f32 v0, v6, v9
	s_delay_alu instid0(TRANS32_DEP_1) | instid1(VALU_DEP_1)
	v_dual_sub_f32 v13, v7, v1 :: v_dual_mul_f32 v12, v1, v11
	s_delay_alu instid0(VALU_DEP_2) | instskip(NEXT) | instid1(VALU_DEP_2)
	v_add_f32_e32 v8, v8, v0
	v_mul_f32_e32 v2, v9, v12
	s_delay_alu instid0(VALU_DEP_1) | instskip(NEXT) | instid1(VALU_DEP_1)
	v_fma_f32 v6, v12, v9, -v2
	v_fmac_f32_e32 v6, v12, v8
	s_delay_alu instid0(VALU_DEP_1) | instskip(NEXT) | instid1(VALU_DEP_1)
	v_add_f32_e32 v0, v2, v6
	v_dual_sub_f32 v3, v1, v0 :: v_dual_mov_b32 v7, v0
	s_delay_alu instid0(VALU_DEP_1) | instskip(SKIP_1) | instid1(VALU_DEP_2)
	v_pk_add_f32 v[0:1], v[0:1], v[2:3] neg_lo:[0,1] neg_hi:[0,1]
	v_add_f32_e32 v2, v10, v13
	v_pk_add_f32 v[0:1], v[0:1], v[6:7] neg_lo:[0,1] neg_hi:[0,1]
	s_delay_alu instid0(VALU_DEP_1) | instskip(NEXT) | instid1(VALU_DEP_1)
	v_add_f32_e32 v1, v2, v1
	v_add_f32_e32 v10, v0, v1
	s_delay_alu instid0(VALU_DEP_1) | instskip(NEXT) | instid1(VALU_DEP_1)
	v_add_f32_e32 v1, v3, v10
	v_mul_f32_e32 v13, v11, v1
	s_delay_alu instid0(VALU_DEP_1) | instskip(NEXT) | instid1(VALU_DEP_1)
	v_mul_f32_e32 v6, v9, v13
	v_fma_f32 v2, v13, v9, -v6
	s_delay_alu instid0(VALU_DEP_1) | instskip(NEXT) | instid1(VALU_DEP_1)
	v_dual_fmac_f32 v2, v13, v8 :: v_dual_sub_f32 v8, v3, v1
	v_add_f32_e32 v0, v6, v2
	s_delay_alu instid0(VALU_DEP_1) | instskip(NEXT) | instid1(VALU_DEP_1)
	v_dual_sub_f32 v7, v1, v0 :: v_dual_mov_b32 v3, v0
	v_pk_add_f32 v[0:1], v[0:1], v[6:7] neg_lo:[0,1] neg_hi:[0,1]
	s_delay_alu instid0(VALU_DEP_1) | instskip(SKIP_2) | instid1(VALU_DEP_2)
	v_pk_add_f32 v[0:1], v[0:1], v[2:3] neg_lo:[0,1] neg_hi:[0,1]
	v_add_f32_e32 v6, v10, v8
	v_cvt_f32_i32_e32 v2, v5
	v_add_f32_e32 v1, v6, v1
	s_delay_alu instid0(VALU_DEP_1) | instskip(NEXT) | instid1(VALU_DEP_1)
	v_add_f32_e32 v0, v0, v1
	v_dual_add_f32 v6, v12, v13 :: v_dual_add_f32 v0, v7, v0
	s_delay_alu instid0(VALU_DEP_1) | instskip(NEXT) | instid1(VALU_DEP_1)
	v_sub_f32_e32 v1, v6, v12
	v_dual_mul_f32 v0, v11, v0 :: v_dual_sub_f32 v1, v13, v1
	s_delay_alu instid0(VALU_DEP_1) | instskip(NEXT) | instid1(VALU_DEP_1)
	v_add_f32_e32 v8, v1, v0
	v_dual_mov_b32 v0, 0x3f317218 :: v_dual_add_f32 v7, v6, v8
	s_delay_alu instid0(VALU_DEP_1) | instskip(NEXT) | instid1(VALU_DEP_1)
	v_mul_f32_e32 v1, v7, v7
	v_fmaak_f32 v9, s13, v1, 0x3ecc95a3
	v_mul_f32_e32 v3, v7, v1
	s_delay_alu instid0(VALU_DEP_2) | instskip(NEXT) | instid1(VALU_DEP_1)
	v_fmaak_f32 v1, v1, v9, 0x3f2aaada
	v_pk_mul_f32 v[0:1], v[2:3], v[0:1]
	s_delay_alu instid0(VALU_DEP_1) | instskip(NEXT) | instid1(VALU_DEP_1)
	v_fma_f32 v5, 0x3f317218, v2, -v0
	v_dual_fmamk_f32 v2, v2, 0xb102e308, v5 :: v_dual_sub_f32 v5, v7, v6
	s_delay_alu instid0(VALU_DEP_1) | instskip(SKIP_2) | instid1(VALU_DEP_3)
	v_sub_f32_e32 v5, v8, v5
	v_ldexp_f32 v3, v7, 1
	v_mov_b32_e32 v8, v0
	v_ldexp_f32 v5, v5, 1
	s_delay_alu instid0(VALU_DEP_3) | instskip(NEXT) | instid1(VALU_DEP_1)
	v_pk_add_f32 v[6:7], v[0:1], v[2:3]
	v_dual_sub_f32 v3, v7, v3 :: v_dual_mov_b32 v16, v7
	s_delay_alu instid0(VALU_DEP_1) | instskip(NEXT) | instid1(VALU_DEP_3)
	v_sub_f32_e32 v3, v1, v3
	v_pk_add_f32 v[0:1], v[6:7], v[0:1] neg_lo:[0,1] neg_hi:[0,1]
	s_delay_alu instid0(VALU_DEP_2) | instskip(NEXT) | instid1(VALU_DEP_1)
	v_dual_add_f32 v9, v5, v3 :: v_dual_mov_b32 v3, v6
	v_pk_add_f32 v[10:11], v[6:7], v[8:9]
	s_delay_alu instid0(VALU_DEP_1) | instskip(NEXT) | instid1(VALU_DEP_1)
	v_mov_b32_e32 v1, v11
	v_pk_add_f32 v[12:13], v[2:3], v[0:1]
	v_mov_b32_e32 v12, v11
	v_pk_add_f32 v[0:1], v[2:3], v[0:1] neg_lo:[0,1] neg_hi:[0,1]
	s_delay_alu instid0(VALU_DEP_3) | instskip(NEXT) | instid1(VALU_DEP_1)
	v_dual_mov_b32 v8, v13 :: v_dual_mov_b32 v1, v13
	v_pk_add_f32 v[14:15], v[8:9], v[6:7] neg_lo:[0,1] neg_hi:[0,1]
	v_dual_mov_b32 v7, v6 :: v_dual_mov_b32 v6, v9
	s_delay_alu instid0(VALU_DEP_2) | instskip(NEXT) | instid1(VALU_DEP_1)
	v_dual_mov_b32 v5, v14 :: v_dual_mov_b32 v17, v14
	v_pk_add_f32 v[10:11], v[10:11], v[4:5] neg_lo:[0,1] neg_hi:[0,1]
	s_delay_alu instid0(VALU_DEP_2) | instskip(SKIP_1) | instid1(VALU_DEP_2)
	v_pk_add_f32 v[2:3], v[12:13], v[16:17] neg_lo:[0,1] neg_hi:[0,1]
	v_mov_b32_e32 v10, v0
	v_pk_add_f32 v[2:3], v[6:7], v[2:3] neg_lo:[0,1] neg_hi:[0,1]
	s_delay_alu instid0(VALU_DEP_1) | instskip(NEXT) | instid1(VALU_DEP_1)
	v_pk_add_f32 v[6:7], v[10:11], v[2:3]
	v_mov_b32_e32 v10, v7
	s_delay_alu instid0(VALU_DEP_1) | instskip(NEXT) | instid1(VALU_DEP_1)
	v_pk_add_f32 v[10:11], v[6:7], v[10:11]
	v_pk_add_f32 v[8:9], v[8:9], v[10:11]
	s_delay_alu instid0(VALU_DEP_1) | instskip(NEXT) | instid1(VALU_DEP_1)
	v_mov_b32_e32 v7, v8
	v_pk_add_f32 v[12:13], v[6:7], v[0:1] neg_lo:[0,1] neg_hi:[0,1]
	s_delay_alu instid0(VALU_DEP_1) | instskip(NEXT) | instid1(VALU_DEP_1)
	v_sub_f32_e32 v1, v6, v12
	v_dual_mov_b32 v3, v10 :: v_dual_sub_f32 v0, v0, v1
	s_delay_alu instid0(VALU_DEP_1) | instskip(NEXT) | instid1(VALU_DEP_1)
	v_pk_add_f32 v[2:3], v[2:3], v[12:13] neg_lo:[0,1] neg_hi:[0,1]
	v_add_f32_e32 v0, v2, v0
	s_delay_alu instid0(VALU_DEP_1) | instskip(NEXT) | instid1(VALU_DEP_1)
	v_add_f32_e32 v0, v0, v3
	v_add_f32_e32 v0, v8, v0
	s_delay_alu instid0(VALU_DEP_1) | instskip(SKIP_1) | instid1(VALU_DEP_2)
	v_cndmask_b32_e32 v0, 0x7f800000, v0, vcc_lo
	v_cmp_gt_f32_e64 vcc_lo, 0x33800000, |v18|
	v_cndmask_b32_e32 v0, v0, v18, vcc_lo
	s_delay_alu instid0(VALU_DEP_1) | instskip(NEXT) | instid1(VALU_DEP_1)
	v_div_scale_f32 v1, null, s10, s10, v0
	v_rcp_f32_e32 v2, v1
	v_nop
	s_delay_alu instid0(TRANS32_DEP_1) | instskip(NEXT) | instid1(VALU_DEP_1)
	v_fma_f32 v3, -v1, v2, 1.0
	v_fmac_f32_e32 v2, v3, v2
	v_div_scale_f32 v3, vcc_lo, v0, s10, v0
	s_delay_alu instid0(VALU_DEP_1) | instskip(NEXT) | instid1(VALU_DEP_1)
	v_mul_f32_e32 v5, v3, v2
	v_fma_f32 v6, -v1, v5, v3
	s_delay_alu instid0(VALU_DEP_1) | instskip(NEXT) | instid1(VALU_DEP_1)
	v_fmac_f32_e32 v5, v6, v2
	v_fma_f32 v1, -v1, v5, v3
	s_delay_alu instid0(VALU_DEP_1) | instskip(NEXT) | instid1(VALU_DEP_1)
	v_div_fmas_f32 v1, v1, v2, v5
	v_div_fixup_f32 v2, v1, s10, v0
.LBB34_13:
	s_or_b32 exec_lo, exec_lo, s0
	v_mul_lo_u32 v0, v4, s8
	s_delay_alu instid0(VALU_DEP_2) | instskip(SKIP_2) | instid1(SALU_CYCLE_1)
	v_bfe_u32 v1, v2, 16, 1
	v_cmp_o_f32_e32 vcc_lo, v2, v2
	s_and_b32 s13, s2, 0xff
	s_cmp_lt_i32 s13, 11
	s_delay_alu instid0(VALU_DEP_2) | instskip(NEXT) | instid1(VALU_DEP_1)
	v_add3_u32 v3, v2, v1, 0x7fff
	v_dual_ashrrev_i32 v1, 31, v0 :: v_dual_lshrrev_b32 v3, 16, v3
	s_delay_alu instid0(VALU_DEP_1) | instskip(NEXT) | instid1(VALU_DEP_2)
	v_add_nc_u64_e32 v[0:1], s[4:5], v[0:1]
	v_cndmask_b32_e32 v2, 0x7fc0, v3, vcc_lo
	s_cbranch_scc1 .LBB34_21
; %bb.14:
	s_and_b32 s18, 0xffff, s13
	s_delay_alu instid0(SALU_CYCLE_1)
	s_cmp_gt_i32 s18, 25
	s_cbranch_scc0 .LBB34_24
; %bb.15:
	s_cmp_gt_i32 s18, 28
	s_cbranch_scc0 .LBB34_26
; %bb.16:
	;; [unrolled: 3-line block ×4, first 2 shown]
	s_mov_b32 s20, 0
	s_mov_b32 s0, -1
	s_cmp_eq_u32 s18, 46
	s_mov_b32 s19, 0
	s_cbranch_scc0 .LBB34_35
; %bb.19:
	v_and_b32_e32 v3, 0xffff, v2
	s_mov_b32 s19, -1
	s_mov_b32 s0, 0
	global_store_b32 v[0:1], v3, off
	s_branch .LBB34_35
.LBB34_20:
                                        ; implicit-def: $vgpr2
	s_cbranch_execnz .LBB34_169
	s_branch .LBB34_203
.LBB34_21:
	s_mov_b32 s0, 0
	s_mov_b32 s19, 0
	s_cbranch_execnz .LBB34_104
.LBB34_22:
	s_and_not1_b32 vcc_lo, exec_lo, s19
	s_cbranch_vccnz .LBB34_252
	s_branch .LBB34_142
.LBB34_23:
	s_mov_b32 s18, -1
                                        ; implicit-def: $vgpr2
	s_branch .LBB34_150
.LBB34_24:
	s_mov_b32 s20, -1
	s_mov_b32 s0, 0
	s_mov_b32 s19, 0
	s_branch .LBB34_62
.LBB34_25:
	s_mov_b32 s18, -1
                                        ; implicit-def: $vgpr2
	s_branch .LBB34_145
.LBB34_26:
	s_mov_b32 s20, -1
	s_mov_b32 s0, 0
	s_mov_b32 s19, 0
	s_branch .LBB34_45
.LBB34_27:
	s_mov_b32 s18, -1
	s_branch .LBB34_30
.LBB34_28:
	s_mov_b32 s20, -1
	s_mov_b32 s0, 0
	s_mov_b32 s19, 0
	s_branch .LBB34_41
.LBB34_29:
	s_mov_b32 s15, -1
.LBB34_30:
                                        ; implicit-def: $vgpr2
.LBB34_31:
	s_and_b32 vcc_lo, exec_lo, s18
	s_cbranch_vccz .LBB34_144
; %bb.32:
	s_cmp_eq_u32 s0, 44
	s_cbranch_scc0 .LBB34_143
; %bb.33:
	s_wait_loadcnt 0x0
	global_load_u8 v2, v[0:1], off
	s_mov_b32 s15, 0
	s_mov_b32 s13, -1
	s_wait_loadcnt 0x0
	v_lshlrev_b32_e32 v3, 23, v2
	v_cmp_ne_u32_e32 vcc_lo, 0xff, v2
	s_delay_alu instid0(VALU_DEP_2) | instskip(SKIP_1) | instid1(VALU_DEP_2)
	v_cndmask_b32_e32 v3, 0x7f800001, v3, vcc_lo
	v_cmp_ne_u32_e32 vcc_lo, 0, v2
	v_cndmask_b32_e32 v2, 0x400000, v3, vcc_lo
	s_delay_alu instid0(VALU_DEP_1) | instskip(NEXT) | instid1(VALU_DEP_1)
	v_add_nc_u32_e32 v3, 0x7fff, v2
	v_lshrrev_b32_e32 v3, 16, v3
	v_cmp_o_f32_e32 vcc_lo, v2, v2
	s_delay_alu instid0(VALU_DEP_2)
	v_cndmask_b32_e32 v2, 0x7fc0, v3, vcc_lo
	s_branch .LBB34_144
.LBB34_34:
	s_mov_b32 s20, -1
	s_mov_b32 s0, 0
	s_mov_b32 s19, 0
.LBB34_35:
	s_and_b32 vcc_lo, exec_lo, s20
	s_cbranch_vccz .LBB34_40
; %bb.36:
	s_cmp_eq_u32 s18, 44
	s_mov_b32 s0, -1
	s_cbranch_scc0 .LBB34_40
; %bb.37:
	s_wait_xcnt 0x0
	v_and_b32_e32 v3, 0xffff, v2
	v_mov_b32_e32 v5, 0xff
	s_mov_b32 s19, exec_lo
	s_delay_alu instid0(VALU_DEP_2) | instskip(NEXT) | instid1(VALU_DEP_1)
	v_bfe_u32 v6, v3, 7, 8
	v_cmpx_ne_u32_e32 0xff, v6
	s_cbranch_execz .LBB34_39
; %bb.38:
	v_dual_lshlrev_b32 v5, 16, v3 :: v_dual_bitop2_b32 v7, 64, v3 bitop3:0x40
	v_lshrrev_b32_e32 v3, 7, v3
	s_delay_alu instid0(VALU_DEP_2) | instskip(NEXT) | instid1(VALU_DEP_3)
	v_and_or_b32 v5, 0x3f0000, v5, v6
	v_cmp_ne_u32_e32 vcc_lo, 0, v7
	s_delay_alu instid0(VALU_DEP_2) | instskip(SKIP_1) | instid1(SALU_CYCLE_1)
	v_cmp_ne_u32_e64 s0, 0, v5
	s_and_b32 s0, vcc_lo, s0
	v_cndmask_b32_e64 v5, 0, 1, s0
	s_delay_alu instid0(VALU_DEP_1)
	v_add_nc_u32_e32 v5, v3, v5
.LBB34_39:
	s_or_b32 exec_lo, exec_lo, s19
	s_mov_b32 s19, -1
	s_mov_b32 s0, 0
	global_store_b8 v[0:1], v5, off
.LBB34_40:
	s_mov_b32 s20, 0
.LBB34_41:
	s_delay_alu instid0(SALU_CYCLE_1)
	s_and_b32 vcc_lo, exec_lo, s20
	s_cbranch_vccz .LBB34_44
; %bb.42:
	s_cmp_eq_u32 s18, 29
	s_mov_b32 s0, -1
	s_cbranch_scc0 .LBB34_44
; %bb.43:
	s_wait_xcnt 0x0
	v_lshlrev_b32_e32 v3, 16, v2
	s_mov_b32 s19, -1
	s_mov_b32 s0, 0
	s_mov_b32 s20, 0
	s_delay_alu instid0(VALU_DEP_1) | instskip(NEXT) | instid1(VALU_DEP_1)
	v_trunc_f32_e32 v3, v3
	v_mul_f32_e32 v5, 0x2f800000, v3
	s_delay_alu instid0(VALU_DEP_1) | instskip(NEXT) | instid1(VALU_DEP_1)
	v_floor_f32_e32 v5, v5
	v_fmamk_f32 v3, v5, 0xcf800000, v3
	v_cvt_u32_f32_e32 v7, v5
	s_delay_alu instid0(VALU_DEP_2)
	v_cvt_u32_f32_e32 v6, v3
	global_store_b64 v[0:1], v[6:7], off
	s_branch .LBB34_45
.LBB34_44:
	s_mov_b32 s20, 0
.LBB34_45:
	s_delay_alu instid0(SALU_CYCLE_1)
	s_and_b32 vcc_lo, exec_lo, s20
	s_cbranch_vccz .LBB34_61
; %bb.46:
	s_cmp_lt_i32 s18, 27
	s_mov_b32 s19, -1
	s_cbranch_scc1 .LBB34_52
; %bb.47:
	s_cmp_gt_i32 s18, 27
	s_cbranch_scc0 .LBB34_49
; %bb.48:
	s_wait_xcnt 0x0
	v_lshlrev_b32_e32 v3, 16, v2
	s_mov_b32 s19, 0
	s_delay_alu instid0(VALU_DEP_1)
	v_cvt_u32_f32_e32 v3, v3
	global_store_b32 v[0:1], v3, off
.LBB34_49:
	s_and_not1_b32 vcc_lo, exec_lo, s19
	s_cbranch_vccnz .LBB34_51
; %bb.50:
	s_wait_xcnt 0x0
	v_lshlrev_b32_e32 v3, 16, v2
	s_delay_alu instid0(VALU_DEP_1)
	v_cvt_u32_f32_e32 v3, v3
	global_store_b16 v[0:1], v3, off
.LBB34_51:
	s_mov_b32 s19, 0
.LBB34_52:
	s_delay_alu instid0(SALU_CYCLE_1)
	s_and_not1_b32 vcc_lo, exec_lo, s19
	s_cbranch_vccnz .LBB34_60
; %bb.53:
	s_wait_xcnt 0x0
	v_dual_mov_b32 v7, 0x80 :: v_dual_lshlrev_b32 v6, 16, v2
	s_mov_b32 s19, exec_lo
	s_delay_alu instid0(VALU_DEP_1) | instskip(NEXT) | instid1(VALU_DEP_1)
	v_and_b32_e32 v5, 0x7fffffff, v6
	v_cmpx_gt_u32_e32 0x43800000, v5
	s_cbranch_execz .LBB34_59
; %bb.54:
	v_and_b32_e32 v3, 0xffff, v2
	v_cmp_lt_u32_e32 vcc_lo, 0x3bffffff, v5
	s_mov_b32 s20, 0
                                        ; implicit-def: $vgpr5
	s_and_saveexec_b32 s21, vcc_lo
	s_delay_alu instid0(SALU_CYCLE_1)
	s_xor_b32 s21, exec_lo, s21
	s_cbranch_execz .LBB34_283
; %bb.55:
	v_bfe_u32 v5, v3, 4, 1
	s_mov_b32 s20, exec_lo
	s_delay_alu instid0(VALU_DEP_1) | instskip(NEXT) | instid1(VALU_DEP_1)
	v_add3_u32 v5, v6, v5, 0x487ffff
                                        ; implicit-def: $vgpr6
	v_lshrrev_b32_e32 v5, 20, v5
	s_and_not1_saveexec_b32 s21, s21
	s_cbranch_execnz .LBB34_284
.LBB34_56:
	s_or_b32 exec_lo, exec_lo, s21
	v_mov_b32_e32 v7, 0
	s_and_saveexec_b32 s21, s20
.LBB34_57:
	v_lshrrev_b32_e32 v3, 8, v3
	s_delay_alu instid0(VALU_DEP_1)
	v_and_or_b32 v7, 0x80, v3, v5
.LBB34_58:
	s_or_b32 exec_lo, exec_lo, s21
.LBB34_59:
	s_delay_alu instid0(SALU_CYCLE_1)
	s_or_b32 exec_lo, exec_lo, s19
	global_store_b8 v[0:1], v7, off
.LBB34_60:
	s_mov_b32 s19, -1
.LBB34_61:
	s_mov_b32 s20, 0
.LBB34_62:
	s_delay_alu instid0(SALU_CYCLE_1)
	s_and_b32 vcc_lo, exec_lo, s20
	s_cbranch_vccz .LBB34_103
; %bb.63:
	s_cmp_gt_i32 s18, 22
	s_mov_b32 s20, -1
	s_cbranch_scc0 .LBB34_95
; %bb.64:
	s_cmp_lt_i32 s18, 24
	s_mov_b32 s19, -1
	s_cbranch_scc1 .LBB34_84
; %bb.65:
	s_cmp_gt_i32 s18, 24
	s_cbranch_scc0 .LBB34_73
; %bb.66:
	s_wait_xcnt 0x0
	v_dual_mov_b32 v7, 0x80 :: v_dual_lshlrev_b32 v6, 16, v2
	s_mov_b32 s19, exec_lo
	s_delay_alu instid0(VALU_DEP_1) | instskip(NEXT) | instid1(VALU_DEP_1)
	v_and_b32_e32 v5, 0x7fffffff, v6
	v_cmpx_gt_u32_e32 0x47800000, v5
	s_cbranch_execz .LBB34_72
; %bb.67:
	v_and_b32_e32 v3, 0xffff, v2
	v_cmp_lt_u32_e32 vcc_lo, 0x37ffffff, v5
	s_mov_b32 s20, 0
                                        ; implicit-def: $vgpr5
	s_and_saveexec_b32 s21, vcc_lo
	s_delay_alu instid0(SALU_CYCLE_1)
	s_xor_b32 s21, exec_lo, s21
	s_cbranch_execz .LBB34_287
; %bb.68:
	v_bfe_u32 v5, v3, 5, 1
	s_mov_b32 s20, exec_lo
	s_delay_alu instid0(VALU_DEP_1) | instskip(NEXT) | instid1(VALU_DEP_1)
	v_add3_u32 v5, v6, v5, 0x88fffff
                                        ; implicit-def: $vgpr6
	v_lshrrev_b32_e32 v5, 21, v5
	s_and_not1_saveexec_b32 s21, s21
	s_cbranch_execnz .LBB34_288
.LBB34_69:
	s_or_b32 exec_lo, exec_lo, s21
	v_mov_b32_e32 v7, 0
	s_and_saveexec_b32 s21, s20
.LBB34_70:
	v_lshrrev_b32_e32 v3, 8, v3
	s_delay_alu instid0(VALU_DEP_1)
	v_and_or_b32 v7, 0x80, v3, v5
.LBB34_71:
	s_or_b32 exec_lo, exec_lo, s21
.LBB34_72:
	s_delay_alu instid0(SALU_CYCLE_1)
	s_or_b32 exec_lo, exec_lo, s19
	s_mov_b32 s19, 0
	global_store_b8 v[0:1], v7, off
.LBB34_73:
	s_and_b32 vcc_lo, exec_lo, s19
	s_cbranch_vccz .LBB34_83
; %bb.74:
	s_wait_xcnt 0x0
	v_lshlrev_b32_e32 v6, 16, v2
	v_and_b32_e32 v3, 0xffff, v2
	s_mov_b32 s19, exec_lo
                                        ; implicit-def: $vgpr5
	s_delay_alu instid0(VALU_DEP_2) | instskip(NEXT) | instid1(VALU_DEP_1)
	v_and_b32_e32 v7, 0x7fffffff, v6
	v_cmpx_gt_u32_e32 0x43f00000, v7
	s_xor_b32 s19, exec_lo, s19
	s_cbranch_execz .LBB34_80
; %bb.75:
	s_mov_b32 s20, exec_lo
                                        ; implicit-def: $vgpr5
	v_cmpx_lt_u32_e32 0x3c7fffff, v7
	s_xor_b32 s20, exec_lo, s20
; %bb.76:
	v_bfe_u32 v5, v3, 4, 1
	s_delay_alu instid0(VALU_DEP_1) | instskip(NEXT) | instid1(VALU_DEP_1)
	v_add3_u32 v5, v6, v5, 0x407ffff
	v_and_b32_e32 v6, 0xff00000, v5
	v_lshrrev_b32_e32 v5, 20, v5
	s_delay_alu instid0(VALU_DEP_2) | instskip(NEXT) | instid1(VALU_DEP_2)
	v_cmp_ne_u32_e32 vcc_lo, 0x7f00000, v6
                                        ; implicit-def: $vgpr6
	v_cndmask_b32_e32 v5, 0x7e, v5, vcc_lo
; %bb.77:
	s_and_not1_saveexec_b32 s20, s20
; %bb.78:
	v_add_f32_e64 v5, 0x46800000, |v6|
; %bb.79:
	s_or_b32 exec_lo, exec_lo, s20
                                        ; implicit-def: $vgpr7
.LBB34_80:
	s_and_not1_saveexec_b32 s19, s19
; %bb.81:
	v_mov_b32_e32 v5, 0x7f
	v_cmp_lt_u32_e32 vcc_lo, 0x7f800000, v7
	s_delay_alu instid0(VALU_DEP_2)
	v_cndmask_b32_e32 v5, 0x7e, v5, vcc_lo
; %bb.82:
	s_or_b32 exec_lo, exec_lo, s19
	v_lshrrev_b32_e32 v3, 8, v3
	s_delay_alu instid0(VALU_DEP_1)
	v_and_or_b32 v3, 0x80, v3, v5
	global_store_b8 v[0:1], v3, off
.LBB34_83:
	s_mov_b32 s19, 0
.LBB34_84:
	s_delay_alu instid0(SALU_CYCLE_1)
	s_and_not1_b32 vcc_lo, exec_lo, s19
	s_cbranch_vccnz .LBB34_94
; %bb.85:
	s_wait_xcnt 0x0
	v_lshlrev_b32_e32 v6, 16, v2
	v_and_b32_e32 v3, 0xffff, v2
	s_mov_b32 s19, exec_lo
                                        ; implicit-def: $vgpr5
	s_delay_alu instid0(VALU_DEP_2) | instskip(NEXT) | instid1(VALU_DEP_1)
	v_and_b32_e32 v7, 0x7fffffff, v6
	v_cmpx_gt_u32_e32 0x47800000, v7
	s_xor_b32 s19, exec_lo, s19
	s_cbranch_execz .LBB34_91
; %bb.86:
	s_mov_b32 s20, exec_lo
                                        ; implicit-def: $vgpr5
	v_cmpx_lt_u32_e32 0x387fffff, v7
	s_xor_b32 s20, exec_lo, s20
; %bb.87:
	v_bfe_u32 v5, v3, 5, 1
	s_delay_alu instid0(VALU_DEP_1) | instskip(NEXT) | instid1(VALU_DEP_1)
	v_add3_u32 v5, v6, v5, 0x80fffff
                                        ; implicit-def: $vgpr6
	v_lshrrev_b32_e32 v5, 21, v5
; %bb.88:
	s_and_not1_saveexec_b32 s20, s20
; %bb.89:
	v_add_f32_e64 v5, 0x43000000, |v6|
; %bb.90:
	s_or_b32 exec_lo, exec_lo, s20
                                        ; implicit-def: $vgpr7
.LBB34_91:
	s_and_not1_saveexec_b32 s19, s19
; %bb.92:
	v_mov_b32_e32 v5, 0x7f
	v_cmp_lt_u32_e32 vcc_lo, 0x7f800000, v7
	s_delay_alu instid0(VALU_DEP_2)
	v_cndmask_b32_e32 v5, 0x7c, v5, vcc_lo
; %bb.93:
	s_or_b32 exec_lo, exec_lo, s19
	v_lshrrev_b32_e32 v3, 8, v3
	s_delay_alu instid0(VALU_DEP_1)
	v_and_or_b32 v3, 0x80, v3, v5
	global_store_b8 v[0:1], v3, off
.LBB34_94:
	s_mov_b32 s20, 0
	s_mov_b32 s19, -1
.LBB34_95:
	s_and_not1_b32 vcc_lo, exec_lo, s20
	s_cbranch_vccnz .LBB34_103
; %bb.96:
	s_cmp_gt_i32 s18, 14
	s_mov_b32 s20, -1
	s_cbranch_scc0 .LBB34_100
; %bb.97:
	s_cmp_eq_u32 s18, 15
	s_mov_b32 s0, -1
	s_cbranch_scc0 .LBB34_99
; %bb.98:
	s_mov_b32 s19, -1
	s_mov_b32 s0, 0
	global_store_b16 v[0:1], v2, off
.LBB34_99:
	s_mov_b32 s20, 0
.LBB34_100:
	s_delay_alu instid0(SALU_CYCLE_1)
	s_and_b32 vcc_lo, exec_lo, s20
	s_cbranch_vccz .LBB34_103
; %bb.101:
	s_cmp_eq_u32 s18, 11
	s_mov_b32 s0, -1
	s_cbranch_scc0 .LBB34_103
; %bb.102:
	s_wait_xcnt 0x0
	v_and_b32_e32 v3, 0x7fff, v2
	s_mov_b32 s0, 0
	s_mov_b32 s19, -1
	s_delay_alu instid0(VALU_DEP_1)
	v_cmp_ne_u16_e32 vcc_lo, 0, v3
	v_cndmask_b32_e64 v3, 0, 1, vcc_lo
	global_store_b8 v[0:1], v3, off
.LBB34_103:
	s_branch .LBB34_22
.LBB34_104:
	s_and_b32 s13, 0xffff, s13
	s_mov_b32 s18, -1
	s_cmp_lt_i32 s13, 5
	s_cbranch_scc1 .LBB34_125
; %bb.105:
	s_cmp_lt_i32 s13, 8
	s_cbranch_scc1 .LBB34_115
; %bb.106:
	s_cmp_lt_i32 s13, 9
	s_cbranch_scc1 .LBB34_112
; %bb.107:
	s_cmp_gt_i32 s13, 9
	s_cbranch_scc0 .LBB34_109
; %bb.108:
	s_wait_xcnt 0x0
	v_dual_mov_b32 v8, 0 :: v_dual_lshlrev_b32 v3, 16, v2
	s_mov_b32 s18, 0
	s_delay_alu instid0(VALU_DEP_1) | instskip(NEXT) | instid1(VALU_DEP_2)
	v_cvt_f64_f32_e32 v[6:7], v3
	v_mov_b32_e32 v9, v8
	global_store_b128 v[0:1], v[6:9], off
.LBB34_109:
	s_and_not1_b32 vcc_lo, exec_lo, s18
	s_cbranch_vccnz .LBB34_111
; %bb.110:
	s_wait_xcnt 0x0
	v_dual_mov_b32 v7, 0 :: v_dual_lshlrev_b32 v6, 16, v2
	global_store_b64 v[0:1], v[6:7], off
.LBB34_111:
	s_mov_b32 s18, 0
.LBB34_112:
	s_delay_alu instid0(SALU_CYCLE_1)
	s_and_not1_b32 vcc_lo, exec_lo, s18
	s_cbranch_vccnz .LBB34_114
; %bb.113:
	s_wait_xcnt 0x0
	v_lshlrev_b32_e32 v3, 16, v2
	s_delay_alu instid0(VALU_DEP_1) | instskip(NEXT) | instid1(VALU_DEP_1)
	v_cvt_f16_f32_e32 v3, v3
	v_and_b32_e32 v3, 0xffff, v3
	global_store_b32 v[0:1], v3, off
.LBB34_114:
	s_mov_b32 s18, 0
.LBB34_115:
	s_delay_alu instid0(SALU_CYCLE_1)
	s_and_not1_b32 vcc_lo, exec_lo, s18
	s_cbranch_vccnz .LBB34_124
; %bb.116:
	s_cmp_lt_i32 s13, 6
	s_mov_b32 s18, -1
	s_cbranch_scc1 .LBB34_122
; %bb.117:
	s_cmp_gt_i32 s13, 6
	s_cbranch_scc0 .LBB34_119
; %bb.118:
	s_wait_xcnt 0x0
	v_lshlrev_b32_e32 v3, 16, v2
	s_mov_b32 s18, 0
	s_delay_alu instid0(VALU_DEP_1)
	v_cvt_f64_f32_e32 v[6:7], v3
	global_store_b64 v[0:1], v[6:7], off
.LBB34_119:
	s_and_not1_b32 vcc_lo, exec_lo, s18
	s_cbranch_vccnz .LBB34_121
; %bb.120:
	s_wait_xcnt 0x0
	v_lshlrev_b32_e32 v3, 16, v2
	global_store_b32 v[0:1], v3, off
.LBB34_121:
	s_mov_b32 s18, 0
.LBB34_122:
	s_delay_alu instid0(SALU_CYCLE_1)
	s_and_not1_b32 vcc_lo, exec_lo, s18
	s_cbranch_vccnz .LBB34_124
; %bb.123:
	s_wait_xcnt 0x0
	v_lshlrev_b32_e32 v3, 16, v2
	s_delay_alu instid0(VALU_DEP_1)
	v_cvt_f16_f32_e32 v3, v3
	global_store_b16 v[0:1], v3, off
.LBB34_124:
	s_mov_b32 s18, 0
.LBB34_125:
	s_delay_alu instid0(SALU_CYCLE_1)
	s_and_not1_b32 vcc_lo, exec_lo, s18
	s_cbranch_vccnz .LBB34_141
; %bb.126:
	s_cmp_lt_i32 s13, 2
	s_mov_b32 s18, -1
	s_cbranch_scc1 .LBB34_136
; %bb.127:
	s_cmp_lt_i32 s13, 3
	s_cbranch_scc1 .LBB34_133
; %bb.128:
	s_cmp_gt_i32 s13, 3
	s_cbranch_scc0 .LBB34_130
; %bb.129:
	s_wait_xcnt 0x0
	v_lshlrev_b32_e32 v3, 16, v2
	s_mov_b32 s18, 0
	s_delay_alu instid0(VALU_DEP_1) | instskip(NEXT) | instid1(VALU_DEP_1)
	v_trunc_f32_e32 v3, v3
	v_mul_f32_e64 v5, 0x2f800000, |v3|
	v_ashrrev_i32_e32 v6, 31, v3
	s_delay_alu instid0(VALU_DEP_2) | instskip(NEXT) | instid1(VALU_DEP_1)
	v_floor_f32_e32 v5, v5
	v_fma_f32 v7, 0xcf800000, v5, |v3|
	v_cvt_u32_f32_e32 v3, v5
	s_delay_alu instid0(VALU_DEP_2) | instskip(NEXT) | instid1(VALU_DEP_2)
	v_cvt_u32_f32_e32 v5, v7
	v_dual_mov_b32 v7, v6 :: v_dual_bitop2_b32 v9, v3, v6 bitop3:0x14
	s_delay_alu instid0(VALU_DEP_2) | instskip(NEXT) | instid1(VALU_DEP_1)
	v_xor_b32_e32 v8, v5, v6
	v_sub_nc_u64_e32 v[6:7], v[8:9], v[6:7]
	global_store_b64 v[0:1], v[6:7], off
.LBB34_130:
	s_and_not1_b32 vcc_lo, exec_lo, s18
	s_cbranch_vccnz .LBB34_132
; %bb.131:
	s_wait_xcnt 0x0
	v_lshlrev_b32_e32 v3, 16, v2
	s_delay_alu instid0(VALU_DEP_1)
	v_cvt_i32_f32_e32 v3, v3
	global_store_b32 v[0:1], v3, off
.LBB34_132:
	s_mov_b32 s18, 0
.LBB34_133:
	s_delay_alu instid0(SALU_CYCLE_1)
	s_and_not1_b32 vcc_lo, exec_lo, s18
	s_cbranch_vccnz .LBB34_135
; %bb.134:
	s_wait_xcnt 0x0
	v_lshlrev_b32_e32 v3, 16, v2
	s_delay_alu instid0(VALU_DEP_1)
	v_cvt_i32_f32_e32 v3, v3
	global_store_b16 v[0:1], v3, off
.LBB34_135:
	s_mov_b32 s18, 0
.LBB34_136:
	s_delay_alu instid0(SALU_CYCLE_1)
	s_and_not1_b32 vcc_lo, exec_lo, s18
	s_cbranch_vccnz .LBB34_141
; %bb.137:
	s_wait_xcnt 0x0
	v_lshlrev_b32_e32 v2, 16, v2
	s_cmp_gt_i32 s13, 0
	s_mov_b32 s13, -1
	s_cbranch_scc0 .LBB34_139
; %bb.138:
	s_delay_alu instid0(VALU_DEP_1)
	v_cvt_i32_f32_e32 v3, v2
	s_mov_b32 s13, 0
	global_store_b8 v[0:1], v3, off
.LBB34_139:
	s_and_not1_b32 vcc_lo, exec_lo, s13
	s_cbranch_vccnz .LBB34_141
; %bb.140:
	v_trunc_f32_e32 v2, v2
	s_wait_xcnt 0x0
	s_delay_alu instid0(VALU_DEP_1) | instskip(NEXT) | instid1(VALU_DEP_1)
	v_mul_f32_e64 v3, 0x2f800000, |v2|
	v_floor_f32_e32 v3, v3
	s_delay_alu instid0(VALU_DEP_1) | instskip(SKIP_1) | instid1(VALU_DEP_2)
	v_fma_f32 v3, 0xcf800000, v3, |v2|
	v_ashrrev_i32_e32 v2, 31, v2
	v_cvt_u32_f32_e32 v3, v3
	s_delay_alu instid0(VALU_DEP_1) | instskip(NEXT) | instid1(VALU_DEP_1)
	v_xor_b32_e32 v3, v3, v2
	v_sub_nc_u32_e32 v2, v3, v2
	global_store_b8 v[0:1], v2, off
.LBB34_141:
.LBB34_142:
	v_add_nc_u32_e32 v4, 0x80, v4
	s_mov_b32 s18, -1
	s_branch .LBB34_253
.LBB34_143:
	s_mov_b32 s15, -1
                                        ; implicit-def: $vgpr2
.LBB34_144:
	s_mov_b32 s18, 0
.LBB34_145:
	s_delay_alu instid0(SALU_CYCLE_1)
	s_and_b32 vcc_lo, exec_lo, s18
	s_cbranch_vccz .LBB34_149
; %bb.146:
	s_cmp_eq_u32 s0, 29
	s_cbranch_scc0 .LBB34_148
; %bb.147:
	s_wait_loadcnt 0x0
	global_load_b64 v[2:3], v[0:1], off
	s_mov_b32 s13, -1
	s_mov_b32 s15, 0
	s_mov_b32 s18, 0
	s_wait_loadcnt 0x0
	v_clz_i32_u32_e32 v5, v3
	s_delay_alu instid0(VALU_DEP_1) | instskip(NEXT) | instid1(VALU_DEP_1)
	v_min_u32_e32 v5, 32, v5
	v_lshlrev_b64_e32 v[2:3], v5, v[2:3]
	s_delay_alu instid0(VALU_DEP_1) | instskip(NEXT) | instid1(VALU_DEP_1)
	v_min_u32_e32 v2, 1, v2
	v_dual_sub_nc_u32 v3, 32, v5 :: v_dual_bitop2_b32 v2, v3, v2 bitop3:0x54
	s_delay_alu instid0(VALU_DEP_1) | instskip(NEXT) | instid1(VALU_DEP_1)
	v_cvt_f32_u32_e32 v2, v2
	v_ldexp_f32 v2, v2, v3
	s_delay_alu instid0(VALU_DEP_1) | instskip(NEXT) | instid1(VALU_DEP_1)
	v_bfe_u32 v3, v2, 16, 1
	v_add3_u32 v2, v2, v3, 0x7fff
	s_delay_alu instid0(VALU_DEP_1)
	v_lshrrev_b32_e32 v2, 16, v2
	s_branch .LBB34_150
.LBB34_148:
	s_mov_b32 s15, -1
                                        ; implicit-def: $vgpr2
.LBB34_149:
	s_mov_b32 s18, 0
.LBB34_150:
	s_delay_alu instid0(SALU_CYCLE_1)
	s_and_b32 vcc_lo, exec_lo, s18
	s_cbranch_vccz .LBB34_168
; %bb.151:
	s_cmp_lt_i32 s0, 27
	s_cbranch_scc1 .LBB34_154
; %bb.152:
	s_cmp_gt_i32 s0, 27
	s_cbranch_scc0 .LBB34_155
; %bb.153:
	s_wait_loadcnt 0x0
	global_load_b32 v2, v[0:1], off
	s_mov_b32 s13, 0
	s_wait_loadcnt 0x0
	v_cvt_f32_u32_e32 v2, v2
	s_delay_alu instid0(VALU_DEP_1) | instskip(NEXT) | instid1(VALU_DEP_1)
	v_bfe_u32 v3, v2, 16, 1
	v_add3_u32 v2, v2, v3, 0x7fff
	s_delay_alu instid0(VALU_DEP_1)
	v_lshrrev_b32_e32 v2, 16, v2
	s_branch .LBB34_156
.LBB34_154:
	s_mov_b32 s13, -1
                                        ; implicit-def: $vgpr2
	s_branch .LBB34_159
.LBB34_155:
	s_mov_b32 s13, -1
                                        ; implicit-def: $vgpr2
.LBB34_156:
	s_delay_alu instid0(SALU_CYCLE_1)
	s_and_not1_b32 vcc_lo, exec_lo, s13
	s_cbranch_vccnz .LBB34_158
; %bb.157:
	s_wait_loadcnt 0x0
	global_load_u16 v2, v[0:1], off
	s_wait_loadcnt 0x0
	v_cvt_f32_u32_e32 v2, v2
	s_delay_alu instid0(VALU_DEP_1) | instskip(NEXT) | instid1(VALU_DEP_1)
	v_bfe_u32 v3, v2, 16, 1
	v_add3_u32 v2, v2, v3, 0x7fff
	s_delay_alu instid0(VALU_DEP_1)
	v_lshrrev_b32_e32 v2, 16, v2
.LBB34_158:
	s_mov_b32 s13, 0
.LBB34_159:
	s_delay_alu instid0(SALU_CYCLE_1)
	s_and_not1_b32 vcc_lo, exec_lo, s13
	s_cbranch_vccnz .LBB34_167
; %bb.160:
	s_wait_loadcnt 0x0
	global_load_u8 v2, v[0:1], off
	s_mov_b32 s13, 0
	s_mov_b32 s18, exec_lo
	s_wait_loadcnt 0x0
	v_cmpx_lt_i16_e32 0x7f, v2
	s_xor_b32 s18, exec_lo, s18
	s_cbranch_execz .LBB34_180
; %bb.161:
	s_mov_b32 s13, -1
	s_mov_b32 s19, exec_lo
	v_cmpx_eq_u16_e32 0x80, v2
; %bb.162:
	s_xor_b32 s13, exec_lo, -1
; %bb.163:
	s_or_b32 exec_lo, exec_lo, s19
	s_delay_alu instid0(SALU_CYCLE_1)
	s_and_b32 s13, s13, exec_lo
	s_or_saveexec_b32 s18, s18
	v_mov_b32_e32 v3, 0x7f800001
	s_xor_b32 exec_lo, exec_lo, s18
	s_cbranch_execnz .LBB34_181
.LBB34_164:
	s_or_b32 exec_lo, exec_lo, s18
	s_and_saveexec_b32 s18, s13
	s_cbranch_execz .LBB34_166
.LBB34_165:
	v_and_b32_e32 v3, 0xffff, v2
	s_delay_alu instid0(VALU_DEP_1) | instskip(SKIP_1) | instid1(VALU_DEP_2)
	v_and_b32_e32 v5, 7, v3
	v_bfe_u32 v8, v3, 3, 4
	v_clz_i32_u32_e32 v6, v5
	s_delay_alu instid0(VALU_DEP_2) | instskip(NEXT) | instid1(VALU_DEP_2)
	v_cmp_eq_u32_e32 vcc_lo, 0, v8
	v_min_u32_e32 v6, 32, v6
	s_delay_alu instid0(VALU_DEP_1) | instskip(NEXT) | instid1(VALU_DEP_1)
	v_subrev_nc_u32_e32 v7, 28, v6
	v_dual_lshlrev_b32 v3, v7, v3 :: v_dual_sub_nc_u32 v6, 29, v6
	s_delay_alu instid0(VALU_DEP_1) | instskip(NEXT) | instid1(VALU_DEP_1)
	v_dual_lshlrev_b32 v2, 24, v2 :: v_dual_bitop2_b32 v3, 7, v3 bitop3:0x40
	v_dual_cndmask_b32 v3, v5, v3 :: v_dual_cndmask_b32 v6, v8, v6
	s_delay_alu instid0(VALU_DEP_2) | instskip(NEXT) | instid1(VALU_DEP_2)
	v_and_b32_e32 v2, 0x80000000, v2
	v_lshlrev_b32_e32 v3, 20, v3
	s_delay_alu instid0(VALU_DEP_3) | instskip(NEXT) | instid1(VALU_DEP_1)
	v_lshl_add_u32 v5, v6, 23, 0x3b800000
	v_or3_b32 v3, v2, v5, v3
.LBB34_166:
	s_or_b32 exec_lo, exec_lo, s18
	s_delay_alu instid0(VALU_DEP_1) | instskip(SKIP_1) | instid1(VALU_DEP_2)
	v_bfe_u32 v2, v3, 16, 1
	v_cmp_o_f32_e32 vcc_lo, v3, v3
	v_add3_u32 v2, v3, v2, 0x7fff
	s_delay_alu instid0(VALU_DEP_1) | instskip(NEXT) | instid1(VALU_DEP_1)
	v_lshrrev_b32_e32 v2, 16, v2
	v_cndmask_b32_e32 v2, 0x7fc0, v2, vcc_lo
.LBB34_167:
	s_mov_b32 s13, -1
.LBB34_168:
	s_branch .LBB34_203
.LBB34_169:
	s_cmp_gt_i32 s0, 22
	s_cbranch_scc0 .LBB34_179
; %bb.170:
	s_cmp_lt_i32 s0, 24
	s_cbranch_scc1 .LBB34_182
; %bb.171:
	s_cmp_gt_i32 s0, 24
	s_cbranch_scc0 .LBB34_183
; %bb.172:
	s_wait_loadcnt 0x0
	global_load_u8 v2, v[0:1], off
	s_mov_b32 s13, 0
	s_mov_b32 s18, exec_lo
	s_wait_loadcnt 0x0
	v_cmpx_lt_i16_e32 0x7f, v2
	s_xor_b32 s18, exec_lo, s18
	s_cbranch_execz .LBB34_195
; %bb.173:
	s_mov_b32 s13, -1
	s_mov_b32 s19, exec_lo
	v_cmpx_eq_u16_e32 0x80, v2
; %bb.174:
	s_xor_b32 s13, exec_lo, -1
; %bb.175:
	s_or_b32 exec_lo, exec_lo, s19
	s_delay_alu instid0(SALU_CYCLE_1)
	s_and_b32 s13, s13, exec_lo
	s_or_saveexec_b32 s18, s18
	v_mov_b32_e32 v3, 0x7f800001
	s_xor_b32 exec_lo, exec_lo, s18
	s_cbranch_execnz .LBB34_196
.LBB34_176:
	s_or_b32 exec_lo, exec_lo, s18
	s_and_saveexec_b32 s18, s13
	s_cbranch_execz .LBB34_178
.LBB34_177:
	v_and_b32_e32 v3, 0xffff, v2
	s_delay_alu instid0(VALU_DEP_1) | instskip(SKIP_1) | instid1(VALU_DEP_2)
	v_and_b32_e32 v5, 3, v3
	v_bfe_u32 v8, v3, 2, 5
	v_clz_i32_u32_e32 v6, v5
	s_delay_alu instid0(VALU_DEP_2) | instskip(NEXT) | instid1(VALU_DEP_2)
	v_cmp_eq_u32_e32 vcc_lo, 0, v8
	v_min_u32_e32 v6, 32, v6
	s_delay_alu instid0(VALU_DEP_1) | instskip(NEXT) | instid1(VALU_DEP_1)
	v_subrev_nc_u32_e32 v7, 29, v6
	v_dual_lshlrev_b32 v3, v7, v3 :: v_dual_sub_nc_u32 v6, 30, v6
	s_delay_alu instid0(VALU_DEP_1) | instskip(NEXT) | instid1(VALU_DEP_1)
	v_dual_lshlrev_b32 v2, 24, v2 :: v_dual_bitop2_b32 v3, 3, v3 bitop3:0x40
	v_dual_cndmask_b32 v3, v5, v3 :: v_dual_cndmask_b32 v6, v8, v6
	s_delay_alu instid0(VALU_DEP_2) | instskip(NEXT) | instid1(VALU_DEP_2)
	v_and_b32_e32 v2, 0x80000000, v2
	v_lshlrev_b32_e32 v3, 21, v3
	s_delay_alu instid0(VALU_DEP_3) | instskip(NEXT) | instid1(VALU_DEP_1)
	v_lshl_add_u32 v5, v6, 23, 0x37800000
	v_or3_b32 v3, v2, v5, v3
.LBB34_178:
	s_or_b32 exec_lo, exec_lo, s18
	s_delay_alu instid0(VALU_DEP_1) | instskip(SKIP_2) | instid1(VALU_DEP_2)
	v_bfe_u32 v2, v3, 16, 1
	v_cmp_o_f32_e32 vcc_lo, v3, v3
	s_mov_b32 s13, 0
	v_add3_u32 v2, v3, v2, 0x7fff
	s_delay_alu instid0(VALU_DEP_1) | instskip(NEXT) | instid1(VALU_DEP_1)
	v_lshrrev_b32_e32 v2, 16, v2
	v_cndmask_b32_e32 v2, 0x7fc0, v2, vcc_lo
	s_branch .LBB34_184
.LBB34_179:
	s_mov_b32 s18, -1
                                        ; implicit-def: $vgpr2
	s_branch .LBB34_190
.LBB34_180:
	s_or_saveexec_b32 s18, s18
	v_mov_b32_e32 v3, 0x7f800001
	s_xor_b32 exec_lo, exec_lo, s18
	s_cbranch_execz .LBB34_164
.LBB34_181:
	v_cmp_ne_u16_e32 vcc_lo, 0, v2
	v_mov_b32_e32 v3, 0
	s_and_not1_b32 s13, s13, exec_lo
	s_and_b32 s19, vcc_lo, exec_lo
	s_delay_alu instid0(SALU_CYCLE_1)
	s_or_b32 s13, s13, s19
	s_or_b32 exec_lo, exec_lo, s18
	s_and_saveexec_b32 s18, s13
	s_cbranch_execnz .LBB34_165
	s_branch .LBB34_166
.LBB34_182:
	s_mov_b32 s13, -1
                                        ; implicit-def: $vgpr2
	s_branch .LBB34_187
.LBB34_183:
	s_mov_b32 s13, -1
                                        ; implicit-def: $vgpr2
.LBB34_184:
	s_delay_alu instid0(SALU_CYCLE_1)
	s_and_b32 vcc_lo, exec_lo, s13
	s_cbranch_vccz .LBB34_186
; %bb.185:
	s_wait_loadcnt 0x0
	global_load_u8 v2, v[0:1], off
	s_wait_loadcnt 0x0
	v_lshlrev_b32_e32 v2, 24, v2
	s_delay_alu instid0(VALU_DEP_1) | instskip(NEXT) | instid1(VALU_DEP_1)
	v_and_b32_e32 v3, 0x7f000000, v2
	v_clz_i32_u32_e32 v5, v3
	v_add_nc_u32_e32 v7, 0x1000000, v3
	v_cmp_ne_u32_e32 vcc_lo, 0, v3
	s_delay_alu instid0(VALU_DEP_3) | instskip(NEXT) | instid1(VALU_DEP_1)
	v_min_u32_e32 v5, 32, v5
	v_sub_nc_u32_e64 v5, v5, 4 clamp
	s_delay_alu instid0(VALU_DEP_1) | instskip(NEXT) | instid1(VALU_DEP_1)
	v_dual_lshlrev_b32 v6, v5, v3 :: v_dual_lshlrev_b32 v5, 23, v5
	v_lshrrev_b32_e32 v6, 4, v6
	s_delay_alu instid0(VALU_DEP_1) | instskip(NEXT) | instid1(VALU_DEP_1)
	v_dual_sub_nc_u32 v5, v6, v5 :: v_dual_ashrrev_i32 v6, 8, v7
	v_add_nc_u32_e32 v5, 0x3c000000, v5
	s_delay_alu instid0(VALU_DEP_1) | instskip(NEXT) | instid1(VALU_DEP_1)
	v_and_or_b32 v5, 0x7f800000, v6, v5
	v_cndmask_b32_e32 v3, 0, v5, vcc_lo
	s_delay_alu instid0(VALU_DEP_1) | instskip(SKIP_1) | instid1(VALU_DEP_2)
	v_and_or_b32 v2, 0x80000000, v2, v3
	v_bfe_u32 v3, v3, 16, 1
	v_cmp_o_f32_e32 vcc_lo, v2, v2
	s_delay_alu instid0(VALU_DEP_2) | instskip(NEXT) | instid1(VALU_DEP_1)
	v_add3_u32 v3, v2, v3, 0x7fff
	v_lshrrev_b32_e32 v3, 16, v3
	s_delay_alu instid0(VALU_DEP_1)
	v_cndmask_b32_e32 v2, 0x7fc0, v3, vcc_lo
.LBB34_186:
	s_mov_b32 s13, 0
.LBB34_187:
	s_delay_alu instid0(SALU_CYCLE_1)
	s_and_not1_b32 vcc_lo, exec_lo, s13
	s_cbranch_vccnz .LBB34_189
; %bb.188:
	s_wait_loadcnt 0x0
	global_load_u8 v2, v[0:1], off
	s_wait_loadcnt 0x0
	v_lshlrev_b32_e32 v3, 25, v2
	v_lshlrev_b16 v2, 8, v2
	s_delay_alu instid0(VALU_DEP_2) | instskip(NEXT) | instid1(VALU_DEP_2)
	v_cmp_gt_u32_e32 vcc_lo, 0x8000000, v3
	v_and_or_b32 v6, 0x7f00, v2, 0.5
	v_lshrrev_b32_e32 v5, 4, v3
	v_bfe_i32 v2, v2, 0, 16
	s_delay_alu instid0(VALU_DEP_3) | instskip(NEXT) | instid1(VALU_DEP_3)
	v_add_f32_e32 v6, -0.5, v6
	v_or_b32_e32 v5, 0x70000000, v5
	s_delay_alu instid0(VALU_DEP_1) | instskip(NEXT) | instid1(VALU_DEP_1)
	v_mul_f32_e32 v5, 0x7800000, v5
	v_cndmask_b32_e32 v3, v5, v6, vcc_lo
	s_delay_alu instid0(VALU_DEP_1) | instskip(SKIP_1) | instid1(VALU_DEP_2)
	v_and_or_b32 v2, 0x80000000, v2, v3
	v_bfe_u32 v3, v3, 16, 1
	v_cmp_o_f32_e32 vcc_lo, v2, v2
	s_delay_alu instid0(VALU_DEP_2) | instskip(NEXT) | instid1(VALU_DEP_1)
	v_add3_u32 v3, v2, v3, 0x7fff
	v_lshrrev_b32_e32 v3, 16, v3
	s_delay_alu instid0(VALU_DEP_1)
	v_cndmask_b32_e32 v2, 0x7fc0, v3, vcc_lo
.LBB34_189:
	s_mov_b32 s18, 0
	s_mov_b32 s13, -1
.LBB34_190:
	s_and_not1_b32 vcc_lo, exec_lo, s18
	s_cbranch_vccnz .LBB34_203
; %bb.191:
	s_cmp_gt_i32 s0, 14
	s_cbranch_scc0 .LBB34_194
; %bb.192:
	s_cmp_eq_u32 s0, 15
	s_cbranch_scc0 .LBB34_197
; %bb.193:
	s_wait_loadcnt 0x0
	global_load_u16 v2, v[0:1], off
	s_mov_b32 s13, -1
	s_mov_b32 s15, 0
	s_branch .LBB34_198
.LBB34_194:
	s_mov_b32 s18, -1
                                        ; implicit-def: $vgpr2
	s_branch .LBB34_199
.LBB34_195:
	s_or_saveexec_b32 s18, s18
	v_mov_b32_e32 v3, 0x7f800001
	s_xor_b32 exec_lo, exec_lo, s18
	s_cbranch_execz .LBB34_176
.LBB34_196:
	v_cmp_ne_u16_e32 vcc_lo, 0, v2
	v_mov_b32_e32 v3, 0
	s_and_not1_b32 s13, s13, exec_lo
	s_and_b32 s19, vcc_lo, exec_lo
	s_delay_alu instid0(SALU_CYCLE_1)
	s_or_b32 s13, s13, s19
	s_or_b32 exec_lo, exec_lo, s18
	s_and_saveexec_b32 s18, s13
	s_cbranch_execnz .LBB34_177
	s_branch .LBB34_178
.LBB34_197:
	s_mov_b32 s15, -1
                                        ; implicit-def: $vgpr2
.LBB34_198:
	s_mov_b32 s18, 0
.LBB34_199:
	s_delay_alu instid0(SALU_CYCLE_1)
	s_and_b32 vcc_lo, exec_lo, s18
	s_cbranch_vccz .LBB34_203
; %bb.200:
	s_cmp_eq_u32 s0, 11
	s_cbranch_scc0 .LBB34_202
; %bb.201:
	s_wait_loadcnt 0x0
	global_load_u8 v2, v[0:1], off
	s_mov_b32 s15, 0
	s_mov_b32 s13, -1
	s_wait_loadcnt 0x0
	v_cmp_ne_u16_e32 vcc_lo, 0, v2
	v_cndmask_b32_e64 v2, 0, 1.0, vcc_lo
	s_delay_alu instid0(VALU_DEP_1)
	v_lshrrev_b32_e32 v2, 16, v2
	s_branch .LBB34_203
.LBB34_202:
	s_mov_b32 s15, -1
                                        ; implicit-def: $vgpr2
.LBB34_203:
	s_branch .LBB34_10
.LBB34_204:
	s_cmp_lt_i32 s0, 5
	s_cbranch_scc1 .LBB34_209
; %bb.205:
	s_cmp_lt_i32 s0, 8
	s_cbranch_scc1 .LBB34_210
; %bb.206:
	;; [unrolled: 3-line block ×3, first 2 shown]
	s_cmp_gt_i32 s0, 9
	s_cbranch_scc0 .LBB34_212
; %bb.208:
	s_wait_loadcnt 0x0
	global_load_b64 v[2:3], v[0:1], off
	s_mov_b32 s13, 0
	s_wait_loadcnt 0x0
	v_cvt_f32_f64_e32 v2, v[2:3]
	s_delay_alu instid0(VALU_DEP_1) | instskip(SKIP_1) | instid1(VALU_DEP_2)
	v_bfe_u32 v3, v2, 16, 1
	v_cmp_o_f32_e32 vcc_lo, v2, v2
	v_add3_u32 v3, v2, v3, 0x7fff
	s_delay_alu instid0(VALU_DEP_1) | instskip(NEXT) | instid1(VALU_DEP_1)
	v_lshrrev_b32_e32 v3, 16, v3
	v_cndmask_b32_e32 v2, 0x7fc0, v3, vcc_lo
	s_branch .LBB34_213
.LBB34_209:
                                        ; implicit-def: $vgpr2
	s_branch .LBB34_231
.LBB34_210:
	s_mov_b32 s13, -1
                                        ; implicit-def: $vgpr2
	s_branch .LBB34_219
.LBB34_211:
	s_mov_b32 s13, -1
                                        ; implicit-def: $vgpr2
	s_branch .LBB34_216
.LBB34_212:
	s_mov_b32 s13, -1
                                        ; implicit-def: $vgpr2
.LBB34_213:
	s_delay_alu instid0(SALU_CYCLE_1)
	s_and_not1_b32 vcc_lo, exec_lo, s13
	s_cbranch_vccnz .LBB34_215
; %bb.214:
	s_wait_loadcnt 0x0
	global_load_b32 v2, v[0:1], off
	s_wait_loadcnt 0x0
	v_bfe_u32 v3, v2, 16, 1
	v_cmp_o_f32_e32 vcc_lo, v2, v2
	s_delay_alu instid0(VALU_DEP_2) | instskip(NEXT) | instid1(VALU_DEP_1)
	v_add3_u32 v3, v2, v3, 0x7fff
	v_lshrrev_b32_e32 v3, 16, v3
	s_delay_alu instid0(VALU_DEP_1)
	v_cndmask_b32_e32 v2, 0x7fc0, v3, vcc_lo
.LBB34_215:
	s_mov_b32 s13, 0
.LBB34_216:
	s_delay_alu instid0(SALU_CYCLE_1)
	s_and_not1_b32 vcc_lo, exec_lo, s13
	s_cbranch_vccnz .LBB34_218
; %bb.217:
	s_wait_loadcnt 0x0
	global_load_b32 v2, v[0:1], off
	s_wait_loadcnt 0x0
	v_cvt_f32_f16_e32 v3, v2
	v_cmp_o_f16_e32 vcc_lo, v2, v2
	s_delay_alu instid0(VALU_DEP_2) | instskip(NEXT) | instid1(VALU_DEP_1)
	v_bfe_u32 v5, v3, 16, 1
	v_add3_u32 v3, v3, v5, 0x7fff
	s_delay_alu instid0(VALU_DEP_1) | instskip(NEXT) | instid1(VALU_DEP_1)
	v_lshrrev_b32_e32 v3, 16, v3
	v_cndmask_b32_e32 v2, 0x7fc0, v3, vcc_lo
.LBB34_218:
	s_mov_b32 s13, 0
.LBB34_219:
	s_delay_alu instid0(SALU_CYCLE_1)
	s_and_not1_b32 vcc_lo, exec_lo, s13
	s_cbranch_vccnz .LBB34_230
; %bb.220:
	s_cmp_lt_i32 s0, 6
	s_cbranch_scc1 .LBB34_223
; %bb.221:
	s_cmp_gt_i32 s0, 6
	s_cbranch_scc0 .LBB34_224
; %bb.222:
	s_wait_loadcnt 0x0
	global_load_b64 v[2:3], v[0:1], off
	s_mov_b32 s13, 0
	s_wait_loadcnt 0x0
	v_cvt_f32_f64_e32 v2, v[2:3]
	s_delay_alu instid0(VALU_DEP_1) | instskip(SKIP_1) | instid1(VALU_DEP_2)
	v_bfe_u32 v3, v2, 16, 1
	v_cmp_o_f32_e32 vcc_lo, v2, v2
	v_add3_u32 v3, v2, v3, 0x7fff
	s_delay_alu instid0(VALU_DEP_1) | instskip(NEXT) | instid1(VALU_DEP_1)
	v_lshrrev_b32_e32 v3, 16, v3
	v_cndmask_b32_e32 v2, 0x7fc0, v3, vcc_lo
	s_branch .LBB34_225
.LBB34_223:
	s_mov_b32 s13, -1
                                        ; implicit-def: $vgpr2
	s_branch .LBB34_228
.LBB34_224:
	s_mov_b32 s13, -1
                                        ; implicit-def: $vgpr2
.LBB34_225:
	s_delay_alu instid0(SALU_CYCLE_1)
	s_and_not1_b32 vcc_lo, exec_lo, s13
	s_cbranch_vccnz .LBB34_227
; %bb.226:
	s_wait_loadcnt 0x0
	global_load_b32 v2, v[0:1], off
	s_wait_loadcnt 0x0
	v_bfe_u32 v3, v2, 16, 1
	v_cmp_o_f32_e32 vcc_lo, v2, v2
	s_delay_alu instid0(VALU_DEP_2) | instskip(NEXT) | instid1(VALU_DEP_1)
	v_add3_u32 v3, v2, v3, 0x7fff
	v_lshrrev_b32_e32 v3, 16, v3
	s_delay_alu instid0(VALU_DEP_1)
	v_cndmask_b32_e32 v2, 0x7fc0, v3, vcc_lo
.LBB34_227:
	s_mov_b32 s13, 0
.LBB34_228:
	s_delay_alu instid0(SALU_CYCLE_1)
	s_and_not1_b32 vcc_lo, exec_lo, s13
	s_cbranch_vccnz .LBB34_230
; %bb.229:
	s_wait_loadcnt 0x0
	global_load_u16 v2, v[0:1], off
	s_wait_loadcnt 0x0
	v_cvt_f32_f16_e32 v3, v2
	v_cmp_o_f16_e32 vcc_lo, v2, v2
	s_delay_alu instid0(VALU_DEP_2) | instskip(NEXT) | instid1(VALU_DEP_1)
	v_bfe_u32 v5, v3, 16, 1
	v_add3_u32 v3, v3, v5, 0x7fff
	s_delay_alu instid0(VALU_DEP_1) | instskip(NEXT) | instid1(VALU_DEP_1)
	v_lshrrev_b32_e32 v3, 16, v3
	v_cndmask_b32_e32 v2, 0x7fc0, v3, vcc_lo
.LBB34_230:
	s_cbranch_execnz .LBB34_250
.LBB34_231:
	s_cmp_lt_i32 s0, 2
	s_cbranch_scc1 .LBB34_235
; %bb.232:
	s_cmp_lt_i32 s0, 3
	s_cbranch_scc1 .LBB34_236
; %bb.233:
	s_cmp_gt_i32 s0, 3
	s_cbranch_scc0 .LBB34_237
; %bb.234:
	s_wait_loadcnt 0x0
	global_load_b64 v[2:3], v[0:1], off
	s_mov_b32 s13, 0
	s_wait_loadcnt 0x0
	v_xor_b32_e32 v5, v2, v3
	v_cls_i32_e32 v6, v3
	s_delay_alu instid0(VALU_DEP_2) | instskip(NEXT) | instid1(VALU_DEP_1)
	v_ashrrev_i32_e32 v5, 31, v5
	v_add_nc_u32_e32 v5, 32, v5
	s_delay_alu instid0(VALU_DEP_1) | instskip(NEXT) | instid1(VALU_DEP_1)
	v_add_min_u32_e64 v5, v6, -1, v5
	v_lshlrev_b64_e32 v[2:3], v5, v[2:3]
	s_delay_alu instid0(VALU_DEP_1) | instskip(NEXT) | instid1(VALU_DEP_1)
	v_min_u32_e32 v2, 1, v2
	v_dual_sub_nc_u32 v3, 32, v5 :: v_dual_bitop2_b32 v2, v3, v2 bitop3:0x54
	s_delay_alu instid0(VALU_DEP_1) | instskip(NEXT) | instid1(VALU_DEP_1)
	v_cvt_f32_i32_e32 v2, v2
	v_ldexp_f32 v2, v2, v3
	s_delay_alu instid0(VALU_DEP_1) | instskip(NEXT) | instid1(VALU_DEP_1)
	v_bfe_u32 v3, v2, 16, 1
	v_add3_u32 v2, v2, v3, 0x7fff
	s_delay_alu instid0(VALU_DEP_1)
	v_lshrrev_b32_e32 v2, 16, v2
	s_branch .LBB34_238
.LBB34_235:
	s_mov_b32 s13, -1
                                        ; implicit-def: $vgpr2
	s_branch .LBB34_244
.LBB34_236:
	s_mov_b32 s13, -1
                                        ; implicit-def: $vgpr2
	s_branch .LBB34_241
.LBB34_237:
	s_mov_b32 s13, -1
                                        ; implicit-def: $vgpr2
.LBB34_238:
	s_delay_alu instid0(SALU_CYCLE_1)
	s_and_not1_b32 vcc_lo, exec_lo, s13
	s_cbranch_vccnz .LBB34_240
; %bb.239:
	s_wait_loadcnt 0x0
	global_load_b32 v2, v[0:1], off
	s_wait_loadcnt 0x0
	v_cvt_f32_i32_e32 v2, v2
	s_delay_alu instid0(VALU_DEP_1) | instskip(NEXT) | instid1(VALU_DEP_1)
	v_bfe_u32 v3, v2, 16, 1
	v_add3_u32 v2, v2, v3, 0x7fff
	s_delay_alu instid0(VALU_DEP_1)
	v_lshrrev_b32_e32 v2, 16, v2
.LBB34_240:
	s_mov_b32 s13, 0
.LBB34_241:
	s_delay_alu instid0(SALU_CYCLE_1)
	s_and_not1_b32 vcc_lo, exec_lo, s13
	s_cbranch_vccnz .LBB34_243
; %bb.242:
	s_wait_loadcnt 0x0
	global_load_i16 v2, v[0:1], off
	s_wait_loadcnt 0x0
	v_cvt_f32_i32_e32 v2, v2
	s_delay_alu instid0(VALU_DEP_1) | instskip(NEXT) | instid1(VALU_DEP_1)
	v_bfe_u32 v3, v2, 16, 1
	v_add3_u32 v2, v2, v3, 0x7fff
	s_delay_alu instid0(VALU_DEP_1)
	v_lshrrev_b32_e32 v2, 16, v2
.LBB34_243:
	s_mov_b32 s13, 0
.LBB34_244:
	s_delay_alu instid0(SALU_CYCLE_1)
	s_and_not1_b32 vcc_lo, exec_lo, s13
	s_cbranch_vccnz .LBB34_250
; %bb.245:
	s_cmp_gt_i32 s0, 0
	s_mov_b32 s0, 0
	s_cbranch_scc0 .LBB34_247
; %bb.246:
	s_wait_loadcnt 0x0
	global_load_i8 v2, v[0:1], off
	s_wait_loadcnt 0x0
	v_cvt_f32_i32_e32 v2, v2
	s_delay_alu instid0(VALU_DEP_1) | instskip(NEXT) | instid1(VALU_DEP_1)
	v_bfe_u32 v3, v2, 16, 1
	v_add3_u32 v2, v2, v3, 0x7fff
	s_delay_alu instid0(VALU_DEP_1)
	v_lshrrev_b32_e32 v2, 16, v2
	s_branch .LBB34_248
.LBB34_247:
	s_mov_b32 s0, -1
                                        ; implicit-def: $vgpr2
.LBB34_248:
	s_delay_alu instid0(SALU_CYCLE_1)
	s_and_not1_b32 vcc_lo, exec_lo, s0
	s_cbranch_vccnz .LBB34_250
; %bb.249:
	global_load_u8 v0, v[0:1], off
	s_wait_loadcnt 0x0
	v_cvt_f32_ubyte0_e32 v0, v0
	s_delay_alu instid0(VALU_DEP_1) | instskip(NEXT) | instid1(VALU_DEP_1)
	v_bfe_u32 v1, v0, 16, 1
	v_add3_u32 v0, v0, v1, 0x7fff
	s_delay_alu instid0(VALU_DEP_1)
	v_lshrrev_b32_e32 v2, 16, v0
.LBB34_250:
	s_branch .LBB34_11
.LBB34_251:
	s_mov_b32 s0, 0
.LBB34_252:
	s_mov_b32 s18, 0
                                        ; implicit-def: $vgpr4
.LBB34_253:
	s_and_b32 s13, s0, exec_lo
	s_and_b32 s15, s15, exec_lo
	s_or_not1_b32 s19, s18, exec_lo
.LBB34_254:
	s_wait_xcnt 0x0
	s_or_b32 exec_lo, exec_lo, s16
	s_mov_b32 s18, 0
	s_mov_b32 s0, 0
                                        ; implicit-def: $vgpr0_vgpr1
                                        ; implicit-def: $vgpr3
	s_and_saveexec_b32 s16, s19
	s_cbranch_execz .LBB34_263
; %bb.255:
	s_mov_b32 s0, -1
	s_mov_b32 s17, s15
	s_mov_b32 s18, s13
	s_mov_b32 s19, exec_lo
	v_cmpx_gt_i32_e64 s14, v4
	s_cbranch_execz .LBB34_519
; %bb.256:
	v_mul_lo_u32 v0, v4, s9
	s_and_b32 s0, 0xffff, s3
	s_delay_alu instid0(SALU_CYCLE_1) | instskip(NEXT) | instid1(VALU_DEP_1)
	s_cmp_lt_i32 s0, 11
	v_ashrrev_i32_e32 v1, 31, v0
	s_delay_alu instid0(VALU_DEP_1)
	v_add_nc_u64_e32 v[0:1], s[6:7], v[0:1]
	s_cbranch_scc1 .LBB34_266
; %bb.257:
	s_cmp_gt_i32 s0, 25
	s_cbranch_scc0 .LBB34_277
; %bb.258:
	s_cmp_gt_i32 s0, 28
	s_cbranch_scc0 .LBB34_279
	;; [unrolled: 3-line block ×4, first 2 shown]
; %bb.261:
	s_cmp_eq_u32 s0, 46
	s_mov_b32 s20, 0
	s_cbranch_scc0 .LBB34_289
; %bb.262:
	s_wait_loadcnt 0x0
	global_load_b32 v2, v[0:1], off
	s_mov_b32 s18, -1
	s_mov_b32 s17, 0
	s_branch .LBB34_291
.LBB34_263:
	s_or_b32 exec_lo, exec_lo, s16
	s_mov_b32 s14, 0
	s_and_saveexec_b32 s16, s15
	s_cbranch_execnz .LBB34_869
.LBB34_264:
	s_or_b32 exec_lo, exec_lo, s16
	s_and_saveexec_b32 s15, s17
	s_delay_alu instid0(SALU_CYCLE_1)
	s_xor_b32 s15, exec_lo, s15
	s_cbranch_execz .LBB34_870
.LBB34_265:
	s_wait_loadcnt 0x0
	global_load_u8 v2, v[0:1], off
	s_or_b32 s0, s0, exec_lo
	s_wait_loadcnt 0x0
	v_cmp_ne_u16_e32 vcc_lo, 0, v2
	v_cndmask_b32_e64 v2, 0, 1.0, vcc_lo
	s_delay_alu instid0(VALU_DEP_1)
	v_lshrrev_b32_e32 v3, 16, v2
	s_wait_xcnt 0x0
	s_or_b32 exec_lo, exec_lo, s15
	s_and_saveexec_b32 s15, s18
	s_cbranch_execz .LBB34_916
	s_branch .LBB34_871
.LBB34_266:
	s_mov_b32 s18, 0
	s_mov_b32 s17, s15
                                        ; implicit-def: $vgpr2
	s_cbranch_execnz .LBB34_468
.LBB34_267:
	s_and_not1_b32 vcc_lo, exec_lo, s18
	s_cbranch_vccnz .LBB34_516
.LBB34_268:
	s_wait_loadcnt 0x0
	s_delay_alu instid0(VALU_DEP_1) | instskip(SKIP_2) | instid1(VALU_DEP_1)
	v_lshlrev_b32_e32 v2, 16, v2
	s_mov_b32 s0, exec_lo
	s_wait_xcnt 0x0
	v_mul_f32_e32 v0, s10, v2
	s_delay_alu instid0(VALU_DEP_1)
	v_cmpx_nlt_f32_e32 s11, v0
	s_cbranch_execz .LBB34_270
; %bb.269:
	v_mul_f32_e32 v1, 0x3fb8aa3b, v0
	v_cmp_ngt_f32_e32 vcc_lo, 0xc2ce8ed0, v0
	s_mov_b32 s18, 0x3e9b6dac
	s_delay_alu instid0(VALU_DEP_2) | instskip(SKIP_1) | instid1(VALU_DEP_2)
	v_rndne_f32_e32 v2, v1
	v_fma_f32 v3, 0x3fb8aa3b, v0, -v1
	v_sub_f32_e32 v1, v1, v2
	s_delay_alu instid0(VALU_DEP_2) | instskip(SKIP_1) | instid1(VALU_DEP_2)
	v_fmamk_f32 v3, v0, 0x32a5705f, v3
	v_cvt_i32_f32_e32 v2, v2
	v_add_f32_e32 v1, v1, v3
	s_delay_alu instid0(VALU_DEP_1) | instskip(SKIP_1) | instid1(TRANS32_DEP_1)
	v_exp_f32_e32 v1, v1
	v_nop
	v_ldexp_f32 v1, v1, v2
	s_delay_alu instid0(VALU_DEP_1) | instskip(SKIP_1) | instid1(VALU_DEP_2)
	v_cndmask_b32_e32 v1, 0, v1, vcc_lo
	v_cmp_nlt_f32_e32 vcc_lo, 0x42b17218, v0
	v_cndmask_b32_e32 v18, 0x7f800000, v1, vcc_lo
	s_delay_alu instid0(VALU_DEP_1) | instskip(NEXT) | instid1(VALU_DEP_1)
	v_add_f32_e32 v2, 1.0, v18
	v_cvt_f64_f32_e32 v[0:1], v2
	s_delay_alu instid0(VALU_DEP_1) | instskip(SKIP_1) | instid1(VALU_DEP_1)
	v_frexp_exp_i32_f64_e32 v0, v[0:1]
	v_frexp_mant_f32_e32 v1, v2
	v_cmp_gt_f32_e32 vcc_lo, 0x3f2aaaab, v1
	s_delay_alu instid0(VALU_DEP_3) | instskip(NEXT) | instid1(VALU_DEP_1)
	v_subrev_co_ci_u32_e64 v5, null, 0, v0, vcc_lo
	v_dual_add_f32 v0, -1.0, v2 :: v_dual_sub_nc_u32 v1, 0, v5
	s_delay_alu instid0(VALU_DEP_1) | instskip(NEXT) | instid1(VALU_DEP_2)
	v_dual_sub_f32 v3, v0, v2 :: v_dual_sub_f32 v0, v18, v0
	v_ldexp_f32 v2, v2, v1
	s_delay_alu instid0(VALU_DEP_1) | instskip(NEXT) | instid1(VALU_DEP_1)
	v_dual_add_f32 v3, 1.0, v3 :: v_dual_add_f32 v6, 1.0, v2
	v_dual_add_f32 v7, -1.0, v2 :: v_dual_add_f32 v0, v0, v3
	s_delay_alu instid0(VALU_DEP_2) | instskip(SKIP_1) | instid1(VALU_DEP_3)
	v_add_f32_e32 v3, -1.0, v6
	v_cmp_neq_f32_e32 vcc_lo, 0x7f800000, v18
	v_ldexp_f32 v0, v0, v1
	s_delay_alu instid0(VALU_DEP_3) | instskip(NEXT) | instid1(VALU_DEP_1)
	v_sub_f32_e32 v1, v2, v3
	v_dual_add_f32 v3, 1.0, v7 :: v_dual_add_f32 v8, v0, v1
	s_delay_alu instid0(VALU_DEP_1) | instskip(NEXT) | instid1(VALU_DEP_1)
	v_sub_f32_e32 v1, v2, v3
	v_dual_add_f32 v9, v6, v8 :: v_dual_add_f32 v10, v0, v1
	s_delay_alu instid0(VALU_DEP_1) | instskip(NEXT) | instid1(VALU_DEP_1)
	v_rcp_f32_e32 v11, v9
	v_dual_add_f32 v1, v7, v10 :: v_dual_sub_f32 v0, v6, v9
	s_delay_alu instid0(TRANS32_DEP_1) | instid1(VALU_DEP_1)
	v_dual_sub_f32 v13, v7, v1 :: v_dual_mul_f32 v12, v1, v11
	s_delay_alu instid0(VALU_DEP_2) | instskip(NEXT) | instid1(VALU_DEP_2)
	v_add_f32_e32 v8, v8, v0
	v_mul_f32_e32 v2, v9, v12
	s_delay_alu instid0(VALU_DEP_1) | instskip(NEXT) | instid1(VALU_DEP_1)
	v_fma_f32 v6, v12, v9, -v2
	v_fmac_f32_e32 v6, v12, v8
	s_delay_alu instid0(VALU_DEP_1) | instskip(NEXT) | instid1(VALU_DEP_1)
	v_add_f32_e32 v0, v2, v6
	v_dual_sub_f32 v3, v1, v0 :: v_dual_mov_b32 v7, v0
	s_delay_alu instid0(VALU_DEP_1) | instskip(SKIP_1) | instid1(VALU_DEP_2)
	v_pk_add_f32 v[0:1], v[0:1], v[2:3] neg_lo:[0,1] neg_hi:[0,1]
	v_add_f32_e32 v2, v10, v13
	v_pk_add_f32 v[0:1], v[0:1], v[6:7] neg_lo:[0,1] neg_hi:[0,1]
	s_delay_alu instid0(VALU_DEP_1) | instskip(NEXT) | instid1(VALU_DEP_1)
	v_add_f32_e32 v1, v2, v1
	v_add_f32_e32 v10, v0, v1
	s_delay_alu instid0(VALU_DEP_1) | instskip(NEXT) | instid1(VALU_DEP_1)
	v_add_f32_e32 v1, v3, v10
	v_mul_f32_e32 v13, v11, v1
	s_delay_alu instid0(VALU_DEP_1) | instskip(NEXT) | instid1(VALU_DEP_1)
	v_mul_f32_e32 v6, v9, v13
	v_fma_f32 v2, v13, v9, -v6
	s_delay_alu instid0(VALU_DEP_1) | instskip(NEXT) | instid1(VALU_DEP_1)
	v_dual_fmac_f32 v2, v13, v8 :: v_dual_sub_f32 v8, v3, v1
	v_add_f32_e32 v0, v6, v2
	s_delay_alu instid0(VALU_DEP_1) | instskip(NEXT) | instid1(VALU_DEP_1)
	v_dual_sub_f32 v7, v1, v0 :: v_dual_mov_b32 v3, v0
	v_pk_add_f32 v[0:1], v[0:1], v[6:7] neg_lo:[0,1] neg_hi:[0,1]
	s_delay_alu instid0(VALU_DEP_1) | instskip(SKIP_2) | instid1(VALU_DEP_2)
	v_pk_add_f32 v[0:1], v[0:1], v[2:3] neg_lo:[0,1] neg_hi:[0,1]
	v_add_f32_e32 v6, v10, v8
	v_cvt_f32_i32_e32 v2, v5
	v_add_f32_e32 v1, v6, v1
	s_delay_alu instid0(VALU_DEP_1) | instskip(NEXT) | instid1(VALU_DEP_1)
	v_add_f32_e32 v0, v0, v1
	v_dual_add_f32 v6, v12, v13 :: v_dual_add_f32 v0, v7, v0
	s_delay_alu instid0(VALU_DEP_1) | instskip(NEXT) | instid1(VALU_DEP_1)
	v_sub_f32_e32 v1, v6, v12
	v_dual_mul_f32 v0, v11, v0 :: v_dual_sub_f32 v1, v13, v1
	s_delay_alu instid0(VALU_DEP_1) | instskip(NEXT) | instid1(VALU_DEP_1)
	v_add_f32_e32 v8, v1, v0
	v_dual_mov_b32 v0, 0x3f317218 :: v_dual_add_f32 v7, v6, v8
	s_delay_alu instid0(VALU_DEP_1) | instskip(NEXT) | instid1(VALU_DEP_1)
	v_mul_f32_e32 v1, v7, v7
	v_fmaak_f32 v9, s18, v1, 0x3ecc95a3
	v_mul_f32_e32 v3, v7, v1
	s_delay_alu instid0(VALU_DEP_2) | instskip(NEXT) | instid1(VALU_DEP_1)
	v_fmaak_f32 v1, v1, v9, 0x3f2aaada
	v_pk_mul_f32 v[0:1], v[2:3], v[0:1]
	s_delay_alu instid0(VALU_DEP_1) | instskip(NEXT) | instid1(VALU_DEP_1)
	v_fma_f32 v5, 0x3f317218, v2, -v0
	v_dual_fmamk_f32 v2, v2, 0xb102e308, v5 :: v_dual_sub_f32 v5, v7, v6
	s_delay_alu instid0(VALU_DEP_1) | instskip(SKIP_2) | instid1(VALU_DEP_3)
	v_sub_f32_e32 v5, v8, v5
	v_ldexp_f32 v3, v7, 1
	v_mov_b32_e32 v8, v0
	v_ldexp_f32 v5, v5, 1
	s_delay_alu instid0(VALU_DEP_3) | instskip(NEXT) | instid1(VALU_DEP_1)
	v_pk_add_f32 v[6:7], v[0:1], v[2:3]
	v_dual_sub_f32 v3, v7, v3 :: v_dual_mov_b32 v16, v7
	s_delay_alu instid0(VALU_DEP_1) | instskip(NEXT) | instid1(VALU_DEP_3)
	v_sub_f32_e32 v3, v1, v3
	v_pk_add_f32 v[0:1], v[6:7], v[0:1] neg_lo:[0,1] neg_hi:[0,1]
	s_delay_alu instid0(VALU_DEP_2) | instskip(NEXT) | instid1(VALU_DEP_1)
	v_dual_add_f32 v9, v5, v3 :: v_dual_mov_b32 v3, v6
	v_pk_add_f32 v[10:11], v[6:7], v[8:9]
	s_delay_alu instid0(VALU_DEP_1) | instskip(NEXT) | instid1(VALU_DEP_1)
	v_mov_b32_e32 v1, v11
	v_pk_add_f32 v[12:13], v[2:3], v[0:1]
	v_mov_b32_e32 v12, v11
	v_pk_add_f32 v[0:1], v[2:3], v[0:1] neg_lo:[0,1] neg_hi:[0,1]
	s_delay_alu instid0(VALU_DEP_3) | instskip(NEXT) | instid1(VALU_DEP_1)
	v_dual_mov_b32 v8, v13 :: v_dual_mov_b32 v1, v13
	v_pk_add_f32 v[14:15], v[8:9], v[6:7] neg_lo:[0,1] neg_hi:[0,1]
	v_dual_mov_b32 v7, v6 :: v_dual_mov_b32 v6, v9
	s_delay_alu instid0(VALU_DEP_2) | instskip(NEXT) | instid1(VALU_DEP_1)
	v_dual_mov_b32 v5, v14 :: v_dual_mov_b32 v17, v14
	v_pk_add_f32 v[10:11], v[10:11], v[4:5] neg_lo:[0,1] neg_hi:[0,1]
	s_delay_alu instid0(VALU_DEP_2) | instskip(SKIP_1) | instid1(VALU_DEP_2)
	v_pk_add_f32 v[2:3], v[12:13], v[16:17] neg_lo:[0,1] neg_hi:[0,1]
	v_mov_b32_e32 v10, v0
	v_pk_add_f32 v[2:3], v[6:7], v[2:3] neg_lo:[0,1] neg_hi:[0,1]
	s_delay_alu instid0(VALU_DEP_1) | instskip(NEXT) | instid1(VALU_DEP_1)
	v_pk_add_f32 v[6:7], v[10:11], v[2:3]
	v_mov_b32_e32 v10, v7
	s_delay_alu instid0(VALU_DEP_1) | instskip(NEXT) | instid1(VALU_DEP_1)
	v_pk_add_f32 v[10:11], v[6:7], v[10:11]
	v_pk_add_f32 v[8:9], v[8:9], v[10:11]
	s_delay_alu instid0(VALU_DEP_1) | instskip(NEXT) | instid1(VALU_DEP_1)
	v_mov_b32_e32 v7, v8
	v_pk_add_f32 v[12:13], v[6:7], v[0:1] neg_lo:[0,1] neg_hi:[0,1]
	s_delay_alu instid0(VALU_DEP_1) | instskip(NEXT) | instid1(VALU_DEP_1)
	v_sub_f32_e32 v1, v6, v12
	v_dual_mov_b32 v3, v10 :: v_dual_sub_f32 v0, v0, v1
	s_delay_alu instid0(VALU_DEP_1) | instskip(NEXT) | instid1(VALU_DEP_1)
	v_pk_add_f32 v[2:3], v[2:3], v[12:13] neg_lo:[0,1] neg_hi:[0,1]
	v_add_f32_e32 v0, v2, v0
	s_delay_alu instid0(VALU_DEP_1) | instskip(NEXT) | instid1(VALU_DEP_1)
	v_add_f32_e32 v0, v0, v3
	v_add_f32_e32 v0, v8, v0
	s_delay_alu instid0(VALU_DEP_1) | instskip(SKIP_1) | instid1(VALU_DEP_2)
	v_cndmask_b32_e32 v0, 0x7f800000, v0, vcc_lo
	v_cmp_gt_f32_e64 vcc_lo, 0x33800000, |v18|
	v_cndmask_b32_e32 v0, v0, v18, vcc_lo
	s_delay_alu instid0(VALU_DEP_1) | instskip(NEXT) | instid1(VALU_DEP_1)
	v_div_scale_f32 v1, null, s10, s10, v0
	v_rcp_f32_e32 v2, v1
	v_nop
	s_delay_alu instid0(TRANS32_DEP_1) | instskip(NEXT) | instid1(VALU_DEP_1)
	v_fma_f32 v3, -v1, v2, 1.0
	v_fmac_f32_e32 v2, v3, v2
	v_div_scale_f32 v3, vcc_lo, v0, s10, v0
	s_delay_alu instid0(VALU_DEP_1) | instskip(NEXT) | instid1(VALU_DEP_1)
	v_mul_f32_e32 v5, v3, v2
	v_fma_f32 v6, -v1, v5, v3
	s_delay_alu instid0(VALU_DEP_1) | instskip(NEXT) | instid1(VALU_DEP_1)
	v_fmac_f32_e32 v5, v6, v2
	v_fma_f32 v1, -v1, v5, v3
	s_delay_alu instid0(VALU_DEP_1) | instskip(NEXT) | instid1(VALU_DEP_1)
	v_div_fmas_f32 v1, v1, v2, v5
	v_div_fixup_f32 v2, v1, s10, v0
.LBB34_270:
	s_or_b32 exec_lo, exec_lo, s0
	v_mul_lo_u32 v0, v4, s8
	s_delay_alu instid0(VALU_DEP_2) | instskip(SKIP_2) | instid1(SALU_CYCLE_1)
	v_bfe_u32 v1, v2, 16, 1
	v_cmp_o_f32_e32 vcc_lo, v2, v2
	s_and_b32 s18, s2, 0xff
	s_cmp_lt_i32 s18, 11
	s_delay_alu instid0(VALU_DEP_2) | instskip(NEXT) | instid1(VALU_DEP_1)
	v_add3_u32 v3, v2, v1, 0x7fff
	v_dual_ashrrev_i32 v1, 31, v0 :: v_dual_lshrrev_b32 v3, 16, v3
	s_delay_alu instid0(VALU_DEP_1) | instskip(NEXT) | instid1(VALU_DEP_2)
	v_add_nc_u64_e32 v[0:1], s[4:5], v[0:1]
	v_cndmask_b32_e32 v2, 0x7fc0, v3, vcc_lo
	s_cbranch_scc1 .LBB34_278
; %bb.271:
	s_and_b32 s20, 0xffff, s18
	s_delay_alu instid0(SALU_CYCLE_1)
	s_cmp_gt_i32 s20, 25
	s_cbranch_scc0 .LBB34_280
; %bb.272:
	s_cmp_gt_i32 s20, 28
	s_cbranch_scc0 .LBB34_282
; %bb.273:
	;; [unrolled: 3-line block ×4, first 2 shown]
	s_mov_b32 s22, 0
	s_mov_b32 s0, -1
	s_cmp_eq_u32 s20, 46
	s_mov_b32 s21, 0
	s_cbranch_scc0 .LBB34_295
; %bb.276:
	v_and_b32_e32 v3, 0xffff, v2
	s_mov_b32 s21, -1
	s_mov_b32 s0, 0
	global_store_b32 v[0:1], v3, off
	s_branch .LBB34_295
.LBB34_277:
	s_mov_b32 s20, -1
	s_mov_b32 s18, 0
	s_mov_b32 s17, s15
                                        ; implicit-def: $vgpr2
	s_branch .LBB34_432
.LBB34_278:
	s_mov_b32 s20, -1
	s_mov_b32 s21, 0
	s_mov_b32 s0, s13
	s_branch .LBB34_364
.LBB34_279:
	s_mov_b32 s20, -1
	s_mov_b32 s18, 0
	s_mov_b32 s17, s15
                                        ; implicit-def: $vgpr2
	s_branch .LBB34_413
.LBB34_280:
	s_mov_b32 s22, -1
	s_mov_b32 s21, 0
	s_mov_b32 s0, s13
	s_branch .LBB34_322
.LBB34_281:
	s_mov_b32 s20, -1
	s_mov_b32 s18, 0
	s_mov_b32 s17, s15
                                        ; implicit-def: $vgpr2
	s_branch .LBB34_408
.LBB34_282:
	s_mov_b32 s22, -1
	s_mov_b32 s21, 0
	s_mov_b32 s0, s13
	s_branch .LBB34_305
.LBB34_283:
	s_and_not1_saveexec_b32 s21, s21
	s_cbranch_execz .LBB34_56
.LBB34_284:
	v_add_f32_e64 v5, 0x46000000, |v6|
	s_and_not1_b32 s20, s20, exec_lo
	s_delay_alu instid0(VALU_DEP_1) | instskip(NEXT) | instid1(VALU_DEP_1)
	v_and_b32_e32 v5, 0xff, v5
	v_cmp_ne_u32_e32 vcc_lo, 0, v5
	s_and_b32 s22, vcc_lo, exec_lo
	s_delay_alu instid0(SALU_CYCLE_1)
	s_or_b32 s20, s20, s22
	s_or_b32 exec_lo, exec_lo, s21
	v_mov_b32_e32 v7, 0
	s_and_saveexec_b32 s21, s20
	s_cbranch_execnz .LBB34_57
	s_branch .LBB34_58
.LBB34_285:
	s_mov_b32 s20, -1
	s_mov_b32 s18, 0
	s_mov_b32 s17, s15
	s_branch .LBB34_290
.LBB34_286:
	s_mov_b32 s22, -1
	s_mov_b32 s21, 0
	s_mov_b32 s0, s13
	s_branch .LBB34_301
.LBB34_287:
	s_and_not1_saveexec_b32 s21, s21
	s_cbranch_execz .LBB34_69
.LBB34_288:
	v_add_f32_e64 v5, 0x42800000, |v6|
	s_and_not1_b32 s20, s20, exec_lo
	s_delay_alu instid0(VALU_DEP_1) | instskip(NEXT) | instid1(VALU_DEP_1)
	v_and_b32_e32 v5, 0xff, v5
	v_cmp_ne_u32_e32 vcc_lo, 0, v5
	s_and_b32 s22, vcc_lo, exec_lo
	s_delay_alu instid0(SALU_CYCLE_1)
	s_or_b32 s20, s20, s22
	s_or_b32 exec_lo, exec_lo, s21
	v_mov_b32_e32 v7, 0
	s_and_saveexec_b32 s21, s20
	s_cbranch_execnz .LBB34_70
	s_branch .LBB34_71
.LBB34_289:
	s_mov_b32 s17, -1
	s_mov_b32 s18, 0
.LBB34_290:
                                        ; implicit-def: $vgpr2
.LBB34_291:
	s_and_b32 vcc_lo, exec_lo, s20
	s_cbranch_vccz .LBB34_407
; %bb.292:
	s_cmp_eq_u32 s0, 44
	s_cbranch_scc0 .LBB34_406
; %bb.293:
	s_wait_loadcnt 0x0
	global_load_u8 v2, v[0:1], off
	s_mov_b32 s17, 0
	s_mov_b32 s18, -1
	s_wait_loadcnt 0x0
	v_lshlrev_b32_e32 v3, 23, v2
	v_cmp_ne_u32_e32 vcc_lo, 0xff, v2
	s_delay_alu instid0(VALU_DEP_2) | instskip(SKIP_1) | instid1(VALU_DEP_2)
	v_cndmask_b32_e32 v3, 0x7f800001, v3, vcc_lo
	v_cmp_ne_u32_e32 vcc_lo, 0, v2
	v_cndmask_b32_e32 v2, 0x400000, v3, vcc_lo
	s_delay_alu instid0(VALU_DEP_1) | instskip(NEXT) | instid1(VALU_DEP_1)
	v_add_nc_u32_e32 v3, 0x7fff, v2
	v_lshrrev_b32_e32 v3, 16, v3
	v_cmp_o_f32_e32 vcc_lo, v2, v2
	s_delay_alu instid0(VALU_DEP_2)
	v_cndmask_b32_e32 v2, 0x7fc0, v3, vcc_lo
	s_branch .LBB34_407
.LBB34_294:
	s_mov_b32 s22, -1
	s_mov_b32 s21, 0
	s_mov_b32 s0, s13
.LBB34_295:
	s_and_b32 vcc_lo, exec_lo, s22
	s_cbranch_vccz .LBB34_300
; %bb.296:
	s_cmp_eq_u32 s20, 44
	s_mov_b32 s0, -1
	s_cbranch_scc0 .LBB34_300
; %bb.297:
	s_wait_xcnt 0x0
	v_and_b32_e32 v3, 0xffff, v2
	v_mov_b32_e32 v5, 0xff
	s_mov_b32 s21, exec_lo
	s_delay_alu instid0(VALU_DEP_2) | instskip(NEXT) | instid1(VALU_DEP_1)
	v_bfe_u32 v6, v3, 7, 8
	v_cmpx_ne_u32_e32 0xff, v6
	s_cbranch_execz .LBB34_299
; %bb.298:
	v_dual_lshlrev_b32 v5, 16, v3 :: v_dual_bitop2_b32 v7, 64, v3 bitop3:0x40
	v_lshrrev_b32_e32 v3, 7, v3
	s_delay_alu instid0(VALU_DEP_2) | instskip(NEXT) | instid1(VALU_DEP_3)
	v_and_or_b32 v5, 0x3f0000, v5, v6
	v_cmp_ne_u32_e32 vcc_lo, 0, v7
	s_delay_alu instid0(VALU_DEP_2) | instskip(SKIP_1) | instid1(SALU_CYCLE_1)
	v_cmp_ne_u32_e64 s0, 0, v5
	s_and_b32 s0, vcc_lo, s0
	v_cndmask_b32_e64 v5, 0, 1, s0
	s_delay_alu instid0(VALU_DEP_1)
	v_add_nc_u32_e32 v5, v3, v5
.LBB34_299:
	s_or_b32 exec_lo, exec_lo, s21
	s_mov_b32 s21, -1
	s_mov_b32 s0, 0
	global_store_b8 v[0:1], v5, off
.LBB34_300:
	s_mov_b32 s22, 0
.LBB34_301:
	s_delay_alu instid0(SALU_CYCLE_1)
	s_and_b32 vcc_lo, exec_lo, s22
	s_cbranch_vccz .LBB34_304
; %bb.302:
	s_cmp_eq_u32 s20, 29
	s_mov_b32 s0, -1
	s_cbranch_scc0 .LBB34_304
; %bb.303:
	s_wait_xcnt 0x0
	v_lshlrev_b32_e32 v3, 16, v2
	s_mov_b32 s21, -1
	s_mov_b32 s0, 0
	s_mov_b32 s22, 0
	s_delay_alu instid0(VALU_DEP_1) | instskip(NEXT) | instid1(VALU_DEP_1)
	v_trunc_f32_e32 v3, v3
	v_mul_f32_e32 v5, 0x2f800000, v3
	s_delay_alu instid0(VALU_DEP_1) | instskip(NEXT) | instid1(VALU_DEP_1)
	v_floor_f32_e32 v5, v5
	v_fmamk_f32 v3, v5, 0xcf800000, v3
	v_cvt_u32_f32_e32 v7, v5
	s_delay_alu instid0(VALU_DEP_2)
	v_cvt_u32_f32_e32 v6, v3
	global_store_b64 v[0:1], v[6:7], off
	s_branch .LBB34_305
.LBB34_304:
	s_mov_b32 s22, 0
.LBB34_305:
	s_delay_alu instid0(SALU_CYCLE_1)
	s_and_b32 vcc_lo, exec_lo, s22
	s_cbranch_vccz .LBB34_321
; %bb.306:
	s_cmp_lt_i32 s20, 27
	s_mov_b32 s21, -1
	s_cbranch_scc1 .LBB34_312
; %bb.307:
	s_cmp_gt_i32 s20, 27
	s_cbranch_scc0 .LBB34_309
; %bb.308:
	s_wait_xcnt 0x0
	v_lshlrev_b32_e32 v3, 16, v2
	s_mov_b32 s21, 0
	s_delay_alu instid0(VALU_DEP_1)
	v_cvt_u32_f32_e32 v3, v3
	global_store_b32 v[0:1], v3, off
.LBB34_309:
	s_and_not1_b32 vcc_lo, exec_lo, s21
	s_cbranch_vccnz .LBB34_311
; %bb.310:
	s_wait_xcnt 0x0
	v_lshlrev_b32_e32 v3, 16, v2
	s_delay_alu instid0(VALU_DEP_1)
	v_cvt_u32_f32_e32 v3, v3
	global_store_b16 v[0:1], v3, off
.LBB34_311:
	s_mov_b32 s21, 0
.LBB34_312:
	s_delay_alu instid0(SALU_CYCLE_1)
	s_and_not1_b32 vcc_lo, exec_lo, s21
	s_cbranch_vccnz .LBB34_320
; %bb.313:
	s_wait_xcnt 0x0
	v_dual_mov_b32 v7, 0x80 :: v_dual_lshlrev_b32 v6, 16, v2
	s_mov_b32 s21, exec_lo
	s_delay_alu instid0(VALU_DEP_1) | instskip(NEXT) | instid1(VALU_DEP_1)
	v_and_b32_e32 v5, 0x7fffffff, v6
	v_cmpx_gt_u32_e32 0x43800000, v5
	s_cbranch_execz .LBB34_319
; %bb.314:
	v_and_b32_e32 v3, 0xffff, v2
	v_cmp_lt_u32_e32 vcc_lo, 0x3bffffff, v5
	s_mov_b32 s22, 0
                                        ; implicit-def: $vgpr5
	s_and_saveexec_b32 s23, vcc_lo
	s_delay_alu instid0(SALU_CYCLE_1)
	s_xor_b32 s23, exec_lo, s23
	s_cbranch_execz .LBB34_532
; %bb.315:
	v_bfe_u32 v5, v3, 4, 1
	s_mov_b32 s22, exec_lo
	s_delay_alu instid0(VALU_DEP_1) | instskip(NEXT) | instid1(VALU_DEP_1)
	v_add3_u32 v5, v6, v5, 0x487ffff
                                        ; implicit-def: $vgpr6
	v_lshrrev_b32_e32 v5, 20, v5
	s_and_not1_saveexec_b32 s23, s23
	s_cbranch_execnz .LBB34_533
.LBB34_316:
	s_or_b32 exec_lo, exec_lo, s23
	v_mov_b32_e32 v7, 0
	s_and_saveexec_b32 s23, s22
.LBB34_317:
	v_lshrrev_b32_e32 v3, 8, v3
	s_delay_alu instid0(VALU_DEP_1)
	v_and_or_b32 v7, 0x80, v3, v5
.LBB34_318:
	s_or_b32 exec_lo, exec_lo, s23
.LBB34_319:
	s_delay_alu instid0(SALU_CYCLE_1)
	s_or_b32 exec_lo, exec_lo, s21
	global_store_b8 v[0:1], v7, off
.LBB34_320:
	s_mov_b32 s21, -1
.LBB34_321:
	s_mov_b32 s22, 0
.LBB34_322:
	s_delay_alu instid0(SALU_CYCLE_1)
	s_and_b32 vcc_lo, exec_lo, s22
	s_cbranch_vccz .LBB34_363
; %bb.323:
	s_cmp_gt_i32 s20, 22
	s_mov_b32 s22, -1
	s_cbranch_scc0 .LBB34_355
; %bb.324:
	s_cmp_lt_i32 s20, 24
	s_mov_b32 s21, -1
	s_cbranch_scc1 .LBB34_344
; %bb.325:
	s_cmp_gt_i32 s20, 24
	s_cbranch_scc0 .LBB34_333
; %bb.326:
	s_wait_xcnt 0x0
	v_dual_mov_b32 v7, 0x80 :: v_dual_lshlrev_b32 v6, 16, v2
	s_mov_b32 s21, exec_lo
	s_delay_alu instid0(VALU_DEP_1) | instskip(NEXT) | instid1(VALU_DEP_1)
	v_and_b32_e32 v5, 0x7fffffff, v6
	v_cmpx_gt_u32_e32 0x47800000, v5
	s_cbranch_execz .LBB34_332
; %bb.327:
	v_and_b32_e32 v3, 0xffff, v2
	v_cmp_lt_u32_e32 vcc_lo, 0x37ffffff, v5
	s_mov_b32 s22, 0
                                        ; implicit-def: $vgpr5
	s_and_saveexec_b32 s23, vcc_lo
	s_delay_alu instid0(SALU_CYCLE_1)
	s_xor_b32 s23, exec_lo, s23
	s_cbranch_execz .LBB34_535
; %bb.328:
	v_bfe_u32 v5, v3, 5, 1
	s_mov_b32 s22, exec_lo
	s_delay_alu instid0(VALU_DEP_1) | instskip(NEXT) | instid1(VALU_DEP_1)
	v_add3_u32 v5, v6, v5, 0x88fffff
                                        ; implicit-def: $vgpr6
	v_lshrrev_b32_e32 v5, 21, v5
	s_and_not1_saveexec_b32 s23, s23
	s_cbranch_execnz .LBB34_536
.LBB34_329:
	s_or_b32 exec_lo, exec_lo, s23
	v_mov_b32_e32 v7, 0
	s_and_saveexec_b32 s23, s22
.LBB34_330:
	v_lshrrev_b32_e32 v3, 8, v3
	s_delay_alu instid0(VALU_DEP_1)
	v_and_or_b32 v7, 0x80, v3, v5
.LBB34_331:
	s_or_b32 exec_lo, exec_lo, s23
.LBB34_332:
	s_delay_alu instid0(SALU_CYCLE_1)
	s_or_b32 exec_lo, exec_lo, s21
	s_mov_b32 s21, 0
	global_store_b8 v[0:1], v7, off
.LBB34_333:
	s_and_b32 vcc_lo, exec_lo, s21
	s_cbranch_vccz .LBB34_343
; %bb.334:
	s_wait_xcnt 0x0
	v_lshlrev_b32_e32 v6, 16, v2
	v_and_b32_e32 v3, 0xffff, v2
	s_mov_b32 s21, exec_lo
                                        ; implicit-def: $vgpr5
	s_delay_alu instid0(VALU_DEP_2) | instskip(NEXT) | instid1(VALU_DEP_1)
	v_and_b32_e32 v7, 0x7fffffff, v6
	v_cmpx_gt_u32_e32 0x43f00000, v7
	s_xor_b32 s21, exec_lo, s21
	s_cbranch_execz .LBB34_340
; %bb.335:
	s_mov_b32 s22, exec_lo
                                        ; implicit-def: $vgpr5
	v_cmpx_lt_u32_e32 0x3c7fffff, v7
	s_xor_b32 s22, exec_lo, s22
; %bb.336:
	v_bfe_u32 v5, v3, 4, 1
	s_delay_alu instid0(VALU_DEP_1) | instskip(NEXT) | instid1(VALU_DEP_1)
	v_add3_u32 v5, v6, v5, 0x407ffff
	v_and_b32_e32 v6, 0xff00000, v5
	v_lshrrev_b32_e32 v5, 20, v5
	s_delay_alu instid0(VALU_DEP_2) | instskip(NEXT) | instid1(VALU_DEP_2)
	v_cmp_ne_u32_e32 vcc_lo, 0x7f00000, v6
                                        ; implicit-def: $vgpr6
	v_cndmask_b32_e32 v5, 0x7e, v5, vcc_lo
; %bb.337:
	s_and_not1_saveexec_b32 s22, s22
; %bb.338:
	v_add_f32_e64 v5, 0x46800000, |v6|
; %bb.339:
	s_or_b32 exec_lo, exec_lo, s22
                                        ; implicit-def: $vgpr7
.LBB34_340:
	s_and_not1_saveexec_b32 s21, s21
; %bb.341:
	v_mov_b32_e32 v5, 0x7f
	v_cmp_lt_u32_e32 vcc_lo, 0x7f800000, v7
	s_delay_alu instid0(VALU_DEP_2)
	v_cndmask_b32_e32 v5, 0x7e, v5, vcc_lo
; %bb.342:
	s_or_b32 exec_lo, exec_lo, s21
	v_lshrrev_b32_e32 v3, 8, v3
	s_delay_alu instid0(VALU_DEP_1)
	v_and_or_b32 v3, 0x80, v3, v5
	global_store_b8 v[0:1], v3, off
.LBB34_343:
	s_mov_b32 s21, 0
.LBB34_344:
	s_delay_alu instid0(SALU_CYCLE_1)
	s_and_not1_b32 vcc_lo, exec_lo, s21
	s_cbranch_vccnz .LBB34_354
; %bb.345:
	s_wait_xcnt 0x0
	v_lshlrev_b32_e32 v6, 16, v2
	v_and_b32_e32 v3, 0xffff, v2
	s_mov_b32 s21, exec_lo
                                        ; implicit-def: $vgpr5
	s_delay_alu instid0(VALU_DEP_2) | instskip(NEXT) | instid1(VALU_DEP_1)
	v_and_b32_e32 v7, 0x7fffffff, v6
	v_cmpx_gt_u32_e32 0x47800000, v7
	s_xor_b32 s21, exec_lo, s21
	s_cbranch_execz .LBB34_351
; %bb.346:
	s_mov_b32 s22, exec_lo
                                        ; implicit-def: $vgpr5
	v_cmpx_lt_u32_e32 0x387fffff, v7
	s_xor_b32 s22, exec_lo, s22
; %bb.347:
	v_bfe_u32 v5, v3, 5, 1
	s_delay_alu instid0(VALU_DEP_1) | instskip(NEXT) | instid1(VALU_DEP_1)
	v_add3_u32 v5, v6, v5, 0x80fffff
                                        ; implicit-def: $vgpr6
	v_lshrrev_b32_e32 v5, 21, v5
; %bb.348:
	s_and_not1_saveexec_b32 s22, s22
; %bb.349:
	v_add_f32_e64 v5, 0x43000000, |v6|
; %bb.350:
	s_or_b32 exec_lo, exec_lo, s22
                                        ; implicit-def: $vgpr7
.LBB34_351:
	s_and_not1_saveexec_b32 s21, s21
; %bb.352:
	v_mov_b32_e32 v5, 0x7f
	v_cmp_lt_u32_e32 vcc_lo, 0x7f800000, v7
	s_delay_alu instid0(VALU_DEP_2)
	v_cndmask_b32_e32 v5, 0x7c, v5, vcc_lo
; %bb.353:
	s_or_b32 exec_lo, exec_lo, s21
	v_lshrrev_b32_e32 v3, 8, v3
	s_delay_alu instid0(VALU_DEP_1)
	v_and_or_b32 v3, 0x80, v3, v5
	global_store_b8 v[0:1], v3, off
.LBB34_354:
	s_mov_b32 s22, 0
	s_mov_b32 s21, -1
.LBB34_355:
	s_and_not1_b32 vcc_lo, exec_lo, s22
	s_cbranch_vccnz .LBB34_363
; %bb.356:
	s_cmp_gt_i32 s20, 14
	s_mov_b32 s22, -1
	s_cbranch_scc0 .LBB34_360
; %bb.357:
	s_cmp_eq_u32 s20, 15
	s_mov_b32 s0, -1
	s_cbranch_scc0 .LBB34_359
; %bb.358:
	s_mov_b32 s21, -1
	s_mov_b32 s0, 0
	global_store_b16 v[0:1], v2, off
.LBB34_359:
	s_mov_b32 s22, 0
.LBB34_360:
	s_delay_alu instid0(SALU_CYCLE_1)
	s_and_b32 vcc_lo, exec_lo, s22
	s_cbranch_vccz .LBB34_363
; %bb.361:
	s_cmp_eq_u32 s20, 11
	s_mov_b32 s0, -1
	s_cbranch_scc0 .LBB34_363
; %bb.362:
	s_wait_xcnt 0x0
	v_and_b32_e32 v3, 0x7fff, v2
	s_mov_b32 s0, 0
	s_mov_b32 s21, -1
	s_delay_alu instid0(VALU_DEP_1)
	v_cmp_ne_u16_e32 vcc_lo, 0, v3
	v_cndmask_b32_e64 v3, 0, 1, vcc_lo
	global_store_b8 v[0:1], v3, off
.LBB34_363:
	s_mov_b32 s20, 0
.LBB34_364:
	s_delay_alu instid0(SALU_CYCLE_1)
	s_and_b32 vcc_lo, exec_lo, s20
	s_cbranch_vccz .LBB34_403
; %bb.365:
	s_and_b32 s18, 0xffff, s18
	s_mov_b32 s20, -1
	s_cmp_lt_i32 s18, 5
	s_cbranch_scc1 .LBB34_386
; %bb.366:
	s_cmp_lt_i32 s18, 8
	s_cbranch_scc1 .LBB34_376
; %bb.367:
	;; [unrolled: 3-line block ×3, first 2 shown]
	s_cmp_gt_i32 s18, 9
	s_cbranch_scc0 .LBB34_370
; %bb.369:
	s_wait_xcnt 0x0
	v_dual_mov_b32 v8, 0 :: v_dual_lshlrev_b32 v3, 16, v2
	s_mov_b32 s20, 0
	s_delay_alu instid0(VALU_DEP_1) | instskip(NEXT) | instid1(VALU_DEP_2)
	v_cvt_f64_f32_e32 v[6:7], v3
	v_mov_b32_e32 v9, v8
	global_store_b128 v[0:1], v[6:9], off
.LBB34_370:
	s_and_not1_b32 vcc_lo, exec_lo, s20
	s_cbranch_vccnz .LBB34_372
; %bb.371:
	s_wait_xcnt 0x0
	v_dual_mov_b32 v7, 0 :: v_dual_lshlrev_b32 v6, 16, v2
	global_store_b64 v[0:1], v[6:7], off
.LBB34_372:
	s_mov_b32 s20, 0
.LBB34_373:
	s_delay_alu instid0(SALU_CYCLE_1)
	s_and_not1_b32 vcc_lo, exec_lo, s20
	s_cbranch_vccnz .LBB34_375
; %bb.374:
	s_wait_xcnt 0x0
	v_lshlrev_b32_e32 v3, 16, v2
	s_delay_alu instid0(VALU_DEP_1) | instskip(NEXT) | instid1(VALU_DEP_1)
	v_cvt_f16_f32_e32 v3, v3
	v_and_b32_e32 v3, 0xffff, v3
	global_store_b32 v[0:1], v3, off
.LBB34_375:
	s_mov_b32 s20, 0
.LBB34_376:
	s_delay_alu instid0(SALU_CYCLE_1)
	s_and_not1_b32 vcc_lo, exec_lo, s20
	s_cbranch_vccnz .LBB34_385
; %bb.377:
	s_cmp_lt_i32 s18, 6
	s_mov_b32 s20, -1
	s_cbranch_scc1 .LBB34_383
; %bb.378:
	s_cmp_gt_i32 s18, 6
	s_cbranch_scc0 .LBB34_380
; %bb.379:
	s_wait_xcnt 0x0
	v_lshlrev_b32_e32 v3, 16, v2
	s_mov_b32 s20, 0
	s_delay_alu instid0(VALU_DEP_1)
	v_cvt_f64_f32_e32 v[6:7], v3
	global_store_b64 v[0:1], v[6:7], off
.LBB34_380:
	s_and_not1_b32 vcc_lo, exec_lo, s20
	s_cbranch_vccnz .LBB34_382
; %bb.381:
	s_wait_xcnt 0x0
	v_lshlrev_b32_e32 v3, 16, v2
	global_store_b32 v[0:1], v3, off
.LBB34_382:
	s_mov_b32 s20, 0
.LBB34_383:
	s_delay_alu instid0(SALU_CYCLE_1)
	s_and_not1_b32 vcc_lo, exec_lo, s20
	s_cbranch_vccnz .LBB34_385
; %bb.384:
	s_wait_xcnt 0x0
	v_lshlrev_b32_e32 v3, 16, v2
	s_delay_alu instid0(VALU_DEP_1)
	v_cvt_f16_f32_e32 v3, v3
	global_store_b16 v[0:1], v3, off
.LBB34_385:
	s_mov_b32 s20, 0
.LBB34_386:
	s_delay_alu instid0(SALU_CYCLE_1)
	s_and_not1_b32 vcc_lo, exec_lo, s20
	s_cbranch_vccnz .LBB34_402
; %bb.387:
	s_cmp_lt_i32 s18, 2
	s_mov_b32 s20, -1
	s_cbranch_scc1 .LBB34_397
; %bb.388:
	s_cmp_lt_i32 s18, 3
	s_cbranch_scc1 .LBB34_394
; %bb.389:
	s_cmp_gt_i32 s18, 3
	s_cbranch_scc0 .LBB34_391
; %bb.390:
	s_wait_xcnt 0x0
	v_lshlrev_b32_e32 v3, 16, v2
	s_mov_b32 s20, 0
	s_delay_alu instid0(VALU_DEP_1) | instskip(NEXT) | instid1(VALU_DEP_1)
	v_trunc_f32_e32 v3, v3
	v_mul_f32_e64 v5, 0x2f800000, |v3|
	v_ashrrev_i32_e32 v6, 31, v3
	s_delay_alu instid0(VALU_DEP_2) | instskip(NEXT) | instid1(VALU_DEP_1)
	v_floor_f32_e32 v5, v5
	v_fma_f32 v7, 0xcf800000, v5, |v3|
	v_cvt_u32_f32_e32 v3, v5
	s_delay_alu instid0(VALU_DEP_2) | instskip(NEXT) | instid1(VALU_DEP_2)
	v_cvt_u32_f32_e32 v5, v7
	v_dual_mov_b32 v7, v6 :: v_dual_bitop2_b32 v9, v3, v6 bitop3:0x14
	s_delay_alu instid0(VALU_DEP_2) | instskip(NEXT) | instid1(VALU_DEP_1)
	v_xor_b32_e32 v8, v5, v6
	v_sub_nc_u64_e32 v[6:7], v[8:9], v[6:7]
	global_store_b64 v[0:1], v[6:7], off
.LBB34_391:
	s_and_not1_b32 vcc_lo, exec_lo, s20
	s_cbranch_vccnz .LBB34_393
; %bb.392:
	s_wait_xcnt 0x0
	v_lshlrev_b32_e32 v3, 16, v2
	s_delay_alu instid0(VALU_DEP_1)
	v_cvt_i32_f32_e32 v3, v3
	global_store_b32 v[0:1], v3, off
.LBB34_393:
	s_mov_b32 s20, 0
.LBB34_394:
	s_delay_alu instid0(SALU_CYCLE_1)
	s_and_not1_b32 vcc_lo, exec_lo, s20
	s_cbranch_vccnz .LBB34_396
; %bb.395:
	s_wait_xcnt 0x0
	v_lshlrev_b32_e32 v3, 16, v2
	s_delay_alu instid0(VALU_DEP_1)
	v_cvt_i32_f32_e32 v3, v3
	global_store_b16 v[0:1], v3, off
.LBB34_396:
	s_mov_b32 s20, 0
.LBB34_397:
	s_delay_alu instid0(SALU_CYCLE_1)
	s_and_not1_b32 vcc_lo, exec_lo, s20
	s_cbranch_vccnz .LBB34_402
; %bb.398:
	s_wait_xcnt 0x0
	v_lshlrev_b32_e32 v2, 16, v2
	s_cmp_gt_i32 s18, 0
	s_mov_b32 s18, -1
	s_cbranch_scc0 .LBB34_400
; %bb.399:
	s_delay_alu instid0(VALU_DEP_1)
	v_cvt_i32_f32_e32 v3, v2
	s_mov_b32 s18, 0
	global_store_b8 v[0:1], v3, off
.LBB34_400:
	s_and_not1_b32 vcc_lo, exec_lo, s18
	s_cbranch_vccnz .LBB34_402
; %bb.401:
	v_trunc_f32_e32 v2, v2
	s_wait_xcnt 0x0
	s_delay_alu instid0(VALU_DEP_1) | instskip(NEXT) | instid1(VALU_DEP_1)
	v_mul_f32_e64 v3, 0x2f800000, |v2|
	v_floor_f32_e32 v3, v3
	s_delay_alu instid0(VALU_DEP_1) | instskip(SKIP_1) | instid1(VALU_DEP_2)
	v_fma_f32 v3, 0xcf800000, v3, |v2|
	v_ashrrev_i32_e32 v2, 31, v2
	v_cvt_u32_f32_e32 v3, v3
	s_delay_alu instid0(VALU_DEP_1) | instskip(NEXT) | instid1(VALU_DEP_1)
	v_xor_b32_e32 v3, v3, v2
	v_sub_nc_u32_e32 v2, v3, v2
	global_store_b8 v[0:1], v2, off
.LBB34_402:
	s_mov_b32 s21, -1
.LBB34_403:
	s_delay_alu instid0(SALU_CYCLE_1)
	s_and_not1_b32 vcc_lo, exec_lo, s21
	s_cbranch_vccnz .LBB34_405
; %bb.404:
	v_add_nc_u32_e32 v4, 0x80, v4
	s_mov_b32 s20, -1
	s_branch .LBB34_518
.LBB34_405:
	s_mov_b32 s20, 0
	s_branch .LBB34_517
.LBB34_406:
	s_mov_b32 s17, -1
                                        ; implicit-def: $vgpr2
.LBB34_407:
	s_mov_b32 s20, 0
.LBB34_408:
	s_delay_alu instid0(SALU_CYCLE_1)
	s_and_b32 vcc_lo, exec_lo, s20
	s_cbranch_vccz .LBB34_412
; %bb.409:
	s_cmp_eq_u32 s0, 29
	s_cbranch_scc0 .LBB34_411
; %bb.410:
	s_wait_loadcnt 0x0
	global_load_b64 v[2:3], v[0:1], off
	s_mov_b32 s18, -1
	s_mov_b32 s17, 0
	s_mov_b32 s20, 0
	s_wait_loadcnt 0x0
	v_clz_i32_u32_e32 v5, v3
	s_delay_alu instid0(VALU_DEP_1) | instskip(NEXT) | instid1(VALU_DEP_1)
	v_min_u32_e32 v5, 32, v5
	v_lshlrev_b64_e32 v[2:3], v5, v[2:3]
	s_delay_alu instid0(VALU_DEP_1) | instskip(NEXT) | instid1(VALU_DEP_1)
	v_min_u32_e32 v2, 1, v2
	v_dual_sub_nc_u32 v3, 32, v5 :: v_dual_bitop2_b32 v2, v3, v2 bitop3:0x54
	s_delay_alu instid0(VALU_DEP_1) | instskip(NEXT) | instid1(VALU_DEP_1)
	v_cvt_f32_u32_e32 v2, v2
	v_ldexp_f32 v2, v2, v3
	s_delay_alu instid0(VALU_DEP_1) | instskip(NEXT) | instid1(VALU_DEP_1)
	v_bfe_u32 v3, v2, 16, 1
	v_add3_u32 v2, v2, v3, 0x7fff
	s_delay_alu instid0(VALU_DEP_1)
	v_lshrrev_b32_e32 v2, 16, v2
	s_branch .LBB34_413
.LBB34_411:
	s_mov_b32 s17, -1
                                        ; implicit-def: $vgpr2
.LBB34_412:
	s_mov_b32 s20, 0
.LBB34_413:
	s_delay_alu instid0(SALU_CYCLE_1)
	s_and_b32 vcc_lo, exec_lo, s20
	s_cbranch_vccz .LBB34_431
; %bb.414:
	s_cmp_lt_i32 s0, 27
	s_cbranch_scc1 .LBB34_417
; %bb.415:
	s_cmp_gt_i32 s0, 27
	s_cbranch_scc0 .LBB34_418
; %bb.416:
	s_wait_loadcnt 0x0
	global_load_b32 v2, v[0:1], off
	s_mov_b32 s18, 0
	s_wait_loadcnt 0x0
	v_cvt_f32_u32_e32 v2, v2
	s_delay_alu instid0(VALU_DEP_1) | instskip(NEXT) | instid1(VALU_DEP_1)
	v_bfe_u32 v3, v2, 16, 1
	v_add3_u32 v2, v2, v3, 0x7fff
	s_delay_alu instid0(VALU_DEP_1)
	v_lshrrev_b32_e32 v2, 16, v2
	s_branch .LBB34_419
.LBB34_417:
	s_mov_b32 s18, -1
                                        ; implicit-def: $vgpr2
	s_branch .LBB34_422
.LBB34_418:
	s_mov_b32 s18, -1
                                        ; implicit-def: $vgpr2
.LBB34_419:
	s_delay_alu instid0(SALU_CYCLE_1)
	s_and_not1_b32 vcc_lo, exec_lo, s18
	s_cbranch_vccnz .LBB34_421
; %bb.420:
	s_wait_loadcnt 0x0
	global_load_u16 v2, v[0:1], off
	s_wait_loadcnt 0x0
	v_cvt_f32_u32_e32 v2, v2
	s_delay_alu instid0(VALU_DEP_1) | instskip(NEXT) | instid1(VALU_DEP_1)
	v_bfe_u32 v3, v2, 16, 1
	v_add3_u32 v2, v2, v3, 0x7fff
	s_delay_alu instid0(VALU_DEP_1)
	v_lshrrev_b32_e32 v2, 16, v2
.LBB34_421:
	s_mov_b32 s18, 0
.LBB34_422:
	s_delay_alu instid0(SALU_CYCLE_1)
	s_and_not1_b32 vcc_lo, exec_lo, s18
	s_cbranch_vccnz .LBB34_430
; %bb.423:
	s_wait_loadcnt 0x0
	global_load_u8 v2, v[0:1], off
	s_mov_b32 s18, 0
	s_mov_b32 s20, exec_lo
	s_wait_loadcnt 0x0
	v_cmpx_lt_i16_e32 0x7f, v2
	s_xor_b32 s20, exec_lo, s20
	s_cbranch_execz .LBB34_444
; %bb.424:
	s_mov_b32 s18, -1
	s_mov_b32 s21, exec_lo
	v_cmpx_eq_u16_e32 0x80, v2
; %bb.425:
	s_xor_b32 s18, exec_lo, -1
; %bb.426:
	s_or_b32 exec_lo, exec_lo, s21
	s_delay_alu instid0(SALU_CYCLE_1)
	s_and_b32 s18, s18, exec_lo
	s_or_saveexec_b32 s20, s20
	v_mov_b32_e32 v3, 0x7f800001
	s_xor_b32 exec_lo, exec_lo, s20
	s_cbranch_execnz .LBB34_445
.LBB34_427:
	s_or_b32 exec_lo, exec_lo, s20
	s_and_saveexec_b32 s20, s18
	s_cbranch_execz .LBB34_429
.LBB34_428:
	v_and_b32_e32 v3, 0xffff, v2
	s_delay_alu instid0(VALU_DEP_1) | instskip(SKIP_1) | instid1(VALU_DEP_2)
	v_and_b32_e32 v5, 7, v3
	v_bfe_u32 v8, v3, 3, 4
	v_clz_i32_u32_e32 v6, v5
	s_delay_alu instid0(VALU_DEP_2) | instskip(NEXT) | instid1(VALU_DEP_2)
	v_cmp_eq_u32_e32 vcc_lo, 0, v8
	v_min_u32_e32 v6, 32, v6
	s_delay_alu instid0(VALU_DEP_1) | instskip(NEXT) | instid1(VALU_DEP_1)
	v_subrev_nc_u32_e32 v7, 28, v6
	v_dual_lshlrev_b32 v3, v7, v3 :: v_dual_sub_nc_u32 v6, 29, v6
	s_delay_alu instid0(VALU_DEP_1) | instskip(NEXT) | instid1(VALU_DEP_1)
	v_dual_lshlrev_b32 v2, 24, v2 :: v_dual_bitop2_b32 v3, 7, v3 bitop3:0x40
	v_dual_cndmask_b32 v3, v5, v3 :: v_dual_cndmask_b32 v6, v8, v6
	s_delay_alu instid0(VALU_DEP_2) | instskip(NEXT) | instid1(VALU_DEP_2)
	v_and_b32_e32 v2, 0x80000000, v2
	v_lshlrev_b32_e32 v3, 20, v3
	s_delay_alu instid0(VALU_DEP_3) | instskip(NEXT) | instid1(VALU_DEP_1)
	v_lshl_add_u32 v5, v6, 23, 0x3b800000
	v_or3_b32 v3, v2, v5, v3
.LBB34_429:
	s_or_b32 exec_lo, exec_lo, s20
	s_delay_alu instid0(VALU_DEP_1) | instskip(SKIP_1) | instid1(VALU_DEP_2)
	v_bfe_u32 v2, v3, 16, 1
	v_cmp_o_f32_e32 vcc_lo, v3, v3
	v_add3_u32 v2, v3, v2, 0x7fff
	s_delay_alu instid0(VALU_DEP_1) | instskip(NEXT) | instid1(VALU_DEP_1)
	v_lshrrev_b32_e32 v2, 16, v2
	v_cndmask_b32_e32 v2, 0x7fc0, v2, vcc_lo
.LBB34_430:
	s_mov_b32 s18, -1
.LBB34_431:
	s_mov_b32 s20, 0
.LBB34_432:
	s_delay_alu instid0(SALU_CYCLE_1)
	s_and_b32 vcc_lo, exec_lo, s20
	s_cbranch_vccz .LBB34_467
; %bb.433:
	s_cmp_gt_i32 s0, 22
	s_cbranch_scc0 .LBB34_443
; %bb.434:
	s_cmp_lt_i32 s0, 24
	s_cbranch_scc1 .LBB34_446
; %bb.435:
	s_cmp_gt_i32 s0, 24
	s_cbranch_scc0 .LBB34_447
; %bb.436:
	s_wait_loadcnt 0x0
	global_load_u8 v2, v[0:1], off
	s_mov_b32 s18, 0
	s_mov_b32 s20, exec_lo
	s_wait_loadcnt 0x0
	v_cmpx_lt_i16_e32 0x7f, v2
	s_xor_b32 s20, exec_lo, s20
	s_cbranch_execz .LBB34_459
; %bb.437:
	s_mov_b32 s18, -1
	s_mov_b32 s21, exec_lo
	v_cmpx_eq_u16_e32 0x80, v2
; %bb.438:
	s_xor_b32 s18, exec_lo, -1
; %bb.439:
	s_or_b32 exec_lo, exec_lo, s21
	s_delay_alu instid0(SALU_CYCLE_1)
	s_and_b32 s18, s18, exec_lo
	s_or_saveexec_b32 s20, s20
	v_mov_b32_e32 v3, 0x7f800001
	s_xor_b32 exec_lo, exec_lo, s20
	s_cbranch_execnz .LBB34_460
.LBB34_440:
	s_or_b32 exec_lo, exec_lo, s20
	s_and_saveexec_b32 s20, s18
	s_cbranch_execz .LBB34_442
.LBB34_441:
	v_and_b32_e32 v3, 0xffff, v2
	s_delay_alu instid0(VALU_DEP_1) | instskip(SKIP_1) | instid1(VALU_DEP_2)
	v_and_b32_e32 v5, 3, v3
	v_bfe_u32 v8, v3, 2, 5
	v_clz_i32_u32_e32 v6, v5
	s_delay_alu instid0(VALU_DEP_2) | instskip(NEXT) | instid1(VALU_DEP_2)
	v_cmp_eq_u32_e32 vcc_lo, 0, v8
	v_min_u32_e32 v6, 32, v6
	s_delay_alu instid0(VALU_DEP_1) | instskip(NEXT) | instid1(VALU_DEP_1)
	v_subrev_nc_u32_e32 v7, 29, v6
	v_dual_lshlrev_b32 v3, v7, v3 :: v_dual_sub_nc_u32 v6, 30, v6
	s_delay_alu instid0(VALU_DEP_1) | instskip(NEXT) | instid1(VALU_DEP_1)
	v_dual_lshlrev_b32 v2, 24, v2 :: v_dual_bitop2_b32 v3, 3, v3 bitop3:0x40
	v_dual_cndmask_b32 v3, v5, v3 :: v_dual_cndmask_b32 v6, v8, v6
	s_delay_alu instid0(VALU_DEP_2) | instskip(NEXT) | instid1(VALU_DEP_2)
	v_and_b32_e32 v2, 0x80000000, v2
	v_lshlrev_b32_e32 v3, 21, v3
	s_delay_alu instid0(VALU_DEP_3) | instskip(NEXT) | instid1(VALU_DEP_1)
	v_lshl_add_u32 v5, v6, 23, 0x37800000
	v_or3_b32 v3, v2, v5, v3
.LBB34_442:
	s_or_b32 exec_lo, exec_lo, s20
	s_delay_alu instid0(VALU_DEP_1) | instskip(SKIP_2) | instid1(VALU_DEP_2)
	v_bfe_u32 v2, v3, 16, 1
	v_cmp_o_f32_e32 vcc_lo, v3, v3
	s_mov_b32 s18, 0
	v_add3_u32 v2, v3, v2, 0x7fff
	s_delay_alu instid0(VALU_DEP_1) | instskip(NEXT) | instid1(VALU_DEP_1)
	v_lshrrev_b32_e32 v2, 16, v2
	v_cndmask_b32_e32 v2, 0x7fc0, v2, vcc_lo
	s_branch .LBB34_448
.LBB34_443:
	s_mov_b32 s20, -1
                                        ; implicit-def: $vgpr2
	s_branch .LBB34_454
.LBB34_444:
	s_or_saveexec_b32 s20, s20
	v_mov_b32_e32 v3, 0x7f800001
	s_xor_b32 exec_lo, exec_lo, s20
	s_cbranch_execz .LBB34_427
.LBB34_445:
	v_cmp_ne_u16_e32 vcc_lo, 0, v2
	v_mov_b32_e32 v3, 0
	s_and_not1_b32 s18, s18, exec_lo
	s_and_b32 s21, vcc_lo, exec_lo
	s_delay_alu instid0(SALU_CYCLE_1)
	s_or_b32 s18, s18, s21
	s_or_b32 exec_lo, exec_lo, s20
	s_and_saveexec_b32 s20, s18
	s_cbranch_execnz .LBB34_428
	s_branch .LBB34_429
.LBB34_446:
	s_mov_b32 s18, -1
                                        ; implicit-def: $vgpr2
	s_branch .LBB34_451
.LBB34_447:
	s_mov_b32 s18, -1
                                        ; implicit-def: $vgpr2
.LBB34_448:
	s_delay_alu instid0(SALU_CYCLE_1)
	s_and_b32 vcc_lo, exec_lo, s18
	s_cbranch_vccz .LBB34_450
; %bb.449:
	s_wait_loadcnt 0x0
	global_load_u8 v2, v[0:1], off
	s_wait_loadcnt 0x0
	v_lshlrev_b32_e32 v2, 24, v2
	s_delay_alu instid0(VALU_DEP_1) | instskip(NEXT) | instid1(VALU_DEP_1)
	v_and_b32_e32 v3, 0x7f000000, v2
	v_clz_i32_u32_e32 v5, v3
	v_add_nc_u32_e32 v7, 0x1000000, v3
	v_cmp_ne_u32_e32 vcc_lo, 0, v3
	s_delay_alu instid0(VALU_DEP_3) | instskip(NEXT) | instid1(VALU_DEP_1)
	v_min_u32_e32 v5, 32, v5
	v_sub_nc_u32_e64 v5, v5, 4 clamp
	s_delay_alu instid0(VALU_DEP_1) | instskip(NEXT) | instid1(VALU_DEP_1)
	v_dual_lshlrev_b32 v6, v5, v3 :: v_dual_lshlrev_b32 v5, 23, v5
	v_lshrrev_b32_e32 v6, 4, v6
	s_delay_alu instid0(VALU_DEP_1) | instskip(NEXT) | instid1(VALU_DEP_1)
	v_dual_sub_nc_u32 v5, v6, v5 :: v_dual_ashrrev_i32 v6, 8, v7
	v_add_nc_u32_e32 v5, 0x3c000000, v5
	s_delay_alu instid0(VALU_DEP_1) | instskip(NEXT) | instid1(VALU_DEP_1)
	v_and_or_b32 v5, 0x7f800000, v6, v5
	v_cndmask_b32_e32 v3, 0, v5, vcc_lo
	s_delay_alu instid0(VALU_DEP_1) | instskip(SKIP_1) | instid1(VALU_DEP_2)
	v_and_or_b32 v2, 0x80000000, v2, v3
	v_bfe_u32 v3, v3, 16, 1
	v_cmp_o_f32_e32 vcc_lo, v2, v2
	s_delay_alu instid0(VALU_DEP_2) | instskip(NEXT) | instid1(VALU_DEP_1)
	v_add3_u32 v3, v2, v3, 0x7fff
	v_lshrrev_b32_e32 v3, 16, v3
	s_delay_alu instid0(VALU_DEP_1)
	v_cndmask_b32_e32 v2, 0x7fc0, v3, vcc_lo
.LBB34_450:
	s_mov_b32 s18, 0
.LBB34_451:
	s_delay_alu instid0(SALU_CYCLE_1)
	s_and_not1_b32 vcc_lo, exec_lo, s18
	s_cbranch_vccnz .LBB34_453
; %bb.452:
	s_wait_loadcnt 0x0
	global_load_u8 v2, v[0:1], off
	s_wait_loadcnt 0x0
	v_lshlrev_b32_e32 v3, 25, v2
	v_lshlrev_b16 v2, 8, v2
	s_delay_alu instid0(VALU_DEP_2) | instskip(NEXT) | instid1(VALU_DEP_2)
	v_cmp_gt_u32_e32 vcc_lo, 0x8000000, v3
	v_and_or_b32 v6, 0x7f00, v2, 0.5
	v_lshrrev_b32_e32 v5, 4, v3
	v_bfe_i32 v2, v2, 0, 16
	s_delay_alu instid0(VALU_DEP_3) | instskip(NEXT) | instid1(VALU_DEP_3)
	v_add_f32_e32 v6, -0.5, v6
	v_or_b32_e32 v5, 0x70000000, v5
	s_delay_alu instid0(VALU_DEP_1) | instskip(NEXT) | instid1(VALU_DEP_1)
	v_mul_f32_e32 v5, 0x7800000, v5
	v_cndmask_b32_e32 v3, v5, v6, vcc_lo
	s_delay_alu instid0(VALU_DEP_1) | instskip(SKIP_1) | instid1(VALU_DEP_2)
	v_and_or_b32 v2, 0x80000000, v2, v3
	v_bfe_u32 v3, v3, 16, 1
	v_cmp_o_f32_e32 vcc_lo, v2, v2
	s_delay_alu instid0(VALU_DEP_2) | instskip(NEXT) | instid1(VALU_DEP_1)
	v_add3_u32 v3, v2, v3, 0x7fff
	v_lshrrev_b32_e32 v3, 16, v3
	s_delay_alu instid0(VALU_DEP_1)
	v_cndmask_b32_e32 v2, 0x7fc0, v3, vcc_lo
.LBB34_453:
	s_mov_b32 s20, 0
	s_mov_b32 s18, -1
.LBB34_454:
	s_and_not1_b32 vcc_lo, exec_lo, s20
	s_cbranch_vccnz .LBB34_467
; %bb.455:
	s_cmp_gt_i32 s0, 14
	s_cbranch_scc0 .LBB34_458
; %bb.456:
	s_cmp_eq_u32 s0, 15
	s_cbranch_scc0 .LBB34_461
; %bb.457:
	s_wait_loadcnt 0x0
	global_load_u16 v2, v[0:1], off
	s_mov_b32 s18, -1
	s_mov_b32 s17, 0
	s_branch .LBB34_462
.LBB34_458:
	s_mov_b32 s20, -1
                                        ; implicit-def: $vgpr2
	s_branch .LBB34_463
.LBB34_459:
	s_or_saveexec_b32 s20, s20
	v_mov_b32_e32 v3, 0x7f800001
	s_xor_b32 exec_lo, exec_lo, s20
	s_cbranch_execz .LBB34_440
.LBB34_460:
	v_cmp_ne_u16_e32 vcc_lo, 0, v2
	v_mov_b32_e32 v3, 0
	s_and_not1_b32 s18, s18, exec_lo
	s_and_b32 s21, vcc_lo, exec_lo
	s_delay_alu instid0(SALU_CYCLE_1)
	s_or_b32 s18, s18, s21
	s_or_b32 exec_lo, exec_lo, s20
	s_and_saveexec_b32 s20, s18
	s_cbranch_execnz .LBB34_441
	s_branch .LBB34_442
.LBB34_461:
	s_mov_b32 s17, -1
                                        ; implicit-def: $vgpr2
.LBB34_462:
	s_mov_b32 s20, 0
.LBB34_463:
	s_delay_alu instid0(SALU_CYCLE_1)
	s_and_b32 vcc_lo, exec_lo, s20
	s_cbranch_vccz .LBB34_467
; %bb.464:
	s_cmp_eq_u32 s0, 11
	s_cbranch_scc0 .LBB34_466
; %bb.465:
	s_wait_loadcnt 0x0
	global_load_u8 v2, v[0:1], off
	s_mov_b32 s17, 0
	s_mov_b32 s18, -1
	s_wait_loadcnt 0x0
	v_cmp_ne_u16_e32 vcc_lo, 0, v2
	v_cndmask_b32_e64 v2, 0, 1.0, vcc_lo
	s_delay_alu instid0(VALU_DEP_1)
	v_lshrrev_b32_e32 v2, 16, v2
	s_branch .LBB34_467
.LBB34_466:
	s_mov_b32 s17, -1
                                        ; implicit-def: $vgpr2
.LBB34_467:
	s_branch .LBB34_267
.LBB34_468:
	s_cmp_lt_i32 s0, 5
	s_cbranch_scc1 .LBB34_473
; %bb.469:
	s_cmp_lt_i32 s0, 8
	s_cbranch_scc1 .LBB34_474
; %bb.470:
	s_cmp_lt_i32 s0, 9
	s_cbranch_scc1 .LBB34_475
; %bb.471:
	s_cmp_gt_i32 s0, 9
	s_cbranch_scc0 .LBB34_476
; %bb.472:
	s_wait_loadcnt 0x0
	global_load_b64 v[2:3], v[0:1], off
	s_mov_b32 s18, 0
	s_wait_loadcnt 0x0
	v_cvt_f32_f64_e32 v2, v[2:3]
	s_delay_alu instid0(VALU_DEP_1) | instskip(SKIP_1) | instid1(VALU_DEP_2)
	v_bfe_u32 v3, v2, 16, 1
	v_cmp_o_f32_e32 vcc_lo, v2, v2
	v_add3_u32 v3, v2, v3, 0x7fff
	s_delay_alu instid0(VALU_DEP_1) | instskip(NEXT) | instid1(VALU_DEP_1)
	v_lshrrev_b32_e32 v3, 16, v3
	v_cndmask_b32_e32 v2, 0x7fc0, v3, vcc_lo
	s_branch .LBB34_477
.LBB34_473:
	s_mov_b32 s18, -1
                                        ; implicit-def: $vgpr2
	s_branch .LBB34_495
.LBB34_474:
	s_mov_b32 s18, -1
                                        ; implicit-def: $vgpr2
	s_branch .LBB34_483
.LBB34_475:
	s_mov_b32 s18, -1
                                        ; implicit-def: $vgpr2
	s_branch .LBB34_480
.LBB34_476:
	s_mov_b32 s18, -1
                                        ; implicit-def: $vgpr2
.LBB34_477:
	s_delay_alu instid0(SALU_CYCLE_1)
	s_and_not1_b32 vcc_lo, exec_lo, s18
	s_cbranch_vccnz .LBB34_479
; %bb.478:
	s_wait_loadcnt 0x0
	global_load_b32 v2, v[0:1], off
	s_wait_loadcnt 0x0
	v_bfe_u32 v3, v2, 16, 1
	v_cmp_o_f32_e32 vcc_lo, v2, v2
	s_delay_alu instid0(VALU_DEP_2) | instskip(NEXT) | instid1(VALU_DEP_1)
	v_add3_u32 v3, v2, v3, 0x7fff
	v_lshrrev_b32_e32 v3, 16, v3
	s_delay_alu instid0(VALU_DEP_1)
	v_cndmask_b32_e32 v2, 0x7fc0, v3, vcc_lo
.LBB34_479:
	s_mov_b32 s18, 0
.LBB34_480:
	s_delay_alu instid0(SALU_CYCLE_1)
	s_and_not1_b32 vcc_lo, exec_lo, s18
	s_cbranch_vccnz .LBB34_482
; %bb.481:
	s_wait_loadcnt 0x0
	global_load_b32 v2, v[0:1], off
	s_wait_loadcnt 0x0
	v_cvt_f32_f16_e32 v3, v2
	v_cmp_o_f16_e32 vcc_lo, v2, v2
	s_delay_alu instid0(VALU_DEP_2) | instskip(NEXT) | instid1(VALU_DEP_1)
	v_bfe_u32 v5, v3, 16, 1
	v_add3_u32 v3, v3, v5, 0x7fff
	s_delay_alu instid0(VALU_DEP_1) | instskip(NEXT) | instid1(VALU_DEP_1)
	v_lshrrev_b32_e32 v3, 16, v3
	v_cndmask_b32_e32 v2, 0x7fc0, v3, vcc_lo
.LBB34_482:
	s_mov_b32 s18, 0
.LBB34_483:
	s_delay_alu instid0(SALU_CYCLE_1)
	s_and_not1_b32 vcc_lo, exec_lo, s18
	s_cbranch_vccnz .LBB34_494
; %bb.484:
	s_cmp_lt_i32 s0, 6
	s_cbranch_scc1 .LBB34_487
; %bb.485:
	s_cmp_gt_i32 s0, 6
	s_cbranch_scc0 .LBB34_488
; %bb.486:
	s_wait_loadcnt 0x0
	global_load_b64 v[2:3], v[0:1], off
	s_mov_b32 s18, 0
	s_wait_loadcnt 0x0
	v_cvt_f32_f64_e32 v2, v[2:3]
	s_delay_alu instid0(VALU_DEP_1) | instskip(SKIP_1) | instid1(VALU_DEP_2)
	v_bfe_u32 v3, v2, 16, 1
	v_cmp_o_f32_e32 vcc_lo, v2, v2
	v_add3_u32 v3, v2, v3, 0x7fff
	s_delay_alu instid0(VALU_DEP_1) | instskip(NEXT) | instid1(VALU_DEP_1)
	v_lshrrev_b32_e32 v3, 16, v3
	v_cndmask_b32_e32 v2, 0x7fc0, v3, vcc_lo
	s_branch .LBB34_489
.LBB34_487:
	s_mov_b32 s18, -1
                                        ; implicit-def: $vgpr2
	s_branch .LBB34_492
.LBB34_488:
	s_mov_b32 s18, -1
                                        ; implicit-def: $vgpr2
.LBB34_489:
	s_delay_alu instid0(SALU_CYCLE_1)
	s_and_not1_b32 vcc_lo, exec_lo, s18
	s_cbranch_vccnz .LBB34_491
; %bb.490:
	s_wait_loadcnt 0x0
	global_load_b32 v2, v[0:1], off
	s_wait_loadcnt 0x0
	v_bfe_u32 v3, v2, 16, 1
	v_cmp_o_f32_e32 vcc_lo, v2, v2
	s_delay_alu instid0(VALU_DEP_2) | instskip(NEXT) | instid1(VALU_DEP_1)
	v_add3_u32 v3, v2, v3, 0x7fff
	v_lshrrev_b32_e32 v3, 16, v3
	s_delay_alu instid0(VALU_DEP_1)
	v_cndmask_b32_e32 v2, 0x7fc0, v3, vcc_lo
.LBB34_491:
	s_mov_b32 s18, 0
.LBB34_492:
	s_delay_alu instid0(SALU_CYCLE_1)
	s_and_not1_b32 vcc_lo, exec_lo, s18
	s_cbranch_vccnz .LBB34_494
; %bb.493:
	s_wait_loadcnt 0x0
	global_load_u16 v2, v[0:1], off
	s_wait_loadcnt 0x0
	v_cvt_f32_f16_e32 v3, v2
	v_cmp_o_f16_e32 vcc_lo, v2, v2
	s_delay_alu instid0(VALU_DEP_2) | instskip(NEXT) | instid1(VALU_DEP_1)
	v_bfe_u32 v5, v3, 16, 1
	v_add3_u32 v3, v3, v5, 0x7fff
	s_delay_alu instid0(VALU_DEP_1) | instskip(NEXT) | instid1(VALU_DEP_1)
	v_lshrrev_b32_e32 v3, 16, v3
	v_cndmask_b32_e32 v2, 0x7fc0, v3, vcc_lo
.LBB34_494:
	s_mov_b32 s18, 0
.LBB34_495:
	s_delay_alu instid0(SALU_CYCLE_1)
	s_and_not1_b32 vcc_lo, exec_lo, s18
	s_cbranch_vccnz .LBB34_515
; %bb.496:
	s_cmp_lt_i32 s0, 2
	s_cbranch_scc1 .LBB34_500
; %bb.497:
	s_cmp_lt_i32 s0, 3
	s_cbranch_scc1 .LBB34_501
; %bb.498:
	s_cmp_gt_i32 s0, 3
	s_cbranch_scc0 .LBB34_502
; %bb.499:
	s_wait_loadcnt 0x0
	global_load_b64 v[2:3], v[0:1], off
	s_mov_b32 s18, 0
	s_wait_loadcnt 0x0
	v_xor_b32_e32 v5, v2, v3
	v_cls_i32_e32 v6, v3
	s_delay_alu instid0(VALU_DEP_2) | instskip(NEXT) | instid1(VALU_DEP_1)
	v_ashrrev_i32_e32 v5, 31, v5
	v_add_nc_u32_e32 v5, 32, v5
	s_delay_alu instid0(VALU_DEP_1) | instskip(NEXT) | instid1(VALU_DEP_1)
	v_add_min_u32_e64 v5, v6, -1, v5
	v_lshlrev_b64_e32 v[2:3], v5, v[2:3]
	s_delay_alu instid0(VALU_DEP_1) | instskip(NEXT) | instid1(VALU_DEP_1)
	v_min_u32_e32 v2, 1, v2
	v_dual_sub_nc_u32 v3, 32, v5 :: v_dual_bitop2_b32 v2, v3, v2 bitop3:0x54
	s_delay_alu instid0(VALU_DEP_1) | instskip(NEXT) | instid1(VALU_DEP_1)
	v_cvt_f32_i32_e32 v2, v2
	v_ldexp_f32 v2, v2, v3
	s_delay_alu instid0(VALU_DEP_1) | instskip(NEXT) | instid1(VALU_DEP_1)
	v_bfe_u32 v3, v2, 16, 1
	v_add3_u32 v2, v2, v3, 0x7fff
	s_delay_alu instid0(VALU_DEP_1)
	v_lshrrev_b32_e32 v2, 16, v2
	s_branch .LBB34_503
.LBB34_500:
	s_mov_b32 s18, -1
                                        ; implicit-def: $vgpr2
	s_branch .LBB34_509
.LBB34_501:
	s_mov_b32 s18, -1
                                        ; implicit-def: $vgpr2
	s_branch .LBB34_506
.LBB34_502:
	s_mov_b32 s18, -1
                                        ; implicit-def: $vgpr2
.LBB34_503:
	s_delay_alu instid0(SALU_CYCLE_1)
	s_and_not1_b32 vcc_lo, exec_lo, s18
	s_cbranch_vccnz .LBB34_505
; %bb.504:
	s_wait_loadcnt 0x0
	global_load_b32 v2, v[0:1], off
	s_wait_loadcnt 0x0
	v_cvt_f32_i32_e32 v2, v2
	s_delay_alu instid0(VALU_DEP_1) | instskip(NEXT) | instid1(VALU_DEP_1)
	v_bfe_u32 v3, v2, 16, 1
	v_add3_u32 v2, v2, v3, 0x7fff
	s_delay_alu instid0(VALU_DEP_1)
	v_lshrrev_b32_e32 v2, 16, v2
.LBB34_505:
	s_mov_b32 s18, 0
.LBB34_506:
	s_delay_alu instid0(SALU_CYCLE_1)
	s_and_not1_b32 vcc_lo, exec_lo, s18
	s_cbranch_vccnz .LBB34_508
; %bb.507:
	s_wait_loadcnt 0x0
	global_load_i16 v2, v[0:1], off
	s_wait_loadcnt 0x0
	v_cvt_f32_i32_e32 v2, v2
	s_delay_alu instid0(VALU_DEP_1) | instskip(NEXT) | instid1(VALU_DEP_1)
	v_bfe_u32 v3, v2, 16, 1
	v_add3_u32 v2, v2, v3, 0x7fff
	s_delay_alu instid0(VALU_DEP_1)
	v_lshrrev_b32_e32 v2, 16, v2
.LBB34_508:
	s_mov_b32 s18, 0
.LBB34_509:
	s_delay_alu instid0(SALU_CYCLE_1)
	s_and_not1_b32 vcc_lo, exec_lo, s18
	s_cbranch_vccnz .LBB34_515
; %bb.510:
	s_cmp_gt_i32 s0, 0
	s_mov_b32 s0, 0
	s_cbranch_scc0 .LBB34_512
; %bb.511:
	s_wait_loadcnt 0x0
	global_load_i8 v2, v[0:1], off
	s_wait_loadcnt 0x0
	v_cvt_f32_i32_e32 v2, v2
	s_delay_alu instid0(VALU_DEP_1) | instskip(NEXT) | instid1(VALU_DEP_1)
	v_bfe_u32 v3, v2, 16, 1
	v_add3_u32 v2, v2, v3, 0x7fff
	s_delay_alu instid0(VALU_DEP_1)
	v_lshrrev_b32_e32 v2, 16, v2
	s_branch .LBB34_513
.LBB34_512:
	s_mov_b32 s0, -1
                                        ; implicit-def: $vgpr2
.LBB34_513:
	s_delay_alu instid0(SALU_CYCLE_1)
	s_and_not1_b32 vcc_lo, exec_lo, s0
	s_cbranch_vccnz .LBB34_515
; %bb.514:
	global_load_u8 v0, v[0:1], off
	s_wait_loadcnt 0x0
	v_cvt_f32_ubyte0_e32 v0, v0
	s_delay_alu instid0(VALU_DEP_1) | instskip(NEXT) | instid1(VALU_DEP_1)
	v_bfe_u32 v1, v0, 16, 1
	v_add3_u32 v0, v0, v1, 0x7fff
	s_delay_alu instid0(VALU_DEP_1)
	v_lshrrev_b32_e32 v2, 16, v0
.LBB34_515:
	s_branch .LBB34_268
.LBB34_516:
	s_mov_b32 s20, 0
	s_mov_b32 s0, s13
.LBB34_517:
                                        ; implicit-def: $vgpr4
.LBB34_518:
	s_and_not1_b32 s18, s13, exec_lo
	s_and_b32 s0, s0, exec_lo
	s_and_not1_b32 s21, s15, exec_lo
	s_and_b32 s17, s17, exec_lo
	s_or_b32 s18, s18, s0
	s_or_b32 s17, s21, s17
	s_or_not1_b32 s0, s20, exec_lo
.LBB34_519:
	s_wait_xcnt 0x0
	s_or_b32 exec_lo, exec_lo, s19
	s_mov_b32 s20, 0
	s_mov_b32 s21, 0
	;; [unrolled: 1-line block ×3, first 2 shown]
                                        ; implicit-def: $vgpr0_vgpr1
                                        ; implicit-def: $vgpr3
	s_and_saveexec_b32 s19, s0
	s_cbranch_execz .LBB34_868
; %bb.520:
	s_mov_b32 s22, -1
	s_mov_b32 s0, s17
	s_mov_b32 s21, s18
	s_mov_b32 s20, exec_lo
	v_cmpx_gt_i32_e64 s14, v4
	s_cbranch_execz .LBB34_782
; %bb.521:
	v_mul_lo_u32 v0, v4, s9
	s_and_b32 s0, 0xffff, s3
	s_delay_alu instid0(SALU_CYCLE_1) | instskip(NEXT) | instid1(VALU_DEP_1)
	s_cmp_lt_i32 s0, 11
	v_ashrrev_i32_e32 v1, 31, v0
	s_delay_alu instid0(VALU_DEP_1)
	v_add_nc_u64_e32 v[0:1], s[6:7], v[0:1]
	s_cbranch_scc1 .LBB34_528
; %bb.522:
	s_cmp_gt_i32 s0, 25
	s_cbranch_scc0 .LBB34_529
; %bb.523:
	s_cmp_gt_i32 s0, 28
	s_cbranch_scc0 .LBB34_530
	;; [unrolled: 3-line block ×4, first 2 shown]
; %bb.526:
	s_cmp_eq_u32 s0, 46
	s_mov_b32 s23, 0
	s_cbranch_scc0 .LBB34_537
; %bb.527:
	s_wait_loadcnt 0x0
	global_load_b32 v2, v[0:1], off
	s_mov_b32 s21, 0
	s_branch .LBB34_539
.LBB34_528:
	s_mov_b32 s23, -1
	s_mov_b32 s22, 0
	s_mov_b32 s21, s17
                                        ; implicit-def: $vgpr2
	s_branch .LBB34_604
.LBB34_529:
	s_mov_b32 s23, -1
	s_mov_b32 s22, 0
	s_mov_b32 s21, s17
                                        ; implicit-def: $vgpr2
	s_branch .LBB34_568
.LBB34_530:
	s_mov_b32 s23, -1
	s_mov_b32 s22, 0
	s_mov_b32 s21, s17
                                        ; implicit-def: $vgpr2
	s_branch .LBB34_549
.LBB34_531:
	s_mov_b32 s23, -1
	s_mov_b32 s22, 0
	s_mov_b32 s21, s17
                                        ; implicit-def: $vgpr2
	s_branch .LBB34_544
.LBB34_532:
	s_and_not1_saveexec_b32 s23, s23
	s_cbranch_execz .LBB34_316
.LBB34_533:
	v_add_f32_e64 v5, 0x46000000, |v6|
	s_and_not1_b32 s22, s22, exec_lo
	s_delay_alu instid0(VALU_DEP_1) | instskip(NEXT) | instid1(VALU_DEP_1)
	v_and_b32_e32 v5, 0xff, v5
	v_cmp_ne_u32_e32 vcc_lo, 0, v5
	s_and_b32 s24, vcc_lo, exec_lo
	s_delay_alu instid0(SALU_CYCLE_1)
	s_or_b32 s22, s22, s24
	s_or_b32 exec_lo, exec_lo, s23
	v_mov_b32_e32 v7, 0
	s_and_saveexec_b32 s23, s22
	s_cbranch_execnz .LBB34_317
	s_branch .LBB34_318
.LBB34_534:
	s_mov_b32 s23, -1
	s_mov_b32 s22, 0
	s_mov_b32 s21, s17
	s_branch .LBB34_538
.LBB34_535:
	s_and_not1_saveexec_b32 s23, s23
	s_cbranch_execz .LBB34_329
.LBB34_536:
	v_add_f32_e64 v5, 0x42800000, |v6|
	s_and_not1_b32 s22, s22, exec_lo
	s_delay_alu instid0(VALU_DEP_1) | instskip(NEXT) | instid1(VALU_DEP_1)
	v_and_b32_e32 v5, 0xff, v5
	v_cmp_ne_u32_e32 vcc_lo, 0, v5
	s_and_b32 s24, vcc_lo, exec_lo
	s_delay_alu instid0(SALU_CYCLE_1)
	s_or_b32 s22, s22, s24
	s_or_b32 exec_lo, exec_lo, s23
	v_mov_b32_e32 v7, 0
	s_and_saveexec_b32 s23, s22
	s_cbranch_execnz .LBB34_330
	s_branch .LBB34_331
.LBB34_537:
	s_mov_b32 s21, -1
	s_mov_b32 s22, 0
.LBB34_538:
                                        ; implicit-def: $vgpr2
.LBB34_539:
	s_and_b32 vcc_lo, exec_lo, s23
	s_cbranch_vccz .LBB34_543
; %bb.540:
	s_cmp_eq_u32 s0, 44
	s_cbranch_scc0 .LBB34_542
; %bb.541:
	s_wait_loadcnt 0x0
	global_load_u8 v2, v[0:1], off
	s_mov_b32 s21, 0
	s_mov_b32 s22, -1
	s_wait_loadcnt 0x0
	v_lshlrev_b32_e32 v3, 23, v2
	v_cmp_ne_u32_e32 vcc_lo, 0xff, v2
	s_delay_alu instid0(VALU_DEP_2) | instskip(SKIP_1) | instid1(VALU_DEP_2)
	v_cndmask_b32_e32 v3, 0x7f800001, v3, vcc_lo
	v_cmp_ne_u32_e32 vcc_lo, 0, v2
	v_cndmask_b32_e32 v2, 0x400000, v3, vcc_lo
	s_delay_alu instid0(VALU_DEP_1) | instskip(NEXT) | instid1(VALU_DEP_1)
	v_add_nc_u32_e32 v3, 0x7fff, v2
	v_lshrrev_b32_e32 v3, 16, v3
	v_cmp_o_f32_e32 vcc_lo, v2, v2
	s_delay_alu instid0(VALU_DEP_2)
	v_cndmask_b32_e32 v2, 0x7fc0, v3, vcc_lo
	s_branch .LBB34_543
.LBB34_542:
	s_mov_b32 s21, -1
                                        ; implicit-def: $vgpr2
.LBB34_543:
	s_mov_b32 s23, 0
.LBB34_544:
	s_delay_alu instid0(SALU_CYCLE_1)
	s_and_b32 vcc_lo, exec_lo, s23
	s_cbranch_vccz .LBB34_548
; %bb.545:
	s_cmp_eq_u32 s0, 29
	s_cbranch_scc0 .LBB34_547
; %bb.546:
	s_wait_loadcnt 0x0
	global_load_b64 v[2:3], v[0:1], off
	s_mov_b32 s22, -1
	s_mov_b32 s21, 0
	s_mov_b32 s23, 0
	s_wait_loadcnt 0x0
	v_clz_i32_u32_e32 v5, v3
	s_delay_alu instid0(VALU_DEP_1) | instskip(NEXT) | instid1(VALU_DEP_1)
	v_min_u32_e32 v5, 32, v5
	v_lshlrev_b64_e32 v[2:3], v5, v[2:3]
	s_delay_alu instid0(VALU_DEP_1) | instskip(NEXT) | instid1(VALU_DEP_1)
	v_min_u32_e32 v2, 1, v2
	v_dual_sub_nc_u32 v3, 32, v5 :: v_dual_bitop2_b32 v2, v3, v2 bitop3:0x54
	s_delay_alu instid0(VALU_DEP_1) | instskip(NEXT) | instid1(VALU_DEP_1)
	v_cvt_f32_u32_e32 v2, v2
	v_ldexp_f32 v2, v2, v3
	s_delay_alu instid0(VALU_DEP_1) | instskip(NEXT) | instid1(VALU_DEP_1)
	v_bfe_u32 v3, v2, 16, 1
	v_add3_u32 v2, v2, v3, 0x7fff
	s_delay_alu instid0(VALU_DEP_1)
	v_lshrrev_b32_e32 v2, 16, v2
	s_branch .LBB34_549
.LBB34_547:
	s_mov_b32 s21, -1
                                        ; implicit-def: $vgpr2
.LBB34_548:
	s_mov_b32 s23, 0
.LBB34_549:
	s_delay_alu instid0(SALU_CYCLE_1)
	s_and_b32 vcc_lo, exec_lo, s23
	s_cbranch_vccz .LBB34_567
; %bb.550:
	s_cmp_lt_i32 s0, 27
	s_cbranch_scc1 .LBB34_553
; %bb.551:
	s_cmp_gt_i32 s0, 27
	s_cbranch_scc0 .LBB34_554
; %bb.552:
	s_wait_loadcnt 0x0
	global_load_b32 v2, v[0:1], off
	s_mov_b32 s22, 0
	s_wait_loadcnt 0x0
	v_cvt_f32_u32_e32 v2, v2
	s_delay_alu instid0(VALU_DEP_1) | instskip(NEXT) | instid1(VALU_DEP_1)
	v_bfe_u32 v3, v2, 16, 1
	v_add3_u32 v2, v2, v3, 0x7fff
	s_delay_alu instid0(VALU_DEP_1)
	v_lshrrev_b32_e32 v2, 16, v2
	s_branch .LBB34_555
.LBB34_553:
	s_mov_b32 s22, -1
                                        ; implicit-def: $vgpr2
	s_branch .LBB34_558
.LBB34_554:
	s_mov_b32 s22, -1
                                        ; implicit-def: $vgpr2
.LBB34_555:
	s_delay_alu instid0(SALU_CYCLE_1)
	s_and_not1_b32 vcc_lo, exec_lo, s22
	s_cbranch_vccnz .LBB34_557
; %bb.556:
	s_wait_loadcnt 0x0
	global_load_u16 v2, v[0:1], off
	s_wait_loadcnt 0x0
	v_cvt_f32_u32_e32 v2, v2
	s_delay_alu instid0(VALU_DEP_1) | instskip(NEXT) | instid1(VALU_DEP_1)
	v_bfe_u32 v3, v2, 16, 1
	v_add3_u32 v2, v2, v3, 0x7fff
	s_delay_alu instid0(VALU_DEP_1)
	v_lshrrev_b32_e32 v2, 16, v2
.LBB34_557:
	s_mov_b32 s22, 0
.LBB34_558:
	s_delay_alu instid0(SALU_CYCLE_1)
	s_and_not1_b32 vcc_lo, exec_lo, s22
	s_cbranch_vccnz .LBB34_566
; %bb.559:
	s_wait_loadcnt 0x0
	global_load_u8 v2, v[0:1], off
	s_mov_b32 s22, 0
	s_mov_b32 s23, exec_lo
	s_wait_loadcnt 0x0
	v_cmpx_lt_i16_e32 0x7f, v2
	s_xor_b32 s23, exec_lo, s23
	s_cbranch_execz .LBB34_580
; %bb.560:
	s_mov_b32 s22, -1
	s_mov_b32 s24, exec_lo
	v_cmpx_eq_u16_e32 0x80, v2
; %bb.561:
	s_xor_b32 s22, exec_lo, -1
; %bb.562:
	s_or_b32 exec_lo, exec_lo, s24
	s_delay_alu instid0(SALU_CYCLE_1)
	s_and_b32 s22, s22, exec_lo
	s_or_saveexec_b32 s23, s23
	v_mov_b32_e32 v3, 0x7f800001
	s_xor_b32 exec_lo, exec_lo, s23
	s_cbranch_execnz .LBB34_581
.LBB34_563:
	s_or_b32 exec_lo, exec_lo, s23
	s_and_saveexec_b32 s23, s22
	s_cbranch_execz .LBB34_565
.LBB34_564:
	v_and_b32_e32 v3, 0xffff, v2
	s_delay_alu instid0(VALU_DEP_1) | instskip(SKIP_1) | instid1(VALU_DEP_2)
	v_and_b32_e32 v5, 7, v3
	v_bfe_u32 v8, v3, 3, 4
	v_clz_i32_u32_e32 v6, v5
	s_delay_alu instid0(VALU_DEP_2) | instskip(NEXT) | instid1(VALU_DEP_2)
	v_cmp_eq_u32_e32 vcc_lo, 0, v8
	v_min_u32_e32 v6, 32, v6
	s_delay_alu instid0(VALU_DEP_1) | instskip(NEXT) | instid1(VALU_DEP_1)
	v_subrev_nc_u32_e32 v7, 28, v6
	v_dual_lshlrev_b32 v3, v7, v3 :: v_dual_sub_nc_u32 v6, 29, v6
	s_delay_alu instid0(VALU_DEP_1) | instskip(NEXT) | instid1(VALU_DEP_1)
	v_dual_lshlrev_b32 v2, 24, v2 :: v_dual_bitop2_b32 v3, 7, v3 bitop3:0x40
	v_dual_cndmask_b32 v3, v5, v3 :: v_dual_cndmask_b32 v6, v8, v6
	s_delay_alu instid0(VALU_DEP_2) | instskip(NEXT) | instid1(VALU_DEP_2)
	v_and_b32_e32 v2, 0x80000000, v2
	v_lshlrev_b32_e32 v3, 20, v3
	s_delay_alu instid0(VALU_DEP_3) | instskip(NEXT) | instid1(VALU_DEP_1)
	v_lshl_add_u32 v5, v6, 23, 0x3b800000
	v_or3_b32 v3, v2, v5, v3
.LBB34_565:
	s_or_b32 exec_lo, exec_lo, s23
	s_delay_alu instid0(VALU_DEP_1) | instskip(SKIP_1) | instid1(VALU_DEP_2)
	v_bfe_u32 v2, v3, 16, 1
	v_cmp_o_f32_e32 vcc_lo, v3, v3
	v_add3_u32 v2, v3, v2, 0x7fff
	s_delay_alu instid0(VALU_DEP_1) | instskip(NEXT) | instid1(VALU_DEP_1)
	v_lshrrev_b32_e32 v2, 16, v2
	v_cndmask_b32_e32 v2, 0x7fc0, v2, vcc_lo
.LBB34_566:
	s_mov_b32 s22, -1
.LBB34_567:
	s_mov_b32 s23, 0
.LBB34_568:
	s_delay_alu instid0(SALU_CYCLE_1)
	s_and_b32 vcc_lo, exec_lo, s23
	s_cbranch_vccz .LBB34_603
; %bb.569:
	s_cmp_gt_i32 s0, 22
	s_cbranch_scc0 .LBB34_579
; %bb.570:
	s_cmp_lt_i32 s0, 24
	s_cbranch_scc1 .LBB34_582
; %bb.571:
	s_cmp_gt_i32 s0, 24
	s_cbranch_scc0 .LBB34_583
; %bb.572:
	s_wait_loadcnt 0x0
	global_load_u8 v2, v[0:1], off
	s_mov_b32 s22, 0
	s_mov_b32 s23, exec_lo
	s_wait_loadcnt 0x0
	v_cmpx_lt_i16_e32 0x7f, v2
	s_xor_b32 s23, exec_lo, s23
	s_cbranch_execz .LBB34_595
; %bb.573:
	s_mov_b32 s22, -1
	s_mov_b32 s24, exec_lo
	v_cmpx_eq_u16_e32 0x80, v2
; %bb.574:
	s_xor_b32 s22, exec_lo, -1
; %bb.575:
	s_or_b32 exec_lo, exec_lo, s24
	s_delay_alu instid0(SALU_CYCLE_1)
	s_and_b32 s22, s22, exec_lo
	s_or_saveexec_b32 s23, s23
	v_mov_b32_e32 v3, 0x7f800001
	s_xor_b32 exec_lo, exec_lo, s23
	s_cbranch_execnz .LBB34_596
.LBB34_576:
	s_or_b32 exec_lo, exec_lo, s23
	s_and_saveexec_b32 s23, s22
	s_cbranch_execz .LBB34_578
.LBB34_577:
	v_and_b32_e32 v3, 0xffff, v2
	s_delay_alu instid0(VALU_DEP_1) | instskip(SKIP_1) | instid1(VALU_DEP_2)
	v_and_b32_e32 v5, 3, v3
	v_bfe_u32 v8, v3, 2, 5
	v_clz_i32_u32_e32 v6, v5
	s_delay_alu instid0(VALU_DEP_2) | instskip(NEXT) | instid1(VALU_DEP_2)
	v_cmp_eq_u32_e32 vcc_lo, 0, v8
	v_min_u32_e32 v6, 32, v6
	s_delay_alu instid0(VALU_DEP_1) | instskip(NEXT) | instid1(VALU_DEP_1)
	v_subrev_nc_u32_e32 v7, 29, v6
	v_dual_lshlrev_b32 v3, v7, v3 :: v_dual_sub_nc_u32 v6, 30, v6
	s_delay_alu instid0(VALU_DEP_1) | instskip(NEXT) | instid1(VALU_DEP_1)
	v_dual_lshlrev_b32 v2, 24, v2 :: v_dual_bitop2_b32 v3, 3, v3 bitop3:0x40
	v_dual_cndmask_b32 v3, v5, v3 :: v_dual_cndmask_b32 v6, v8, v6
	s_delay_alu instid0(VALU_DEP_2) | instskip(NEXT) | instid1(VALU_DEP_2)
	v_and_b32_e32 v2, 0x80000000, v2
	v_lshlrev_b32_e32 v3, 21, v3
	s_delay_alu instid0(VALU_DEP_3) | instskip(NEXT) | instid1(VALU_DEP_1)
	v_lshl_add_u32 v5, v6, 23, 0x37800000
	v_or3_b32 v3, v2, v5, v3
.LBB34_578:
	s_or_b32 exec_lo, exec_lo, s23
	s_delay_alu instid0(VALU_DEP_1) | instskip(SKIP_2) | instid1(VALU_DEP_2)
	v_bfe_u32 v2, v3, 16, 1
	v_cmp_o_f32_e32 vcc_lo, v3, v3
	s_mov_b32 s22, 0
	v_add3_u32 v2, v3, v2, 0x7fff
	s_delay_alu instid0(VALU_DEP_1) | instskip(NEXT) | instid1(VALU_DEP_1)
	v_lshrrev_b32_e32 v2, 16, v2
	v_cndmask_b32_e32 v2, 0x7fc0, v2, vcc_lo
	s_branch .LBB34_584
.LBB34_579:
	s_mov_b32 s23, -1
                                        ; implicit-def: $vgpr2
	s_branch .LBB34_590
.LBB34_580:
	s_or_saveexec_b32 s23, s23
	v_mov_b32_e32 v3, 0x7f800001
	s_xor_b32 exec_lo, exec_lo, s23
	s_cbranch_execz .LBB34_563
.LBB34_581:
	v_cmp_ne_u16_e32 vcc_lo, 0, v2
	v_mov_b32_e32 v3, 0
	s_and_not1_b32 s22, s22, exec_lo
	s_and_b32 s24, vcc_lo, exec_lo
	s_delay_alu instid0(SALU_CYCLE_1)
	s_or_b32 s22, s22, s24
	s_or_b32 exec_lo, exec_lo, s23
	s_and_saveexec_b32 s23, s22
	s_cbranch_execnz .LBB34_564
	s_branch .LBB34_565
.LBB34_582:
	s_mov_b32 s22, -1
                                        ; implicit-def: $vgpr2
	s_branch .LBB34_587
.LBB34_583:
	s_mov_b32 s22, -1
                                        ; implicit-def: $vgpr2
.LBB34_584:
	s_delay_alu instid0(SALU_CYCLE_1)
	s_and_b32 vcc_lo, exec_lo, s22
	s_cbranch_vccz .LBB34_586
; %bb.585:
	s_wait_loadcnt 0x0
	global_load_u8 v2, v[0:1], off
	s_wait_loadcnt 0x0
	v_lshlrev_b32_e32 v2, 24, v2
	s_delay_alu instid0(VALU_DEP_1) | instskip(NEXT) | instid1(VALU_DEP_1)
	v_and_b32_e32 v3, 0x7f000000, v2
	v_clz_i32_u32_e32 v5, v3
	v_add_nc_u32_e32 v7, 0x1000000, v3
	v_cmp_ne_u32_e32 vcc_lo, 0, v3
	s_delay_alu instid0(VALU_DEP_3) | instskip(NEXT) | instid1(VALU_DEP_1)
	v_min_u32_e32 v5, 32, v5
	v_sub_nc_u32_e64 v5, v5, 4 clamp
	s_delay_alu instid0(VALU_DEP_1) | instskip(NEXT) | instid1(VALU_DEP_1)
	v_dual_lshlrev_b32 v6, v5, v3 :: v_dual_lshlrev_b32 v5, 23, v5
	v_lshrrev_b32_e32 v6, 4, v6
	s_delay_alu instid0(VALU_DEP_1) | instskip(NEXT) | instid1(VALU_DEP_1)
	v_dual_sub_nc_u32 v5, v6, v5 :: v_dual_ashrrev_i32 v6, 8, v7
	v_add_nc_u32_e32 v5, 0x3c000000, v5
	s_delay_alu instid0(VALU_DEP_1) | instskip(NEXT) | instid1(VALU_DEP_1)
	v_and_or_b32 v5, 0x7f800000, v6, v5
	v_cndmask_b32_e32 v3, 0, v5, vcc_lo
	s_delay_alu instid0(VALU_DEP_1) | instskip(SKIP_1) | instid1(VALU_DEP_2)
	v_and_or_b32 v2, 0x80000000, v2, v3
	v_bfe_u32 v3, v3, 16, 1
	v_cmp_o_f32_e32 vcc_lo, v2, v2
	s_delay_alu instid0(VALU_DEP_2) | instskip(NEXT) | instid1(VALU_DEP_1)
	v_add3_u32 v3, v2, v3, 0x7fff
	v_lshrrev_b32_e32 v3, 16, v3
	s_delay_alu instid0(VALU_DEP_1)
	v_cndmask_b32_e32 v2, 0x7fc0, v3, vcc_lo
.LBB34_586:
	s_mov_b32 s22, 0
.LBB34_587:
	s_delay_alu instid0(SALU_CYCLE_1)
	s_and_not1_b32 vcc_lo, exec_lo, s22
	s_cbranch_vccnz .LBB34_589
; %bb.588:
	s_wait_loadcnt 0x0
	global_load_u8 v2, v[0:1], off
	s_wait_loadcnt 0x0
	v_lshlrev_b32_e32 v3, 25, v2
	v_lshlrev_b16 v2, 8, v2
	s_delay_alu instid0(VALU_DEP_2) | instskip(NEXT) | instid1(VALU_DEP_2)
	v_cmp_gt_u32_e32 vcc_lo, 0x8000000, v3
	v_and_or_b32 v6, 0x7f00, v2, 0.5
	v_lshrrev_b32_e32 v5, 4, v3
	v_bfe_i32 v2, v2, 0, 16
	s_delay_alu instid0(VALU_DEP_3) | instskip(NEXT) | instid1(VALU_DEP_3)
	v_add_f32_e32 v6, -0.5, v6
	v_or_b32_e32 v5, 0x70000000, v5
	s_delay_alu instid0(VALU_DEP_1) | instskip(NEXT) | instid1(VALU_DEP_1)
	v_mul_f32_e32 v5, 0x7800000, v5
	v_cndmask_b32_e32 v3, v5, v6, vcc_lo
	s_delay_alu instid0(VALU_DEP_1) | instskip(SKIP_1) | instid1(VALU_DEP_2)
	v_and_or_b32 v2, 0x80000000, v2, v3
	v_bfe_u32 v3, v3, 16, 1
	v_cmp_o_f32_e32 vcc_lo, v2, v2
	s_delay_alu instid0(VALU_DEP_2) | instskip(NEXT) | instid1(VALU_DEP_1)
	v_add3_u32 v3, v2, v3, 0x7fff
	v_lshrrev_b32_e32 v3, 16, v3
	s_delay_alu instid0(VALU_DEP_1)
	v_cndmask_b32_e32 v2, 0x7fc0, v3, vcc_lo
.LBB34_589:
	s_mov_b32 s23, 0
	s_mov_b32 s22, -1
.LBB34_590:
	s_and_not1_b32 vcc_lo, exec_lo, s23
	s_cbranch_vccnz .LBB34_603
; %bb.591:
	s_cmp_gt_i32 s0, 14
	s_cbranch_scc0 .LBB34_594
; %bb.592:
	s_cmp_eq_u32 s0, 15
	s_cbranch_scc0 .LBB34_597
; %bb.593:
	s_wait_loadcnt 0x0
	global_load_u16 v2, v[0:1], off
	s_mov_b32 s22, -1
	s_mov_b32 s21, 0
	s_branch .LBB34_598
.LBB34_594:
	s_mov_b32 s23, -1
                                        ; implicit-def: $vgpr2
	s_branch .LBB34_599
.LBB34_595:
	s_or_saveexec_b32 s23, s23
	v_mov_b32_e32 v3, 0x7f800001
	s_xor_b32 exec_lo, exec_lo, s23
	s_cbranch_execz .LBB34_576
.LBB34_596:
	v_cmp_ne_u16_e32 vcc_lo, 0, v2
	v_mov_b32_e32 v3, 0
	s_and_not1_b32 s22, s22, exec_lo
	s_and_b32 s24, vcc_lo, exec_lo
	s_delay_alu instid0(SALU_CYCLE_1)
	s_or_b32 s22, s22, s24
	s_or_b32 exec_lo, exec_lo, s23
	s_and_saveexec_b32 s23, s22
	s_cbranch_execnz .LBB34_577
	s_branch .LBB34_578
.LBB34_597:
	s_mov_b32 s21, -1
                                        ; implicit-def: $vgpr2
.LBB34_598:
	s_mov_b32 s23, 0
.LBB34_599:
	s_delay_alu instid0(SALU_CYCLE_1)
	s_and_b32 vcc_lo, exec_lo, s23
	s_cbranch_vccz .LBB34_603
; %bb.600:
	s_cmp_eq_u32 s0, 11
	s_cbranch_scc0 .LBB34_602
; %bb.601:
	s_wait_loadcnt 0x0
	global_load_u8 v2, v[0:1], off
	s_mov_b32 s21, 0
	s_mov_b32 s22, -1
	s_wait_loadcnt 0x0
	v_cmp_ne_u16_e32 vcc_lo, 0, v2
	v_cndmask_b32_e64 v2, 0, 1.0, vcc_lo
	s_delay_alu instid0(VALU_DEP_1)
	v_lshrrev_b32_e32 v2, 16, v2
	s_branch .LBB34_603
.LBB34_602:
	s_mov_b32 s21, -1
                                        ; implicit-def: $vgpr2
.LBB34_603:
	s_mov_b32 s23, 0
.LBB34_604:
	s_delay_alu instid0(SALU_CYCLE_1)
	s_and_b32 vcc_lo, exec_lo, s23
	s_cbranch_vccz .LBB34_653
; %bb.605:
	s_cmp_lt_i32 s0, 5
	s_cbranch_scc1 .LBB34_610
; %bb.606:
	s_cmp_lt_i32 s0, 8
	s_cbranch_scc1 .LBB34_611
	;; [unrolled: 3-line block ×3, first 2 shown]
; %bb.608:
	s_cmp_gt_i32 s0, 9
	s_cbranch_scc0 .LBB34_613
; %bb.609:
	s_wait_loadcnt 0x0
	global_load_b64 v[2:3], v[0:1], off
	s_mov_b32 s22, 0
	s_wait_loadcnt 0x0
	v_cvt_f32_f64_e32 v2, v[2:3]
	s_delay_alu instid0(VALU_DEP_1) | instskip(SKIP_1) | instid1(VALU_DEP_2)
	v_bfe_u32 v3, v2, 16, 1
	v_cmp_o_f32_e32 vcc_lo, v2, v2
	v_add3_u32 v3, v2, v3, 0x7fff
	s_delay_alu instid0(VALU_DEP_1) | instskip(NEXT) | instid1(VALU_DEP_1)
	v_lshrrev_b32_e32 v3, 16, v3
	v_cndmask_b32_e32 v2, 0x7fc0, v3, vcc_lo
	s_branch .LBB34_614
.LBB34_610:
	s_mov_b32 s22, -1
                                        ; implicit-def: $vgpr2
	s_branch .LBB34_632
.LBB34_611:
	s_mov_b32 s22, -1
                                        ; implicit-def: $vgpr2
	s_branch .LBB34_620
.LBB34_612:
	s_mov_b32 s22, -1
                                        ; implicit-def: $vgpr2
	s_branch .LBB34_617
.LBB34_613:
	s_mov_b32 s22, -1
                                        ; implicit-def: $vgpr2
.LBB34_614:
	s_delay_alu instid0(SALU_CYCLE_1)
	s_and_not1_b32 vcc_lo, exec_lo, s22
	s_cbranch_vccnz .LBB34_616
; %bb.615:
	s_wait_loadcnt 0x0
	global_load_b32 v2, v[0:1], off
	s_wait_loadcnt 0x0
	v_bfe_u32 v3, v2, 16, 1
	v_cmp_o_f32_e32 vcc_lo, v2, v2
	s_delay_alu instid0(VALU_DEP_2) | instskip(NEXT) | instid1(VALU_DEP_1)
	v_add3_u32 v3, v2, v3, 0x7fff
	v_lshrrev_b32_e32 v3, 16, v3
	s_delay_alu instid0(VALU_DEP_1)
	v_cndmask_b32_e32 v2, 0x7fc0, v3, vcc_lo
.LBB34_616:
	s_mov_b32 s22, 0
.LBB34_617:
	s_delay_alu instid0(SALU_CYCLE_1)
	s_and_not1_b32 vcc_lo, exec_lo, s22
	s_cbranch_vccnz .LBB34_619
; %bb.618:
	s_wait_loadcnt 0x0
	global_load_b32 v2, v[0:1], off
	s_wait_loadcnt 0x0
	v_cvt_f32_f16_e32 v3, v2
	v_cmp_o_f16_e32 vcc_lo, v2, v2
	s_delay_alu instid0(VALU_DEP_2) | instskip(NEXT) | instid1(VALU_DEP_1)
	v_bfe_u32 v5, v3, 16, 1
	v_add3_u32 v3, v3, v5, 0x7fff
	s_delay_alu instid0(VALU_DEP_1) | instskip(NEXT) | instid1(VALU_DEP_1)
	v_lshrrev_b32_e32 v3, 16, v3
	v_cndmask_b32_e32 v2, 0x7fc0, v3, vcc_lo
.LBB34_619:
	s_mov_b32 s22, 0
.LBB34_620:
	s_delay_alu instid0(SALU_CYCLE_1)
	s_and_not1_b32 vcc_lo, exec_lo, s22
	s_cbranch_vccnz .LBB34_631
; %bb.621:
	s_cmp_lt_i32 s0, 6
	s_cbranch_scc1 .LBB34_624
; %bb.622:
	s_cmp_gt_i32 s0, 6
	s_cbranch_scc0 .LBB34_625
; %bb.623:
	s_wait_loadcnt 0x0
	global_load_b64 v[2:3], v[0:1], off
	s_mov_b32 s22, 0
	s_wait_loadcnt 0x0
	v_cvt_f32_f64_e32 v2, v[2:3]
	s_delay_alu instid0(VALU_DEP_1) | instskip(SKIP_1) | instid1(VALU_DEP_2)
	v_bfe_u32 v3, v2, 16, 1
	v_cmp_o_f32_e32 vcc_lo, v2, v2
	v_add3_u32 v3, v2, v3, 0x7fff
	s_delay_alu instid0(VALU_DEP_1) | instskip(NEXT) | instid1(VALU_DEP_1)
	v_lshrrev_b32_e32 v3, 16, v3
	v_cndmask_b32_e32 v2, 0x7fc0, v3, vcc_lo
	s_branch .LBB34_626
.LBB34_624:
	s_mov_b32 s22, -1
                                        ; implicit-def: $vgpr2
	s_branch .LBB34_629
.LBB34_625:
	s_mov_b32 s22, -1
                                        ; implicit-def: $vgpr2
.LBB34_626:
	s_delay_alu instid0(SALU_CYCLE_1)
	s_and_not1_b32 vcc_lo, exec_lo, s22
	s_cbranch_vccnz .LBB34_628
; %bb.627:
	s_wait_loadcnt 0x0
	global_load_b32 v2, v[0:1], off
	s_wait_loadcnt 0x0
	v_bfe_u32 v3, v2, 16, 1
	v_cmp_o_f32_e32 vcc_lo, v2, v2
	s_delay_alu instid0(VALU_DEP_2) | instskip(NEXT) | instid1(VALU_DEP_1)
	v_add3_u32 v3, v2, v3, 0x7fff
	v_lshrrev_b32_e32 v3, 16, v3
	s_delay_alu instid0(VALU_DEP_1)
	v_cndmask_b32_e32 v2, 0x7fc0, v3, vcc_lo
.LBB34_628:
	s_mov_b32 s22, 0
.LBB34_629:
	s_delay_alu instid0(SALU_CYCLE_1)
	s_and_not1_b32 vcc_lo, exec_lo, s22
	s_cbranch_vccnz .LBB34_631
; %bb.630:
	s_wait_loadcnt 0x0
	global_load_u16 v2, v[0:1], off
	s_wait_loadcnt 0x0
	v_cvt_f32_f16_e32 v3, v2
	v_cmp_o_f16_e32 vcc_lo, v2, v2
	s_delay_alu instid0(VALU_DEP_2) | instskip(NEXT) | instid1(VALU_DEP_1)
	v_bfe_u32 v5, v3, 16, 1
	v_add3_u32 v3, v3, v5, 0x7fff
	s_delay_alu instid0(VALU_DEP_1) | instskip(NEXT) | instid1(VALU_DEP_1)
	v_lshrrev_b32_e32 v3, 16, v3
	v_cndmask_b32_e32 v2, 0x7fc0, v3, vcc_lo
.LBB34_631:
	s_mov_b32 s22, 0
.LBB34_632:
	s_delay_alu instid0(SALU_CYCLE_1)
	s_and_not1_b32 vcc_lo, exec_lo, s22
	s_cbranch_vccnz .LBB34_652
; %bb.633:
	s_cmp_lt_i32 s0, 2
	s_cbranch_scc1 .LBB34_637
; %bb.634:
	s_cmp_lt_i32 s0, 3
	s_cbranch_scc1 .LBB34_638
; %bb.635:
	s_cmp_gt_i32 s0, 3
	s_cbranch_scc0 .LBB34_639
; %bb.636:
	s_wait_loadcnt 0x0
	global_load_b64 v[2:3], v[0:1], off
	s_mov_b32 s22, 0
	s_wait_loadcnt 0x0
	v_xor_b32_e32 v5, v2, v3
	v_cls_i32_e32 v6, v3
	s_delay_alu instid0(VALU_DEP_2) | instskip(NEXT) | instid1(VALU_DEP_1)
	v_ashrrev_i32_e32 v5, 31, v5
	v_add_nc_u32_e32 v5, 32, v5
	s_delay_alu instid0(VALU_DEP_1) | instskip(NEXT) | instid1(VALU_DEP_1)
	v_add_min_u32_e64 v5, v6, -1, v5
	v_lshlrev_b64_e32 v[2:3], v5, v[2:3]
	s_delay_alu instid0(VALU_DEP_1) | instskip(NEXT) | instid1(VALU_DEP_1)
	v_min_u32_e32 v2, 1, v2
	v_dual_sub_nc_u32 v3, 32, v5 :: v_dual_bitop2_b32 v2, v3, v2 bitop3:0x54
	s_delay_alu instid0(VALU_DEP_1) | instskip(NEXT) | instid1(VALU_DEP_1)
	v_cvt_f32_i32_e32 v2, v2
	v_ldexp_f32 v2, v2, v3
	s_delay_alu instid0(VALU_DEP_1) | instskip(NEXT) | instid1(VALU_DEP_1)
	v_bfe_u32 v3, v2, 16, 1
	v_add3_u32 v2, v2, v3, 0x7fff
	s_delay_alu instid0(VALU_DEP_1)
	v_lshrrev_b32_e32 v2, 16, v2
	s_branch .LBB34_640
.LBB34_637:
	s_mov_b32 s22, -1
                                        ; implicit-def: $vgpr2
	s_branch .LBB34_646
.LBB34_638:
	s_mov_b32 s22, -1
                                        ; implicit-def: $vgpr2
	s_branch .LBB34_643
.LBB34_639:
	s_mov_b32 s22, -1
                                        ; implicit-def: $vgpr2
.LBB34_640:
	s_delay_alu instid0(SALU_CYCLE_1)
	s_and_not1_b32 vcc_lo, exec_lo, s22
	s_cbranch_vccnz .LBB34_642
; %bb.641:
	s_wait_loadcnt 0x0
	global_load_b32 v2, v[0:1], off
	s_wait_loadcnt 0x0
	v_cvt_f32_i32_e32 v2, v2
	s_delay_alu instid0(VALU_DEP_1) | instskip(NEXT) | instid1(VALU_DEP_1)
	v_bfe_u32 v3, v2, 16, 1
	v_add3_u32 v2, v2, v3, 0x7fff
	s_delay_alu instid0(VALU_DEP_1)
	v_lshrrev_b32_e32 v2, 16, v2
.LBB34_642:
	s_mov_b32 s22, 0
.LBB34_643:
	s_delay_alu instid0(SALU_CYCLE_1)
	s_and_not1_b32 vcc_lo, exec_lo, s22
	s_cbranch_vccnz .LBB34_645
; %bb.644:
	s_wait_loadcnt 0x0
	global_load_i16 v2, v[0:1], off
	s_wait_loadcnt 0x0
	v_cvt_f32_i32_e32 v2, v2
	s_delay_alu instid0(VALU_DEP_1) | instskip(NEXT) | instid1(VALU_DEP_1)
	v_bfe_u32 v3, v2, 16, 1
	v_add3_u32 v2, v2, v3, 0x7fff
	s_delay_alu instid0(VALU_DEP_1)
	v_lshrrev_b32_e32 v2, 16, v2
.LBB34_645:
	s_mov_b32 s22, 0
.LBB34_646:
	s_delay_alu instid0(SALU_CYCLE_1)
	s_and_not1_b32 vcc_lo, exec_lo, s22
	s_cbranch_vccnz .LBB34_652
; %bb.647:
	s_cmp_gt_i32 s0, 0
	s_mov_b32 s0, 0
	s_cbranch_scc0 .LBB34_649
; %bb.648:
	s_wait_loadcnt 0x0
	global_load_i8 v2, v[0:1], off
	s_wait_loadcnt 0x0
	v_cvt_f32_i32_e32 v2, v2
	s_delay_alu instid0(VALU_DEP_1) | instskip(NEXT) | instid1(VALU_DEP_1)
	v_bfe_u32 v3, v2, 16, 1
	v_add3_u32 v2, v2, v3, 0x7fff
	s_delay_alu instid0(VALU_DEP_1)
	v_lshrrev_b32_e32 v2, 16, v2
	s_branch .LBB34_650
.LBB34_649:
	s_mov_b32 s0, -1
                                        ; implicit-def: $vgpr2
.LBB34_650:
	s_delay_alu instid0(SALU_CYCLE_1)
	s_and_not1_b32 vcc_lo, exec_lo, s0
	s_cbranch_vccnz .LBB34_652
; %bb.651:
	global_load_u8 v0, v[0:1], off
	s_wait_loadcnt 0x0
	v_cvt_f32_ubyte0_e32 v0, v0
	s_delay_alu instid0(VALU_DEP_1) | instskip(NEXT) | instid1(VALU_DEP_1)
	v_bfe_u32 v1, v0, 16, 1
	v_add3_u32 v0, v0, v1, 0x7fff
	s_delay_alu instid0(VALU_DEP_1)
	v_lshrrev_b32_e32 v2, 16, v0
.LBB34_652:
	s_mov_b32 s22, -1
.LBB34_653:
	s_delay_alu instid0(SALU_CYCLE_1)
	s_and_not1_b32 vcc_lo, exec_lo, s22
	s_cbranch_vccnz .LBB34_663
; %bb.654:
	s_wait_loadcnt 0x0
	v_lshlrev_b32_e32 v2, 16, v2
	s_mov_b32 s0, exec_lo
	s_wait_xcnt 0x0
	s_delay_alu instid0(VALU_DEP_1) | instskip(NEXT) | instid1(VALU_DEP_1)
	v_mul_f32_e32 v0, s10, v2
	v_cmpx_nlt_f32_e32 s11, v0
	s_cbranch_execz .LBB34_656
; %bb.655:
	v_mul_f32_e32 v1, 0x3fb8aa3b, v0
	v_cmp_ngt_f32_e32 vcc_lo, 0xc2ce8ed0, v0
	s_mov_b32 s22, 0x3e9b6dac
	s_delay_alu instid0(VALU_DEP_2) | instskip(SKIP_1) | instid1(VALU_DEP_2)
	v_rndne_f32_e32 v2, v1
	v_fma_f32 v3, 0x3fb8aa3b, v0, -v1
	v_sub_f32_e32 v1, v1, v2
	s_delay_alu instid0(VALU_DEP_2) | instskip(SKIP_1) | instid1(VALU_DEP_2)
	v_fmamk_f32 v3, v0, 0x32a5705f, v3
	v_cvt_i32_f32_e32 v2, v2
	v_add_f32_e32 v1, v1, v3
	s_delay_alu instid0(VALU_DEP_1) | instskip(SKIP_1) | instid1(TRANS32_DEP_1)
	v_exp_f32_e32 v1, v1
	v_nop
	v_ldexp_f32 v1, v1, v2
	s_delay_alu instid0(VALU_DEP_1) | instskip(SKIP_1) | instid1(VALU_DEP_2)
	v_cndmask_b32_e32 v1, 0, v1, vcc_lo
	v_cmp_nlt_f32_e32 vcc_lo, 0x42b17218, v0
	v_cndmask_b32_e32 v18, 0x7f800000, v1, vcc_lo
	s_delay_alu instid0(VALU_DEP_1) | instskip(NEXT) | instid1(VALU_DEP_1)
	v_add_f32_e32 v2, 1.0, v18
	v_cvt_f64_f32_e32 v[0:1], v2
	s_delay_alu instid0(VALU_DEP_1) | instskip(SKIP_1) | instid1(VALU_DEP_1)
	v_frexp_exp_i32_f64_e32 v0, v[0:1]
	v_frexp_mant_f32_e32 v1, v2
	v_cmp_gt_f32_e32 vcc_lo, 0x3f2aaaab, v1
	s_delay_alu instid0(VALU_DEP_3) | instskip(NEXT) | instid1(VALU_DEP_1)
	v_subrev_co_ci_u32_e64 v5, null, 0, v0, vcc_lo
	v_dual_add_f32 v0, -1.0, v2 :: v_dual_sub_nc_u32 v1, 0, v5
	s_delay_alu instid0(VALU_DEP_1) | instskip(NEXT) | instid1(VALU_DEP_2)
	v_dual_sub_f32 v3, v0, v2 :: v_dual_sub_f32 v0, v18, v0
	v_ldexp_f32 v2, v2, v1
	s_delay_alu instid0(VALU_DEP_1) | instskip(NEXT) | instid1(VALU_DEP_1)
	v_dual_add_f32 v3, 1.0, v3 :: v_dual_add_f32 v6, 1.0, v2
	v_dual_add_f32 v7, -1.0, v2 :: v_dual_add_f32 v0, v0, v3
	s_delay_alu instid0(VALU_DEP_2) | instskip(SKIP_1) | instid1(VALU_DEP_3)
	v_add_f32_e32 v3, -1.0, v6
	v_cmp_neq_f32_e32 vcc_lo, 0x7f800000, v18
	v_ldexp_f32 v0, v0, v1
	s_delay_alu instid0(VALU_DEP_3) | instskip(NEXT) | instid1(VALU_DEP_1)
	v_sub_f32_e32 v1, v2, v3
	v_dual_add_f32 v3, 1.0, v7 :: v_dual_add_f32 v8, v0, v1
	s_delay_alu instid0(VALU_DEP_1) | instskip(NEXT) | instid1(VALU_DEP_1)
	v_sub_f32_e32 v1, v2, v3
	v_dual_add_f32 v9, v6, v8 :: v_dual_add_f32 v10, v0, v1
	s_delay_alu instid0(VALU_DEP_1) | instskip(NEXT) | instid1(VALU_DEP_1)
	v_rcp_f32_e32 v11, v9
	v_dual_add_f32 v1, v7, v10 :: v_dual_sub_f32 v0, v6, v9
	s_delay_alu instid0(TRANS32_DEP_1) | instid1(VALU_DEP_1)
	v_dual_sub_f32 v13, v7, v1 :: v_dual_mul_f32 v12, v1, v11
	s_delay_alu instid0(VALU_DEP_2) | instskip(NEXT) | instid1(VALU_DEP_2)
	v_add_f32_e32 v8, v8, v0
	v_mul_f32_e32 v2, v9, v12
	s_delay_alu instid0(VALU_DEP_1) | instskip(NEXT) | instid1(VALU_DEP_1)
	v_fma_f32 v6, v12, v9, -v2
	v_fmac_f32_e32 v6, v12, v8
	s_delay_alu instid0(VALU_DEP_1) | instskip(NEXT) | instid1(VALU_DEP_1)
	v_add_f32_e32 v0, v2, v6
	v_dual_sub_f32 v3, v1, v0 :: v_dual_mov_b32 v7, v0
	s_delay_alu instid0(VALU_DEP_1) | instskip(SKIP_1) | instid1(VALU_DEP_2)
	v_pk_add_f32 v[0:1], v[0:1], v[2:3] neg_lo:[0,1] neg_hi:[0,1]
	v_add_f32_e32 v2, v10, v13
	v_pk_add_f32 v[0:1], v[0:1], v[6:7] neg_lo:[0,1] neg_hi:[0,1]
	s_delay_alu instid0(VALU_DEP_1) | instskip(NEXT) | instid1(VALU_DEP_1)
	v_add_f32_e32 v1, v2, v1
	v_add_f32_e32 v10, v0, v1
	s_delay_alu instid0(VALU_DEP_1) | instskip(NEXT) | instid1(VALU_DEP_1)
	v_add_f32_e32 v1, v3, v10
	v_mul_f32_e32 v13, v11, v1
	s_delay_alu instid0(VALU_DEP_1) | instskip(NEXT) | instid1(VALU_DEP_1)
	v_mul_f32_e32 v6, v9, v13
	v_fma_f32 v2, v13, v9, -v6
	s_delay_alu instid0(VALU_DEP_1) | instskip(NEXT) | instid1(VALU_DEP_1)
	v_dual_fmac_f32 v2, v13, v8 :: v_dual_sub_f32 v8, v3, v1
	v_add_f32_e32 v0, v6, v2
	s_delay_alu instid0(VALU_DEP_1) | instskip(NEXT) | instid1(VALU_DEP_1)
	v_dual_sub_f32 v7, v1, v0 :: v_dual_mov_b32 v3, v0
	v_pk_add_f32 v[0:1], v[0:1], v[6:7] neg_lo:[0,1] neg_hi:[0,1]
	s_delay_alu instid0(VALU_DEP_1) | instskip(SKIP_2) | instid1(VALU_DEP_2)
	v_pk_add_f32 v[0:1], v[0:1], v[2:3] neg_lo:[0,1] neg_hi:[0,1]
	v_add_f32_e32 v6, v10, v8
	v_cvt_f32_i32_e32 v2, v5
	v_add_f32_e32 v1, v6, v1
	s_delay_alu instid0(VALU_DEP_1) | instskip(NEXT) | instid1(VALU_DEP_1)
	v_add_f32_e32 v0, v0, v1
	v_dual_add_f32 v6, v12, v13 :: v_dual_add_f32 v0, v7, v0
	s_delay_alu instid0(VALU_DEP_1) | instskip(NEXT) | instid1(VALU_DEP_1)
	v_sub_f32_e32 v1, v6, v12
	v_dual_mul_f32 v0, v11, v0 :: v_dual_sub_f32 v1, v13, v1
	s_delay_alu instid0(VALU_DEP_1) | instskip(NEXT) | instid1(VALU_DEP_1)
	v_add_f32_e32 v8, v1, v0
	v_dual_mov_b32 v0, 0x3f317218 :: v_dual_add_f32 v7, v6, v8
	s_delay_alu instid0(VALU_DEP_1) | instskip(NEXT) | instid1(VALU_DEP_1)
	v_mul_f32_e32 v1, v7, v7
	v_fmaak_f32 v9, s22, v1, 0x3ecc95a3
	v_mul_f32_e32 v3, v7, v1
	s_delay_alu instid0(VALU_DEP_2) | instskip(NEXT) | instid1(VALU_DEP_1)
	v_fmaak_f32 v1, v1, v9, 0x3f2aaada
	v_pk_mul_f32 v[0:1], v[2:3], v[0:1]
	s_delay_alu instid0(VALU_DEP_1) | instskip(NEXT) | instid1(VALU_DEP_1)
	v_fma_f32 v5, 0x3f317218, v2, -v0
	v_dual_fmamk_f32 v2, v2, 0xb102e308, v5 :: v_dual_sub_f32 v5, v7, v6
	s_delay_alu instid0(VALU_DEP_1) | instskip(SKIP_2) | instid1(VALU_DEP_3)
	v_sub_f32_e32 v5, v8, v5
	v_ldexp_f32 v3, v7, 1
	v_mov_b32_e32 v8, v0
	v_ldexp_f32 v5, v5, 1
	s_delay_alu instid0(VALU_DEP_3) | instskip(NEXT) | instid1(VALU_DEP_1)
	v_pk_add_f32 v[6:7], v[0:1], v[2:3]
	v_dual_sub_f32 v3, v7, v3 :: v_dual_mov_b32 v16, v7
	s_delay_alu instid0(VALU_DEP_1) | instskip(NEXT) | instid1(VALU_DEP_3)
	v_sub_f32_e32 v3, v1, v3
	v_pk_add_f32 v[0:1], v[6:7], v[0:1] neg_lo:[0,1] neg_hi:[0,1]
	s_delay_alu instid0(VALU_DEP_2) | instskip(NEXT) | instid1(VALU_DEP_1)
	v_dual_add_f32 v9, v5, v3 :: v_dual_mov_b32 v3, v6
	v_pk_add_f32 v[10:11], v[6:7], v[8:9]
	s_delay_alu instid0(VALU_DEP_1) | instskip(NEXT) | instid1(VALU_DEP_1)
	v_mov_b32_e32 v1, v11
	v_pk_add_f32 v[12:13], v[2:3], v[0:1]
	v_mov_b32_e32 v12, v11
	v_pk_add_f32 v[0:1], v[2:3], v[0:1] neg_lo:[0,1] neg_hi:[0,1]
	s_delay_alu instid0(VALU_DEP_3) | instskip(NEXT) | instid1(VALU_DEP_1)
	v_dual_mov_b32 v8, v13 :: v_dual_mov_b32 v1, v13
	v_pk_add_f32 v[14:15], v[8:9], v[6:7] neg_lo:[0,1] neg_hi:[0,1]
	v_dual_mov_b32 v7, v6 :: v_dual_mov_b32 v6, v9
	s_delay_alu instid0(VALU_DEP_2) | instskip(NEXT) | instid1(VALU_DEP_1)
	v_dual_mov_b32 v5, v14 :: v_dual_mov_b32 v17, v14
	v_pk_add_f32 v[10:11], v[10:11], v[4:5] neg_lo:[0,1] neg_hi:[0,1]
	s_delay_alu instid0(VALU_DEP_2) | instskip(SKIP_1) | instid1(VALU_DEP_2)
	v_pk_add_f32 v[2:3], v[12:13], v[16:17] neg_lo:[0,1] neg_hi:[0,1]
	v_mov_b32_e32 v10, v0
	v_pk_add_f32 v[2:3], v[6:7], v[2:3] neg_lo:[0,1] neg_hi:[0,1]
	s_delay_alu instid0(VALU_DEP_1) | instskip(NEXT) | instid1(VALU_DEP_1)
	v_pk_add_f32 v[6:7], v[10:11], v[2:3]
	v_mov_b32_e32 v10, v7
	s_delay_alu instid0(VALU_DEP_1) | instskip(NEXT) | instid1(VALU_DEP_1)
	v_pk_add_f32 v[10:11], v[6:7], v[10:11]
	v_pk_add_f32 v[8:9], v[8:9], v[10:11]
	s_delay_alu instid0(VALU_DEP_1) | instskip(NEXT) | instid1(VALU_DEP_1)
	v_mov_b32_e32 v7, v8
	v_pk_add_f32 v[12:13], v[6:7], v[0:1] neg_lo:[0,1] neg_hi:[0,1]
	s_delay_alu instid0(VALU_DEP_1) | instskip(NEXT) | instid1(VALU_DEP_1)
	v_sub_f32_e32 v1, v6, v12
	v_dual_mov_b32 v3, v10 :: v_dual_sub_f32 v0, v0, v1
	s_delay_alu instid0(VALU_DEP_1) | instskip(NEXT) | instid1(VALU_DEP_1)
	v_pk_add_f32 v[2:3], v[2:3], v[12:13] neg_lo:[0,1] neg_hi:[0,1]
	v_add_f32_e32 v0, v2, v0
	s_delay_alu instid0(VALU_DEP_1) | instskip(NEXT) | instid1(VALU_DEP_1)
	v_add_f32_e32 v0, v0, v3
	v_add_f32_e32 v0, v8, v0
	s_delay_alu instid0(VALU_DEP_1) | instskip(SKIP_1) | instid1(VALU_DEP_2)
	v_cndmask_b32_e32 v0, 0x7f800000, v0, vcc_lo
	v_cmp_gt_f32_e64 vcc_lo, 0x33800000, |v18|
	v_cndmask_b32_e32 v0, v0, v18, vcc_lo
	s_delay_alu instid0(VALU_DEP_1) | instskip(NEXT) | instid1(VALU_DEP_1)
	v_div_scale_f32 v1, null, s10, s10, v0
	v_rcp_f32_e32 v2, v1
	v_nop
	s_delay_alu instid0(TRANS32_DEP_1) | instskip(NEXT) | instid1(VALU_DEP_1)
	v_fma_f32 v3, -v1, v2, 1.0
	v_fmac_f32_e32 v2, v3, v2
	v_div_scale_f32 v3, vcc_lo, v0, s10, v0
	s_delay_alu instid0(VALU_DEP_1) | instskip(NEXT) | instid1(VALU_DEP_1)
	v_mul_f32_e32 v5, v3, v2
	v_fma_f32 v6, -v1, v5, v3
	s_delay_alu instid0(VALU_DEP_1) | instskip(NEXT) | instid1(VALU_DEP_1)
	v_fmac_f32_e32 v5, v6, v2
	v_fma_f32 v1, -v1, v5, v3
	s_delay_alu instid0(VALU_DEP_1) | instskip(NEXT) | instid1(VALU_DEP_1)
	v_div_fmas_f32 v1, v1, v2, v5
	v_div_fixup_f32 v2, v1, s10, v0
.LBB34_656:
	s_or_b32 exec_lo, exec_lo, s0
	v_mul_lo_u32 v0, v4, s8
	s_delay_alu instid0(VALU_DEP_2) | instskip(SKIP_2) | instid1(SALU_CYCLE_1)
	v_bfe_u32 v1, v2, 16, 1
	v_cmp_o_f32_e32 vcc_lo, v2, v2
	s_and_b32 s22, s2, 0xff
	s_cmp_lt_i32 s22, 11
	s_delay_alu instid0(VALU_DEP_2) | instskip(NEXT) | instid1(VALU_DEP_1)
	v_add3_u32 v3, v2, v1, 0x7fff
	v_dual_ashrrev_i32 v1, 31, v0 :: v_dual_lshrrev_b32 v3, 16, v3
	s_delay_alu instid0(VALU_DEP_1) | instskip(NEXT) | instid1(VALU_DEP_2)
	v_add_nc_u64_e32 v[0:1], s[4:5], v[0:1]
	v_cndmask_b32_e32 v2, 0x7fc0, v3, vcc_lo
	s_cbranch_scc1 .LBB34_664
; %bb.657:
	s_and_b32 s23, 0xffff, s22
	s_delay_alu instid0(SALU_CYCLE_1)
	s_cmp_gt_i32 s23, 25
	s_cbranch_scc0 .LBB34_665
; %bb.658:
	s_cmp_gt_i32 s23, 28
	s_cbranch_scc0 .LBB34_666
; %bb.659:
	;; [unrolled: 3-line block ×4, first 2 shown]
	s_mov_b32 s25, 0
	s_mov_b32 s0, -1
	s_cmp_eq_u32 s23, 46
	s_mov_b32 s24, 0
	s_cbranch_scc0 .LBB34_669
; %bb.662:
	v_and_b32_e32 v3, 0xffff, v2
	s_mov_b32 s24, -1
	s_mov_b32 s0, 0
	global_store_b32 v[0:1], v3, off
	s_branch .LBB34_669
.LBB34_663:
	s_mov_b32 s22, 0
	s_mov_b32 s0, s18
	s_branch .LBB34_780
.LBB34_664:
	s_mov_b32 s23, -1
	s_mov_b32 s24, 0
	s_mov_b32 s0, s18
	s_branch .LBB34_738
.LBB34_665:
	s_mov_b32 s25, -1
	s_mov_b32 s24, 0
	s_mov_b32 s0, s18
	s_branch .LBB34_696
.LBB34_666:
	s_mov_b32 s25, -1
	s_mov_b32 s24, 0
	s_mov_b32 s0, s18
	s_branch .LBB34_679
.LBB34_667:
	s_mov_b32 s25, -1
	s_mov_b32 s24, 0
	s_mov_b32 s0, s18
	s_branch .LBB34_675
.LBB34_668:
	s_mov_b32 s25, -1
	s_mov_b32 s24, 0
	s_mov_b32 s0, s18
.LBB34_669:
	s_and_b32 vcc_lo, exec_lo, s25
	s_cbranch_vccz .LBB34_674
; %bb.670:
	s_cmp_eq_u32 s23, 44
	s_mov_b32 s0, -1
	s_cbranch_scc0 .LBB34_674
; %bb.671:
	s_wait_xcnt 0x0
	v_and_b32_e32 v3, 0xffff, v2
	v_mov_b32_e32 v5, 0xff
	s_mov_b32 s24, exec_lo
	s_delay_alu instid0(VALU_DEP_2) | instskip(NEXT) | instid1(VALU_DEP_1)
	v_bfe_u32 v6, v3, 7, 8
	v_cmpx_ne_u32_e32 0xff, v6
	s_cbranch_execz .LBB34_673
; %bb.672:
	v_dual_lshlrev_b32 v5, 16, v3 :: v_dual_bitop2_b32 v7, 64, v3 bitop3:0x40
	v_lshrrev_b32_e32 v3, 7, v3
	s_delay_alu instid0(VALU_DEP_2) | instskip(NEXT) | instid1(VALU_DEP_3)
	v_and_or_b32 v5, 0x3f0000, v5, v6
	v_cmp_ne_u32_e32 vcc_lo, 0, v7
	s_delay_alu instid0(VALU_DEP_2) | instskip(SKIP_1) | instid1(SALU_CYCLE_1)
	v_cmp_ne_u32_e64 s0, 0, v5
	s_and_b32 s0, vcc_lo, s0
	v_cndmask_b32_e64 v5, 0, 1, s0
	s_delay_alu instid0(VALU_DEP_1)
	v_add_nc_u32_e32 v5, v3, v5
.LBB34_673:
	s_or_b32 exec_lo, exec_lo, s24
	s_mov_b32 s24, -1
	s_mov_b32 s0, 0
	global_store_b8 v[0:1], v5, off
.LBB34_674:
	s_mov_b32 s25, 0
.LBB34_675:
	s_delay_alu instid0(SALU_CYCLE_1)
	s_and_b32 vcc_lo, exec_lo, s25
	s_cbranch_vccz .LBB34_678
; %bb.676:
	s_cmp_eq_u32 s23, 29
	s_mov_b32 s0, -1
	s_cbranch_scc0 .LBB34_678
; %bb.677:
	s_wait_xcnt 0x0
	v_lshlrev_b32_e32 v3, 16, v2
	s_mov_b32 s24, -1
	s_mov_b32 s0, 0
	s_mov_b32 s25, 0
	s_delay_alu instid0(VALU_DEP_1) | instskip(NEXT) | instid1(VALU_DEP_1)
	v_trunc_f32_e32 v3, v3
	v_mul_f32_e32 v5, 0x2f800000, v3
	s_delay_alu instid0(VALU_DEP_1) | instskip(NEXT) | instid1(VALU_DEP_1)
	v_floor_f32_e32 v5, v5
	v_fmamk_f32 v3, v5, 0xcf800000, v3
	v_cvt_u32_f32_e32 v7, v5
	s_delay_alu instid0(VALU_DEP_2)
	v_cvt_u32_f32_e32 v6, v3
	global_store_b64 v[0:1], v[6:7], off
	s_branch .LBB34_679
.LBB34_678:
	s_mov_b32 s25, 0
.LBB34_679:
	s_delay_alu instid0(SALU_CYCLE_1)
	s_and_b32 vcc_lo, exec_lo, s25
	s_cbranch_vccz .LBB34_695
; %bb.680:
	s_cmp_lt_i32 s23, 27
	s_mov_b32 s24, -1
	s_cbranch_scc1 .LBB34_686
; %bb.681:
	s_cmp_gt_i32 s23, 27
	s_cbranch_scc0 .LBB34_683
; %bb.682:
	s_wait_xcnt 0x0
	v_lshlrev_b32_e32 v3, 16, v2
	s_mov_b32 s24, 0
	s_delay_alu instid0(VALU_DEP_1)
	v_cvt_u32_f32_e32 v3, v3
	global_store_b32 v[0:1], v3, off
.LBB34_683:
	s_and_not1_b32 vcc_lo, exec_lo, s24
	s_cbranch_vccnz .LBB34_685
; %bb.684:
	s_wait_xcnt 0x0
	v_lshlrev_b32_e32 v3, 16, v2
	s_delay_alu instid0(VALU_DEP_1)
	v_cvt_u32_f32_e32 v3, v3
	global_store_b16 v[0:1], v3, off
.LBB34_685:
	s_mov_b32 s24, 0
.LBB34_686:
	s_delay_alu instid0(SALU_CYCLE_1)
	s_and_not1_b32 vcc_lo, exec_lo, s24
	s_cbranch_vccnz .LBB34_694
; %bb.687:
	s_wait_xcnt 0x0
	v_dual_mov_b32 v7, 0x80 :: v_dual_lshlrev_b32 v6, 16, v2
	s_mov_b32 s24, exec_lo
	s_delay_alu instid0(VALU_DEP_1) | instskip(NEXT) | instid1(VALU_DEP_1)
	v_and_b32_e32 v5, 0x7fffffff, v6
	v_cmpx_gt_u32_e32 0x43800000, v5
	s_cbranch_execz .LBB34_693
; %bb.688:
	v_and_b32_e32 v3, 0xffff, v2
	v_cmp_lt_u32_e32 vcc_lo, 0x3bffffff, v5
	s_mov_b32 s25, 0
                                        ; implicit-def: $vgpr5
	s_and_saveexec_b32 s26, vcc_lo
	s_delay_alu instid0(SALU_CYCLE_1)
	s_xor_b32 s26, exec_lo, s26
	s_cbranch_execz .LBB34_795
; %bb.689:
	v_bfe_u32 v5, v3, 4, 1
	s_mov_b32 s25, exec_lo
	s_delay_alu instid0(VALU_DEP_1) | instskip(NEXT) | instid1(VALU_DEP_1)
	v_add3_u32 v5, v6, v5, 0x487ffff
                                        ; implicit-def: $vgpr6
	v_lshrrev_b32_e32 v5, 20, v5
	s_and_not1_saveexec_b32 s26, s26
	s_cbranch_execnz .LBB34_796
.LBB34_690:
	s_or_b32 exec_lo, exec_lo, s26
	v_mov_b32_e32 v7, 0
	s_and_saveexec_b32 s26, s25
.LBB34_691:
	v_lshrrev_b32_e32 v3, 8, v3
	s_delay_alu instid0(VALU_DEP_1)
	v_and_or_b32 v7, 0x80, v3, v5
.LBB34_692:
	s_or_b32 exec_lo, exec_lo, s26
.LBB34_693:
	s_delay_alu instid0(SALU_CYCLE_1)
	s_or_b32 exec_lo, exec_lo, s24
	global_store_b8 v[0:1], v7, off
.LBB34_694:
	s_mov_b32 s24, -1
.LBB34_695:
	s_mov_b32 s25, 0
.LBB34_696:
	s_delay_alu instid0(SALU_CYCLE_1)
	s_and_b32 vcc_lo, exec_lo, s25
	s_cbranch_vccz .LBB34_737
; %bb.697:
	s_cmp_gt_i32 s23, 22
	s_mov_b32 s25, -1
	s_cbranch_scc0 .LBB34_729
; %bb.698:
	s_cmp_lt_i32 s23, 24
	s_mov_b32 s24, -1
	s_cbranch_scc1 .LBB34_718
; %bb.699:
	s_cmp_gt_i32 s23, 24
	s_cbranch_scc0 .LBB34_707
; %bb.700:
	s_wait_xcnt 0x0
	v_dual_mov_b32 v7, 0x80 :: v_dual_lshlrev_b32 v6, 16, v2
	s_mov_b32 s24, exec_lo
	s_delay_alu instid0(VALU_DEP_1) | instskip(NEXT) | instid1(VALU_DEP_1)
	v_and_b32_e32 v5, 0x7fffffff, v6
	v_cmpx_gt_u32_e32 0x47800000, v5
	s_cbranch_execz .LBB34_706
; %bb.701:
	v_and_b32_e32 v3, 0xffff, v2
	v_cmp_lt_u32_e32 vcc_lo, 0x37ffffff, v5
	s_mov_b32 s25, 0
                                        ; implicit-def: $vgpr5
	s_and_saveexec_b32 s26, vcc_lo
	s_delay_alu instid0(SALU_CYCLE_1)
	s_xor_b32 s26, exec_lo, s26
	s_cbranch_execz .LBB34_798
; %bb.702:
	v_bfe_u32 v5, v3, 5, 1
	s_mov_b32 s25, exec_lo
	s_delay_alu instid0(VALU_DEP_1) | instskip(NEXT) | instid1(VALU_DEP_1)
	v_add3_u32 v5, v6, v5, 0x88fffff
                                        ; implicit-def: $vgpr6
	v_lshrrev_b32_e32 v5, 21, v5
	s_and_not1_saveexec_b32 s26, s26
	s_cbranch_execnz .LBB34_799
.LBB34_703:
	s_or_b32 exec_lo, exec_lo, s26
	v_mov_b32_e32 v7, 0
	s_and_saveexec_b32 s26, s25
.LBB34_704:
	v_lshrrev_b32_e32 v3, 8, v3
	s_delay_alu instid0(VALU_DEP_1)
	v_and_or_b32 v7, 0x80, v3, v5
.LBB34_705:
	s_or_b32 exec_lo, exec_lo, s26
.LBB34_706:
	s_delay_alu instid0(SALU_CYCLE_1)
	s_or_b32 exec_lo, exec_lo, s24
	s_mov_b32 s24, 0
	global_store_b8 v[0:1], v7, off
.LBB34_707:
	s_and_b32 vcc_lo, exec_lo, s24
	s_cbranch_vccz .LBB34_717
; %bb.708:
	s_wait_xcnt 0x0
	v_lshlrev_b32_e32 v6, 16, v2
	v_and_b32_e32 v3, 0xffff, v2
	s_mov_b32 s24, exec_lo
                                        ; implicit-def: $vgpr5
	s_delay_alu instid0(VALU_DEP_2) | instskip(NEXT) | instid1(VALU_DEP_1)
	v_and_b32_e32 v7, 0x7fffffff, v6
	v_cmpx_gt_u32_e32 0x43f00000, v7
	s_xor_b32 s24, exec_lo, s24
	s_cbranch_execz .LBB34_714
; %bb.709:
	s_mov_b32 s25, exec_lo
                                        ; implicit-def: $vgpr5
	v_cmpx_lt_u32_e32 0x3c7fffff, v7
	s_xor_b32 s25, exec_lo, s25
; %bb.710:
	v_bfe_u32 v5, v3, 4, 1
	s_delay_alu instid0(VALU_DEP_1) | instskip(NEXT) | instid1(VALU_DEP_1)
	v_add3_u32 v5, v6, v5, 0x407ffff
	v_and_b32_e32 v6, 0xff00000, v5
	v_lshrrev_b32_e32 v5, 20, v5
	s_delay_alu instid0(VALU_DEP_2) | instskip(NEXT) | instid1(VALU_DEP_2)
	v_cmp_ne_u32_e32 vcc_lo, 0x7f00000, v6
                                        ; implicit-def: $vgpr6
	v_cndmask_b32_e32 v5, 0x7e, v5, vcc_lo
; %bb.711:
	s_and_not1_saveexec_b32 s25, s25
; %bb.712:
	v_add_f32_e64 v5, 0x46800000, |v6|
; %bb.713:
	s_or_b32 exec_lo, exec_lo, s25
                                        ; implicit-def: $vgpr7
.LBB34_714:
	s_and_not1_saveexec_b32 s24, s24
; %bb.715:
	v_mov_b32_e32 v5, 0x7f
	v_cmp_lt_u32_e32 vcc_lo, 0x7f800000, v7
	s_delay_alu instid0(VALU_DEP_2)
	v_cndmask_b32_e32 v5, 0x7e, v5, vcc_lo
; %bb.716:
	s_or_b32 exec_lo, exec_lo, s24
	v_lshrrev_b32_e32 v3, 8, v3
	s_delay_alu instid0(VALU_DEP_1)
	v_and_or_b32 v3, 0x80, v3, v5
	global_store_b8 v[0:1], v3, off
.LBB34_717:
	s_mov_b32 s24, 0
.LBB34_718:
	s_delay_alu instid0(SALU_CYCLE_1)
	s_and_not1_b32 vcc_lo, exec_lo, s24
	s_cbranch_vccnz .LBB34_728
; %bb.719:
	s_wait_xcnt 0x0
	v_lshlrev_b32_e32 v6, 16, v2
	v_and_b32_e32 v3, 0xffff, v2
	s_mov_b32 s24, exec_lo
                                        ; implicit-def: $vgpr5
	s_delay_alu instid0(VALU_DEP_2) | instskip(NEXT) | instid1(VALU_DEP_1)
	v_and_b32_e32 v7, 0x7fffffff, v6
	v_cmpx_gt_u32_e32 0x47800000, v7
	s_xor_b32 s24, exec_lo, s24
	s_cbranch_execz .LBB34_725
; %bb.720:
	s_mov_b32 s25, exec_lo
                                        ; implicit-def: $vgpr5
	v_cmpx_lt_u32_e32 0x387fffff, v7
	s_xor_b32 s25, exec_lo, s25
; %bb.721:
	v_bfe_u32 v5, v3, 5, 1
	s_delay_alu instid0(VALU_DEP_1) | instskip(NEXT) | instid1(VALU_DEP_1)
	v_add3_u32 v5, v6, v5, 0x80fffff
                                        ; implicit-def: $vgpr6
	v_lshrrev_b32_e32 v5, 21, v5
; %bb.722:
	s_and_not1_saveexec_b32 s25, s25
; %bb.723:
	v_add_f32_e64 v5, 0x43000000, |v6|
; %bb.724:
	s_or_b32 exec_lo, exec_lo, s25
                                        ; implicit-def: $vgpr7
.LBB34_725:
	s_and_not1_saveexec_b32 s24, s24
; %bb.726:
	v_mov_b32_e32 v5, 0x7f
	v_cmp_lt_u32_e32 vcc_lo, 0x7f800000, v7
	s_delay_alu instid0(VALU_DEP_2)
	v_cndmask_b32_e32 v5, 0x7c, v5, vcc_lo
; %bb.727:
	s_or_b32 exec_lo, exec_lo, s24
	v_lshrrev_b32_e32 v3, 8, v3
	s_delay_alu instid0(VALU_DEP_1)
	v_and_or_b32 v3, 0x80, v3, v5
	global_store_b8 v[0:1], v3, off
.LBB34_728:
	s_mov_b32 s25, 0
	s_mov_b32 s24, -1
.LBB34_729:
	s_and_not1_b32 vcc_lo, exec_lo, s25
	s_cbranch_vccnz .LBB34_737
; %bb.730:
	s_cmp_gt_i32 s23, 14
	s_mov_b32 s25, -1
	s_cbranch_scc0 .LBB34_734
; %bb.731:
	s_cmp_eq_u32 s23, 15
	s_mov_b32 s0, -1
	s_cbranch_scc0 .LBB34_733
; %bb.732:
	s_mov_b32 s24, -1
	s_mov_b32 s0, 0
	global_store_b16 v[0:1], v2, off
.LBB34_733:
	s_mov_b32 s25, 0
.LBB34_734:
	s_delay_alu instid0(SALU_CYCLE_1)
	s_and_b32 vcc_lo, exec_lo, s25
	s_cbranch_vccz .LBB34_737
; %bb.735:
	s_cmp_eq_u32 s23, 11
	s_mov_b32 s0, -1
	s_cbranch_scc0 .LBB34_737
; %bb.736:
	s_wait_xcnt 0x0
	v_and_b32_e32 v3, 0x7fff, v2
	s_mov_b32 s0, 0
	s_mov_b32 s24, -1
	s_delay_alu instid0(VALU_DEP_1)
	v_cmp_ne_u16_e32 vcc_lo, 0, v3
	v_cndmask_b32_e64 v3, 0, 1, vcc_lo
	global_store_b8 v[0:1], v3, off
.LBB34_737:
	s_mov_b32 s23, 0
.LBB34_738:
	s_delay_alu instid0(SALU_CYCLE_1)
	s_and_b32 vcc_lo, exec_lo, s23
	s_cbranch_vccz .LBB34_777
; %bb.739:
	s_and_b32 s22, 0xffff, s22
	s_mov_b32 s23, -1
	s_cmp_lt_i32 s22, 5
	s_cbranch_scc1 .LBB34_760
; %bb.740:
	s_cmp_lt_i32 s22, 8
	s_cbranch_scc1 .LBB34_750
; %bb.741:
	;; [unrolled: 3-line block ×3, first 2 shown]
	s_cmp_gt_i32 s22, 9
	s_cbranch_scc0 .LBB34_744
; %bb.743:
	s_wait_xcnt 0x0
	v_dual_mov_b32 v8, 0 :: v_dual_lshlrev_b32 v3, 16, v2
	s_mov_b32 s23, 0
	s_delay_alu instid0(VALU_DEP_1) | instskip(NEXT) | instid1(VALU_DEP_2)
	v_cvt_f64_f32_e32 v[6:7], v3
	v_mov_b32_e32 v9, v8
	global_store_b128 v[0:1], v[6:9], off
.LBB34_744:
	s_and_not1_b32 vcc_lo, exec_lo, s23
	s_cbranch_vccnz .LBB34_746
; %bb.745:
	s_wait_xcnt 0x0
	v_dual_mov_b32 v7, 0 :: v_dual_lshlrev_b32 v6, 16, v2
	global_store_b64 v[0:1], v[6:7], off
.LBB34_746:
	s_mov_b32 s23, 0
.LBB34_747:
	s_delay_alu instid0(SALU_CYCLE_1)
	s_and_not1_b32 vcc_lo, exec_lo, s23
	s_cbranch_vccnz .LBB34_749
; %bb.748:
	s_wait_xcnt 0x0
	v_lshlrev_b32_e32 v3, 16, v2
	s_delay_alu instid0(VALU_DEP_1) | instskip(NEXT) | instid1(VALU_DEP_1)
	v_cvt_f16_f32_e32 v3, v3
	v_and_b32_e32 v3, 0xffff, v3
	global_store_b32 v[0:1], v3, off
.LBB34_749:
	s_mov_b32 s23, 0
.LBB34_750:
	s_delay_alu instid0(SALU_CYCLE_1)
	s_and_not1_b32 vcc_lo, exec_lo, s23
	s_cbranch_vccnz .LBB34_759
; %bb.751:
	s_cmp_lt_i32 s22, 6
	s_mov_b32 s23, -1
	s_cbranch_scc1 .LBB34_757
; %bb.752:
	s_cmp_gt_i32 s22, 6
	s_cbranch_scc0 .LBB34_754
; %bb.753:
	s_wait_xcnt 0x0
	v_lshlrev_b32_e32 v3, 16, v2
	s_mov_b32 s23, 0
	s_delay_alu instid0(VALU_DEP_1)
	v_cvt_f64_f32_e32 v[6:7], v3
	global_store_b64 v[0:1], v[6:7], off
.LBB34_754:
	s_and_not1_b32 vcc_lo, exec_lo, s23
	s_cbranch_vccnz .LBB34_756
; %bb.755:
	s_wait_xcnt 0x0
	v_lshlrev_b32_e32 v3, 16, v2
	global_store_b32 v[0:1], v3, off
.LBB34_756:
	s_mov_b32 s23, 0
.LBB34_757:
	s_delay_alu instid0(SALU_CYCLE_1)
	s_and_not1_b32 vcc_lo, exec_lo, s23
	s_cbranch_vccnz .LBB34_759
; %bb.758:
	s_wait_xcnt 0x0
	v_lshlrev_b32_e32 v3, 16, v2
	s_delay_alu instid0(VALU_DEP_1)
	v_cvt_f16_f32_e32 v3, v3
	global_store_b16 v[0:1], v3, off
.LBB34_759:
	s_mov_b32 s23, 0
.LBB34_760:
	s_delay_alu instid0(SALU_CYCLE_1)
	s_and_not1_b32 vcc_lo, exec_lo, s23
	s_cbranch_vccnz .LBB34_776
; %bb.761:
	s_cmp_lt_i32 s22, 2
	s_mov_b32 s23, -1
	s_cbranch_scc1 .LBB34_771
; %bb.762:
	s_cmp_lt_i32 s22, 3
	s_cbranch_scc1 .LBB34_768
; %bb.763:
	s_cmp_gt_i32 s22, 3
	s_cbranch_scc0 .LBB34_765
; %bb.764:
	s_wait_xcnt 0x0
	v_lshlrev_b32_e32 v3, 16, v2
	s_mov_b32 s23, 0
	s_delay_alu instid0(VALU_DEP_1) | instskip(NEXT) | instid1(VALU_DEP_1)
	v_trunc_f32_e32 v3, v3
	v_mul_f32_e64 v5, 0x2f800000, |v3|
	v_ashrrev_i32_e32 v6, 31, v3
	s_delay_alu instid0(VALU_DEP_2) | instskip(NEXT) | instid1(VALU_DEP_1)
	v_floor_f32_e32 v5, v5
	v_fma_f32 v7, 0xcf800000, v5, |v3|
	v_cvt_u32_f32_e32 v3, v5
	s_delay_alu instid0(VALU_DEP_2) | instskip(NEXT) | instid1(VALU_DEP_2)
	v_cvt_u32_f32_e32 v5, v7
	v_dual_mov_b32 v7, v6 :: v_dual_bitop2_b32 v9, v3, v6 bitop3:0x14
	s_delay_alu instid0(VALU_DEP_2) | instskip(NEXT) | instid1(VALU_DEP_1)
	v_xor_b32_e32 v8, v5, v6
	v_sub_nc_u64_e32 v[6:7], v[8:9], v[6:7]
	global_store_b64 v[0:1], v[6:7], off
.LBB34_765:
	s_and_not1_b32 vcc_lo, exec_lo, s23
	s_cbranch_vccnz .LBB34_767
; %bb.766:
	s_wait_xcnt 0x0
	v_lshlrev_b32_e32 v3, 16, v2
	s_delay_alu instid0(VALU_DEP_1)
	v_cvt_i32_f32_e32 v3, v3
	global_store_b32 v[0:1], v3, off
.LBB34_767:
	s_mov_b32 s23, 0
.LBB34_768:
	s_delay_alu instid0(SALU_CYCLE_1)
	s_and_not1_b32 vcc_lo, exec_lo, s23
	s_cbranch_vccnz .LBB34_770
; %bb.769:
	s_wait_xcnt 0x0
	v_lshlrev_b32_e32 v3, 16, v2
	s_delay_alu instid0(VALU_DEP_1)
	v_cvt_i32_f32_e32 v3, v3
	global_store_b16 v[0:1], v3, off
.LBB34_770:
	s_mov_b32 s23, 0
.LBB34_771:
	s_delay_alu instid0(SALU_CYCLE_1)
	s_and_not1_b32 vcc_lo, exec_lo, s23
	s_cbranch_vccnz .LBB34_776
; %bb.772:
	s_wait_xcnt 0x0
	v_lshlrev_b32_e32 v2, 16, v2
	s_cmp_gt_i32 s22, 0
	s_mov_b32 s22, -1
	s_cbranch_scc0 .LBB34_774
; %bb.773:
	s_delay_alu instid0(VALU_DEP_1)
	v_cvt_i32_f32_e32 v3, v2
	s_mov_b32 s22, 0
	global_store_b8 v[0:1], v3, off
.LBB34_774:
	s_and_not1_b32 vcc_lo, exec_lo, s22
	s_cbranch_vccnz .LBB34_776
; %bb.775:
	v_trunc_f32_e32 v2, v2
	s_wait_xcnt 0x0
	s_delay_alu instid0(VALU_DEP_1) | instskip(NEXT) | instid1(VALU_DEP_1)
	v_mul_f32_e64 v3, 0x2f800000, |v2|
	v_floor_f32_e32 v3, v3
	s_delay_alu instid0(VALU_DEP_1) | instskip(SKIP_1) | instid1(VALU_DEP_2)
	v_fma_f32 v3, 0xcf800000, v3, |v2|
	v_ashrrev_i32_e32 v2, 31, v2
	v_cvt_u32_f32_e32 v3, v3
	s_delay_alu instid0(VALU_DEP_1) | instskip(NEXT) | instid1(VALU_DEP_1)
	v_xor_b32_e32 v3, v3, v2
	v_sub_nc_u32_e32 v2, v3, v2
	global_store_b8 v[0:1], v2, off
.LBB34_776:
	s_mov_b32 s24, -1
.LBB34_777:
	s_delay_alu instid0(SALU_CYCLE_1)
	s_and_not1_b32 vcc_lo, exec_lo, s24
	s_cbranch_vccnz .LBB34_779
; %bb.778:
	v_add_nc_u32_e32 v4, 0x80, v4
	s_mov_b32 s22, -1
	s_branch .LBB34_781
.LBB34_779:
	s_mov_b32 s22, 0
.LBB34_780:
                                        ; implicit-def: $vgpr4
.LBB34_781:
	s_and_not1_b32 s23, s18, exec_lo
	s_and_b32 s0, s0, exec_lo
	s_and_not1_b32 s24, s17, exec_lo
	s_and_b32 s25, s21, exec_lo
	s_or_b32 s21, s23, s0
	s_or_b32 s0, s24, s25
	s_or_not1_b32 s22, s22, exec_lo
.LBB34_782:
	s_wait_xcnt 0x0
	s_or_b32 exec_lo, exec_lo, s20
	s_mov_b32 s23, 0
	s_mov_b32 s24, 0
	;; [unrolled: 1-line block ×3, first 2 shown]
                                        ; implicit-def: $vgpr0_vgpr1
                                        ; implicit-def: $vgpr3
	s_and_saveexec_b32 s20, s22
	s_cbranch_execz .LBB34_867
; %bb.783:
	v_cmp_gt_i32_e32 vcc_lo, s14, v4
	s_mov_b32 s22, 0
	s_mov_b32 s23, s0
	;; [unrolled: 1-line block ×3, first 2 shown]
                                        ; implicit-def: $vgpr0_vgpr1
                                        ; implicit-def: $vgpr3
	s_and_saveexec_b32 s14, vcc_lo
	s_cbranch_execz .LBB34_866
; %bb.784:
	v_mul_lo_u32 v0, v4, s9
	s_and_b32 s22, 0xffff, s3
	s_delay_alu instid0(SALU_CYCLE_1) | instskip(NEXT) | instid1(VALU_DEP_1)
	s_cmp_lt_i32 s22, 11
	v_ashrrev_i32_e32 v1, 31, v0
	s_delay_alu instid0(VALU_DEP_1)
	v_add_nc_u64_e32 v[0:1], s[6:7], v[0:1]
	s_cbranch_scc1 .LBB34_791
; %bb.785:
	s_cmp_gt_i32 s22, 25
	s_cbranch_scc0 .LBB34_792
; %bb.786:
	s_cmp_gt_i32 s22, 28
	s_cbranch_scc0 .LBB34_793
	;; [unrolled: 3-line block ×4, first 2 shown]
; %bb.789:
	s_cmp_eq_u32 s22, 46
	s_cbranch_scc0 .LBB34_800
; %bb.790:
	global_load_b32 v3, v[0:1], off
	s_mov_b32 s23, 0
	s_mov_b32 s25, -1
	s_branch .LBB34_802
.LBB34_791:
	s_mov_b32 s22, -1
	s_mov_b32 s23, s0
                                        ; implicit-def: $vgpr3
	s_branch .LBB34_865
.LBB34_792:
	s_mov_b32 s26, -1
	s_mov_b32 s23, s0
                                        ; implicit-def: $vgpr3
	s_branch .LBB34_831
.LBB34_793:
	s_mov_b32 s26, -1
	s_mov_b32 s23, s0
                                        ; implicit-def: $vgpr3
	s_branch .LBB34_812
.LBB34_794:
	s_mov_b32 s26, -1
	s_mov_b32 s23, s0
                                        ; implicit-def: $vgpr3
	s_branch .LBB34_807
.LBB34_795:
	s_and_not1_saveexec_b32 s26, s26
	s_cbranch_execz .LBB34_690
.LBB34_796:
	v_add_f32_e64 v5, 0x46000000, |v6|
	s_and_not1_b32 s25, s25, exec_lo
	s_delay_alu instid0(VALU_DEP_1) | instskip(NEXT) | instid1(VALU_DEP_1)
	v_and_b32_e32 v5, 0xff, v5
	v_cmp_ne_u32_e32 vcc_lo, 0, v5
	s_and_b32 s27, vcc_lo, exec_lo
	s_delay_alu instid0(SALU_CYCLE_1)
	s_or_b32 s25, s25, s27
	s_or_b32 exec_lo, exec_lo, s26
	v_mov_b32_e32 v7, 0
	s_and_saveexec_b32 s26, s25
	s_cbranch_execnz .LBB34_691
	s_branch .LBB34_692
.LBB34_797:
	s_mov_b32 s26, -1
	s_mov_b32 s23, s0
	s_branch .LBB34_801
.LBB34_798:
	s_and_not1_saveexec_b32 s26, s26
	s_cbranch_execz .LBB34_703
.LBB34_799:
	v_add_f32_e64 v5, 0x42800000, |v6|
	s_and_not1_b32 s25, s25, exec_lo
	s_delay_alu instid0(VALU_DEP_1) | instskip(NEXT) | instid1(VALU_DEP_1)
	v_and_b32_e32 v5, 0xff, v5
	v_cmp_ne_u32_e32 vcc_lo, 0, v5
	s_and_b32 s27, vcc_lo, exec_lo
	s_delay_alu instid0(SALU_CYCLE_1)
	s_or_b32 s25, s25, s27
	s_or_b32 exec_lo, exec_lo, s26
	v_mov_b32_e32 v7, 0
	s_and_saveexec_b32 s26, s25
	s_cbranch_execnz .LBB34_704
	s_branch .LBB34_705
.LBB34_800:
	s_mov_b32 s23, -1
.LBB34_801:
                                        ; implicit-def: $vgpr3
.LBB34_802:
	s_and_b32 vcc_lo, exec_lo, s26
	s_cbranch_vccz .LBB34_806
; %bb.803:
	s_cmp_eq_u32 s22, 44
	s_cbranch_scc0 .LBB34_805
; %bb.804:
	s_wait_loadcnt 0x0
	global_load_u8 v2, v[0:1], off
	s_mov_b32 s23, 0
	s_mov_b32 s25, -1
	s_wait_loadcnt 0x0
	v_lshlrev_b32_e32 v3, 23, v2
	v_cmp_ne_u32_e32 vcc_lo, 0xff, v2
	s_delay_alu instid0(VALU_DEP_2) | instskip(SKIP_1) | instid1(VALU_DEP_2)
	v_cndmask_b32_e32 v3, 0x7f800001, v3, vcc_lo
	v_cmp_ne_u32_e32 vcc_lo, 0, v2
	v_cndmask_b32_e32 v2, 0x400000, v3, vcc_lo
	s_delay_alu instid0(VALU_DEP_1) | instskip(NEXT) | instid1(VALU_DEP_1)
	v_add_nc_u32_e32 v3, 0x7fff, v2
	v_lshrrev_b32_e32 v3, 16, v3
	v_cmp_o_f32_e32 vcc_lo, v2, v2
	s_delay_alu instid0(VALU_DEP_2)
	v_cndmask_b32_e32 v3, 0x7fc0, v3, vcc_lo
	s_branch .LBB34_806
.LBB34_805:
	s_mov_b32 s23, -1
                                        ; implicit-def: $vgpr3
.LBB34_806:
	s_mov_b32 s26, 0
.LBB34_807:
	s_delay_alu instid0(SALU_CYCLE_1)
	s_and_b32 vcc_lo, exec_lo, s26
	s_cbranch_vccz .LBB34_811
; %bb.808:
	s_cmp_eq_u32 s22, 29
	s_cbranch_scc0 .LBB34_810
; %bb.809:
	s_wait_loadcnt 0x0
	global_load_b64 v[2:3], v[0:1], off
	s_mov_b32 s23, 0
	s_mov_b32 s25, -1
	s_mov_b32 s26, 0
	s_wait_loadcnt 0x0
	v_clz_i32_u32_e32 v5, v3
	s_delay_alu instid0(VALU_DEP_1) | instskip(NEXT) | instid1(VALU_DEP_1)
	v_min_u32_e32 v5, 32, v5
	v_lshlrev_b64_e32 v[2:3], v5, v[2:3]
	s_delay_alu instid0(VALU_DEP_1) | instskip(NEXT) | instid1(VALU_DEP_1)
	v_min_u32_e32 v2, 1, v2
	v_dual_sub_nc_u32 v3, 32, v5 :: v_dual_bitop2_b32 v2, v3, v2 bitop3:0x54
	s_delay_alu instid0(VALU_DEP_1) | instskip(NEXT) | instid1(VALU_DEP_1)
	v_cvt_f32_u32_e32 v2, v2
	v_ldexp_f32 v2, v2, v3
	s_delay_alu instid0(VALU_DEP_1) | instskip(NEXT) | instid1(VALU_DEP_1)
	v_bfe_u32 v3, v2, 16, 1
	v_add3_u32 v2, v2, v3, 0x7fff
	s_delay_alu instid0(VALU_DEP_1)
	v_lshrrev_b32_e32 v3, 16, v2
	s_branch .LBB34_812
.LBB34_810:
	s_mov_b32 s23, -1
                                        ; implicit-def: $vgpr3
.LBB34_811:
	s_mov_b32 s26, 0
.LBB34_812:
	s_delay_alu instid0(SALU_CYCLE_1)
	s_and_b32 vcc_lo, exec_lo, s26
	s_cbranch_vccz .LBB34_830
; %bb.813:
	s_cmp_lt_i32 s22, 27
	s_cbranch_scc1 .LBB34_816
; %bb.814:
	s_cmp_gt_i32 s22, 27
	s_cbranch_scc0 .LBB34_817
; %bb.815:
	s_wait_loadcnt 0x0
	global_load_b32 v2, v[0:1], off
	s_mov_b32 s25, 0
	s_wait_loadcnt 0x0
	v_cvt_f32_u32_e32 v2, v2
	s_delay_alu instid0(VALU_DEP_1) | instskip(NEXT) | instid1(VALU_DEP_1)
	v_bfe_u32 v3, v2, 16, 1
	v_add3_u32 v2, v2, v3, 0x7fff
	s_delay_alu instid0(VALU_DEP_1)
	v_lshrrev_b32_e32 v3, 16, v2
	s_branch .LBB34_818
.LBB34_816:
	s_mov_b32 s25, -1
                                        ; implicit-def: $vgpr3
	s_branch .LBB34_821
.LBB34_817:
	s_mov_b32 s25, -1
                                        ; implicit-def: $vgpr3
.LBB34_818:
	s_delay_alu instid0(SALU_CYCLE_1)
	s_and_not1_b32 vcc_lo, exec_lo, s25
	s_cbranch_vccnz .LBB34_820
; %bb.819:
	s_wait_loadcnt 0x0
	global_load_u16 v2, v[0:1], off
	s_wait_loadcnt 0x0
	v_cvt_f32_u32_e32 v2, v2
	s_delay_alu instid0(VALU_DEP_1) | instskip(NEXT) | instid1(VALU_DEP_1)
	v_bfe_u32 v3, v2, 16, 1
	v_add3_u32 v2, v2, v3, 0x7fff
	s_delay_alu instid0(VALU_DEP_1)
	v_lshrrev_b32_e32 v3, 16, v2
.LBB34_820:
	s_mov_b32 s25, 0
.LBB34_821:
	s_delay_alu instid0(SALU_CYCLE_1)
	s_and_not1_b32 vcc_lo, exec_lo, s25
	s_cbranch_vccnz .LBB34_829
; %bb.822:
	s_wait_loadcnt 0x0
	global_load_u8 v2, v[0:1], off
	s_mov_b32 s25, 0
	s_mov_b32 s26, exec_lo
	s_wait_loadcnt 0x0
	v_cmpx_lt_i16_e32 0x7f, v2
	s_xor_b32 s26, exec_lo, s26
	s_cbranch_execz .LBB34_843
; %bb.823:
	s_mov_b32 s25, -1
	s_mov_b32 s27, exec_lo
	v_cmpx_eq_u16_e32 0x80, v2
; %bb.824:
	s_xor_b32 s25, exec_lo, -1
; %bb.825:
	s_or_b32 exec_lo, exec_lo, s27
	s_delay_alu instid0(SALU_CYCLE_1)
	s_and_b32 s25, s25, exec_lo
	s_or_saveexec_b32 s26, s26
	v_mov_b32_e32 v3, 0x7f800001
	s_xor_b32 exec_lo, exec_lo, s26
	s_cbranch_execnz .LBB34_844
.LBB34_826:
	s_or_b32 exec_lo, exec_lo, s26
	s_and_saveexec_b32 s26, s25
	s_cbranch_execz .LBB34_828
.LBB34_827:
	v_and_b32_e32 v3, 0xffff, v2
	s_delay_alu instid0(VALU_DEP_1) | instskip(SKIP_1) | instid1(VALU_DEP_2)
	v_and_b32_e32 v5, 7, v3
	v_bfe_u32 v8, v3, 3, 4
	v_clz_i32_u32_e32 v6, v5
	s_delay_alu instid0(VALU_DEP_2) | instskip(NEXT) | instid1(VALU_DEP_2)
	v_cmp_eq_u32_e32 vcc_lo, 0, v8
	v_min_u32_e32 v6, 32, v6
	s_delay_alu instid0(VALU_DEP_1) | instskip(NEXT) | instid1(VALU_DEP_1)
	v_subrev_nc_u32_e32 v7, 28, v6
	v_dual_lshlrev_b32 v3, v7, v3 :: v_dual_sub_nc_u32 v6, 29, v6
	s_delay_alu instid0(VALU_DEP_1) | instskip(NEXT) | instid1(VALU_DEP_1)
	v_dual_lshlrev_b32 v2, 24, v2 :: v_dual_bitop2_b32 v3, 7, v3 bitop3:0x40
	v_dual_cndmask_b32 v3, v5, v3 :: v_dual_cndmask_b32 v6, v8, v6
	s_delay_alu instid0(VALU_DEP_2) | instskip(NEXT) | instid1(VALU_DEP_2)
	v_and_b32_e32 v2, 0x80000000, v2
	v_lshlrev_b32_e32 v3, 20, v3
	s_delay_alu instid0(VALU_DEP_3) | instskip(NEXT) | instid1(VALU_DEP_1)
	v_lshl_add_u32 v5, v6, 23, 0x3b800000
	v_or3_b32 v3, v2, v5, v3
.LBB34_828:
	s_or_b32 exec_lo, exec_lo, s26
	s_delay_alu instid0(VALU_DEP_1) | instskip(SKIP_1) | instid1(VALU_DEP_2)
	v_bfe_u32 v2, v3, 16, 1
	v_cmp_o_f32_e32 vcc_lo, v3, v3
	v_add3_u32 v2, v3, v2, 0x7fff
	s_delay_alu instid0(VALU_DEP_1) | instskip(NEXT) | instid1(VALU_DEP_1)
	v_lshrrev_b32_e32 v2, 16, v2
	v_cndmask_b32_e32 v3, 0x7fc0, v2, vcc_lo
.LBB34_829:
	s_mov_b32 s25, -1
.LBB34_830:
	s_mov_b32 s26, 0
.LBB34_831:
	s_delay_alu instid0(SALU_CYCLE_1)
	s_and_b32 vcc_lo, exec_lo, s26
	s_cbranch_vccz .LBB34_864
; %bb.832:
	s_cmp_gt_i32 s22, 22
	s_cbranch_scc0 .LBB34_842
; %bb.833:
	s_cmp_lt_i32 s22, 24
	s_cbranch_scc1 .LBB34_845
; %bb.834:
	s_cmp_gt_i32 s22, 24
	s_cbranch_scc0 .LBB34_846
; %bb.835:
	s_wait_loadcnt 0x0
	global_load_u8 v2, v[0:1], off
	s_mov_b32 s25, exec_lo
	s_wait_loadcnt 0x0
	v_cmpx_lt_i16_e32 0x7f, v2
	s_xor_b32 s25, exec_lo, s25
	s_cbranch_execz .LBB34_858
; %bb.836:
	s_mov_b32 s24, -1
	s_mov_b32 s26, exec_lo
	v_cmpx_eq_u16_e32 0x80, v2
; %bb.837:
	s_xor_b32 s24, exec_lo, -1
; %bb.838:
	s_or_b32 exec_lo, exec_lo, s26
	s_delay_alu instid0(SALU_CYCLE_1)
	s_and_b32 s24, s24, exec_lo
	s_or_saveexec_b32 s25, s25
	v_mov_b32_e32 v3, 0x7f800001
	s_xor_b32 exec_lo, exec_lo, s25
	s_cbranch_execnz .LBB34_859
.LBB34_839:
	s_or_b32 exec_lo, exec_lo, s25
	s_and_saveexec_b32 s25, s24
	s_cbranch_execz .LBB34_841
.LBB34_840:
	v_and_b32_e32 v3, 0xffff, v2
	s_delay_alu instid0(VALU_DEP_1) | instskip(SKIP_1) | instid1(VALU_DEP_2)
	v_and_b32_e32 v5, 3, v3
	v_bfe_u32 v8, v3, 2, 5
	v_clz_i32_u32_e32 v6, v5
	s_delay_alu instid0(VALU_DEP_2) | instskip(NEXT) | instid1(VALU_DEP_2)
	v_cmp_eq_u32_e32 vcc_lo, 0, v8
	v_min_u32_e32 v6, 32, v6
	s_delay_alu instid0(VALU_DEP_1) | instskip(NEXT) | instid1(VALU_DEP_1)
	v_subrev_nc_u32_e32 v7, 29, v6
	v_dual_lshlrev_b32 v3, v7, v3 :: v_dual_sub_nc_u32 v6, 30, v6
	s_delay_alu instid0(VALU_DEP_1) | instskip(NEXT) | instid1(VALU_DEP_1)
	v_dual_lshlrev_b32 v2, 24, v2 :: v_dual_bitop2_b32 v3, 3, v3 bitop3:0x40
	v_dual_cndmask_b32 v3, v5, v3 :: v_dual_cndmask_b32 v6, v8, v6
	s_delay_alu instid0(VALU_DEP_2) | instskip(NEXT) | instid1(VALU_DEP_2)
	v_and_b32_e32 v2, 0x80000000, v2
	v_lshlrev_b32_e32 v3, 21, v3
	s_delay_alu instid0(VALU_DEP_3) | instskip(NEXT) | instid1(VALU_DEP_1)
	v_lshl_add_u32 v5, v6, 23, 0x37800000
	v_or3_b32 v3, v2, v5, v3
.LBB34_841:
	s_or_b32 exec_lo, exec_lo, s25
	s_delay_alu instid0(VALU_DEP_1) | instskip(SKIP_2) | instid1(VALU_DEP_2)
	v_bfe_u32 v2, v3, 16, 1
	v_cmp_o_f32_e32 vcc_lo, v3, v3
	s_mov_b32 s24, 0
	v_add3_u32 v2, v3, v2, 0x7fff
	s_delay_alu instid0(VALU_DEP_1) | instskip(NEXT) | instid1(VALU_DEP_1)
	v_lshrrev_b32_e32 v2, 16, v2
	v_cndmask_b32_e32 v3, 0x7fc0, v2, vcc_lo
	s_branch .LBB34_847
.LBB34_842:
	s_mov_b32 s24, -1
                                        ; implicit-def: $vgpr3
	s_branch .LBB34_853
.LBB34_843:
	s_or_saveexec_b32 s26, s26
	v_mov_b32_e32 v3, 0x7f800001
	s_xor_b32 exec_lo, exec_lo, s26
	s_cbranch_execz .LBB34_826
.LBB34_844:
	v_cmp_ne_u16_e32 vcc_lo, 0, v2
	v_mov_b32_e32 v3, 0
	s_and_not1_b32 s25, s25, exec_lo
	s_and_b32 s27, vcc_lo, exec_lo
	s_delay_alu instid0(SALU_CYCLE_1)
	s_or_b32 s25, s25, s27
	s_or_b32 exec_lo, exec_lo, s26
	s_and_saveexec_b32 s26, s25
	s_cbranch_execnz .LBB34_827
	s_branch .LBB34_828
.LBB34_845:
	s_mov_b32 s24, -1
                                        ; implicit-def: $vgpr3
	s_branch .LBB34_850
.LBB34_846:
	s_mov_b32 s24, -1
                                        ; implicit-def: $vgpr3
.LBB34_847:
	s_delay_alu instid0(SALU_CYCLE_1)
	s_and_b32 vcc_lo, exec_lo, s24
	s_cbranch_vccz .LBB34_849
; %bb.848:
	s_wait_loadcnt 0x0
	global_load_u8 v2, v[0:1], off
	s_wait_loadcnt 0x0
	v_lshlrev_b32_e32 v2, 24, v2
	s_delay_alu instid0(VALU_DEP_1) | instskip(NEXT) | instid1(VALU_DEP_1)
	v_and_b32_e32 v3, 0x7f000000, v2
	v_clz_i32_u32_e32 v5, v3
	v_add_nc_u32_e32 v7, 0x1000000, v3
	v_cmp_ne_u32_e32 vcc_lo, 0, v3
	s_delay_alu instid0(VALU_DEP_3) | instskip(NEXT) | instid1(VALU_DEP_1)
	v_min_u32_e32 v5, 32, v5
	v_sub_nc_u32_e64 v5, v5, 4 clamp
	s_delay_alu instid0(VALU_DEP_1) | instskip(NEXT) | instid1(VALU_DEP_1)
	v_dual_lshlrev_b32 v6, v5, v3 :: v_dual_lshlrev_b32 v5, 23, v5
	v_lshrrev_b32_e32 v6, 4, v6
	s_delay_alu instid0(VALU_DEP_1) | instskip(NEXT) | instid1(VALU_DEP_1)
	v_dual_sub_nc_u32 v5, v6, v5 :: v_dual_ashrrev_i32 v6, 8, v7
	v_add_nc_u32_e32 v5, 0x3c000000, v5
	s_delay_alu instid0(VALU_DEP_1) | instskip(NEXT) | instid1(VALU_DEP_1)
	v_and_or_b32 v5, 0x7f800000, v6, v5
	v_cndmask_b32_e32 v3, 0, v5, vcc_lo
	s_delay_alu instid0(VALU_DEP_1) | instskip(SKIP_1) | instid1(VALU_DEP_2)
	v_and_or_b32 v2, 0x80000000, v2, v3
	v_bfe_u32 v3, v3, 16, 1
	v_cmp_o_f32_e32 vcc_lo, v2, v2
	s_delay_alu instid0(VALU_DEP_2) | instskip(NEXT) | instid1(VALU_DEP_1)
	v_add3_u32 v3, v2, v3, 0x7fff
	v_lshrrev_b32_e32 v3, 16, v3
	s_delay_alu instid0(VALU_DEP_1)
	v_cndmask_b32_e32 v3, 0x7fc0, v3, vcc_lo
.LBB34_849:
	s_mov_b32 s24, 0
.LBB34_850:
	s_delay_alu instid0(SALU_CYCLE_1)
	s_and_not1_b32 vcc_lo, exec_lo, s24
	s_cbranch_vccnz .LBB34_852
; %bb.851:
	s_wait_loadcnt 0x0
	global_load_u8 v2, v[0:1], off
	s_wait_loadcnt 0x0
	v_lshlrev_b32_e32 v3, 25, v2
	v_lshlrev_b16 v2, 8, v2
	s_delay_alu instid0(VALU_DEP_2) | instskip(NEXT) | instid1(VALU_DEP_2)
	v_cmp_gt_u32_e32 vcc_lo, 0x8000000, v3
	v_and_or_b32 v6, 0x7f00, v2, 0.5
	v_lshrrev_b32_e32 v5, 4, v3
	v_bfe_i32 v2, v2, 0, 16
	s_delay_alu instid0(VALU_DEP_3) | instskip(NEXT) | instid1(VALU_DEP_3)
	v_add_f32_e32 v6, -0.5, v6
	v_or_b32_e32 v5, 0x70000000, v5
	s_delay_alu instid0(VALU_DEP_1) | instskip(NEXT) | instid1(VALU_DEP_1)
	v_mul_f32_e32 v5, 0x7800000, v5
	v_cndmask_b32_e32 v3, v5, v6, vcc_lo
	s_delay_alu instid0(VALU_DEP_1) | instskip(SKIP_1) | instid1(VALU_DEP_2)
	v_and_or_b32 v2, 0x80000000, v2, v3
	v_bfe_u32 v3, v3, 16, 1
	v_cmp_o_f32_e32 vcc_lo, v2, v2
	s_delay_alu instid0(VALU_DEP_2) | instskip(NEXT) | instid1(VALU_DEP_1)
	v_add3_u32 v3, v2, v3, 0x7fff
	v_lshrrev_b32_e32 v3, 16, v3
	s_delay_alu instid0(VALU_DEP_1)
	v_cndmask_b32_e32 v3, 0x7fc0, v3, vcc_lo
.LBB34_852:
	s_mov_b32 s24, 0
	s_mov_b32 s25, -1
.LBB34_853:
	s_and_not1_b32 vcc_lo, exec_lo, s24
	s_mov_b32 s24, 0
	s_cbranch_vccnz .LBB34_864
; %bb.854:
	s_cmp_gt_i32 s22, 14
	s_cbranch_scc0 .LBB34_857
; %bb.855:
	s_cmp_eq_u32 s22, 15
	s_cbranch_scc0 .LBB34_860
; %bb.856:
	s_wait_loadcnt 0x0
	global_load_u16 v3, v[0:1], off
	s_mov_b32 s23, 0
	s_mov_b32 s25, -1
	s_branch .LBB34_862
.LBB34_857:
	s_mov_b32 s24, -1
	s_branch .LBB34_861
.LBB34_858:
	s_or_saveexec_b32 s25, s25
	v_mov_b32_e32 v3, 0x7f800001
	s_xor_b32 exec_lo, exec_lo, s25
	s_cbranch_execz .LBB34_839
.LBB34_859:
	v_cmp_ne_u16_e32 vcc_lo, 0, v2
	v_mov_b32_e32 v3, 0
	s_and_not1_b32 s24, s24, exec_lo
	s_and_b32 s26, vcc_lo, exec_lo
	s_delay_alu instid0(SALU_CYCLE_1)
	s_or_b32 s24, s24, s26
	s_or_b32 exec_lo, exec_lo, s25
	s_and_saveexec_b32 s25, s24
	s_cbranch_execnz .LBB34_840
	s_branch .LBB34_841
.LBB34_860:
	s_mov_b32 s23, -1
.LBB34_861:
                                        ; implicit-def: $vgpr3
.LBB34_862:
	s_and_b32 vcc_lo, exec_lo, s24
	s_mov_b32 s24, 0
	s_cbranch_vccz .LBB34_864
; %bb.863:
	s_cmp_lg_u32 s22, 11
	s_mov_b32 s24, -1
	s_cselect_b32 s22, -1, 0
	s_and_not1_b32 s23, s23, exec_lo
	s_and_b32 s22, s22, exec_lo
	s_delay_alu instid0(SALU_CYCLE_1)
	s_or_b32 s23, s23, s22
.LBB34_864:
	s_mov_b32 s22, 0
.LBB34_865:
	s_and_not1_b32 s27, s0, exec_lo
	s_and_b32 s23, s23, exec_lo
	s_and_b32 s25, s25, exec_lo
	;; [unrolled: 1-line block ×4, first 2 shown]
	s_or_b32 s23, s27, s23
.LBB34_866:
	s_wait_xcnt 0x0
	s_or_b32 exec_lo, exec_lo, s14
	s_delay_alu instid0(SALU_CYCLE_1)
	s_and_not1_b32 s0, s0, exec_lo
	s_and_b32 s14, s23, exec_lo
	s_and_b32 s25, s25, exec_lo
	;; [unrolled: 1-line block ×4, first 2 shown]
	s_or_b32 s0, s0, s14
.LBB34_867:
	s_or_b32 exec_lo, exec_lo, s20
	s_delay_alu instid0(SALU_CYCLE_1)
	s_and_not1_b32 s14, s18, exec_lo
	s_and_b32 s18, s21, exec_lo
	s_and_b32 s0, s0, exec_lo
	s_or_b32 s18, s14, s18
	s_and_not1_b32 s14, s17, exec_lo
	s_and_b32 s22, s25, exec_lo
	s_and_b32 s21, s24, exec_lo
	;; [unrolled: 1-line block ×3, first 2 shown]
	s_or_b32 s17, s14, s0
.LBB34_868:
	s_or_b32 exec_lo, exec_lo, s19
	s_delay_alu instid0(SALU_CYCLE_1)
	s_and_not1_b32 s0, s13, exec_lo
	s_and_b32 s13, s18, exec_lo
	s_and_not1_b32 s14, s15, exec_lo
	s_and_b32 s15, s17, exec_lo
	s_or_b32 s13, s0, s13
	s_and_b32 s0, s22, exec_lo
	s_and_b32 s18, s21, exec_lo
	;; [unrolled: 1-line block ×3, first 2 shown]
	s_or_b32 s15, s14, s15
	s_or_b32 exec_lo, exec_lo, s16
	s_mov_b32 s14, 0
	s_and_saveexec_b32 s16, s15
	s_cbranch_execz .LBB34_264
.LBB34_869:
	s_mov_b32 s14, exec_lo
	s_and_not1_b32 s17, s17, exec_lo
	s_trap 2
	s_or_b32 exec_lo, exec_lo, s16
	s_and_saveexec_b32 s15, s17
	s_delay_alu instid0(SALU_CYCLE_1)
	s_xor_b32 s15, exec_lo, s15
	s_cbranch_execnz .LBB34_265
.LBB34_870:
	s_or_b32 exec_lo, exec_lo, s15
	s_and_saveexec_b32 s15, s18
	s_cbranch_execz .LBB34_916
.LBB34_871:
	s_sext_i32_i16 s16, s3
	s_delay_alu instid0(SALU_CYCLE_1)
	s_cmp_lt_i32 s16, 5
	s_cbranch_scc1 .LBB34_876
; %bb.872:
	s_cmp_lt_i32 s16, 8
	s_cbranch_scc1 .LBB34_877
; %bb.873:
	;; [unrolled: 3-line block ×3, first 2 shown]
	s_cmp_gt_i32 s16, 9
	s_cbranch_scc0 .LBB34_879
; %bb.875:
	s_wait_loadcnt 0x0
	global_load_b64 v[2:3], v[0:1], off
	s_mov_b32 s16, 0
	s_wait_loadcnt 0x0
	v_cvt_f32_f64_e32 v2, v[2:3]
	s_delay_alu instid0(VALU_DEP_1) | instskip(SKIP_1) | instid1(VALU_DEP_2)
	v_bfe_u32 v3, v2, 16, 1
	v_cmp_o_f32_e32 vcc_lo, v2, v2
	v_add3_u32 v3, v2, v3, 0x7fff
	s_delay_alu instid0(VALU_DEP_1) | instskip(NEXT) | instid1(VALU_DEP_1)
	v_lshrrev_b32_e32 v3, 16, v3
	v_cndmask_b32_e32 v3, 0x7fc0, v3, vcc_lo
	s_branch .LBB34_880
.LBB34_876:
                                        ; implicit-def: $vgpr3
	s_branch .LBB34_897
.LBB34_877:
                                        ; implicit-def: $vgpr3
	s_branch .LBB34_886
.LBB34_878:
	s_mov_b32 s16, -1
                                        ; implicit-def: $vgpr3
	s_branch .LBB34_883
.LBB34_879:
	s_mov_b32 s16, -1
                                        ; implicit-def: $vgpr3
.LBB34_880:
	s_delay_alu instid0(SALU_CYCLE_1)
	s_and_not1_b32 vcc_lo, exec_lo, s16
	s_cbranch_vccnz .LBB34_882
; %bb.881:
	s_wait_loadcnt 0x0
	global_load_b32 v2, v[0:1], off
	s_wait_loadcnt 0x0
	v_bfe_u32 v3, v2, 16, 1
	v_cmp_o_f32_e32 vcc_lo, v2, v2
	s_delay_alu instid0(VALU_DEP_2) | instskip(NEXT) | instid1(VALU_DEP_1)
	v_add3_u32 v3, v2, v3, 0x7fff
	v_lshrrev_b32_e32 v3, 16, v3
	s_delay_alu instid0(VALU_DEP_1)
	v_cndmask_b32_e32 v3, 0x7fc0, v3, vcc_lo
.LBB34_882:
	s_mov_b32 s16, 0
.LBB34_883:
	s_delay_alu instid0(SALU_CYCLE_1)
	s_and_not1_b32 vcc_lo, exec_lo, s16
	s_cbranch_vccnz .LBB34_885
; %bb.884:
	s_wait_loadcnt 0x0
	global_load_b32 v2, v[0:1], off
	s_wait_loadcnt 0x0
	v_cvt_f32_f16_e32 v3, v2
	v_cmp_o_f16_e32 vcc_lo, v2, v2
	s_delay_alu instid0(VALU_DEP_2) | instskip(NEXT) | instid1(VALU_DEP_1)
	v_bfe_u32 v5, v3, 16, 1
	v_add3_u32 v3, v3, v5, 0x7fff
	s_delay_alu instid0(VALU_DEP_1) | instskip(NEXT) | instid1(VALU_DEP_1)
	v_lshrrev_b32_e32 v3, 16, v3
	v_cndmask_b32_e32 v3, 0x7fc0, v3, vcc_lo
.LBB34_885:
	s_cbranch_execnz .LBB34_896
.LBB34_886:
	s_sext_i32_i16 s16, s3
	s_delay_alu instid0(SALU_CYCLE_1)
	s_cmp_lt_i32 s16, 6
	s_cbranch_scc1 .LBB34_889
; %bb.887:
	s_cmp_gt_i32 s16, 6
	s_cbranch_scc0 .LBB34_890
; %bb.888:
	s_wait_loadcnt 0x0
	global_load_b64 v[2:3], v[0:1], off
	s_mov_b32 s16, 0
	s_wait_loadcnt 0x0
	v_cvt_f32_f64_e32 v2, v[2:3]
	s_delay_alu instid0(VALU_DEP_1) | instskip(SKIP_1) | instid1(VALU_DEP_2)
	v_bfe_u32 v3, v2, 16, 1
	v_cmp_o_f32_e32 vcc_lo, v2, v2
	v_add3_u32 v3, v2, v3, 0x7fff
	s_delay_alu instid0(VALU_DEP_1) | instskip(NEXT) | instid1(VALU_DEP_1)
	v_lshrrev_b32_e32 v3, 16, v3
	v_cndmask_b32_e32 v3, 0x7fc0, v3, vcc_lo
	s_branch .LBB34_891
.LBB34_889:
	s_mov_b32 s16, -1
                                        ; implicit-def: $vgpr3
	s_branch .LBB34_894
.LBB34_890:
	s_mov_b32 s16, -1
                                        ; implicit-def: $vgpr3
.LBB34_891:
	s_delay_alu instid0(SALU_CYCLE_1)
	s_and_not1_b32 vcc_lo, exec_lo, s16
	s_cbranch_vccnz .LBB34_893
; %bb.892:
	s_wait_loadcnt 0x0
	global_load_b32 v2, v[0:1], off
	s_wait_loadcnt 0x0
	v_bfe_u32 v3, v2, 16, 1
	v_cmp_o_f32_e32 vcc_lo, v2, v2
	s_delay_alu instid0(VALU_DEP_2) | instskip(NEXT) | instid1(VALU_DEP_1)
	v_add3_u32 v3, v2, v3, 0x7fff
	v_lshrrev_b32_e32 v3, 16, v3
	s_delay_alu instid0(VALU_DEP_1)
	v_cndmask_b32_e32 v3, 0x7fc0, v3, vcc_lo
.LBB34_893:
	s_mov_b32 s16, 0
.LBB34_894:
	s_delay_alu instid0(SALU_CYCLE_1)
	s_and_not1_b32 vcc_lo, exec_lo, s16
	s_cbranch_vccnz .LBB34_896
; %bb.895:
	s_wait_loadcnt 0x0
	global_load_u16 v2, v[0:1], off
	s_wait_loadcnt 0x0
	v_cvt_f32_f16_e32 v3, v2
	v_cmp_o_f16_e32 vcc_lo, v2, v2
	s_delay_alu instid0(VALU_DEP_2) | instskip(NEXT) | instid1(VALU_DEP_1)
	v_bfe_u32 v5, v3, 16, 1
	v_add3_u32 v3, v3, v5, 0x7fff
	s_delay_alu instid0(VALU_DEP_1) | instskip(NEXT) | instid1(VALU_DEP_1)
	v_lshrrev_b32_e32 v3, 16, v3
	v_cndmask_b32_e32 v3, 0x7fc0, v3, vcc_lo
.LBB34_896:
	s_cbranch_execnz .LBB34_915
.LBB34_897:
	s_sext_i32_i16 s16, s3
	s_delay_alu instid0(SALU_CYCLE_1)
	s_cmp_lt_i32 s16, 2
	s_cbranch_scc1 .LBB34_901
; %bb.898:
	s_cmp_lt_i32 s16, 3
	s_cbranch_scc1 .LBB34_902
; %bb.899:
	s_cmp_gt_i32 s16, 3
	s_cbranch_scc0 .LBB34_903
; %bb.900:
	s_wait_loadcnt 0x0
	global_load_b64 v[2:3], v[0:1], off
	s_mov_b32 s16, 0
	s_wait_loadcnt 0x0
	v_xor_b32_e32 v5, v2, v3
	v_cls_i32_e32 v6, v3
	s_delay_alu instid0(VALU_DEP_2) | instskip(NEXT) | instid1(VALU_DEP_1)
	v_ashrrev_i32_e32 v5, 31, v5
	v_add_nc_u32_e32 v5, 32, v5
	s_delay_alu instid0(VALU_DEP_1) | instskip(NEXT) | instid1(VALU_DEP_1)
	v_add_min_u32_e64 v5, v6, -1, v5
	v_lshlrev_b64_e32 v[2:3], v5, v[2:3]
	s_delay_alu instid0(VALU_DEP_1) | instskip(NEXT) | instid1(VALU_DEP_1)
	v_min_u32_e32 v2, 1, v2
	v_dual_sub_nc_u32 v3, 32, v5 :: v_dual_bitop2_b32 v2, v3, v2 bitop3:0x54
	s_delay_alu instid0(VALU_DEP_1) | instskip(NEXT) | instid1(VALU_DEP_1)
	v_cvt_f32_i32_e32 v2, v2
	v_ldexp_f32 v2, v2, v3
	s_delay_alu instid0(VALU_DEP_1) | instskip(NEXT) | instid1(VALU_DEP_1)
	v_bfe_u32 v3, v2, 16, 1
	v_add3_u32 v2, v2, v3, 0x7fff
	s_delay_alu instid0(VALU_DEP_1)
	v_lshrrev_b32_e32 v3, 16, v2
	s_branch .LBB34_904
.LBB34_901:
                                        ; implicit-def: $vgpr3
	s_branch .LBB34_910
.LBB34_902:
	s_mov_b32 s16, -1
                                        ; implicit-def: $vgpr3
	s_branch .LBB34_907
.LBB34_903:
	s_mov_b32 s16, -1
                                        ; implicit-def: $vgpr3
.LBB34_904:
	s_delay_alu instid0(SALU_CYCLE_1)
	s_and_not1_b32 vcc_lo, exec_lo, s16
	s_cbranch_vccnz .LBB34_906
; %bb.905:
	s_wait_loadcnt 0x0
	global_load_b32 v2, v[0:1], off
	s_wait_loadcnt 0x0
	v_cvt_f32_i32_e32 v2, v2
	s_delay_alu instid0(VALU_DEP_1) | instskip(NEXT) | instid1(VALU_DEP_1)
	v_bfe_u32 v3, v2, 16, 1
	v_add3_u32 v2, v2, v3, 0x7fff
	s_delay_alu instid0(VALU_DEP_1)
	v_lshrrev_b32_e32 v3, 16, v2
.LBB34_906:
	s_mov_b32 s16, 0
.LBB34_907:
	s_delay_alu instid0(SALU_CYCLE_1)
	s_and_not1_b32 vcc_lo, exec_lo, s16
	s_cbranch_vccnz .LBB34_909
; %bb.908:
	s_wait_loadcnt 0x0
	global_load_i16 v2, v[0:1], off
	s_wait_loadcnt 0x0
	v_cvt_f32_i32_e32 v2, v2
	s_delay_alu instid0(VALU_DEP_1) | instskip(NEXT) | instid1(VALU_DEP_1)
	v_bfe_u32 v3, v2, 16, 1
	v_add3_u32 v2, v2, v3, 0x7fff
	s_delay_alu instid0(VALU_DEP_1)
	v_lshrrev_b32_e32 v3, 16, v2
.LBB34_909:
	s_cbranch_execnz .LBB34_915
.LBB34_910:
	s_sext_i32_i16 s16, s3
	s_delay_alu instid0(SALU_CYCLE_1)
	s_cmp_gt_i32 s16, 0
	s_mov_b32 s16, 0
	s_cbranch_scc0 .LBB34_912
; %bb.911:
	s_wait_loadcnt 0x0
	global_load_i8 v2, v[0:1], off
	s_wait_loadcnt 0x0
	v_cvt_f32_i32_e32 v2, v2
	s_delay_alu instid0(VALU_DEP_1) | instskip(NEXT) | instid1(VALU_DEP_1)
	v_bfe_u32 v3, v2, 16, 1
	v_add3_u32 v2, v2, v3, 0x7fff
	s_delay_alu instid0(VALU_DEP_1)
	v_lshrrev_b32_e32 v3, 16, v2
	s_branch .LBB34_913
.LBB34_912:
	s_mov_b32 s16, -1
                                        ; implicit-def: $vgpr3
.LBB34_913:
	s_delay_alu instid0(SALU_CYCLE_1)
	s_and_not1_b32 vcc_lo, exec_lo, s16
	s_cbranch_vccnz .LBB34_915
; %bb.914:
	global_load_u8 v0, v[0:1], off
	s_wait_loadcnt 0x0
	v_cvt_f32_ubyte0_e32 v0, v0
	s_delay_alu instid0(VALU_DEP_1) | instskip(NEXT) | instid1(VALU_DEP_1)
	v_bfe_u32 v1, v0, 16, 1
	v_add3_u32 v0, v0, v1, 0x7fff
	s_delay_alu instid0(VALU_DEP_1)
	v_lshrrev_b32_e32 v3, 16, v0
.LBB34_915:
	s_or_b32 s0, s0, exec_lo
.LBB34_916:
	s_wait_xcnt 0x0
	s_or_b32 exec_lo, exec_lo, s15
	s_mov_b32 s18, 0
	s_mov_b32 s17, 0
                                        ; implicit-def: $sgpr15
                                        ; implicit-def: $vgpr0_vgpr1
                                        ; implicit-def: $vgpr2
	s_and_saveexec_b32 s16, s0
	s_cbranch_execz .LBB34_926
; %bb.917:
	s_wait_loadcnt 0x0
	v_lshlrev_b32_e32 v2, 16, v3
	s_mov_b32 s0, exec_lo
	s_delay_alu instid0(VALU_DEP_1) | instskip(NEXT) | instid1(VALU_DEP_1)
	v_mul_f32_e32 v0, s10, v2
	v_cmpx_nlt_f32_e32 s11, v0
	s_cbranch_execz .LBB34_919
; %bb.918:
	v_mul_f32_e32 v1, 0x3fb8aa3b, v0
	v_cmp_ngt_f32_e32 vcc_lo, 0xc2ce8ed0, v0
	s_mov_b32 s15, 0x3e9b6dac
	s_delay_alu instid0(VALU_DEP_2) | instskip(SKIP_1) | instid1(VALU_DEP_2)
	v_rndne_f32_e32 v2, v1
	v_fma_f32 v3, 0x3fb8aa3b, v0, -v1
	v_sub_f32_e32 v1, v1, v2
	s_delay_alu instid0(VALU_DEP_2) | instskip(SKIP_1) | instid1(VALU_DEP_2)
	v_fmamk_f32 v3, v0, 0x32a5705f, v3
	v_cvt_i32_f32_e32 v2, v2
	v_add_f32_e32 v1, v1, v3
	s_delay_alu instid0(VALU_DEP_1) | instskip(SKIP_1) | instid1(TRANS32_DEP_1)
	v_exp_f32_e32 v1, v1
	v_nop
	v_ldexp_f32 v1, v1, v2
	s_delay_alu instid0(VALU_DEP_1) | instskip(SKIP_1) | instid1(VALU_DEP_2)
	v_cndmask_b32_e32 v1, 0, v1, vcc_lo
	v_cmp_nlt_f32_e32 vcc_lo, 0x42b17218, v0
	v_cndmask_b32_e32 v18, 0x7f800000, v1, vcc_lo
	s_delay_alu instid0(VALU_DEP_1) | instskip(NEXT) | instid1(VALU_DEP_1)
	v_add_f32_e32 v2, 1.0, v18
	v_cvt_f64_f32_e32 v[0:1], v2
	s_delay_alu instid0(VALU_DEP_1) | instskip(SKIP_1) | instid1(VALU_DEP_1)
	v_frexp_exp_i32_f64_e32 v0, v[0:1]
	v_frexp_mant_f32_e32 v1, v2
	v_cmp_gt_f32_e32 vcc_lo, 0x3f2aaaab, v1
	s_delay_alu instid0(VALU_DEP_3) | instskip(NEXT) | instid1(VALU_DEP_1)
	v_subrev_co_ci_u32_e64 v5, null, 0, v0, vcc_lo
	v_dual_add_f32 v0, -1.0, v2 :: v_dual_sub_nc_u32 v1, 0, v5
	s_delay_alu instid0(VALU_DEP_1) | instskip(NEXT) | instid1(VALU_DEP_2)
	v_dual_sub_f32 v3, v0, v2 :: v_dual_sub_f32 v0, v18, v0
	v_ldexp_f32 v2, v2, v1
	s_delay_alu instid0(VALU_DEP_1) | instskip(NEXT) | instid1(VALU_DEP_1)
	v_dual_add_f32 v3, 1.0, v3 :: v_dual_add_f32 v6, 1.0, v2
	v_dual_add_f32 v7, -1.0, v2 :: v_dual_add_f32 v0, v0, v3
	s_delay_alu instid0(VALU_DEP_2) | instskip(SKIP_1) | instid1(VALU_DEP_3)
	v_add_f32_e32 v3, -1.0, v6
	v_cmp_neq_f32_e32 vcc_lo, 0x7f800000, v18
	v_ldexp_f32 v0, v0, v1
	s_delay_alu instid0(VALU_DEP_3) | instskip(NEXT) | instid1(VALU_DEP_1)
	v_sub_f32_e32 v1, v2, v3
	v_dual_add_f32 v3, 1.0, v7 :: v_dual_add_f32 v8, v0, v1
	s_delay_alu instid0(VALU_DEP_1) | instskip(NEXT) | instid1(VALU_DEP_1)
	v_sub_f32_e32 v1, v2, v3
	v_dual_add_f32 v9, v6, v8 :: v_dual_add_f32 v10, v0, v1
	s_delay_alu instid0(VALU_DEP_1) | instskip(NEXT) | instid1(VALU_DEP_1)
	v_rcp_f32_e32 v11, v9
	v_dual_add_f32 v1, v7, v10 :: v_dual_sub_f32 v0, v6, v9
	s_delay_alu instid0(TRANS32_DEP_1) | instid1(VALU_DEP_1)
	v_dual_sub_f32 v13, v7, v1 :: v_dual_mul_f32 v12, v1, v11
	s_delay_alu instid0(VALU_DEP_2) | instskip(NEXT) | instid1(VALU_DEP_2)
	v_add_f32_e32 v8, v8, v0
	v_mul_f32_e32 v2, v9, v12
	s_delay_alu instid0(VALU_DEP_1) | instskip(NEXT) | instid1(VALU_DEP_1)
	v_fma_f32 v6, v12, v9, -v2
	v_fmac_f32_e32 v6, v12, v8
	s_delay_alu instid0(VALU_DEP_1) | instskip(NEXT) | instid1(VALU_DEP_1)
	v_add_f32_e32 v0, v2, v6
	v_dual_sub_f32 v3, v1, v0 :: v_dual_mov_b32 v7, v0
	s_delay_alu instid0(VALU_DEP_1) | instskip(SKIP_1) | instid1(VALU_DEP_2)
	v_pk_add_f32 v[0:1], v[0:1], v[2:3] neg_lo:[0,1] neg_hi:[0,1]
	v_add_f32_e32 v2, v10, v13
	v_pk_add_f32 v[0:1], v[0:1], v[6:7] neg_lo:[0,1] neg_hi:[0,1]
	s_delay_alu instid0(VALU_DEP_1) | instskip(NEXT) | instid1(VALU_DEP_1)
	v_add_f32_e32 v1, v2, v1
	v_add_f32_e32 v10, v0, v1
	s_delay_alu instid0(VALU_DEP_1) | instskip(NEXT) | instid1(VALU_DEP_1)
	v_add_f32_e32 v1, v3, v10
	v_mul_f32_e32 v13, v11, v1
	s_delay_alu instid0(VALU_DEP_1) | instskip(NEXT) | instid1(VALU_DEP_1)
	v_mul_f32_e32 v6, v9, v13
	v_fma_f32 v2, v13, v9, -v6
	s_delay_alu instid0(VALU_DEP_1) | instskip(NEXT) | instid1(VALU_DEP_1)
	v_dual_fmac_f32 v2, v13, v8 :: v_dual_sub_f32 v8, v3, v1
	v_add_f32_e32 v0, v6, v2
	s_delay_alu instid0(VALU_DEP_1) | instskip(NEXT) | instid1(VALU_DEP_1)
	v_dual_sub_f32 v7, v1, v0 :: v_dual_mov_b32 v3, v0
	v_pk_add_f32 v[0:1], v[0:1], v[6:7] neg_lo:[0,1] neg_hi:[0,1]
	s_delay_alu instid0(VALU_DEP_1) | instskip(SKIP_2) | instid1(VALU_DEP_2)
	v_pk_add_f32 v[0:1], v[0:1], v[2:3] neg_lo:[0,1] neg_hi:[0,1]
	v_add_f32_e32 v6, v10, v8
	v_cvt_f32_i32_e32 v2, v5
	v_add_f32_e32 v1, v6, v1
	s_delay_alu instid0(VALU_DEP_1) | instskip(NEXT) | instid1(VALU_DEP_1)
	v_add_f32_e32 v0, v0, v1
	v_dual_add_f32 v6, v12, v13 :: v_dual_add_f32 v0, v7, v0
	s_delay_alu instid0(VALU_DEP_1) | instskip(NEXT) | instid1(VALU_DEP_1)
	v_sub_f32_e32 v1, v6, v12
	v_dual_mul_f32 v0, v11, v0 :: v_dual_sub_f32 v1, v13, v1
	s_delay_alu instid0(VALU_DEP_1) | instskip(NEXT) | instid1(VALU_DEP_1)
	v_add_f32_e32 v8, v1, v0
	v_dual_mov_b32 v0, 0x3f317218 :: v_dual_add_f32 v7, v6, v8
	s_delay_alu instid0(VALU_DEP_1) | instskip(NEXT) | instid1(VALU_DEP_1)
	v_mul_f32_e32 v1, v7, v7
	v_fmaak_f32 v9, s15, v1, 0x3ecc95a3
	v_mul_f32_e32 v3, v7, v1
	s_delay_alu instid0(VALU_DEP_2) | instskip(NEXT) | instid1(VALU_DEP_1)
	v_fmaak_f32 v1, v1, v9, 0x3f2aaada
	v_pk_mul_f32 v[0:1], v[2:3], v[0:1]
	s_delay_alu instid0(VALU_DEP_1) | instskip(NEXT) | instid1(VALU_DEP_1)
	v_fma_f32 v5, 0x3f317218, v2, -v0
	v_dual_fmamk_f32 v2, v2, 0xb102e308, v5 :: v_dual_sub_f32 v5, v7, v6
	s_delay_alu instid0(VALU_DEP_1) | instskip(SKIP_2) | instid1(VALU_DEP_3)
	v_sub_f32_e32 v5, v8, v5
	v_ldexp_f32 v3, v7, 1
	v_mov_b32_e32 v8, v0
	v_ldexp_f32 v5, v5, 1
	s_delay_alu instid0(VALU_DEP_3) | instskip(NEXT) | instid1(VALU_DEP_1)
	v_pk_add_f32 v[6:7], v[0:1], v[2:3]
	v_dual_sub_f32 v3, v7, v3 :: v_dual_mov_b32 v16, v7
	s_delay_alu instid0(VALU_DEP_1) | instskip(NEXT) | instid1(VALU_DEP_3)
	v_sub_f32_e32 v3, v1, v3
	v_pk_add_f32 v[0:1], v[6:7], v[0:1] neg_lo:[0,1] neg_hi:[0,1]
	s_delay_alu instid0(VALU_DEP_2) | instskip(NEXT) | instid1(VALU_DEP_1)
	v_dual_add_f32 v9, v5, v3 :: v_dual_mov_b32 v3, v6
	v_pk_add_f32 v[10:11], v[6:7], v[8:9]
	s_delay_alu instid0(VALU_DEP_1) | instskip(NEXT) | instid1(VALU_DEP_1)
	v_mov_b32_e32 v1, v11
	v_pk_add_f32 v[12:13], v[2:3], v[0:1]
	v_mov_b32_e32 v12, v11
	v_pk_add_f32 v[0:1], v[2:3], v[0:1] neg_lo:[0,1] neg_hi:[0,1]
	s_delay_alu instid0(VALU_DEP_3) | instskip(NEXT) | instid1(VALU_DEP_1)
	v_dual_mov_b32 v8, v13 :: v_dual_mov_b32 v1, v13
	v_pk_add_f32 v[14:15], v[8:9], v[6:7] neg_lo:[0,1] neg_hi:[0,1]
	v_dual_mov_b32 v7, v6 :: v_dual_mov_b32 v6, v9
	s_delay_alu instid0(VALU_DEP_2) | instskip(NEXT) | instid1(VALU_DEP_1)
	v_dual_mov_b32 v5, v14 :: v_dual_mov_b32 v17, v14
	v_pk_add_f32 v[10:11], v[10:11], v[4:5] neg_lo:[0,1] neg_hi:[0,1]
	s_delay_alu instid0(VALU_DEP_2) | instskip(SKIP_1) | instid1(VALU_DEP_2)
	v_pk_add_f32 v[2:3], v[12:13], v[16:17] neg_lo:[0,1] neg_hi:[0,1]
	v_mov_b32_e32 v10, v0
	v_pk_add_f32 v[2:3], v[6:7], v[2:3] neg_lo:[0,1] neg_hi:[0,1]
	s_delay_alu instid0(VALU_DEP_1) | instskip(NEXT) | instid1(VALU_DEP_1)
	v_pk_add_f32 v[6:7], v[10:11], v[2:3]
	v_mov_b32_e32 v10, v7
	s_delay_alu instid0(VALU_DEP_1) | instskip(NEXT) | instid1(VALU_DEP_1)
	v_pk_add_f32 v[10:11], v[6:7], v[10:11]
	v_pk_add_f32 v[8:9], v[8:9], v[10:11]
	s_delay_alu instid0(VALU_DEP_1) | instskip(NEXT) | instid1(VALU_DEP_1)
	v_mov_b32_e32 v7, v8
	v_pk_add_f32 v[12:13], v[6:7], v[0:1] neg_lo:[0,1] neg_hi:[0,1]
	s_delay_alu instid0(VALU_DEP_1) | instskip(NEXT) | instid1(VALU_DEP_1)
	v_sub_f32_e32 v1, v6, v12
	v_dual_mov_b32 v3, v10 :: v_dual_sub_f32 v0, v0, v1
	s_delay_alu instid0(VALU_DEP_1) | instskip(NEXT) | instid1(VALU_DEP_1)
	v_pk_add_f32 v[2:3], v[2:3], v[12:13] neg_lo:[0,1] neg_hi:[0,1]
	v_add_f32_e32 v0, v2, v0
	s_delay_alu instid0(VALU_DEP_1) | instskip(NEXT) | instid1(VALU_DEP_1)
	v_add_f32_e32 v0, v0, v3
	v_add_f32_e32 v0, v8, v0
	s_delay_alu instid0(VALU_DEP_1) | instskip(SKIP_1) | instid1(VALU_DEP_2)
	v_cndmask_b32_e32 v0, 0x7f800000, v0, vcc_lo
	v_cmp_gt_f32_e64 vcc_lo, 0x33800000, |v18|
	v_cndmask_b32_e32 v0, v0, v18, vcc_lo
	s_delay_alu instid0(VALU_DEP_1) | instskip(NEXT) | instid1(VALU_DEP_1)
	v_div_scale_f32 v1, null, s10, s10, v0
	v_rcp_f32_e32 v2, v1
	v_nop
	s_delay_alu instid0(TRANS32_DEP_1) | instskip(NEXT) | instid1(VALU_DEP_1)
	v_fma_f32 v3, -v1, v2, 1.0
	v_fmac_f32_e32 v2, v3, v2
	v_div_scale_f32 v3, vcc_lo, v0, s10, v0
	s_delay_alu instid0(VALU_DEP_1) | instskip(NEXT) | instid1(VALU_DEP_1)
	v_mul_f32_e32 v5, v3, v2
	v_fma_f32 v6, -v1, v5, v3
	s_delay_alu instid0(VALU_DEP_1) | instskip(NEXT) | instid1(VALU_DEP_1)
	v_fmac_f32_e32 v5, v6, v2
	v_fma_f32 v1, -v1, v5, v3
	s_delay_alu instid0(VALU_DEP_1) | instskip(NEXT) | instid1(VALU_DEP_1)
	v_div_fmas_f32 v1, v1, v2, v5
	v_div_fixup_f32 v2, v1, s10, v0
.LBB34_919:
	s_or_b32 exec_lo, exec_lo, s0
	v_mul_lo_u32 v0, v4, s8
	s_delay_alu instid0(VALU_DEP_2) | instskip(SKIP_2) | instid1(SALU_CYCLE_1)
	v_bfe_u32 v1, v2, 16, 1
	v_cmp_o_f32_e32 vcc_lo, v2, v2
	s_and_b32 s15, s2, 0xff
	s_cmp_lt_i32 s15, 11
	s_delay_alu instid0(VALU_DEP_2) | instskip(NEXT) | instid1(VALU_DEP_1)
	v_add3_u32 v3, v2, v1, 0x7fff
	v_dual_ashrrev_i32 v1, 31, v0 :: v_dual_lshrrev_b32 v3, 16, v3
	s_delay_alu instid0(VALU_DEP_1) | instskip(NEXT) | instid1(VALU_DEP_2)
	v_add_nc_u64_e32 v[0:1], s[4:5], v[0:1]
	v_cndmask_b32_e32 v2, 0x7fc0, v3, vcc_lo
	s_cbranch_scc1 .LBB34_929
; %bb.920:
	s_and_b32 s17, 0xffff, s15
	s_mov_b32 s18, -1
	s_cmp_gt_i32 s17, 25
	s_mov_b32 s0, s13
	s_cbranch_scc0 .LBB34_957
; %bb.921:
	s_cmp_gt_i32 s17, 28
	s_mov_b32 s0, s13
	s_cbranch_scc0 .LBB34_941
; %bb.922:
	;; [unrolled: 4-line block ×4, first 2 shown]
	s_cmp_eq_u32 s17, 46
	s_mov_b32 s0, -1
	s_cbranch_scc0 .LBB34_930
; %bb.925:
	v_and_b32_e32 v3, 0xffff, v2
	s_mov_b32 s0, 0
	s_mov_b32 s18, 0
	global_store_b32 v[0:1], v3, off
	s_branch .LBB34_931
.LBB34_926:
	s_or_b32 exec_lo, exec_lo, s16
	s_and_saveexec_b32 s0, s13
	s_cbranch_execnz .LBB34_999
.LBB34_927:
	s_or_b32 exec_lo, exec_lo, s0
	s_and_saveexec_b32 s0, s18
	s_delay_alu instid0(SALU_CYCLE_1)
	s_xor_b32 s0, exec_lo, s0
	s_cbranch_execz .LBB34_1000
.LBB34_928:
	s_wait_loadcnt 0x0
	v_and_b32_e32 v3, 0x7fff, v2
	s_delay_alu instid0(VALU_DEP_1)
	v_cmp_ne_u16_e32 vcc_lo, 0, v3
	v_cndmask_b32_e64 v3, 0, 1, vcc_lo
	global_store_b8 v[0:1], v3, off
	s_wait_xcnt 0x0
	s_or_b32 exec_lo, exec_lo, s0
	s_and_saveexec_b32 s0, s17
	s_delay_alu instid0(SALU_CYCLE_1)
	s_xor_b32 s0, exec_lo, s0
	s_cbranch_execz .LBB34_1038
	s_branch .LBB34_1001
.LBB34_929:
	s_mov_b32 s19, 0
	s_mov_b32 s18, -1
	s_mov_b32 s0, s13
	s_branch .LBB34_998
.LBB34_930:
	s_mov_b32 s18, 0
.LBB34_931:
	s_delay_alu instid0(SALU_CYCLE_1)
	s_and_b32 vcc_lo, exec_lo, s18
	s_cbranch_vccz .LBB34_936
; %bb.932:
	s_cmp_eq_u32 s17, 44
	s_mov_b32 s0, -1
	s_cbranch_scc0 .LBB34_936
; %bb.933:
	s_wait_xcnt 0x0
	v_and_b32_e32 v3, 0xffff, v2
	v_mov_b32_e32 v4, 0xff
	s_mov_b32 s18, exec_lo
	s_delay_alu instid0(VALU_DEP_2) | instskip(NEXT) | instid1(VALU_DEP_1)
	v_bfe_u32 v5, v3, 7, 8
	v_cmpx_ne_u32_e32 0xff, v5
	s_cbranch_execz .LBB34_935
; %bb.934:
	v_dual_lshlrev_b32 v4, 16, v3 :: v_dual_bitop2_b32 v6, 64, v3 bitop3:0x40
	v_lshrrev_b32_e32 v3, 7, v3
	s_delay_alu instid0(VALU_DEP_2) | instskip(NEXT) | instid1(VALU_DEP_3)
	v_and_or_b32 v4, 0x3f0000, v4, v5
	v_cmp_ne_u32_e32 vcc_lo, 0, v6
	s_delay_alu instid0(VALU_DEP_2) | instskip(SKIP_1) | instid1(SALU_CYCLE_1)
	v_cmp_ne_u32_e64 s0, 0, v4
	s_and_b32 s0, vcc_lo, s0
	v_cndmask_b32_e64 v4, 0, 1, s0
	s_delay_alu instid0(VALU_DEP_1)
	v_add_nc_u32_e32 v4, v3, v4
.LBB34_935:
	s_or_b32 exec_lo, exec_lo, s18
	s_mov_b32 s0, 0
	global_store_b8 v[0:1], v4, off
.LBB34_936:
	s_mov_b32 s18, 0
.LBB34_937:
	s_delay_alu instid0(SALU_CYCLE_1)
	s_and_b32 vcc_lo, exec_lo, s18
	s_cbranch_vccz .LBB34_940
; %bb.938:
	s_cmp_eq_u32 s17, 29
	s_mov_b32 s0, -1
	s_cbranch_scc0 .LBB34_940
; %bb.939:
	s_wait_xcnt 0x0
	v_lshlrev_b32_e32 v3, 16, v2
	s_mov_b32 s0, 0
	s_mov_b32 s18, 0
	s_delay_alu instid0(VALU_DEP_1) | instskip(NEXT) | instid1(VALU_DEP_1)
	v_trunc_f32_e32 v3, v3
	v_mul_f32_e32 v4, 0x2f800000, v3
	s_delay_alu instid0(VALU_DEP_1) | instskip(NEXT) | instid1(VALU_DEP_1)
	v_floor_f32_e32 v4, v4
	v_fmamk_f32 v3, v4, 0xcf800000, v3
	v_cvt_u32_f32_e32 v5, v4
	s_delay_alu instid0(VALU_DEP_2)
	v_cvt_u32_f32_e32 v4, v3
	global_store_b64 v[0:1], v[4:5], off
	s_branch .LBB34_941
.LBB34_940:
	s_mov_b32 s18, 0
.LBB34_941:
	s_delay_alu instid0(SALU_CYCLE_1)
	s_and_b32 vcc_lo, exec_lo, s18
	s_cbranch_vccz .LBB34_956
; %bb.942:
	s_cmp_lt_i32 s17, 27
	s_mov_b32 s18, -1
	s_cbranch_scc1 .LBB34_948
; %bb.943:
	s_cmp_gt_i32 s17, 27
	s_cbranch_scc0 .LBB34_945
; %bb.944:
	s_wait_xcnt 0x0
	v_lshlrev_b32_e32 v3, 16, v2
	s_mov_b32 s18, 0
	s_delay_alu instid0(VALU_DEP_1)
	v_cvt_u32_f32_e32 v3, v3
	global_store_b32 v[0:1], v3, off
.LBB34_945:
	s_and_not1_b32 vcc_lo, exec_lo, s18
	s_cbranch_vccnz .LBB34_947
; %bb.946:
	s_wait_xcnt 0x0
	v_lshlrev_b32_e32 v3, 16, v2
	s_delay_alu instid0(VALU_DEP_1)
	v_cvt_u32_f32_e32 v3, v3
	global_store_b16 v[0:1], v3, off
.LBB34_947:
	s_mov_b32 s18, 0
.LBB34_948:
	s_delay_alu instid0(SALU_CYCLE_1)
	s_and_not1_b32 vcc_lo, exec_lo, s18
	s_cbranch_vccnz .LBB34_956
; %bb.949:
	s_wait_xcnt 0x0
	v_dual_mov_b32 v6, 0x80 :: v_dual_lshlrev_b32 v5, 16, v2
	s_mov_b32 s18, exec_lo
	s_delay_alu instid0(VALU_DEP_1) | instskip(NEXT) | instid1(VALU_DEP_1)
	v_and_b32_e32 v4, 0x7fffffff, v5
	v_cmpx_gt_u32_e32 0x43800000, v4
	s_cbranch_execz .LBB34_955
; %bb.950:
	v_and_b32_e32 v3, 0xffff, v2
	v_cmp_lt_u32_e32 vcc_lo, 0x3bffffff, v4
	s_mov_b32 s19, 0
                                        ; implicit-def: $vgpr4
	s_and_saveexec_b32 s20, vcc_lo
	s_delay_alu instid0(SALU_CYCLE_1)
	s_xor_b32 s20, exec_lo, s20
	s_cbranch_execz .LBB34_1053
; %bb.951:
	v_bfe_u32 v4, v3, 4, 1
	s_mov_b32 s19, exec_lo
	s_delay_alu instid0(VALU_DEP_1) | instskip(NEXT) | instid1(VALU_DEP_1)
	v_add3_u32 v4, v5, v4, 0x487ffff
                                        ; implicit-def: $vgpr5
	v_lshrrev_b32_e32 v4, 20, v4
	s_and_not1_saveexec_b32 s20, s20
	s_cbranch_execnz .LBB34_1054
.LBB34_952:
	s_or_b32 exec_lo, exec_lo, s20
	v_mov_b32_e32 v6, 0
	s_and_saveexec_b32 s20, s19
.LBB34_953:
	v_lshrrev_b32_e32 v3, 8, v3
	s_delay_alu instid0(VALU_DEP_1)
	v_and_or_b32 v6, 0x80, v3, v4
.LBB34_954:
	s_or_b32 exec_lo, exec_lo, s20
.LBB34_955:
	s_delay_alu instid0(SALU_CYCLE_1)
	s_or_b32 exec_lo, exec_lo, s18
	global_store_b8 v[0:1], v6, off
.LBB34_956:
	s_mov_b32 s18, 0
.LBB34_957:
	s_delay_alu instid0(SALU_CYCLE_1)
	s_and_b32 vcc_lo, exec_lo, s18
	s_mov_b32 s18, 0
	s_cbranch_vccz .LBB34_997
; %bb.958:
	s_cmp_gt_i32 s17, 22
	s_mov_b32 s19, -1
	s_cbranch_scc0 .LBB34_990
; %bb.959:
	s_cmp_lt_i32 s17, 24
	s_cbranch_scc1 .LBB34_979
; %bb.960:
	s_cmp_gt_i32 s17, 24
	s_cbranch_scc0 .LBB34_968
; %bb.961:
	s_wait_xcnt 0x0
	v_dual_mov_b32 v6, 0x80 :: v_dual_lshlrev_b32 v5, 16, v2
	s_mov_b32 s19, exec_lo
	s_delay_alu instid0(VALU_DEP_1) | instskip(NEXT) | instid1(VALU_DEP_1)
	v_and_b32_e32 v4, 0x7fffffff, v5
	v_cmpx_gt_u32_e32 0x47800000, v4
	s_cbranch_execz .LBB34_967
; %bb.962:
	v_and_b32_e32 v3, 0xffff, v2
	v_cmp_lt_u32_e32 vcc_lo, 0x37ffffff, v4
	s_mov_b32 s20, 0
                                        ; implicit-def: $vgpr4
	s_and_saveexec_b32 s21, vcc_lo
	s_delay_alu instid0(SALU_CYCLE_1)
	s_xor_b32 s21, exec_lo, s21
	s_cbranch_execz .LBB34_1181
; %bb.963:
	v_bfe_u32 v4, v3, 5, 1
	s_mov_b32 s20, exec_lo
	s_delay_alu instid0(VALU_DEP_1) | instskip(NEXT) | instid1(VALU_DEP_1)
	v_add3_u32 v4, v5, v4, 0x88fffff
                                        ; implicit-def: $vgpr5
	v_lshrrev_b32_e32 v4, 21, v4
	s_and_not1_saveexec_b32 s21, s21
	s_cbranch_execnz .LBB34_1182
.LBB34_964:
	s_or_b32 exec_lo, exec_lo, s21
	v_mov_b32_e32 v6, 0
	s_and_saveexec_b32 s21, s20
.LBB34_965:
	v_lshrrev_b32_e32 v3, 8, v3
	s_delay_alu instid0(VALU_DEP_1)
	v_and_or_b32 v6, 0x80, v3, v4
.LBB34_966:
	s_or_b32 exec_lo, exec_lo, s21
.LBB34_967:
	s_delay_alu instid0(SALU_CYCLE_1)
	s_or_b32 exec_lo, exec_lo, s19
	s_mov_b32 s19, 0
	global_store_b8 v[0:1], v6, off
.LBB34_968:
	s_and_b32 vcc_lo, exec_lo, s19
	s_cbranch_vccz .LBB34_978
; %bb.969:
	s_wait_xcnt 0x0
	v_lshlrev_b32_e32 v5, 16, v2
	v_and_b32_e32 v3, 0xffff, v2
	s_mov_b32 s19, exec_lo
                                        ; implicit-def: $vgpr4
	s_delay_alu instid0(VALU_DEP_2) | instskip(NEXT) | instid1(VALU_DEP_1)
	v_and_b32_e32 v6, 0x7fffffff, v5
	v_cmpx_gt_u32_e32 0x43f00000, v6
	s_xor_b32 s19, exec_lo, s19
	s_cbranch_execz .LBB34_975
; %bb.970:
	s_mov_b32 s20, exec_lo
                                        ; implicit-def: $vgpr4
	v_cmpx_lt_u32_e32 0x3c7fffff, v6
	s_xor_b32 s20, exec_lo, s20
; %bb.971:
	v_bfe_u32 v4, v3, 4, 1
	s_delay_alu instid0(VALU_DEP_1) | instskip(NEXT) | instid1(VALU_DEP_1)
	v_add3_u32 v4, v5, v4, 0x407ffff
	v_and_b32_e32 v5, 0xff00000, v4
	v_lshrrev_b32_e32 v4, 20, v4
	s_delay_alu instid0(VALU_DEP_2) | instskip(NEXT) | instid1(VALU_DEP_2)
	v_cmp_ne_u32_e32 vcc_lo, 0x7f00000, v5
                                        ; implicit-def: $vgpr5
	v_cndmask_b32_e32 v4, 0x7e, v4, vcc_lo
; %bb.972:
	s_and_not1_saveexec_b32 s20, s20
; %bb.973:
	v_add_f32_e64 v4, 0x46800000, |v5|
; %bb.974:
	s_or_b32 exec_lo, exec_lo, s20
                                        ; implicit-def: $vgpr6
.LBB34_975:
	s_and_not1_saveexec_b32 s19, s19
; %bb.976:
	v_mov_b32_e32 v4, 0x7f
	v_cmp_lt_u32_e32 vcc_lo, 0x7f800000, v6
	s_delay_alu instid0(VALU_DEP_2)
	v_cndmask_b32_e32 v4, 0x7e, v4, vcc_lo
; %bb.977:
	s_or_b32 exec_lo, exec_lo, s19
	v_lshrrev_b32_e32 v3, 8, v3
	s_delay_alu instid0(VALU_DEP_1)
	v_and_or_b32 v3, 0x80, v3, v4
	global_store_b8 v[0:1], v3, off
.LBB34_978:
	s_mov_b32 s19, 0
.LBB34_979:
	s_delay_alu instid0(SALU_CYCLE_1)
	s_and_not1_b32 vcc_lo, exec_lo, s19
	s_cbranch_vccnz .LBB34_989
; %bb.980:
	s_wait_xcnt 0x0
	v_lshlrev_b32_e32 v5, 16, v2
	v_and_b32_e32 v3, 0xffff, v2
	s_mov_b32 s19, exec_lo
                                        ; implicit-def: $vgpr4
	s_delay_alu instid0(VALU_DEP_2) | instskip(NEXT) | instid1(VALU_DEP_1)
	v_and_b32_e32 v6, 0x7fffffff, v5
	v_cmpx_gt_u32_e32 0x47800000, v6
	s_xor_b32 s19, exec_lo, s19
	s_cbranch_execz .LBB34_986
; %bb.981:
	s_mov_b32 s20, exec_lo
                                        ; implicit-def: $vgpr4
	v_cmpx_lt_u32_e32 0x387fffff, v6
	s_xor_b32 s20, exec_lo, s20
; %bb.982:
	v_bfe_u32 v4, v3, 5, 1
	s_delay_alu instid0(VALU_DEP_1) | instskip(NEXT) | instid1(VALU_DEP_1)
	v_add3_u32 v4, v5, v4, 0x80fffff
                                        ; implicit-def: $vgpr5
	v_lshrrev_b32_e32 v4, 21, v4
; %bb.983:
	s_and_not1_saveexec_b32 s20, s20
; %bb.984:
	v_add_f32_e64 v4, 0x43000000, |v5|
; %bb.985:
	s_or_b32 exec_lo, exec_lo, s20
                                        ; implicit-def: $vgpr6
.LBB34_986:
	s_and_not1_saveexec_b32 s19, s19
; %bb.987:
	v_mov_b32_e32 v4, 0x7f
	v_cmp_lt_u32_e32 vcc_lo, 0x7f800000, v6
	s_delay_alu instid0(VALU_DEP_2)
	v_cndmask_b32_e32 v4, 0x7c, v4, vcc_lo
; %bb.988:
	s_or_b32 exec_lo, exec_lo, s19
	v_lshrrev_b32_e32 v3, 8, v3
	s_delay_alu instid0(VALU_DEP_1)
	v_and_or_b32 v3, 0x80, v3, v4
	global_store_b8 v[0:1], v3, off
.LBB34_989:
	s_mov_b32 s19, 0
.LBB34_990:
	s_delay_alu instid0(SALU_CYCLE_1)
	s_and_not1_b32 vcc_lo, exec_lo, s19
	s_mov_b32 s19, 0
	s_cbranch_vccnz .LBB34_998
; %bb.991:
	s_cmp_gt_i32 s17, 14
	s_mov_b32 s19, -1
	s_cbranch_scc0 .LBB34_995
; %bb.992:
	s_cmp_eq_u32 s17, 15
	s_mov_b32 s0, -1
	s_cbranch_scc0 .LBB34_994
; %bb.993:
	s_mov_b32 s0, 0
	global_store_b16 v[0:1], v2, off
.LBB34_994:
	s_mov_b32 s19, 0
.LBB34_995:
	s_delay_alu instid0(SALU_CYCLE_1)
	s_and_b32 vcc_lo, exec_lo, s19
	s_mov_b32 s19, 0
	s_cbranch_vccz .LBB34_998
; %bb.996:
	s_cmp_lg_u32 s17, 11
	s_mov_b32 s19, -1
	s_cselect_b32 s17, -1, 0
	s_and_not1_b32 s0, s0, exec_lo
	s_and_b32 s17, s17, exec_lo
	s_delay_alu instid0(SALU_CYCLE_1)
	s_or_b32 s0, s0, s17
	s_branch .LBB34_998
.LBB34_997:
	s_mov_b32 s19, 0
.LBB34_998:
	s_and_not1_b32 s13, s13, exec_lo
	s_and_b32 s0, s0, exec_lo
	s_and_b32 s17, s18, exec_lo
	;; [unrolled: 1-line block ×3, first 2 shown]
	s_or_b32 s13, s13, s0
	s_wait_xcnt 0x0
	s_or_b32 exec_lo, exec_lo, s16
	s_and_saveexec_b32 s0, s13
	s_cbranch_execz .LBB34_927
.LBB34_999:
	s_or_b32 s14, s14, exec_lo
	s_and_not1_b32 s18, s18, exec_lo
	s_trap 2
	s_or_b32 exec_lo, exec_lo, s0
	s_and_saveexec_b32 s0, s18
	s_delay_alu instid0(SALU_CYCLE_1)
	s_xor_b32 s0, exec_lo, s0
	s_cbranch_execnz .LBB34_928
.LBB34_1000:
	s_or_b32 exec_lo, exec_lo, s0
	s_and_saveexec_b32 s0, s17
	s_delay_alu instid0(SALU_CYCLE_1)
	s_xor_b32 s0, exec_lo, s0
	s_cbranch_execz .LBB34_1038
.LBB34_1001:
	s_sext_i32_i16 s16, s15
	s_mov_b32 s13, -1
	s_cmp_lt_i32 s16, 5
	s_cbranch_scc1 .LBB34_1022
; %bb.1002:
	s_cmp_lt_i32 s16, 8
	s_cbranch_scc1 .LBB34_1012
; %bb.1003:
	;; [unrolled: 3-line block ×3, first 2 shown]
	s_cmp_gt_i32 s16, 9
	s_cbranch_scc0 .LBB34_1006
; %bb.1005:
	s_wait_loadcnt 0x0
	v_dual_mov_b32 v6, 0 :: v_dual_lshlrev_b32 v3, 16, v2
	s_mov_b32 s13, 0
	s_delay_alu instid0(VALU_DEP_1) | instskip(NEXT) | instid1(VALU_DEP_2)
	v_cvt_f64_f32_e32 v[4:5], v3
	v_mov_b32_e32 v7, v6
	global_store_b128 v[0:1], v[4:7], off
.LBB34_1006:
	s_and_not1_b32 vcc_lo, exec_lo, s13
	s_cbranch_vccnz .LBB34_1008
; %bb.1007:
	s_wait_loadcnt 0x0
	v_dual_mov_b32 v5, 0 :: v_dual_lshlrev_b32 v4, 16, v2
	global_store_b64 v[0:1], v[4:5], off
.LBB34_1008:
	s_mov_b32 s13, 0
.LBB34_1009:
	s_delay_alu instid0(SALU_CYCLE_1)
	s_and_not1_b32 vcc_lo, exec_lo, s13
	s_cbranch_vccnz .LBB34_1011
; %bb.1010:
	s_wait_loadcnt 0x0
	v_lshlrev_b32_e32 v3, 16, v2
	s_delay_alu instid0(VALU_DEP_1) | instskip(NEXT) | instid1(VALU_DEP_1)
	v_cvt_f16_f32_e32 v3, v3
	v_and_b32_e32 v3, 0xffff, v3
	global_store_b32 v[0:1], v3, off
.LBB34_1011:
	s_mov_b32 s13, 0
.LBB34_1012:
	s_delay_alu instid0(SALU_CYCLE_1)
	s_and_not1_b32 vcc_lo, exec_lo, s13
	s_cbranch_vccnz .LBB34_1021
; %bb.1013:
	s_sext_i32_i16 s16, s15
	s_mov_b32 s13, -1
	s_cmp_lt_i32 s16, 6
	s_cbranch_scc1 .LBB34_1019
; %bb.1014:
	s_cmp_gt_i32 s16, 6
	s_cbranch_scc0 .LBB34_1016
; %bb.1015:
	s_wait_loadcnt 0x0
	v_lshlrev_b32_e32 v3, 16, v2
	s_mov_b32 s13, 0
	s_delay_alu instid0(VALU_DEP_1)
	v_cvt_f64_f32_e32 v[4:5], v3
	global_store_b64 v[0:1], v[4:5], off
.LBB34_1016:
	s_and_not1_b32 vcc_lo, exec_lo, s13
	s_cbranch_vccnz .LBB34_1018
; %bb.1017:
	s_wait_loadcnt 0x0
	v_lshlrev_b32_e32 v3, 16, v2
	global_store_b32 v[0:1], v3, off
.LBB34_1018:
	s_mov_b32 s13, 0
.LBB34_1019:
	s_delay_alu instid0(SALU_CYCLE_1)
	s_and_not1_b32 vcc_lo, exec_lo, s13
	s_cbranch_vccnz .LBB34_1021
; %bb.1020:
	s_wait_loadcnt 0x0
	v_lshlrev_b32_e32 v3, 16, v2
	s_delay_alu instid0(VALU_DEP_1)
	v_cvt_f16_f32_e32 v3, v3
	global_store_b16 v[0:1], v3, off
.LBB34_1021:
	s_mov_b32 s13, 0
.LBB34_1022:
	s_delay_alu instid0(SALU_CYCLE_1)
	s_and_not1_b32 vcc_lo, exec_lo, s13
	s_cbranch_vccnz .LBB34_1038
; %bb.1023:
	s_sext_i32_i16 s16, s15
	s_mov_b32 s13, -1
	s_cmp_lt_i32 s16, 2
	s_cbranch_scc1 .LBB34_1033
; %bb.1024:
	s_cmp_lt_i32 s16, 3
	s_cbranch_scc1 .LBB34_1030
; %bb.1025:
	s_cmp_gt_i32 s16, 3
	s_cbranch_scc0 .LBB34_1027
; %bb.1026:
	s_wait_loadcnt 0x0
	v_lshlrev_b32_e32 v3, 16, v2
	s_mov_b32 s13, 0
	s_delay_alu instid0(VALU_DEP_1) | instskip(NEXT) | instid1(VALU_DEP_1)
	v_trunc_f32_e32 v3, v3
	v_mul_f32_e64 v4, 0x2f800000, |v3|
	s_delay_alu instid0(VALU_DEP_1) | instskip(SKIP_1) | instid1(VALU_DEP_2)
	v_floor_f32_e32 v5, v4
	v_ashrrev_i32_e32 v4, 31, v3
	v_fma_f32 v6, 0xcf800000, v5, |v3|
	v_cvt_u32_f32_e32 v3, v5
	s_delay_alu instid0(VALU_DEP_3) | instskip(NEXT) | instid1(VALU_DEP_3)
	v_mov_b32_e32 v5, v4
	v_cvt_u32_f32_e32 v6, v6
	s_delay_alu instid0(VALU_DEP_3) | instskip(NEXT) | instid1(VALU_DEP_2)
	v_xor_b32_e32 v7, v3, v4
	v_xor_b32_e32 v6, v6, v4
	s_delay_alu instid0(VALU_DEP_1)
	v_sub_nc_u64_e32 v[4:5], v[6:7], v[4:5]
	global_store_b64 v[0:1], v[4:5], off
.LBB34_1027:
	s_and_not1_b32 vcc_lo, exec_lo, s13
	s_cbranch_vccnz .LBB34_1029
; %bb.1028:
	s_wait_loadcnt 0x0
	v_lshlrev_b32_e32 v3, 16, v2
	s_delay_alu instid0(VALU_DEP_1)
	v_cvt_i32_f32_e32 v3, v3
	global_store_b32 v[0:1], v3, off
.LBB34_1029:
	s_mov_b32 s13, 0
.LBB34_1030:
	s_delay_alu instid0(SALU_CYCLE_1)
	s_and_not1_b32 vcc_lo, exec_lo, s13
	s_cbranch_vccnz .LBB34_1032
; %bb.1031:
	s_wait_loadcnt 0x0
	v_lshlrev_b32_e32 v3, 16, v2
	s_delay_alu instid0(VALU_DEP_1)
	v_cvt_i32_f32_e32 v3, v3
	global_store_b16 v[0:1], v3, off
.LBB34_1032:
	s_mov_b32 s13, 0
.LBB34_1033:
	s_delay_alu instid0(SALU_CYCLE_1)
	s_and_not1_b32 vcc_lo, exec_lo, s13
	s_cbranch_vccnz .LBB34_1038
; %bb.1034:
	s_wait_loadcnt 0x0
	v_lshlrev_b32_e32 v2, 16, v2
	s_sext_i32_i16 s13, s15
	s_delay_alu instid0(SALU_CYCLE_1)
	s_cmp_gt_i32 s13, 0
	s_mov_b32 s13, -1
	s_cbranch_scc0 .LBB34_1036
; %bb.1035:
	s_wait_xcnt 0x0
	v_cvt_i32_f32_e32 v3, v2
	s_mov_b32 s13, 0
	global_store_b8 v[0:1], v3, off
.LBB34_1036:
	s_and_not1_b32 vcc_lo, exec_lo, s13
	s_cbranch_vccnz .LBB34_1038
; %bb.1037:
	v_trunc_f32_e32 v2, v2
	s_wait_xcnt 0x0
	s_delay_alu instid0(VALU_DEP_1) | instskip(NEXT) | instid1(VALU_DEP_1)
	v_mul_f32_e64 v3, 0x2f800000, |v2|
	v_floor_f32_e32 v3, v3
	s_delay_alu instid0(VALU_DEP_1) | instskip(SKIP_1) | instid1(VALU_DEP_2)
	v_fma_f32 v3, 0xcf800000, v3, |v2|
	v_ashrrev_i32_e32 v2, 31, v2
	v_cvt_u32_f32_e32 v3, v3
	s_delay_alu instid0(VALU_DEP_1) | instskip(NEXT) | instid1(VALU_DEP_1)
	v_xor_b32_e32 v3, v3, v2
	v_sub_nc_u32_e32 v2, v3, v2
	global_store_b8 v[0:1], v2, off
.LBB34_1038:
	s_wait_xcnt 0x0
	s_or_b32 exec_lo, exec_lo, s0
	s_delay_alu instid0(SALU_CYCLE_1)
	s_and_b32 s13, s14, exec_lo
                                        ; implicit-def: $vgpr4
.LBB34_1039:
	s_or_saveexec_b32 s12, s12
	s_mov_b32 s0, 0
                                        ; implicit-def: $sgpr14
                                        ; implicit-def: $vgpr0_vgpr1
                                        ; implicit-def: $vgpr2
	s_xor_b32 exec_lo, exec_lo, s12
	s_cbranch_execz .LBB34_1999
; %bb.1040:
	v_mul_lo_u32 v0, s9, v4
	s_and_b32 s0, 0xffff, s3
	s_delay_alu instid0(SALU_CYCLE_1) | instskip(NEXT) | instid1(VALU_DEP_1)
	s_cmp_lt_i32 s0, 11
	v_ashrrev_i32_e32 v1, 31, v0
	s_wait_loadcnt 0x0
	s_delay_alu instid0(VALU_DEP_1)
	v_add_nc_u64_e32 v[2:3], s[6:7], v[0:1]
	s_cbranch_scc1 .LBB34_1047
; %bb.1041:
	s_cmp_gt_i32 s0, 25
	s_mov_b32 s3, 0
	s_cbranch_scc0 .LBB34_1049
; %bb.1042:
	s_cmp_gt_i32 s0, 28
	s_cbranch_scc0 .LBB34_1050
; %bb.1043:
	s_cmp_gt_i32 s0, 43
	;; [unrolled: 3-line block ×3, first 2 shown]
	s_cbranch_scc0 .LBB34_1052
; %bb.1045:
	s_cmp_eq_u32 s0, 46
	s_mov_b32 s15, 0
	s_cbranch_scc0 .LBB34_1055
; %bb.1046:
	global_load_b32 v1, v[2:3], off
	s_mov_b32 s14, -1
	s_branch .LBB34_1057
.LBB34_1047:
	s_mov_b32 s14, 0
	s_mov_b32 s1, s13
                                        ; implicit-def: $vgpr1
	s_cbranch_execnz .LBB34_1120
.LBB34_1048:
	s_and_not1_b32 vcc_lo, exec_lo, s14
	s_cbranch_vccz .LBB34_1165
	s_branch .LBB34_1997
.LBB34_1049:
	s_mov_b32 s14, 0
                                        ; implicit-def: $vgpr1
	s_cbranch_execnz .LBB34_1085
	s_branch .LBB34_1116
.LBB34_1050:
	s_mov_b32 s15, -1
	s_mov_b32 s14, 0
                                        ; implicit-def: $vgpr1
	s_branch .LBB34_1066
.LBB34_1051:
	s_mov_b32 s14, 0
                                        ; implicit-def: $vgpr1
	s_cbranch_execnz .LBB34_1062
	s_branch .LBB34_1065
.LBB34_1052:
	s_mov_b32 s15, -1
	s_branch .LBB34_1056
.LBB34_1053:
	s_and_not1_saveexec_b32 s20, s20
	s_cbranch_execz .LBB34_952
.LBB34_1054:
	v_add_f32_e64 v4, 0x46000000, |v5|
	s_and_not1_b32 s19, s19, exec_lo
	s_delay_alu instid0(VALU_DEP_1) | instskip(NEXT) | instid1(VALU_DEP_1)
	v_and_b32_e32 v4, 0xff, v4
	v_cmp_ne_u32_e32 vcc_lo, 0, v4
	s_and_b32 s21, vcc_lo, exec_lo
	s_delay_alu instid0(SALU_CYCLE_1)
	s_or_b32 s19, s19, s21
	s_or_b32 exec_lo, exec_lo, s20
	v_mov_b32_e32 v6, 0
	s_and_saveexec_b32 s20, s19
	s_cbranch_execnz .LBB34_953
	s_branch .LBB34_954
.LBB34_1055:
	s_mov_b32 s1, -1
.LBB34_1056:
	s_mov_b32 s14, 0
                                        ; implicit-def: $vgpr1
.LBB34_1057:
	s_and_b32 vcc_lo, exec_lo, s15
	s_cbranch_vccz .LBB34_1060
; %bb.1058:
	s_cmp_eq_u32 s0, 44
	s_cbranch_scc0 .LBB34_1061
; %bb.1059:
	s_wait_loadcnt 0x0
	global_load_u8 v1, v[2:3], off
	s_mov_b32 s1, 0
	s_mov_b32 s14, -1
	s_wait_loadcnt 0x0
	v_lshlrev_b32_e32 v5, 23, v1
	v_cmp_ne_u32_e32 vcc_lo, 0xff, v1
	s_delay_alu instid0(VALU_DEP_2) | instskip(SKIP_1) | instid1(VALU_DEP_2)
	v_cndmask_b32_e32 v5, 0x7f800001, v5, vcc_lo
	v_cmp_ne_u32_e32 vcc_lo, 0, v1
	v_cndmask_b32_e32 v1, 0x400000, v5, vcc_lo
	s_delay_alu instid0(VALU_DEP_1) | instskip(SKIP_1) | instid1(VALU_DEP_2)
	v_add_nc_u32_e32 v5, 0x7fff, v1
	v_cmp_o_f32_e32 vcc_lo, v1, v1
	v_lshrrev_b32_e32 v5, 16, v5
	s_delay_alu instid0(VALU_DEP_1)
	v_cndmask_b32_e32 v1, 0x7fc0, v5, vcc_lo
.LBB34_1060:
	s_branch .LBB34_1065
.LBB34_1061:
	s_mov_b32 s1, -1
                                        ; implicit-def: $vgpr1
	s_branch .LBB34_1065
.LBB34_1062:
	s_cmp_eq_u32 s0, 29
	s_cbranch_scc0 .LBB34_1064
; %bb.1063:
	global_load_b64 v[6:7], v[2:3], off
	s_mov_b32 s1, 0
	s_mov_b32 s14, -1
	s_mov_b32 s15, 0
	s_wait_loadcnt 0x0
	v_clz_i32_u32_e32 v1, v7
	s_delay_alu instid0(VALU_DEP_1) | instskip(NEXT) | instid1(VALU_DEP_1)
	v_min_u32_e32 v1, 32, v1
	v_lshlrev_b64_e32 v[6:7], v1, v[6:7]
	v_sub_nc_u32_e32 v1, 32, v1
	s_delay_alu instid0(VALU_DEP_2) | instskip(NEXT) | instid1(VALU_DEP_1)
	v_min_u32_e32 v5, 1, v6
	v_or_b32_e32 v5, v7, v5
	s_delay_alu instid0(VALU_DEP_1) | instskip(NEXT) | instid1(VALU_DEP_1)
	v_cvt_f32_u32_e32 v5, v5
	v_ldexp_f32 v1, v5, v1
	s_delay_alu instid0(VALU_DEP_1) | instskip(NEXT) | instid1(VALU_DEP_1)
	v_bfe_u32 v5, v1, 16, 1
	v_add3_u32 v1, v1, v5, 0x7fff
	s_delay_alu instid0(VALU_DEP_1)
	v_lshrrev_b32_e32 v1, 16, v1
	s_branch .LBB34_1066
.LBB34_1064:
	s_mov_b32 s1, -1
                                        ; implicit-def: $vgpr1
.LBB34_1065:
	s_mov_b32 s15, 0
.LBB34_1066:
	s_delay_alu instid0(SALU_CYCLE_1)
	s_and_b32 vcc_lo, exec_lo, s15
	s_cbranch_vccz .LBB34_1084
; %bb.1067:
	s_cmp_lt_i32 s0, 27
	s_cbranch_scc1 .LBB34_1070
; %bb.1068:
	s_cmp_gt_i32 s0, 27
	s_cbranch_scc0 .LBB34_1071
; %bb.1069:
	s_wait_loadcnt 0x0
	global_load_b32 v1, v[2:3], off
	s_mov_b32 s14, 0
	s_wait_loadcnt 0x0
	v_cvt_f32_u32_e32 v1, v1
	s_delay_alu instid0(VALU_DEP_1) | instskip(NEXT) | instid1(VALU_DEP_1)
	v_bfe_u32 v5, v1, 16, 1
	v_add3_u32 v1, v1, v5, 0x7fff
	s_delay_alu instid0(VALU_DEP_1)
	v_lshrrev_b32_e32 v1, 16, v1
	s_branch .LBB34_1072
.LBB34_1070:
	s_mov_b32 s14, -1
                                        ; implicit-def: $vgpr1
	s_branch .LBB34_1075
.LBB34_1071:
	s_mov_b32 s14, -1
                                        ; implicit-def: $vgpr1
.LBB34_1072:
	s_delay_alu instid0(SALU_CYCLE_1)
	s_and_not1_b32 vcc_lo, exec_lo, s14
	s_cbranch_vccnz .LBB34_1074
; %bb.1073:
	s_wait_loadcnt 0x0
	global_load_u16 v1, v[2:3], off
	s_wait_loadcnt 0x0
	v_cvt_f32_u32_e32 v1, v1
	s_delay_alu instid0(VALU_DEP_1) | instskip(NEXT) | instid1(VALU_DEP_1)
	v_bfe_u32 v5, v1, 16, 1
	v_add3_u32 v1, v1, v5, 0x7fff
	s_delay_alu instid0(VALU_DEP_1)
	v_lshrrev_b32_e32 v1, 16, v1
.LBB34_1074:
	s_mov_b32 s14, 0
.LBB34_1075:
	s_delay_alu instid0(SALU_CYCLE_1)
	s_and_not1_b32 vcc_lo, exec_lo, s14
	s_cbranch_vccnz .LBB34_1083
; %bb.1076:
	s_wait_loadcnt 0x0
	global_load_u8 v1, v[2:3], off
	s_mov_b32 s14, 0
	s_mov_b32 s15, exec_lo
	s_wait_loadcnt 0x0
	v_cmpx_lt_i16_e32 0x7f, v1
	s_xor_b32 s15, exec_lo, s15
	s_cbranch_execz .LBB34_1096
; %bb.1077:
	s_mov_b32 s14, -1
	s_mov_b32 s16, exec_lo
	v_cmpx_eq_u16_e32 0x80, v1
; %bb.1078:
	s_xor_b32 s14, exec_lo, -1
; %bb.1079:
	s_or_b32 exec_lo, exec_lo, s16
	s_delay_alu instid0(SALU_CYCLE_1)
	s_and_b32 s14, s14, exec_lo
	s_or_saveexec_b32 s15, s15
	v_mov_b32_e32 v5, 0x7f800001
	s_xor_b32 exec_lo, exec_lo, s15
	s_cbranch_execnz .LBB34_1097
.LBB34_1080:
	s_or_b32 exec_lo, exec_lo, s15
	s_and_saveexec_b32 s15, s14
	s_cbranch_execz .LBB34_1082
.LBB34_1081:
	v_and_b32_e32 v5, 0xffff, v1
	s_delay_alu instid0(VALU_DEP_1) | instskip(SKIP_1) | instid1(VALU_DEP_2)
	v_and_b32_e32 v6, 7, v5
	v_bfe_u32 v9, v5, 3, 4
	v_clz_i32_u32_e32 v7, v6
	s_delay_alu instid0(VALU_DEP_2) | instskip(NEXT) | instid1(VALU_DEP_2)
	v_cmp_eq_u32_e32 vcc_lo, 0, v9
	v_min_u32_e32 v7, 32, v7
	s_delay_alu instid0(VALU_DEP_1) | instskip(NEXT) | instid1(VALU_DEP_1)
	v_subrev_nc_u32_e32 v8, 28, v7
	v_dual_lshlrev_b32 v5, v8, v5 :: v_dual_sub_nc_u32 v7, 29, v7
	s_delay_alu instid0(VALU_DEP_1) | instskip(NEXT) | instid1(VALU_DEP_2)
	v_and_b32_e32 v5, 7, v5
	v_dual_lshlrev_b32 v1, 24, v1 :: v_dual_cndmask_b32 v7, v9, v7, vcc_lo
	s_delay_alu instid0(VALU_DEP_2) | instskip(NEXT) | instid1(VALU_DEP_2)
	v_cndmask_b32_e32 v5, v6, v5, vcc_lo
	v_and_b32_e32 v1, 0x80000000, v1
	s_delay_alu instid0(VALU_DEP_3) | instskip(NEXT) | instid1(VALU_DEP_3)
	v_lshl_add_u32 v6, v7, 23, 0x3b800000
	v_lshlrev_b32_e32 v5, 20, v5
	s_delay_alu instid0(VALU_DEP_1)
	v_or3_b32 v5, v1, v6, v5
.LBB34_1082:
	s_or_b32 exec_lo, exec_lo, s15
	s_delay_alu instid0(VALU_DEP_1) | instskip(SKIP_1) | instid1(VALU_DEP_2)
	v_bfe_u32 v1, v5, 16, 1
	v_cmp_o_f32_e32 vcc_lo, v5, v5
	v_add3_u32 v1, v5, v1, 0x7fff
	s_delay_alu instid0(VALU_DEP_1) | instskip(NEXT) | instid1(VALU_DEP_1)
	v_lshrrev_b32_e32 v1, 16, v1
	v_cndmask_b32_e32 v1, 0x7fc0, v1, vcc_lo
.LBB34_1083:
	s_mov_b32 s14, -1
.LBB34_1084:
	s_branch .LBB34_1116
.LBB34_1085:
	s_cmp_gt_i32 s0, 22
	s_cbranch_scc0 .LBB34_1095
; %bb.1086:
	s_cmp_lt_i32 s0, 24
	s_cbranch_scc1 .LBB34_1098
; %bb.1087:
	s_cmp_gt_i32 s0, 24
	s_cbranch_scc0 .LBB34_1099
; %bb.1088:
	s_wait_loadcnt 0x0
	global_load_u8 v1, v[2:3], off
	s_mov_b32 s14, exec_lo
	s_wait_loadcnt 0x0
	v_cmpx_lt_i16_e32 0x7f, v1
	s_xor_b32 s14, exec_lo, s14
	s_cbranch_execz .LBB34_1110
; %bb.1089:
	s_mov_b32 s3, -1
	s_mov_b32 s15, exec_lo
	v_cmpx_eq_u16_e32 0x80, v1
; %bb.1090:
	s_xor_b32 s3, exec_lo, -1
; %bb.1091:
	s_or_b32 exec_lo, exec_lo, s15
	s_delay_alu instid0(SALU_CYCLE_1)
	s_and_b32 s3, s3, exec_lo
	s_or_saveexec_b32 s14, s14
	v_mov_b32_e32 v5, 0x7f800001
	s_xor_b32 exec_lo, exec_lo, s14
	s_cbranch_execnz .LBB34_1111
.LBB34_1092:
	s_or_b32 exec_lo, exec_lo, s14
	s_and_saveexec_b32 s14, s3
	s_cbranch_execz .LBB34_1094
.LBB34_1093:
	v_and_b32_e32 v5, 0xffff, v1
	s_delay_alu instid0(VALU_DEP_1) | instskip(SKIP_1) | instid1(VALU_DEP_2)
	v_and_b32_e32 v6, 3, v5
	v_bfe_u32 v9, v5, 2, 5
	v_clz_i32_u32_e32 v7, v6
	s_delay_alu instid0(VALU_DEP_2) | instskip(NEXT) | instid1(VALU_DEP_2)
	v_cmp_eq_u32_e32 vcc_lo, 0, v9
	v_min_u32_e32 v7, 32, v7
	s_delay_alu instid0(VALU_DEP_1) | instskip(NEXT) | instid1(VALU_DEP_1)
	v_subrev_nc_u32_e32 v8, 29, v7
	v_dual_lshlrev_b32 v5, v8, v5 :: v_dual_sub_nc_u32 v7, 30, v7
	s_delay_alu instid0(VALU_DEP_1) | instskip(NEXT) | instid1(VALU_DEP_2)
	v_and_b32_e32 v5, 3, v5
	v_dual_lshlrev_b32 v1, 24, v1 :: v_dual_cndmask_b32 v7, v9, v7, vcc_lo
	s_delay_alu instid0(VALU_DEP_2) | instskip(NEXT) | instid1(VALU_DEP_2)
	v_cndmask_b32_e32 v5, v6, v5, vcc_lo
	v_and_b32_e32 v1, 0x80000000, v1
	s_delay_alu instid0(VALU_DEP_3) | instskip(NEXT) | instid1(VALU_DEP_3)
	v_lshl_add_u32 v6, v7, 23, 0x37800000
	v_lshlrev_b32_e32 v5, 21, v5
	s_delay_alu instid0(VALU_DEP_1)
	v_or3_b32 v5, v1, v6, v5
.LBB34_1094:
	s_or_b32 exec_lo, exec_lo, s14
	s_delay_alu instid0(VALU_DEP_1) | instskip(SKIP_2) | instid1(VALU_DEP_2)
	v_bfe_u32 v1, v5, 16, 1
	v_cmp_o_f32_e32 vcc_lo, v5, v5
	s_mov_b32 s3, 0
	v_add3_u32 v1, v5, v1, 0x7fff
	s_delay_alu instid0(VALU_DEP_1) | instskip(NEXT) | instid1(VALU_DEP_1)
	v_lshrrev_b32_e32 v1, 16, v1
	v_cndmask_b32_e32 v1, 0x7fc0, v1, vcc_lo
	s_branch .LBB34_1100
.LBB34_1095:
                                        ; implicit-def: $vgpr1
	s_mov_b32 s3, 0
	s_branch .LBB34_1106
.LBB34_1096:
	s_or_saveexec_b32 s15, s15
	v_mov_b32_e32 v5, 0x7f800001
	s_xor_b32 exec_lo, exec_lo, s15
	s_cbranch_execz .LBB34_1080
.LBB34_1097:
	v_cmp_ne_u16_e32 vcc_lo, 0, v1
	v_mov_b32_e32 v5, 0
	s_and_not1_b32 s14, s14, exec_lo
	s_and_b32 s16, vcc_lo, exec_lo
	s_delay_alu instid0(SALU_CYCLE_1)
	s_or_b32 s14, s14, s16
	s_or_b32 exec_lo, exec_lo, s15
	s_and_saveexec_b32 s15, s14
	s_cbranch_execnz .LBB34_1081
	s_branch .LBB34_1082
.LBB34_1098:
	s_mov_b32 s3, -1
                                        ; implicit-def: $vgpr1
	s_branch .LBB34_1103
.LBB34_1099:
	s_mov_b32 s3, -1
                                        ; implicit-def: $vgpr1
.LBB34_1100:
	s_delay_alu instid0(SALU_CYCLE_1)
	s_and_b32 vcc_lo, exec_lo, s3
	s_cbranch_vccz .LBB34_1102
; %bb.1101:
	s_wait_loadcnt 0x0
	global_load_u8 v1, v[2:3], off
	s_wait_loadcnt 0x0
	v_lshlrev_b32_e32 v1, 24, v1
	s_delay_alu instid0(VALU_DEP_1) | instskip(NEXT) | instid1(VALU_DEP_1)
	v_and_b32_e32 v5, 0x7f000000, v1
	v_clz_i32_u32_e32 v6, v5
	v_cmp_ne_u32_e32 vcc_lo, 0, v5
	v_add_nc_u32_e32 v8, 0x1000000, v5
	s_delay_alu instid0(VALU_DEP_3) | instskip(NEXT) | instid1(VALU_DEP_1)
	v_min_u32_e32 v6, 32, v6
	v_sub_nc_u32_e64 v6, v6, 4 clamp
	s_delay_alu instid0(VALU_DEP_1) | instskip(NEXT) | instid1(VALU_DEP_1)
	v_dual_lshlrev_b32 v7, v6, v5 :: v_dual_lshlrev_b32 v6, 23, v6
	v_lshrrev_b32_e32 v7, 4, v7
	s_delay_alu instid0(VALU_DEP_1) | instskip(NEXT) | instid1(VALU_DEP_1)
	v_dual_sub_nc_u32 v6, v7, v6 :: v_dual_ashrrev_i32 v7, 8, v8
	v_add_nc_u32_e32 v6, 0x3c000000, v6
	s_delay_alu instid0(VALU_DEP_1) | instskip(NEXT) | instid1(VALU_DEP_1)
	v_and_or_b32 v6, 0x7f800000, v7, v6
	v_cndmask_b32_e32 v5, 0, v6, vcc_lo
	s_delay_alu instid0(VALU_DEP_1) | instskip(SKIP_1) | instid1(VALU_DEP_2)
	v_and_or_b32 v1, 0x80000000, v1, v5
	v_bfe_u32 v5, v5, 16, 1
	v_cmp_o_f32_e32 vcc_lo, v1, v1
	s_delay_alu instid0(VALU_DEP_2) | instskip(NEXT) | instid1(VALU_DEP_1)
	v_add3_u32 v5, v1, v5, 0x7fff
	v_lshrrev_b32_e32 v5, 16, v5
	s_delay_alu instid0(VALU_DEP_1)
	v_cndmask_b32_e32 v1, 0x7fc0, v5, vcc_lo
.LBB34_1102:
	s_mov_b32 s3, 0
.LBB34_1103:
	s_delay_alu instid0(SALU_CYCLE_1)
	s_and_not1_b32 vcc_lo, exec_lo, s3
	s_cbranch_vccnz .LBB34_1105
; %bb.1104:
	s_wait_loadcnt 0x0
	global_load_u8 v1, v[2:3], off
	s_wait_loadcnt 0x0
	v_lshlrev_b32_e32 v5, 25, v1
	v_lshlrev_b16 v1, 8, v1
	s_delay_alu instid0(VALU_DEP_1) | instskip(SKIP_1) | instid1(VALU_DEP_2)
	v_and_or_b32 v7, 0x7f00, v1, 0.5
	v_bfe_i32 v1, v1, 0, 16
	v_dual_add_f32 v7, -0.5, v7 :: v_dual_lshrrev_b32 v6, 4, v5
	v_cmp_gt_u32_e32 vcc_lo, 0x8000000, v5
	s_delay_alu instid0(VALU_DEP_2) | instskip(NEXT) | instid1(VALU_DEP_1)
	v_or_b32_e32 v6, 0x70000000, v6
	v_mul_f32_e32 v6, 0x7800000, v6
	s_delay_alu instid0(VALU_DEP_1) | instskip(NEXT) | instid1(VALU_DEP_1)
	v_cndmask_b32_e32 v5, v6, v7, vcc_lo
	v_and_or_b32 v1, 0x80000000, v1, v5
	v_bfe_u32 v5, v5, 16, 1
	s_delay_alu instid0(VALU_DEP_2) | instskip(NEXT) | instid1(VALU_DEP_2)
	v_cmp_o_f32_e32 vcc_lo, v1, v1
	v_add3_u32 v5, v1, v5, 0x7fff
	s_delay_alu instid0(VALU_DEP_1) | instskip(NEXT) | instid1(VALU_DEP_1)
	v_lshrrev_b32_e32 v5, 16, v5
	v_cndmask_b32_e32 v1, 0x7fc0, v5, vcc_lo
.LBB34_1105:
	s_mov_b32 s14, -1
	s_mov_b32 s3, 0
	s_cbranch_execnz .LBB34_1116
.LBB34_1106:
	s_cmp_gt_i32 s0, 14
	s_cbranch_scc0 .LBB34_1109
; %bb.1107:
	s_cmp_eq_u32 s0, 15
	s_cbranch_scc0 .LBB34_1112
; %bb.1108:
	s_wait_loadcnt 0x0
	global_load_u16 v1, v[2:3], off
	s_mov_b32 s1, 0
	s_mov_b32 s14, -1
	s_branch .LBB34_1114
.LBB34_1109:
	s_mov_b32 s3, -1
	s_branch .LBB34_1113
.LBB34_1110:
	s_or_saveexec_b32 s14, s14
	v_mov_b32_e32 v5, 0x7f800001
	s_xor_b32 exec_lo, exec_lo, s14
	s_cbranch_execz .LBB34_1092
.LBB34_1111:
	v_cmp_ne_u16_e32 vcc_lo, 0, v1
	v_mov_b32_e32 v5, 0
	s_and_not1_b32 s3, s3, exec_lo
	s_and_b32 s15, vcc_lo, exec_lo
	s_delay_alu instid0(SALU_CYCLE_1)
	s_or_b32 s3, s3, s15
	s_or_b32 exec_lo, exec_lo, s14
	s_and_saveexec_b32 s14, s3
	s_cbranch_execnz .LBB34_1093
	s_branch .LBB34_1094
.LBB34_1112:
	s_mov_b32 s1, -1
.LBB34_1113:
                                        ; implicit-def: $vgpr1
.LBB34_1114:
	s_and_b32 vcc_lo, exec_lo, s3
	s_mov_b32 s3, 0
	s_cbranch_vccz .LBB34_1116
; %bb.1115:
	s_cmp_lg_u32 s0, 11
	s_mov_b32 s3, -1
	s_cselect_b32 s1, -1, 0
.LBB34_1116:
	s_delay_alu instid0(SALU_CYCLE_1)
	s_and_b32 vcc_lo, exec_lo, s1
	s_mov_b32 s1, s13
	s_cbranch_vccnz .LBB34_1179
; %bb.1117:
	s_and_not1_b32 vcc_lo, exec_lo, s3
	s_cbranch_vccnz .LBB34_1119
.LBB34_1118:
	s_wait_loadcnt 0x0
	global_load_u8 v1, v[2:3], off
	s_mov_b32 s14, -1
	s_wait_loadcnt 0x0
	v_cmp_ne_u16_e32 vcc_lo, 0, v1
	v_cndmask_b32_e64 v1, 0, 1.0, vcc_lo
	s_delay_alu instid0(VALU_DEP_1)
	v_lshrrev_b32_e32 v1, 16, v1
.LBB34_1119:
	s_branch .LBB34_1048
.LBB34_1120:
	s_cmp_lt_i32 s0, 5
	s_cbranch_scc1 .LBB34_1125
; %bb.1121:
	s_cmp_lt_i32 s0, 8
	s_cbranch_scc1 .LBB34_1126
; %bb.1122:
	;; [unrolled: 3-line block ×3, first 2 shown]
	s_cmp_gt_i32 s0, 9
	s_cbranch_scc0 .LBB34_1128
; %bb.1124:
	global_load_b64 v[6:7], v[2:3], off
	s_mov_b32 s3, 0
	s_wait_loadcnt 0x0
	v_cvt_f32_f64_e32 v1, v[6:7]
	s_delay_alu instid0(VALU_DEP_1) | instskip(SKIP_1) | instid1(VALU_DEP_2)
	v_bfe_u32 v5, v1, 16, 1
	v_cmp_o_f32_e32 vcc_lo, v1, v1
	v_add3_u32 v5, v1, v5, 0x7fff
	s_delay_alu instid0(VALU_DEP_1) | instskip(NEXT) | instid1(VALU_DEP_1)
	v_lshrrev_b32_e32 v5, 16, v5
	v_cndmask_b32_e32 v1, 0x7fc0, v5, vcc_lo
	s_branch .LBB34_1129
.LBB34_1125:
                                        ; implicit-def: $vgpr1
	s_branch .LBB34_1146
.LBB34_1126:
                                        ; implicit-def: $vgpr1
	s_branch .LBB34_1135
.LBB34_1127:
	s_mov_b32 s3, -1
                                        ; implicit-def: $vgpr1
	s_branch .LBB34_1132
.LBB34_1128:
	s_mov_b32 s3, -1
                                        ; implicit-def: $vgpr1
.LBB34_1129:
	s_delay_alu instid0(SALU_CYCLE_1)
	s_and_not1_b32 vcc_lo, exec_lo, s3
	s_cbranch_vccnz .LBB34_1131
; %bb.1130:
	s_wait_loadcnt 0x0
	global_load_b32 v1, v[2:3], off
	s_wait_loadcnt 0x0
	v_bfe_u32 v5, v1, 16, 1
	v_cmp_o_f32_e32 vcc_lo, v1, v1
	s_delay_alu instid0(VALU_DEP_2) | instskip(NEXT) | instid1(VALU_DEP_1)
	v_add3_u32 v5, v1, v5, 0x7fff
	v_lshrrev_b32_e32 v5, 16, v5
	s_delay_alu instid0(VALU_DEP_1)
	v_cndmask_b32_e32 v1, 0x7fc0, v5, vcc_lo
.LBB34_1131:
	s_mov_b32 s3, 0
.LBB34_1132:
	s_delay_alu instid0(SALU_CYCLE_1)
	s_and_not1_b32 vcc_lo, exec_lo, s3
	s_cbranch_vccnz .LBB34_1134
; %bb.1133:
	s_wait_loadcnt 0x0
	global_load_b32 v1, v[2:3], off
	s_wait_loadcnt 0x0
	v_cvt_f32_f16_e32 v5, v1
	v_cmp_o_f16_e32 vcc_lo, v1, v1
	s_delay_alu instid0(VALU_DEP_2) | instskip(NEXT) | instid1(VALU_DEP_1)
	v_bfe_u32 v6, v5, 16, 1
	v_add3_u32 v5, v5, v6, 0x7fff
	s_delay_alu instid0(VALU_DEP_1) | instskip(NEXT) | instid1(VALU_DEP_1)
	v_lshrrev_b32_e32 v5, 16, v5
	v_cndmask_b32_e32 v1, 0x7fc0, v5, vcc_lo
.LBB34_1134:
	s_cbranch_execnz .LBB34_1145
.LBB34_1135:
	s_cmp_lt_i32 s0, 6
	s_cbranch_scc1 .LBB34_1138
; %bb.1136:
	s_cmp_gt_i32 s0, 6
	s_cbranch_scc0 .LBB34_1139
; %bb.1137:
	global_load_b64 v[6:7], v[2:3], off
	s_mov_b32 s3, 0
	s_wait_loadcnt 0x0
	v_cvt_f32_f64_e32 v1, v[6:7]
	s_delay_alu instid0(VALU_DEP_1) | instskip(SKIP_1) | instid1(VALU_DEP_2)
	v_bfe_u32 v5, v1, 16, 1
	v_cmp_o_f32_e32 vcc_lo, v1, v1
	v_add3_u32 v5, v1, v5, 0x7fff
	s_delay_alu instid0(VALU_DEP_1) | instskip(NEXT) | instid1(VALU_DEP_1)
	v_lshrrev_b32_e32 v5, 16, v5
	v_cndmask_b32_e32 v1, 0x7fc0, v5, vcc_lo
	s_branch .LBB34_1140
.LBB34_1138:
	s_mov_b32 s3, -1
                                        ; implicit-def: $vgpr1
	s_branch .LBB34_1143
.LBB34_1139:
	s_mov_b32 s3, -1
                                        ; implicit-def: $vgpr1
.LBB34_1140:
	s_delay_alu instid0(SALU_CYCLE_1)
	s_and_not1_b32 vcc_lo, exec_lo, s3
	s_cbranch_vccnz .LBB34_1142
; %bb.1141:
	s_wait_loadcnt 0x0
	global_load_b32 v1, v[2:3], off
	s_wait_loadcnt 0x0
	v_bfe_u32 v5, v1, 16, 1
	v_cmp_o_f32_e32 vcc_lo, v1, v1
	s_delay_alu instid0(VALU_DEP_2) | instskip(NEXT) | instid1(VALU_DEP_1)
	v_add3_u32 v5, v1, v5, 0x7fff
	v_lshrrev_b32_e32 v5, 16, v5
	s_delay_alu instid0(VALU_DEP_1)
	v_cndmask_b32_e32 v1, 0x7fc0, v5, vcc_lo
.LBB34_1142:
	s_mov_b32 s3, 0
.LBB34_1143:
	s_delay_alu instid0(SALU_CYCLE_1)
	s_and_not1_b32 vcc_lo, exec_lo, s3
	s_cbranch_vccnz .LBB34_1145
; %bb.1144:
	s_wait_loadcnt 0x0
	global_load_u16 v1, v[2:3], off
	s_wait_loadcnt 0x0
	v_cvt_f32_f16_e32 v5, v1
	v_cmp_o_f16_e32 vcc_lo, v1, v1
	s_delay_alu instid0(VALU_DEP_2) | instskip(NEXT) | instid1(VALU_DEP_1)
	v_bfe_u32 v6, v5, 16, 1
	v_add3_u32 v5, v5, v6, 0x7fff
	s_delay_alu instid0(VALU_DEP_1) | instskip(NEXT) | instid1(VALU_DEP_1)
	v_lshrrev_b32_e32 v5, 16, v5
	v_cndmask_b32_e32 v1, 0x7fc0, v5, vcc_lo
.LBB34_1145:
	s_cbranch_execnz .LBB34_1164
.LBB34_1146:
	s_cmp_lt_i32 s0, 2
	s_cbranch_scc1 .LBB34_1150
; %bb.1147:
	s_cmp_lt_i32 s0, 3
	s_cbranch_scc1 .LBB34_1151
; %bb.1148:
	s_cmp_gt_i32 s0, 3
	s_cbranch_scc0 .LBB34_1152
; %bb.1149:
	global_load_b64 v[6:7], v[2:3], off
	s_mov_b32 s3, 0
	s_wait_loadcnt 0x0
	v_xor_b32_e32 v1, v6, v7
	v_cls_i32_e32 v5, v7
	s_delay_alu instid0(VALU_DEP_2) | instskip(NEXT) | instid1(VALU_DEP_1)
	v_ashrrev_i32_e32 v1, 31, v1
	v_add_nc_u32_e32 v1, 32, v1
	s_delay_alu instid0(VALU_DEP_1) | instskip(NEXT) | instid1(VALU_DEP_1)
	v_add_min_u32_e64 v1, v5, -1, v1
	v_lshlrev_b64_e32 v[6:7], v1, v[6:7]
	v_sub_nc_u32_e32 v1, 32, v1
	s_delay_alu instid0(VALU_DEP_2) | instskip(NEXT) | instid1(VALU_DEP_1)
	v_min_u32_e32 v5, 1, v6
	v_or_b32_e32 v5, v7, v5
	s_delay_alu instid0(VALU_DEP_1) | instskip(NEXT) | instid1(VALU_DEP_1)
	v_cvt_f32_i32_e32 v5, v5
	v_ldexp_f32 v1, v5, v1
	s_delay_alu instid0(VALU_DEP_1) | instskip(NEXT) | instid1(VALU_DEP_1)
	v_bfe_u32 v5, v1, 16, 1
	v_add3_u32 v1, v1, v5, 0x7fff
	s_delay_alu instid0(VALU_DEP_1)
	v_lshrrev_b32_e32 v1, 16, v1
	s_branch .LBB34_1153
.LBB34_1150:
                                        ; implicit-def: $vgpr1
	s_branch .LBB34_1159
.LBB34_1151:
	s_mov_b32 s3, -1
                                        ; implicit-def: $vgpr1
	s_branch .LBB34_1156
.LBB34_1152:
	s_mov_b32 s3, -1
                                        ; implicit-def: $vgpr1
.LBB34_1153:
	s_delay_alu instid0(SALU_CYCLE_1)
	s_and_not1_b32 vcc_lo, exec_lo, s3
	s_cbranch_vccnz .LBB34_1155
; %bb.1154:
	s_wait_loadcnt 0x0
	global_load_b32 v1, v[2:3], off
	s_wait_loadcnt 0x0
	v_cvt_f32_i32_e32 v1, v1
	s_delay_alu instid0(VALU_DEP_1) | instskip(NEXT) | instid1(VALU_DEP_1)
	v_bfe_u32 v5, v1, 16, 1
	v_add3_u32 v1, v1, v5, 0x7fff
	s_delay_alu instid0(VALU_DEP_1)
	v_lshrrev_b32_e32 v1, 16, v1
.LBB34_1155:
	s_mov_b32 s3, 0
.LBB34_1156:
	s_delay_alu instid0(SALU_CYCLE_1)
	s_and_not1_b32 vcc_lo, exec_lo, s3
	s_cbranch_vccnz .LBB34_1158
; %bb.1157:
	s_wait_loadcnt 0x0
	global_load_i16 v1, v[2:3], off
	s_wait_loadcnt 0x0
	v_cvt_f32_i32_e32 v1, v1
	s_delay_alu instid0(VALU_DEP_1) | instskip(NEXT) | instid1(VALU_DEP_1)
	v_bfe_u32 v5, v1, 16, 1
	v_add3_u32 v1, v1, v5, 0x7fff
	s_delay_alu instid0(VALU_DEP_1)
	v_lshrrev_b32_e32 v1, 16, v1
.LBB34_1158:
	s_cbranch_execnz .LBB34_1164
.LBB34_1159:
	s_cmp_gt_i32 s0, 0
	s_mov_b32 s3, 0
	s_cbranch_scc0 .LBB34_1161
; %bb.1160:
	s_wait_loadcnt 0x0
	global_load_i8 v1, v[2:3], off
	s_wait_loadcnt 0x0
	v_cvt_f32_i32_e32 v1, v1
	s_delay_alu instid0(VALU_DEP_1) | instskip(NEXT) | instid1(VALU_DEP_1)
	v_bfe_u32 v5, v1, 16, 1
	v_add3_u32 v1, v1, v5, 0x7fff
	s_delay_alu instid0(VALU_DEP_1)
	v_lshrrev_b32_e32 v1, 16, v1
	s_branch .LBB34_1162
.LBB34_1161:
	s_mov_b32 s3, -1
                                        ; implicit-def: $vgpr1
.LBB34_1162:
	s_delay_alu instid0(SALU_CYCLE_1)
	s_and_not1_b32 vcc_lo, exec_lo, s3
	s_cbranch_vccnz .LBB34_1164
; %bb.1163:
	s_wait_loadcnt 0x0
	global_load_u8 v1, v[2:3], off
	s_wait_loadcnt 0x0
	v_cvt_f32_ubyte0_e32 v1, v1
	s_wait_xcnt 0x0
	s_delay_alu instid0(VALU_DEP_1) | instskip(NEXT) | instid1(VALU_DEP_1)
	v_bfe_u32 v2, v1, 16, 1
	v_add3_u32 v1, v1, v2, 0x7fff
	s_delay_alu instid0(VALU_DEP_1)
	v_lshrrev_b32_e32 v1, 16, v1
.LBB34_1164:
.LBB34_1165:
	s_wait_loadcnt 0x0
	s_delay_alu instid0(VALU_DEP_1) | instskip(SKIP_1) | instid1(VALU_DEP_1)
	v_lshlrev_b32_e32 v5, 16, v1
	s_mov_b32 s3, exec_lo
	v_mul_f32_e32 v1, s10, v5
	s_wait_xcnt 0x0
	s_delay_alu instid0(VALU_DEP_1)
	v_cmpx_nlt_f32_e32 s11, v1
	s_cbranch_execz .LBB34_1167
; %bb.1166:
	v_mul_f32_e32 v2, 0x3fb8aa3b, v1
	v_cmp_ngt_f32_e32 vcc_lo, 0xc2ce8ed0, v1
	s_mov_b32 s14, 0x3e9b6dac
	s_delay_alu instid0(VALU_DEP_2) | instskip(SKIP_1) | instid1(VALU_DEP_1)
	v_rndne_f32_e32 v3, v2
	v_fma_f32 v5, 0x3fb8aa3b, v1, -v2
	v_dual_sub_f32 v2, v2, v3 :: v_dual_fmamk_f32 v5, v1, 0x32a5705f, v5
	v_cvt_i32_f32_e32 v3, v3
	s_delay_alu instid0(VALU_DEP_2) | instskip(NEXT) | instid1(VALU_DEP_1)
	v_add_f32_e32 v2, v2, v5
	v_exp_f32_e32 v2, v2
	v_nop
	s_delay_alu instid0(TRANS32_DEP_1) | instskip(NEXT) | instid1(VALU_DEP_1)
	v_ldexp_f32 v2, v2, v3
	v_cndmask_b32_e32 v2, 0, v2, vcc_lo
	v_cmp_nlt_f32_e32 vcc_lo, 0x42b17218, v1
	s_delay_alu instid0(VALU_DEP_2) | instskip(NEXT) | instid1(VALU_DEP_1)
	v_cndmask_b32_e32 v5, 0x7f800000, v2, vcc_lo
	v_add_f32_e32 v1, 1.0, v5
	s_delay_alu instid0(VALU_DEP_1) | instskip(NEXT) | instid1(VALU_DEP_1)
	v_cvt_f64_f32_e32 v[2:3], v1
	v_frexp_exp_i32_f64_e32 v2, v[2:3]
	v_frexp_mant_f32_e32 v3, v1
	s_delay_alu instid0(VALU_DEP_1) | instskip(NEXT) | instid1(VALU_DEP_3)
	v_cmp_gt_f32_e32 vcc_lo, 0x3f2aaaab, v3
	v_subrev_co_ci_u32_e64 v10, null, 0, v2, vcc_lo
	v_add_f32_e32 v2, -1.0, v1
	v_cmp_neq_f32_e32 vcc_lo, 0x7f800000, v5
	s_delay_alu instid0(VALU_DEP_2) | instskip(SKIP_1) | instid1(VALU_DEP_2)
	v_dual_sub_f32 v6, v2, v1 :: v_dual_sub_nc_u32 v3, 0, v10
	v_sub_f32_e32 v2, v5, v2
	v_ldexp_f32 v1, v1, v3
	s_delay_alu instid0(VALU_DEP_1) | instskip(NEXT) | instid1(VALU_DEP_1)
	v_dual_add_f32 v6, 1.0, v6 :: v_dual_add_f32 v9, -1.0, v1
	v_dual_add_f32 v7, 1.0, v1 :: v_dual_add_f32 v2, v2, v6
	s_delay_alu instid0(VALU_DEP_1) | instskip(NEXT) | instid1(VALU_DEP_2)
	v_add_f32_e32 v6, -1.0, v7
	v_ldexp_f32 v2, v2, v3
	s_delay_alu instid0(VALU_DEP_2) | instskip(NEXT) | instid1(VALU_DEP_1)
	v_dual_sub_f32 v3, v1, v6 :: v_dual_add_f32 v6, 1.0, v9
	v_dual_add_f32 v8, v2, v3 :: v_dual_sub_f32 v1, v1, v6
	s_delay_alu instid0(VALU_DEP_1) | instskip(NEXT) | instid1(VALU_DEP_1)
	v_dual_add_f32 v11, v7, v8 :: v_dual_add_f32 v1, v2, v1
	v_rcp_f32_e32 v12, v11
	s_delay_alu instid0(VALU_DEP_1)
	v_dual_add_f32 v3, v9, v1 :: v_dual_sub_f32 v2, v7, v11
	s_delay_alu instid0(TRANS32_DEP_1) | instid1(VALU_DEP_1)
	v_dual_sub_f32 v15, v9, v3 :: v_dual_mul_f32 v13, v3, v12
	s_delay_alu instid0(VALU_DEP_1) | instskip(NEXT) | instid1(VALU_DEP_2)
	v_dual_add_f32 v14, v8, v2 :: v_dual_add_f32 v1, v1, v15
	v_mul_f32_e32 v6, v11, v13
	s_delay_alu instid0(VALU_DEP_1) | instskip(NEXT) | instid1(VALU_DEP_1)
	v_fma_f32 v8, v13, v11, -v6
	v_fmac_f32_e32 v8, v13, v14
	s_delay_alu instid0(VALU_DEP_1) | instskip(NEXT) | instid1(VALU_DEP_1)
	v_add_f32_e32 v2, v6, v8
	v_dual_sub_f32 v7, v3, v2 :: v_dual_mov_b32 v9, v2
	s_delay_alu instid0(VALU_DEP_1) | instskip(NEXT) | instid1(VALU_DEP_1)
	v_pk_add_f32 v[2:3], v[2:3], v[6:7] neg_lo:[0,1] neg_hi:[0,1]
	v_pk_add_f32 v[2:3], v[2:3], v[8:9] neg_lo:[0,1] neg_hi:[0,1]
	s_delay_alu instid0(VALU_DEP_1) | instskip(NEXT) | instid1(VALU_DEP_1)
	v_add_f32_e32 v1, v1, v3
	v_add_f32_e32 v1, v2, v1
	s_delay_alu instid0(VALU_DEP_1) | instskip(NEXT) | instid1(VALU_DEP_1)
	v_add_f32_e32 v3, v7, v1
	v_mul_f32_e32 v15, v12, v3
	s_delay_alu instid0(VALU_DEP_1) | instskip(NEXT) | instid1(VALU_DEP_1)
	v_mul_f32_e32 v8, v11, v15
	v_fma_f32 v6, v15, v11, -v8
	s_delay_alu instid0(VALU_DEP_1) | instskip(NEXT) | instid1(VALU_DEP_1)
	v_fmac_f32_e32 v6, v15, v14
	v_dual_add_f32 v2, v8, v6 :: v_dual_sub_f32 v11, v7, v3
	s_delay_alu instid0(VALU_DEP_1) | instskip(SKIP_1) | instid1(VALU_DEP_1)
	v_dual_mov_b32 v7, v2 :: v_dual_add_f32 v1, v1, v11
	v_sub_f32_e32 v9, v3, v2
	v_pk_add_f32 v[2:3], v[2:3], v[8:9] neg_lo:[0,1] neg_hi:[0,1]
	v_add_f32_e32 v8, v13, v15
	s_delay_alu instid0(VALU_DEP_2) | instskip(SKIP_1) | instid1(VALU_DEP_2)
	v_pk_add_f32 v[2:3], v[2:3], v[6:7] neg_lo:[0,1] neg_hi:[0,1]
	v_cvt_f32_i32_e32 v6, v10
	v_add_f32_e32 v1, v1, v3
	s_delay_alu instid0(VALU_DEP_1) | instskip(SKIP_1) | instid1(VALU_DEP_1)
	v_add_f32_e32 v1, v2, v1
	v_sub_f32_e32 v2, v8, v13
	v_dual_add_f32 v1, v9, v1 :: v_dual_sub_f32 v2, v15, v2
	s_delay_alu instid0(VALU_DEP_1) | instskip(NEXT) | instid1(VALU_DEP_1)
	v_mul_f32_e32 v1, v12, v1
	v_dual_add_f32 v1, v2, v1 :: v_dual_mov_b32 v2, 0x3f317218
	s_delay_alu instid0(VALU_DEP_1) | instskip(NEXT) | instid1(VALU_DEP_1)
	v_add_f32_e32 v9, v8, v1
	v_mul_f32_e32 v3, v9, v9
	s_delay_alu instid0(VALU_DEP_1) | instskip(SKIP_1) | instid1(VALU_DEP_2)
	v_fmaak_f32 v11, s14, v3, 0x3ecc95a3
	v_mul_f32_e32 v7, v9, v3
	v_fmaak_f32 v3, v3, v11, 0x3f2aaada
	s_delay_alu instid0(VALU_DEP_1) | instskip(NEXT) | instid1(VALU_DEP_1)
	v_pk_mul_f32 v[2:3], v[6:7], v[2:3]
	v_fma_f32 v10, 0x3f317218, v6, -v2
	s_delay_alu instid0(VALU_DEP_1) | instskip(SKIP_2) | instid1(VALU_DEP_2)
	v_fmamk_f32 v6, v6, 0xb102e308, v10
	v_ldexp_f32 v7, v9, 1
	v_sub_f32_e32 v10, v9, v8
	v_pk_add_f32 v[8:9], v[2:3], v[6:7]
	s_delay_alu instid0(VALU_DEP_1) | instskip(NEXT) | instid1(VALU_DEP_3)
	v_sub_f32_e32 v7, v9, v7
	v_dual_sub_f32 v1, v1, v10 :: v_dual_mov_b32 v10, v2
	s_delay_alu instid0(VALU_DEP_2) | instskip(NEXT) | instid1(VALU_DEP_2)
	v_sub_f32_e32 v7, v3, v7
	v_ldexp_f32 v1, v1, 1
	v_pk_add_f32 v[2:3], v[8:9], v[2:3] neg_lo:[0,1] neg_hi:[0,1]
	s_delay_alu instid0(VALU_DEP_2) | instskip(NEXT) | instid1(VALU_DEP_1)
	v_dual_add_f32 v11, v1, v7 :: v_dual_mov_b32 v7, v8
	v_pk_add_f32 v[12:13], v[8:9], v[10:11]
	s_delay_alu instid0(VALU_DEP_1) | instskip(NEXT) | instid1(VALU_DEP_1)
	v_dual_mov_b32 v18, v9 :: v_dual_mov_b32 v3, v13
	v_pk_add_f32 v[14:15], v[6:7], v[2:3]
	s_delay_alu instid0(VALU_DEP_1) | instskip(SKIP_2) | instid1(VALU_DEP_3)
	v_dual_mov_b32 v14, v13 :: v_dual_mov_b32 v10, v15
	v_pk_add_f32 v[2:3], v[6:7], v[2:3] neg_lo:[0,1] neg_hi:[0,1]
	v_mov_b32_e32 v3, v15
	v_pk_add_f32 v[16:17], v[10:11], v[8:9] neg_lo:[0,1] neg_hi:[0,1]
	v_dual_mov_b32 v9, v8 :: v_dual_mov_b32 v8, v11
	s_delay_alu instid0(VALU_DEP_2) | instskip(NEXT) | instid1(VALU_DEP_1)
	v_dual_mov_b32 v1, v16 :: v_dual_mov_b32 v19, v16
	v_pk_add_f32 v[12:13], v[12:13], v[0:1] neg_lo:[0,1] neg_hi:[0,1]
	s_delay_alu instid0(VALU_DEP_2) | instskip(SKIP_1) | instid1(VALU_DEP_2)
	v_pk_add_f32 v[6:7], v[14:15], v[18:19] neg_lo:[0,1] neg_hi:[0,1]
	v_mov_b32_e32 v12, v2
	v_pk_add_f32 v[6:7], v[8:9], v[6:7] neg_lo:[0,1] neg_hi:[0,1]
	s_delay_alu instid0(VALU_DEP_1) | instskip(NEXT) | instid1(VALU_DEP_1)
	v_pk_add_f32 v[8:9], v[12:13], v[6:7]
	v_mov_b32_e32 v12, v9
	s_delay_alu instid0(VALU_DEP_1) | instskip(NEXT) | instid1(VALU_DEP_1)
	v_pk_add_f32 v[12:13], v[8:9], v[12:13]
	v_pk_add_f32 v[10:11], v[10:11], v[12:13]
	s_delay_alu instid0(VALU_DEP_1) | instskip(NEXT) | instid1(VALU_DEP_1)
	v_mov_b32_e32 v9, v10
	v_pk_add_f32 v[14:15], v[8:9], v[2:3] neg_lo:[0,1] neg_hi:[0,1]
	s_delay_alu instid0(VALU_DEP_1) | instskip(NEXT) | instid1(VALU_DEP_1)
	v_sub_f32_e32 v1, v8, v14
	v_dual_mov_b32 v7, v12 :: v_dual_sub_f32 v1, v2, v1
	s_delay_alu instid0(VALU_DEP_1) | instskip(NEXT) | instid1(VALU_DEP_1)
	v_pk_add_f32 v[6:7], v[6:7], v[14:15] neg_lo:[0,1] neg_hi:[0,1]
	v_add_f32_e32 v1, v6, v1
	s_delay_alu instid0(VALU_DEP_1) | instskip(NEXT) | instid1(VALU_DEP_1)
	v_add_f32_e32 v1, v1, v7
	v_add_f32_e32 v1, v10, v1
	s_delay_alu instid0(VALU_DEP_1) | instskip(SKIP_1) | instid1(VALU_DEP_2)
	v_cndmask_b32_e32 v1, 0x7f800000, v1, vcc_lo
	v_cmp_gt_f32_e64 vcc_lo, 0x33800000, |v5|
	v_cndmask_b32_e32 v1, v1, v5, vcc_lo
	s_delay_alu instid0(VALU_DEP_1) | instskip(NEXT) | instid1(VALU_DEP_1)
	v_div_scale_f32 v2, null, s10, s10, v1
	v_rcp_f32_e32 v3, v2
	v_nop
	s_delay_alu instid0(TRANS32_DEP_1) | instskip(NEXT) | instid1(VALU_DEP_1)
	v_fma_f32 v5, -v2, v3, 1.0
	v_fmac_f32_e32 v3, v5, v3
	v_div_scale_f32 v5, vcc_lo, v1, s10, v1
	s_delay_alu instid0(VALU_DEP_1) | instskip(NEXT) | instid1(VALU_DEP_1)
	v_mul_f32_e32 v6, v5, v3
	v_fma_f32 v7, -v2, v6, v5
	s_delay_alu instid0(VALU_DEP_1) | instskip(NEXT) | instid1(VALU_DEP_1)
	v_fmac_f32_e32 v6, v7, v3
	v_fma_f32 v2, -v2, v6, v5
	s_delay_alu instid0(VALU_DEP_1) | instskip(NEXT) | instid1(VALU_DEP_1)
	v_div_fmas_f32 v2, v2, v3, v6
	v_div_fixup_f32 v5, v2, s10, v1
.LBB34_1167:
	s_or_b32 exec_lo, exec_lo, s3
	s_lshl_b32 s3, s9, 7
	s_cmp_lt_i32 s0, 11
	v_add_nc_u32_e32 v0, s3, v0
	s_delay_alu instid0(VALU_DEP_1) | instskip(NEXT) | instid1(VALU_DEP_1)
	v_ashrrev_i32_e32 v1, 31, v0
	v_add_nc_u64_e32 v[2:3], s[6:7], v[0:1]
	s_cbranch_scc1 .LBB34_1174
; %bb.1168:
	s_cmp_gt_i32 s0, 25
	s_mov_b32 s14, 0
	s_cbranch_scc0 .LBB34_1176
; %bb.1169:
	s_cmp_gt_i32 s0, 28
	s_cbranch_scc0 .LBB34_1177
; %bb.1170:
	s_cmp_gt_i32 s0, 43
	;; [unrolled: 3-line block ×3, first 2 shown]
	s_cbranch_scc0 .LBB34_1180
; %bb.1172:
	s_cmp_eq_u32 s0, 46
	s_mov_b32 s16, 0
	s_cbranch_scc0 .LBB34_1183
; %bb.1173:
	global_load_b32 v1, v[2:3], off
	s_mov_b32 s9, 0
	s_mov_b32 s15, -1
	s_branch .LBB34_1185
.LBB34_1174:
	s_mov_b32 s15, 0
                                        ; implicit-def: $vgpr1
	s_cbranch_execnz .LBB34_1250
.LBB34_1175:
	s_and_not1_b32 vcc_lo, exec_lo, s15
	s_cbranch_vccnz .LBB34_1997
	s_branch .LBB34_1297
.LBB34_1176:
	s_mov_b32 s15, 0
	s_mov_b32 s9, 0
                                        ; implicit-def: $vgpr1
	s_cbranch_execnz .LBB34_1214
	s_branch .LBB34_1246
.LBB34_1177:
	s_mov_b32 s16, -1
	s_mov_b32 s15, 0
	s_mov_b32 s9, 0
                                        ; implicit-def: $vgpr1
	s_branch .LBB34_1195
.LBB34_1178:
	s_mov_b32 s16, -1
	s_mov_b32 s15, 0
	s_mov_b32 s9, 0
                                        ; implicit-def: $vgpr1
	s_branch .LBB34_1190
.LBB34_1179:
	s_or_b32 s1, s13, exec_lo
	s_trap 2
	s_cbranch_execz .LBB34_1118
	s_branch .LBB34_1119
.LBB34_1180:
	s_mov_b32 s16, -1
	s_mov_b32 s15, 0
	s_mov_b32 s9, 0
	s_branch .LBB34_1184
.LBB34_1181:
	s_and_not1_saveexec_b32 s21, s21
	s_cbranch_execz .LBB34_964
.LBB34_1182:
	v_add_f32_e64 v4, 0x42800000, |v5|
	s_and_not1_b32 s20, s20, exec_lo
	s_delay_alu instid0(VALU_DEP_1) | instskip(NEXT) | instid1(VALU_DEP_1)
	v_and_b32_e32 v4, 0xff, v4
	v_cmp_ne_u32_e32 vcc_lo, 0, v4
	s_and_b32 s22, vcc_lo, exec_lo
	s_delay_alu instid0(SALU_CYCLE_1)
	s_or_b32 s20, s20, s22
	s_or_b32 exec_lo, exec_lo, s21
	v_mov_b32_e32 v6, 0
	s_and_saveexec_b32 s21, s20
	s_cbranch_execnz .LBB34_965
	s_branch .LBB34_966
.LBB34_1183:
	s_mov_b32 s9, -1
	s_mov_b32 s15, 0
.LBB34_1184:
                                        ; implicit-def: $vgpr1
.LBB34_1185:
	s_and_b32 vcc_lo, exec_lo, s16
	s_cbranch_vccz .LBB34_1189
; %bb.1186:
	s_cmp_eq_u32 s0, 44
	s_cbranch_scc0 .LBB34_1188
; %bb.1187:
	s_wait_loadcnt 0x0
	global_load_u8 v1, v[2:3], off
	s_mov_b32 s9, 0
	s_mov_b32 s15, -1
	s_wait_loadcnt 0x0
	v_lshlrev_b32_e32 v6, 23, v1
	v_cmp_ne_u32_e32 vcc_lo, 0xff, v1
	s_delay_alu instid0(VALU_DEP_2) | instskip(SKIP_1) | instid1(VALU_DEP_2)
	v_cndmask_b32_e32 v6, 0x7f800001, v6, vcc_lo
	v_cmp_ne_u32_e32 vcc_lo, 0, v1
	v_cndmask_b32_e32 v1, 0x400000, v6, vcc_lo
	s_delay_alu instid0(VALU_DEP_1) | instskip(NEXT) | instid1(VALU_DEP_1)
	v_add_nc_u32_e32 v6, 0x7fff, v1
	v_lshrrev_b32_e32 v6, 16, v6
	v_cmp_o_f32_e32 vcc_lo, v1, v1
	s_delay_alu instid0(VALU_DEP_2)
	v_cndmask_b32_e32 v1, 0x7fc0, v6, vcc_lo
	s_branch .LBB34_1189
.LBB34_1188:
	s_mov_b32 s9, -1
                                        ; implicit-def: $vgpr1
.LBB34_1189:
	s_mov_b32 s16, 0
.LBB34_1190:
	s_delay_alu instid0(SALU_CYCLE_1)
	s_and_b32 vcc_lo, exec_lo, s16
	s_cbranch_vccz .LBB34_1194
; %bb.1191:
	s_cmp_eq_u32 s0, 29
	s_cbranch_scc0 .LBB34_1193
; %bb.1192:
	global_load_b64 v[6:7], v[2:3], off
	s_mov_b32 s9, 0
	s_mov_b32 s15, -1
	s_mov_b32 s16, 0
	s_wait_loadcnt 0x0
	v_clz_i32_u32_e32 v1, v7
	s_delay_alu instid0(VALU_DEP_1) | instskip(NEXT) | instid1(VALU_DEP_1)
	v_min_u32_e32 v1, 32, v1
	v_lshlrev_b64_e32 v[6:7], v1, v[6:7]
	v_sub_nc_u32_e32 v1, 32, v1
	s_delay_alu instid0(VALU_DEP_2) | instskip(NEXT) | instid1(VALU_DEP_1)
	v_min_u32_e32 v6, 1, v6
	v_or_b32_e32 v6, v7, v6
	s_delay_alu instid0(VALU_DEP_1) | instskip(NEXT) | instid1(VALU_DEP_1)
	v_cvt_f32_u32_e32 v6, v6
	v_ldexp_f32 v1, v6, v1
	s_delay_alu instid0(VALU_DEP_1) | instskip(NEXT) | instid1(VALU_DEP_1)
	v_bfe_u32 v6, v1, 16, 1
	v_add3_u32 v1, v1, v6, 0x7fff
	s_delay_alu instid0(VALU_DEP_1)
	v_lshrrev_b32_e32 v1, 16, v1
	s_branch .LBB34_1195
.LBB34_1193:
	s_mov_b32 s9, -1
                                        ; implicit-def: $vgpr1
.LBB34_1194:
	s_mov_b32 s16, 0
.LBB34_1195:
	s_delay_alu instid0(SALU_CYCLE_1)
	s_and_b32 vcc_lo, exec_lo, s16
	s_cbranch_vccz .LBB34_1213
; %bb.1196:
	s_cmp_lt_i32 s0, 27
	s_cbranch_scc1 .LBB34_1199
; %bb.1197:
	s_cmp_gt_i32 s0, 27
	s_cbranch_scc0 .LBB34_1200
; %bb.1198:
	s_wait_loadcnt 0x0
	global_load_b32 v1, v[2:3], off
	s_mov_b32 s15, 0
	s_wait_loadcnt 0x0
	v_cvt_f32_u32_e32 v1, v1
	s_delay_alu instid0(VALU_DEP_1) | instskip(NEXT) | instid1(VALU_DEP_1)
	v_bfe_u32 v6, v1, 16, 1
	v_add3_u32 v1, v1, v6, 0x7fff
	s_delay_alu instid0(VALU_DEP_1)
	v_lshrrev_b32_e32 v1, 16, v1
	s_branch .LBB34_1201
.LBB34_1199:
	s_mov_b32 s15, -1
                                        ; implicit-def: $vgpr1
	s_branch .LBB34_1204
.LBB34_1200:
	s_mov_b32 s15, -1
                                        ; implicit-def: $vgpr1
.LBB34_1201:
	s_delay_alu instid0(SALU_CYCLE_1)
	s_and_not1_b32 vcc_lo, exec_lo, s15
	s_cbranch_vccnz .LBB34_1203
; %bb.1202:
	s_wait_loadcnt 0x0
	global_load_u16 v1, v[2:3], off
	s_wait_loadcnt 0x0
	v_cvt_f32_u32_e32 v1, v1
	s_delay_alu instid0(VALU_DEP_1) | instskip(NEXT) | instid1(VALU_DEP_1)
	v_bfe_u32 v6, v1, 16, 1
	v_add3_u32 v1, v1, v6, 0x7fff
	s_delay_alu instid0(VALU_DEP_1)
	v_lshrrev_b32_e32 v1, 16, v1
.LBB34_1203:
	s_mov_b32 s15, 0
.LBB34_1204:
	s_delay_alu instid0(SALU_CYCLE_1)
	s_and_not1_b32 vcc_lo, exec_lo, s15
	s_cbranch_vccnz .LBB34_1212
; %bb.1205:
	s_wait_loadcnt 0x0
	global_load_u8 v1, v[2:3], off
	s_mov_b32 s15, 0
	s_mov_b32 s16, exec_lo
	s_wait_loadcnt 0x0
	v_cmpx_lt_i16_e32 0x7f, v1
	s_xor_b32 s16, exec_lo, s16
	s_cbranch_execz .LBB34_1225
; %bb.1206:
	s_mov_b32 s15, -1
	s_mov_b32 s17, exec_lo
	v_cmpx_eq_u16_e32 0x80, v1
; %bb.1207:
	s_xor_b32 s15, exec_lo, -1
; %bb.1208:
	s_or_b32 exec_lo, exec_lo, s17
	s_delay_alu instid0(SALU_CYCLE_1)
	s_and_b32 s15, s15, exec_lo
	s_or_saveexec_b32 s16, s16
	v_mov_b32_e32 v6, 0x7f800001
	s_xor_b32 exec_lo, exec_lo, s16
	s_cbranch_execnz .LBB34_1226
.LBB34_1209:
	s_or_b32 exec_lo, exec_lo, s16
	s_and_saveexec_b32 s16, s15
	s_cbranch_execz .LBB34_1211
.LBB34_1210:
	v_and_b32_e32 v6, 0xffff, v1
	s_delay_alu instid0(VALU_DEP_1) | instskip(SKIP_1) | instid1(VALU_DEP_2)
	v_and_b32_e32 v7, 7, v6
	v_bfe_u32 v10, v6, 3, 4
	v_clz_i32_u32_e32 v8, v7
	s_delay_alu instid0(VALU_DEP_2) | instskip(NEXT) | instid1(VALU_DEP_2)
	v_cmp_eq_u32_e32 vcc_lo, 0, v10
	v_min_u32_e32 v8, 32, v8
	s_delay_alu instid0(VALU_DEP_1) | instskip(NEXT) | instid1(VALU_DEP_1)
	v_subrev_nc_u32_e32 v9, 28, v8
	v_dual_lshlrev_b32 v6, v9, v6 :: v_dual_sub_nc_u32 v8, 29, v8
	s_delay_alu instid0(VALU_DEP_1) | instskip(NEXT) | instid1(VALU_DEP_1)
	v_dual_lshlrev_b32 v1, 24, v1 :: v_dual_bitop2_b32 v6, 7, v6 bitop3:0x40
	v_dual_cndmask_b32 v8, v10, v8, vcc_lo :: v_dual_cndmask_b32 v6, v7, v6, vcc_lo
	s_delay_alu instid0(VALU_DEP_2) | instskip(NEXT) | instid1(VALU_DEP_2)
	v_and_b32_e32 v1, 0x80000000, v1
	v_lshl_add_u32 v7, v8, 23, 0x3b800000
	s_delay_alu instid0(VALU_DEP_3) | instskip(NEXT) | instid1(VALU_DEP_1)
	v_lshlrev_b32_e32 v6, 20, v6
	v_or3_b32 v6, v1, v7, v6
.LBB34_1211:
	s_or_b32 exec_lo, exec_lo, s16
	s_delay_alu instid0(VALU_DEP_1) | instskip(SKIP_1) | instid1(VALU_DEP_2)
	v_bfe_u32 v1, v6, 16, 1
	v_cmp_o_f32_e32 vcc_lo, v6, v6
	v_add3_u32 v1, v6, v1, 0x7fff
	s_delay_alu instid0(VALU_DEP_1) | instskip(NEXT) | instid1(VALU_DEP_1)
	v_lshrrev_b32_e32 v1, 16, v1
	v_cndmask_b32_e32 v1, 0x7fc0, v1, vcc_lo
.LBB34_1212:
	s_mov_b32 s15, -1
.LBB34_1213:
	s_branch .LBB34_1246
.LBB34_1214:
	s_cmp_gt_i32 s0, 22
	s_cbranch_scc0 .LBB34_1224
; %bb.1215:
	s_cmp_lt_i32 s0, 24
	s_cbranch_scc1 .LBB34_1227
; %bb.1216:
	s_cmp_gt_i32 s0, 24
	s_cbranch_scc0 .LBB34_1228
; %bb.1217:
	s_wait_loadcnt 0x0
	global_load_u8 v1, v[2:3], off
	s_mov_b32 s15, exec_lo
	s_wait_loadcnt 0x0
	v_cmpx_lt_i16_e32 0x7f, v1
	s_xor_b32 s15, exec_lo, s15
	s_cbranch_execz .LBB34_1240
; %bb.1218:
	s_mov_b32 s14, -1
	s_mov_b32 s16, exec_lo
	v_cmpx_eq_u16_e32 0x80, v1
; %bb.1219:
	s_xor_b32 s14, exec_lo, -1
; %bb.1220:
	s_or_b32 exec_lo, exec_lo, s16
	s_delay_alu instid0(SALU_CYCLE_1)
	s_and_b32 s14, s14, exec_lo
	s_or_saveexec_b32 s15, s15
	v_mov_b32_e32 v6, 0x7f800001
	s_xor_b32 exec_lo, exec_lo, s15
	s_cbranch_execnz .LBB34_1241
.LBB34_1221:
	s_or_b32 exec_lo, exec_lo, s15
	s_and_saveexec_b32 s15, s14
	s_cbranch_execz .LBB34_1223
.LBB34_1222:
	v_and_b32_e32 v6, 0xffff, v1
	s_delay_alu instid0(VALU_DEP_1) | instskip(SKIP_1) | instid1(VALU_DEP_2)
	v_and_b32_e32 v7, 3, v6
	v_bfe_u32 v10, v6, 2, 5
	v_clz_i32_u32_e32 v8, v7
	s_delay_alu instid0(VALU_DEP_2) | instskip(NEXT) | instid1(VALU_DEP_2)
	v_cmp_eq_u32_e32 vcc_lo, 0, v10
	v_min_u32_e32 v8, 32, v8
	s_delay_alu instid0(VALU_DEP_1) | instskip(NEXT) | instid1(VALU_DEP_1)
	v_subrev_nc_u32_e32 v9, 29, v8
	v_dual_lshlrev_b32 v6, v9, v6 :: v_dual_sub_nc_u32 v8, 30, v8
	s_delay_alu instid0(VALU_DEP_1) | instskip(NEXT) | instid1(VALU_DEP_1)
	v_dual_lshlrev_b32 v1, 24, v1 :: v_dual_bitop2_b32 v6, 3, v6 bitop3:0x40
	v_dual_cndmask_b32 v8, v10, v8, vcc_lo :: v_dual_cndmask_b32 v6, v7, v6, vcc_lo
	s_delay_alu instid0(VALU_DEP_2) | instskip(NEXT) | instid1(VALU_DEP_2)
	v_and_b32_e32 v1, 0x80000000, v1
	v_lshl_add_u32 v7, v8, 23, 0x37800000
	s_delay_alu instid0(VALU_DEP_3) | instskip(NEXT) | instid1(VALU_DEP_1)
	v_lshlrev_b32_e32 v6, 21, v6
	v_or3_b32 v6, v1, v7, v6
.LBB34_1223:
	s_or_b32 exec_lo, exec_lo, s15
	s_delay_alu instid0(VALU_DEP_1) | instskip(SKIP_2) | instid1(VALU_DEP_2)
	v_bfe_u32 v1, v6, 16, 1
	v_cmp_o_f32_e32 vcc_lo, v6, v6
	s_mov_b32 s14, 0
	v_add3_u32 v1, v6, v1, 0x7fff
	s_delay_alu instid0(VALU_DEP_1) | instskip(NEXT) | instid1(VALU_DEP_1)
	v_lshrrev_b32_e32 v1, 16, v1
	v_cndmask_b32_e32 v1, 0x7fc0, v1, vcc_lo
	s_branch .LBB34_1229
.LBB34_1224:
	s_mov_b32 s14, -1
                                        ; implicit-def: $vgpr1
	s_branch .LBB34_1235
.LBB34_1225:
	s_or_saveexec_b32 s16, s16
	v_mov_b32_e32 v6, 0x7f800001
	s_xor_b32 exec_lo, exec_lo, s16
	s_cbranch_execz .LBB34_1209
.LBB34_1226:
	v_cmp_ne_u16_e32 vcc_lo, 0, v1
	v_mov_b32_e32 v6, 0
	s_and_not1_b32 s15, s15, exec_lo
	s_and_b32 s17, vcc_lo, exec_lo
	s_delay_alu instid0(SALU_CYCLE_1)
	s_or_b32 s15, s15, s17
	s_or_b32 exec_lo, exec_lo, s16
	s_and_saveexec_b32 s16, s15
	s_cbranch_execnz .LBB34_1210
	s_branch .LBB34_1211
.LBB34_1227:
	s_mov_b32 s14, -1
                                        ; implicit-def: $vgpr1
	s_branch .LBB34_1232
.LBB34_1228:
	s_mov_b32 s14, -1
                                        ; implicit-def: $vgpr1
.LBB34_1229:
	s_delay_alu instid0(SALU_CYCLE_1)
	s_and_b32 vcc_lo, exec_lo, s14
	s_cbranch_vccz .LBB34_1231
; %bb.1230:
	s_wait_loadcnt 0x0
	global_load_u8 v1, v[2:3], off
	s_wait_loadcnt 0x0
	v_lshlrev_b32_e32 v1, 24, v1
	s_delay_alu instid0(VALU_DEP_1) | instskip(NEXT) | instid1(VALU_DEP_1)
	v_and_b32_e32 v6, 0x7f000000, v1
	v_clz_i32_u32_e32 v7, v6
	v_cmp_ne_u32_e32 vcc_lo, 0, v6
	v_add_nc_u32_e32 v9, 0x1000000, v6
	s_delay_alu instid0(VALU_DEP_3) | instskip(NEXT) | instid1(VALU_DEP_1)
	v_min_u32_e32 v7, 32, v7
	v_sub_nc_u32_e64 v7, v7, 4 clamp
	s_delay_alu instid0(VALU_DEP_1) | instskip(NEXT) | instid1(VALU_DEP_1)
	v_dual_lshlrev_b32 v8, v7, v6 :: v_dual_lshlrev_b32 v7, 23, v7
	v_lshrrev_b32_e32 v8, 4, v8
	s_delay_alu instid0(VALU_DEP_1) | instskip(NEXT) | instid1(VALU_DEP_1)
	v_dual_sub_nc_u32 v7, v8, v7 :: v_dual_ashrrev_i32 v8, 8, v9
	v_add_nc_u32_e32 v7, 0x3c000000, v7
	s_delay_alu instid0(VALU_DEP_1) | instskip(NEXT) | instid1(VALU_DEP_1)
	v_and_or_b32 v7, 0x7f800000, v8, v7
	v_cndmask_b32_e32 v6, 0, v7, vcc_lo
	s_delay_alu instid0(VALU_DEP_1) | instskip(SKIP_1) | instid1(VALU_DEP_2)
	v_and_or_b32 v1, 0x80000000, v1, v6
	v_bfe_u32 v6, v6, 16, 1
	v_cmp_o_f32_e32 vcc_lo, v1, v1
	s_delay_alu instid0(VALU_DEP_2) | instskip(NEXT) | instid1(VALU_DEP_1)
	v_add3_u32 v6, v1, v6, 0x7fff
	v_lshrrev_b32_e32 v6, 16, v6
	s_delay_alu instid0(VALU_DEP_1)
	v_cndmask_b32_e32 v1, 0x7fc0, v6, vcc_lo
.LBB34_1231:
	s_mov_b32 s14, 0
.LBB34_1232:
	s_delay_alu instid0(SALU_CYCLE_1)
	s_and_not1_b32 vcc_lo, exec_lo, s14
	s_cbranch_vccnz .LBB34_1234
; %bb.1233:
	s_wait_loadcnt 0x0
	global_load_u8 v1, v[2:3], off
	s_wait_loadcnt 0x0
	v_lshlrev_b32_e32 v6, 25, v1
	v_lshlrev_b16 v1, 8, v1
	s_delay_alu instid0(VALU_DEP_1) | instskip(SKIP_1) | instid1(VALU_DEP_2)
	v_and_or_b32 v8, 0x7f00, v1, 0.5
	v_bfe_i32 v1, v1, 0, 16
	v_dual_add_f32 v8, -0.5, v8 :: v_dual_lshrrev_b32 v7, 4, v6
	v_cmp_gt_u32_e32 vcc_lo, 0x8000000, v6
	s_delay_alu instid0(VALU_DEP_2) | instskip(NEXT) | instid1(VALU_DEP_1)
	v_or_b32_e32 v7, 0x70000000, v7
	v_mul_f32_e32 v7, 0x7800000, v7
	s_delay_alu instid0(VALU_DEP_1) | instskip(NEXT) | instid1(VALU_DEP_1)
	v_cndmask_b32_e32 v6, v7, v8, vcc_lo
	v_and_or_b32 v1, 0x80000000, v1, v6
	v_bfe_u32 v6, v6, 16, 1
	s_delay_alu instid0(VALU_DEP_2) | instskip(NEXT) | instid1(VALU_DEP_2)
	v_cmp_o_f32_e32 vcc_lo, v1, v1
	v_add3_u32 v6, v1, v6, 0x7fff
	s_delay_alu instid0(VALU_DEP_1) | instskip(NEXT) | instid1(VALU_DEP_1)
	v_lshrrev_b32_e32 v6, 16, v6
	v_cndmask_b32_e32 v1, 0x7fc0, v6, vcc_lo
.LBB34_1234:
	s_mov_b32 s14, 0
	s_mov_b32 s15, -1
.LBB34_1235:
	s_and_not1_b32 vcc_lo, exec_lo, s14
	s_mov_b32 s14, 0
	s_cbranch_vccnz .LBB34_1246
; %bb.1236:
	s_cmp_gt_i32 s0, 14
	s_cbranch_scc0 .LBB34_1239
; %bb.1237:
	s_cmp_eq_u32 s0, 15
	s_cbranch_scc0 .LBB34_1242
; %bb.1238:
	s_wait_loadcnt 0x0
	global_load_u16 v1, v[2:3], off
	s_mov_b32 s9, 0
	s_mov_b32 s15, -1
	s_branch .LBB34_1244
.LBB34_1239:
	s_mov_b32 s14, -1
	s_branch .LBB34_1243
.LBB34_1240:
	s_or_saveexec_b32 s15, s15
	v_mov_b32_e32 v6, 0x7f800001
	s_xor_b32 exec_lo, exec_lo, s15
	s_cbranch_execz .LBB34_1221
.LBB34_1241:
	v_cmp_ne_u16_e32 vcc_lo, 0, v1
	v_mov_b32_e32 v6, 0
	s_and_not1_b32 s14, s14, exec_lo
	s_and_b32 s16, vcc_lo, exec_lo
	s_delay_alu instid0(SALU_CYCLE_1)
	s_or_b32 s14, s14, s16
	s_or_b32 exec_lo, exec_lo, s15
	s_and_saveexec_b32 s15, s14
	s_cbranch_execnz .LBB34_1222
	s_branch .LBB34_1223
.LBB34_1242:
	s_mov_b32 s9, -1
.LBB34_1243:
                                        ; implicit-def: $vgpr1
.LBB34_1244:
	s_and_b32 vcc_lo, exec_lo, s14
	s_mov_b32 s14, 0
	s_cbranch_vccz .LBB34_1246
; %bb.1245:
	s_cmp_lg_u32 s0, 11
	s_mov_b32 s14, -1
	s_cselect_b32 s9, -1, 0
.LBB34_1246:
	s_delay_alu instid0(SALU_CYCLE_1)
	s_and_b32 vcc_lo, exec_lo, s9
	s_cbranch_vccnz .LBB34_1311
; %bb.1247:
	s_and_not1_b32 vcc_lo, exec_lo, s14
	s_cbranch_vccnz .LBB34_1249
.LBB34_1248:
	s_wait_loadcnt 0x0
	global_load_u8 v1, v[2:3], off
	s_mov_b32 s15, -1
	s_wait_loadcnt 0x0
	v_cmp_ne_u16_e32 vcc_lo, 0, v1
	v_cndmask_b32_e64 v1, 0, 1.0, vcc_lo
	s_delay_alu instid0(VALU_DEP_1)
	v_lshrrev_b32_e32 v1, 16, v1
.LBB34_1249:
	s_branch .LBB34_1175
.LBB34_1250:
	s_cmp_lt_i32 s0, 5
	s_cbranch_scc1 .LBB34_1255
; %bb.1251:
	s_cmp_lt_i32 s0, 8
	s_cbranch_scc1 .LBB34_1256
; %bb.1252:
	;; [unrolled: 3-line block ×3, first 2 shown]
	s_cmp_gt_i32 s0, 9
	s_cbranch_scc0 .LBB34_1258
; %bb.1254:
	global_load_b64 v[6:7], v[2:3], off
	s_mov_b32 s9, 0
	s_wait_loadcnt 0x0
	v_cvt_f32_f64_e32 v1, v[6:7]
	s_delay_alu instid0(VALU_DEP_1) | instskip(SKIP_1) | instid1(VALU_DEP_2)
	v_bfe_u32 v6, v1, 16, 1
	v_cmp_o_f32_e32 vcc_lo, v1, v1
	v_add3_u32 v6, v1, v6, 0x7fff
	s_delay_alu instid0(VALU_DEP_1) | instskip(NEXT) | instid1(VALU_DEP_1)
	v_lshrrev_b32_e32 v6, 16, v6
	v_cndmask_b32_e32 v1, 0x7fc0, v6, vcc_lo
	s_branch .LBB34_1259
.LBB34_1255:
                                        ; implicit-def: $vgpr1
	s_branch .LBB34_1277
.LBB34_1256:
	s_mov_b32 s9, -1
                                        ; implicit-def: $vgpr1
	s_branch .LBB34_1265
.LBB34_1257:
	s_mov_b32 s9, -1
                                        ; implicit-def: $vgpr1
	s_branch .LBB34_1262
.LBB34_1258:
	s_mov_b32 s9, -1
                                        ; implicit-def: $vgpr1
.LBB34_1259:
	s_delay_alu instid0(SALU_CYCLE_1)
	s_and_not1_b32 vcc_lo, exec_lo, s9
	s_cbranch_vccnz .LBB34_1261
; %bb.1260:
	s_wait_loadcnt 0x0
	global_load_b32 v1, v[2:3], off
	s_wait_loadcnt 0x0
	v_bfe_u32 v6, v1, 16, 1
	v_cmp_o_f32_e32 vcc_lo, v1, v1
	s_delay_alu instid0(VALU_DEP_2) | instskip(NEXT) | instid1(VALU_DEP_1)
	v_add3_u32 v6, v1, v6, 0x7fff
	v_lshrrev_b32_e32 v6, 16, v6
	s_delay_alu instid0(VALU_DEP_1)
	v_cndmask_b32_e32 v1, 0x7fc0, v6, vcc_lo
.LBB34_1261:
	s_mov_b32 s9, 0
.LBB34_1262:
	s_delay_alu instid0(SALU_CYCLE_1)
	s_and_not1_b32 vcc_lo, exec_lo, s9
	s_cbranch_vccnz .LBB34_1264
; %bb.1263:
	s_wait_loadcnt 0x0
	global_load_b32 v1, v[2:3], off
	s_wait_loadcnt 0x0
	v_cvt_f32_f16_e32 v6, v1
	v_cmp_o_f16_e32 vcc_lo, v1, v1
	s_delay_alu instid0(VALU_DEP_2) | instskip(NEXT) | instid1(VALU_DEP_1)
	v_bfe_u32 v7, v6, 16, 1
	v_add3_u32 v6, v6, v7, 0x7fff
	s_delay_alu instid0(VALU_DEP_1) | instskip(NEXT) | instid1(VALU_DEP_1)
	v_lshrrev_b32_e32 v6, 16, v6
	v_cndmask_b32_e32 v1, 0x7fc0, v6, vcc_lo
.LBB34_1264:
	s_mov_b32 s9, 0
.LBB34_1265:
	s_delay_alu instid0(SALU_CYCLE_1)
	s_and_not1_b32 vcc_lo, exec_lo, s9
	s_cbranch_vccnz .LBB34_1276
; %bb.1266:
	s_cmp_lt_i32 s0, 6
	s_cbranch_scc1 .LBB34_1269
; %bb.1267:
	s_cmp_gt_i32 s0, 6
	s_cbranch_scc0 .LBB34_1270
; %bb.1268:
	global_load_b64 v[6:7], v[2:3], off
	s_mov_b32 s9, 0
	s_wait_loadcnt 0x0
	v_cvt_f32_f64_e32 v1, v[6:7]
	s_delay_alu instid0(VALU_DEP_1) | instskip(SKIP_1) | instid1(VALU_DEP_2)
	v_bfe_u32 v6, v1, 16, 1
	v_cmp_o_f32_e32 vcc_lo, v1, v1
	v_add3_u32 v6, v1, v6, 0x7fff
	s_delay_alu instid0(VALU_DEP_1) | instskip(NEXT) | instid1(VALU_DEP_1)
	v_lshrrev_b32_e32 v6, 16, v6
	v_cndmask_b32_e32 v1, 0x7fc0, v6, vcc_lo
	s_branch .LBB34_1271
.LBB34_1269:
	s_mov_b32 s9, -1
                                        ; implicit-def: $vgpr1
	s_branch .LBB34_1274
.LBB34_1270:
	s_mov_b32 s9, -1
                                        ; implicit-def: $vgpr1
.LBB34_1271:
	s_delay_alu instid0(SALU_CYCLE_1)
	s_and_not1_b32 vcc_lo, exec_lo, s9
	s_cbranch_vccnz .LBB34_1273
; %bb.1272:
	s_wait_loadcnt 0x0
	global_load_b32 v1, v[2:3], off
	s_wait_loadcnt 0x0
	v_bfe_u32 v6, v1, 16, 1
	v_cmp_o_f32_e32 vcc_lo, v1, v1
	s_delay_alu instid0(VALU_DEP_2) | instskip(NEXT) | instid1(VALU_DEP_1)
	v_add3_u32 v6, v1, v6, 0x7fff
	v_lshrrev_b32_e32 v6, 16, v6
	s_delay_alu instid0(VALU_DEP_1)
	v_cndmask_b32_e32 v1, 0x7fc0, v6, vcc_lo
.LBB34_1273:
	s_mov_b32 s9, 0
.LBB34_1274:
	s_delay_alu instid0(SALU_CYCLE_1)
	s_and_not1_b32 vcc_lo, exec_lo, s9
	s_cbranch_vccnz .LBB34_1276
; %bb.1275:
	s_wait_loadcnt 0x0
	global_load_u16 v1, v[2:3], off
	s_wait_loadcnt 0x0
	v_cvt_f32_f16_e32 v6, v1
	v_cmp_o_f16_e32 vcc_lo, v1, v1
	s_delay_alu instid0(VALU_DEP_2) | instskip(NEXT) | instid1(VALU_DEP_1)
	v_bfe_u32 v7, v6, 16, 1
	v_add3_u32 v6, v6, v7, 0x7fff
	s_delay_alu instid0(VALU_DEP_1) | instskip(NEXT) | instid1(VALU_DEP_1)
	v_lshrrev_b32_e32 v6, 16, v6
	v_cndmask_b32_e32 v1, 0x7fc0, v6, vcc_lo
.LBB34_1276:
	s_cbranch_execnz .LBB34_1296
.LBB34_1277:
	s_cmp_lt_i32 s0, 2
	s_cbranch_scc1 .LBB34_1281
; %bb.1278:
	s_cmp_lt_i32 s0, 3
	s_cbranch_scc1 .LBB34_1282
; %bb.1279:
	s_cmp_gt_i32 s0, 3
	s_cbranch_scc0 .LBB34_1283
; %bb.1280:
	global_load_b64 v[6:7], v[2:3], off
	s_mov_b32 s9, 0
	s_wait_loadcnt 0x0
	v_xor_b32_e32 v1, v6, v7
	v_cls_i32_e32 v8, v7
	s_delay_alu instid0(VALU_DEP_2) | instskip(NEXT) | instid1(VALU_DEP_1)
	v_ashrrev_i32_e32 v1, 31, v1
	v_add_nc_u32_e32 v1, 32, v1
	s_delay_alu instid0(VALU_DEP_1) | instskip(NEXT) | instid1(VALU_DEP_1)
	v_add_min_u32_e64 v1, v8, -1, v1
	v_lshlrev_b64_e32 v[6:7], v1, v[6:7]
	v_sub_nc_u32_e32 v1, 32, v1
	s_delay_alu instid0(VALU_DEP_2) | instskip(NEXT) | instid1(VALU_DEP_1)
	v_min_u32_e32 v6, 1, v6
	v_or_b32_e32 v6, v7, v6
	s_delay_alu instid0(VALU_DEP_1) | instskip(NEXT) | instid1(VALU_DEP_1)
	v_cvt_f32_i32_e32 v6, v6
	v_ldexp_f32 v1, v6, v1
	s_delay_alu instid0(VALU_DEP_1) | instskip(NEXT) | instid1(VALU_DEP_1)
	v_bfe_u32 v6, v1, 16, 1
	v_add3_u32 v1, v1, v6, 0x7fff
	s_delay_alu instid0(VALU_DEP_1)
	v_lshrrev_b32_e32 v1, 16, v1
	s_branch .LBB34_1284
.LBB34_1281:
	s_mov_b32 s9, -1
                                        ; implicit-def: $vgpr1
	s_branch .LBB34_1290
.LBB34_1282:
	s_mov_b32 s9, -1
                                        ; implicit-def: $vgpr1
	s_branch .LBB34_1287
.LBB34_1283:
	s_mov_b32 s9, -1
                                        ; implicit-def: $vgpr1
.LBB34_1284:
	s_delay_alu instid0(SALU_CYCLE_1)
	s_and_not1_b32 vcc_lo, exec_lo, s9
	s_cbranch_vccnz .LBB34_1286
; %bb.1285:
	s_wait_loadcnt 0x0
	global_load_b32 v1, v[2:3], off
	s_wait_loadcnt 0x0
	v_cvt_f32_i32_e32 v1, v1
	s_delay_alu instid0(VALU_DEP_1) | instskip(NEXT) | instid1(VALU_DEP_1)
	v_bfe_u32 v6, v1, 16, 1
	v_add3_u32 v1, v1, v6, 0x7fff
	s_delay_alu instid0(VALU_DEP_1)
	v_lshrrev_b32_e32 v1, 16, v1
.LBB34_1286:
	s_mov_b32 s9, 0
.LBB34_1287:
	s_delay_alu instid0(SALU_CYCLE_1)
	s_and_not1_b32 vcc_lo, exec_lo, s9
	s_cbranch_vccnz .LBB34_1289
; %bb.1288:
	s_wait_loadcnt 0x0
	global_load_i16 v1, v[2:3], off
	s_wait_loadcnt 0x0
	v_cvt_f32_i32_e32 v1, v1
	s_delay_alu instid0(VALU_DEP_1) | instskip(NEXT) | instid1(VALU_DEP_1)
	v_bfe_u32 v6, v1, 16, 1
	v_add3_u32 v1, v1, v6, 0x7fff
	s_delay_alu instid0(VALU_DEP_1)
	v_lshrrev_b32_e32 v1, 16, v1
.LBB34_1289:
	s_mov_b32 s9, 0
.LBB34_1290:
	s_delay_alu instid0(SALU_CYCLE_1)
	s_and_not1_b32 vcc_lo, exec_lo, s9
	s_cbranch_vccnz .LBB34_1296
; %bb.1291:
	s_cmp_gt_i32 s0, 0
	s_mov_b32 s9, 0
	s_cbranch_scc0 .LBB34_1293
; %bb.1292:
	s_wait_loadcnt 0x0
	global_load_i8 v1, v[2:3], off
	s_wait_loadcnt 0x0
	v_cvt_f32_i32_e32 v1, v1
	s_delay_alu instid0(VALU_DEP_1) | instskip(NEXT) | instid1(VALU_DEP_1)
	v_bfe_u32 v6, v1, 16, 1
	v_add3_u32 v1, v1, v6, 0x7fff
	s_delay_alu instid0(VALU_DEP_1)
	v_lshrrev_b32_e32 v1, 16, v1
	s_branch .LBB34_1294
.LBB34_1293:
	s_mov_b32 s9, -1
                                        ; implicit-def: $vgpr1
.LBB34_1294:
	s_delay_alu instid0(SALU_CYCLE_1)
	s_and_not1_b32 vcc_lo, exec_lo, s9
	s_cbranch_vccnz .LBB34_1296
; %bb.1295:
	s_wait_loadcnt 0x0
	global_load_u8 v1, v[2:3], off
	s_wait_loadcnt 0x0
	v_cvt_f32_ubyte0_e32 v1, v1
	s_wait_xcnt 0x0
	s_delay_alu instid0(VALU_DEP_1) | instskip(NEXT) | instid1(VALU_DEP_1)
	v_bfe_u32 v2, v1, 16, 1
	v_add3_u32 v1, v1, v2, 0x7fff
	s_delay_alu instid0(VALU_DEP_1)
	v_lshrrev_b32_e32 v1, 16, v1
.LBB34_1296:
.LBB34_1297:
	s_wait_loadcnt 0x0
	s_delay_alu instid0(VALU_DEP_1) | instskip(SKIP_1) | instid1(VALU_DEP_1)
	v_lshlrev_b32_e32 v6, 16, v1
	s_mov_b32 s9, exec_lo
	v_mul_f32_e32 v1, s10, v6
	s_wait_xcnt 0x0
	s_delay_alu instid0(VALU_DEP_1)
	v_cmpx_nlt_f32_e32 s11, v1
	s_cbranch_execz .LBB34_1299
; %bb.1298:
	v_mul_f32_e32 v2, 0x3fb8aa3b, v1
	v_cmp_ngt_f32_e32 vcc_lo, 0xc2ce8ed0, v1
	s_mov_b32 s14, 0x3e9b6dac
	s_delay_alu instid0(VALU_DEP_2) | instskip(SKIP_1) | instid1(VALU_DEP_2)
	v_rndne_f32_e32 v3, v2
	v_fma_f32 v6, 0x3fb8aa3b, v1, -v2
	v_sub_f32_e32 v2, v2, v3
	s_delay_alu instid0(VALU_DEP_2) | instskip(SKIP_1) | instid1(VALU_DEP_2)
	v_fmamk_f32 v6, v1, 0x32a5705f, v6
	v_cvt_i32_f32_e32 v3, v3
	v_add_f32_e32 v2, v2, v6
	s_delay_alu instid0(VALU_DEP_1) | instskip(SKIP_1) | instid1(TRANS32_DEP_1)
	v_exp_f32_e32 v2, v2
	v_nop
	v_ldexp_f32 v2, v2, v3
	s_delay_alu instid0(VALU_DEP_1) | instskip(SKIP_1) | instid1(VALU_DEP_2)
	v_cndmask_b32_e32 v2, 0, v2, vcc_lo
	v_cmp_nlt_f32_e32 vcc_lo, 0x42b17218, v1
	v_cndmask_b32_e32 v20, 0x7f800000, v2, vcc_lo
	s_delay_alu instid0(VALU_DEP_1) | instskip(NEXT) | instid1(VALU_DEP_1)
	v_add_f32_e32 v1, 1.0, v20
	v_cvt_f64_f32_e32 v[2:3], v1
	s_delay_alu instid0(VALU_DEP_1) | instskip(SKIP_1) | instid1(VALU_DEP_1)
	v_frexp_exp_i32_f64_e32 v2, v[2:3]
	v_frexp_mant_f32_e32 v3, v1
	v_cmp_gt_f32_e32 vcc_lo, 0x3f2aaaab, v3
	s_delay_alu instid0(VALU_DEP_3) | instskip(NEXT) | instid1(VALU_DEP_1)
	v_subrev_co_ci_u32_e64 v10, null, 0, v2, vcc_lo
	v_dual_add_f32 v2, -1.0, v1 :: v_dual_sub_nc_u32 v3, 0, v10
	s_delay_alu instid0(VALU_DEP_1) | instskip(NEXT) | instid1(VALU_DEP_2)
	v_sub_f32_e32 v6, v2, v1
	v_ldexp_f32 v1, v1, v3
	s_delay_alu instid0(VALU_DEP_1) | instskip(SKIP_1) | instid1(VALU_DEP_4)
	v_dual_add_f32 v7, 1.0, v1 :: v_dual_add_f32 v9, -1.0, v1
	v_sub_f32_e32 v2, v20, v2
	v_add_f32_e32 v6, 1.0, v6
	v_cmp_neq_f32_e32 vcc_lo, 0x7f800000, v20
	s_delay_alu instid0(VALU_DEP_2) | instskip(NEXT) | instid1(VALU_DEP_1)
	v_dual_add_f32 v2, v2, v6 :: v_dual_add_f32 v6, -1.0, v7
	v_ldexp_f32 v2, v2, v3
	s_delay_alu instid0(VALU_DEP_2) | instskip(NEXT) | instid1(VALU_DEP_1)
	v_dual_sub_f32 v3, v1, v6 :: v_dual_add_f32 v6, 1.0, v9
	v_dual_add_f32 v8, v2, v3 :: v_dual_sub_f32 v1, v1, v6
	s_delay_alu instid0(VALU_DEP_1) | instskip(NEXT) | instid1(VALU_DEP_1)
	v_dual_add_f32 v11, v7, v8 :: v_dual_add_f32 v1, v2, v1
	v_rcp_f32_e32 v12, v11
	s_delay_alu instid0(VALU_DEP_1)
	v_dual_add_f32 v3, v9, v1 :: v_dual_sub_f32 v2, v7, v11
	s_delay_alu instid0(TRANS32_DEP_1) | instid1(VALU_DEP_1)
	v_dual_sub_f32 v15, v9, v3 :: v_dual_mul_f32 v13, v3, v12
	s_delay_alu instid0(VALU_DEP_1) | instskip(NEXT) | instid1(VALU_DEP_2)
	v_dual_add_f32 v14, v8, v2 :: v_dual_add_f32 v1, v1, v15
	v_mul_f32_e32 v6, v11, v13
	s_delay_alu instid0(VALU_DEP_1) | instskip(NEXT) | instid1(VALU_DEP_1)
	v_fma_f32 v8, v13, v11, -v6
	v_fmac_f32_e32 v8, v13, v14
	s_delay_alu instid0(VALU_DEP_1) | instskip(NEXT) | instid1(VALU_DEP_1)
	v_add_f32_e32 v2, v6, v8
	v_dual_sub_f32 v7, v3, v2 :: v_dual_mov_b32 v9, v2
	s_delay_alu instid0(VALU_DEP_1) | instskip(NEXT) | instid1(VALU_DEP_1)
	v_pk_add_f32 v[2:3], v[2:3], v[6:7] neg_lo:[0,1] neg_hi:[0,1]
	v_pk_add_f32 v[2:3], v[2:3], v[8:9] neg_lo:[0,1] neg_hi:[0,1]
	s_delay_alu instid0(VALU_DEP_1) | instskip(NEXT) | instid1(VALU_DEP_1)
	v_add_f32_e32 v1, v1, v3
	v_add_f32_e32 v1, v2, v1
	s_delay_alu instid0(VALU_DEP_1) | instskip(NEXT) | instid1(VALU_DEP_1)
	v_add_f32_e32 v3, v7, v1
	v_mul_f32_e32 v15, v12, v3
	s_delay_alu instid0(VALU_DEP_1) | instskip(NEXT) | instid1(VALU_DEP_1)
	v_mul_f32_e32 v8, v11, v15
	v_fma_f32 v6, v15, v11, -v8
	s_delay_alu instid0(VALU_DEP_1) | instskip(NEXT) | instid1(VALU_DEP_1)
	v_fmac_f32_e32 v6, v15, v14
	v_dual_add_f32 v2, v8, v6 :: v_dual_sub_f32 v11, v7, v3
	s_delay_alu instid0(VALU_DEP_1) | instskip(SKIP_1) | instid1(VALU_DEP_1)
	v_dual_mov_b32 v7, v2 :: v_dual_add_f32 v1, v1, v11
	v_sub_f32_e32 v9, v3, v2
	v_pk_add_f32 v[2:3], v[2:3], v[8:9] neg_lo:[0,1] neg_hi:[0,1]
	v_add_f32_e32 v8, v13, v15
	s_delay_alu instid0(VALU_DEP_2) | instskip(SKIP_1) | instid1(VALU_DEP_2)
	v_pk_add_f32 v[2:3], v[2:3], v[6:7] neg_lo:[0,1] neg_hi:[0,1]
	v_cvt_f32_i32_e32 v6, v10
	v_add_f32_e32 v1, v1, v3
	s_delay_alu instid0(VALU_DEP_1) | instskip(SKIP_1) | instid1(VALU_DEP_1)
	v_add_f32_e32 v1, v2, v1
	v_sub_f32_e32 v2, v8, v13
	v_dual_add_f32 v1, v9, v1 :: v_dual_sub_f32 v2, v15, v2
	s_delay_alu instid0(VALU_DEP_1) | instskip(NEXT) | instid1(VALU_DEP_1)
	v_mul_f32_e32 v1, v12, v1
	v_dual_add_f32 v1, v2, v1 :: v_dual_mov_b32 v2, 0x3f317218
	s_delay_alu instid0(VALU_DEP_1) | instskip(NEXT) | instid1(VALU_DEP_1)
	v_add_f32_e32 v9, v8, v1
	v_mul_f32_e32 v3, v9, v9
	s_delay_alu instid0(VALU_DEP_1) | instskip(SKIP_1) | instid1(VALU_DEP_2)
	v_fmaak_f32 v11, s14, v3, 0x3ecc95a3
	v_mul_f32_e32 v7, v9, v3
	v_fmaak_f32 v3, v3, v11, 0x3f2aaada
	s_delay_alu instid0(VALU_DEP_1) | instskip(NEXT) | instid1(VALU_DEP_1)
	v_pk_mul_f32 v[2:3], v[6:7], v[2:3]
	v_fma_f32 v10, 0x3f317218, v6, -v2
	s_delay_alu instid0(VALU_DEP_1) | instskip(SKIP_2) | instid1(VALU_DEP_2)
	v_fmamk_f32 v6, v6, 0xb102e308, v10
	v_ldexp_f32 v7, v9, 1
	v_sub_f32_e32 v10, v9, v8
	v_pk_add_f32 v[8:9], v[2:3], v[6:7]
	s_delay_alu instid0(VALU_DEP_1) | instskip(NEXT) | instid1(VALU_DEP_3)
	v_sub_f32_e32 v7, v9, v7
	v_dual_sub_f32 v1, v1, v10 :: v_dual_mov_b32 v10, v2
	s_delay_alu instid0(VALU_DEP_2) | instskip(NEXT) | instid1(VALU_DEP_2)
	v_sub_f32_e32 v7, v3, v7
	v_ldexp_f32 v1, v1, 1
	v_pk_add_f32 v[2:3], v[8:9], v[2:3] neg_lo:[0,1] neg_hi:[0,1]
	s_delay_alu instid0(VALU_DEP_2) | instskip(NEXT) | instid1(VALU_DEP_1)
	v_dual_add_f32 v11, v1, v7 :: v_dual_mov_b32 v7, v8
	v_pk_add_f32 v[12:13], v[8:9], v[10:11]
	s_delay_alu instid0(VALU_DEP_1) | instskip(NEXT) | instid1(VALU_DEP_1)
	v_dual_mov_b32 v18, v9 :: v_dual_mov_b32 v3, v13
	v_pk_add_f32 v[14:15], v[6:7], v[2:3]
	s_delay_alu instid0(VALU_DEP_1) | instskip(SKIP_2) | instid1(VALU_DEP_3)
	v_dual_mov_b32 v14, v13 :: v_dual_mov_b32 v10, v15
	v_pk_add_f32 v[2:3], v[6:7], v[2:3] neg_lo:[0,1] neg_hi:[0,1]
	v_mov_b32_e32 v3, v15
	v_pk_add_f32 v[16:17], v[10:11], v[8:9] neg_lo:[0,1] neg_hi:[0,1]
	v_dual_mov_b32 v9, v8 :: v_dual_mov_b32 v8, v11
	s_delay_alu instid0(VALU_DEP_2) | instskip(NEXT) | instid1(VALU_DEP_1)
	v_dual_mov_b32 v1, v16 :: v_dual_mov_b32 v19, v16
	v_pk_add_f32 v[12:13], v[12:13], v[0:1] neg_lo:[0,1] neg_hi:[0,1]
	s_delay_alu instid0(VALU_DEP_2) | instskip(SKIP_1) | instid1(VALU_DEP_2)
	v_pk_add_f32 v[6:7], v[14:15], v[18:19] neg_lo:[0,1] neg_hi:[0,1]
	v_mov_b32_e32 v12, v2
	v_pk_add_f32 v[6:7], v[8:9], v[6:7] neg_lo:[0,1] neg_hi:[0,1]
	s_delay_alu instid0(VALU_DEP_1) | instskip(NEXT) | instid1(VALU_DEP_1)
	v_pk_add_f32 v[8:9], v[12:13], v[6:7]
	v_mov_b32_e32 v12, v9
	s_delay_alu instid0(VALU_DEP_1) | instskip(NEXT) | instid1(VALU_DEP_1)
	v_pk_add_f32 v[12:13], v[8:9], v[12:13]
	v_pk_add_f32 v[10:11], v[10:11], v[12:13]
	s_delay_alu instid0(VALU_DEP_1) | instskip(NEXT) | instid1(VALU_DEP_1)
	v_mov_b32_e32 v9, v10
	v_pk_add_f32 v[14:15], v[8:9], v[2:3] neg_lo:[0,1] neg_hi:[0,1]
	s_delay_alu instid0(VALU_DEP_1) | instskip(NEXT) | instid1(VALU_DEP_1)
	v_sub_f32_e32 v1, v8, v14
	v_dual_mov_b32 v7, v12 :: v_dual_sub_f32 v1, v2, v1
	s_delay_alu instid0(VALU_DEP_1) | instskip(NEXT) | instid1(VALU_DEP_1)
	v_pk_add_f32 v[6:7], v[6:7], v[14:15] neg_lo:[0,1] neg_hi:[0,1]
	v_add_f32_e32 v1, v6, v1
	s_delay_alu instid0(VALU_DEP_1) | instskip(NEXT) | instid1(VALU_DEP_1)
	v_add_f32_e32 v1, v1, v7
	v_add_f32_e32 v1, v10, v1
	s_delay_alu instid0(VALU_DEP_1) | instskip(SKIP_1) | instid1(VALU_DEP_2)
	v_cndmask_b32_e32 v1, 0x7f800000, v1, vcc_lo
	v_cmp_gt_f32_e64 vcc_lo, 0x33800000, |v20|
	v_cndmask_b32_e32 v1, v1, v20, vcc_lo
	s_delay_alu instid0(VALU_DEP_1) | instskip(NEXT) | instid1(VALU_DEP_1)
	v_div_scale_f32 v2, null, s10, s10, v1
	v_rcp_f32_e32 v3, v2
	v_nop
	s_delay_alu instid0(TRANS32_DEP_1) | instskip(NEXT) | instid1(VALU_DEP_1)
	v_fma_f32 v6, -v2, v3, 1.0
	v_fmac_f32_e32 v3, v6, v3
	v_div_scale_f32 v6, vcc_lo, v1, s10, v1
	s_delay_alu instid0(VALU_DEP_1) | instskip(NEXT) | instid1(VALU_DEP_1)
	v_mul_f32_e32 v7, v6, v3
	v_fma_f32 v8, -v2, v7, v6
	s_delay_alu instid0(VALU_DEP_1) | instskip(NEXT) | instid1(VALU_DEP_1)
	v_fmac_f32_e32 v7, v8, v3
	v_fma_f32 v2, -v2, v7, v6
	s_delay_alu instid0(VALU_DEP_1) | instskip(NEXT) | instid1(VALU_DEP_1)
	v_div_fmas_f32 v2, v2, v3, v7
	v_div_fixup_f32 v6, v2, s10, v1
.LBB34_1299:
	s_or_b32 exec_lo, exec_lo, s9
	v_add_nc_u32_e32 v0, s3, v0
	s_cmp_lt_i32 s0, 11
	s_delay_alu instid0(VALU_DEP_1) | instskip(NEXT) | instid1(VALU_DEP_1)
	v_ashrrev_i32_e32 v1, 31, v0
	v_add_nc_u64_e32 v[2:3], s[6:7], v[0:1]
	s_cbranch_scc1 .LBB34_1306
; %bb.1300:
	s_cmp_gt_i32 s0, 25
	s_mov_b32 s14, 0
	s_cbranch_scc0 .LBB34_1308
; %bb.1301:
	s_cmp_gt_i32 s0, 28
	s_cbranch_scc0 .LBB34_1309
; %bb.1302:
	s_cmp_gt_i32 s0, 43
	;; [unrolled: 3-line block ×3, first 2 shown]
	s_cbranch_scc0 .LBB34_1312
; %bb.1304:
	s_cmp_eq_u32 s0, 46
	s_mov_b32 s16, 0
	s_cbranch_scc0 .LBB34_1313
; %bb.1305:
	global_load_b32 v1, v[2:3], off
	s_mov_b32 s9, 0
	s_mov_b32 s15, -1
	s_branch .LBB34_1315
.LBB34_1306:
	s_mov_b32 s15, 0
                                        ; implicit-def: $vgpr1
	s_cbranch_execnz .LBB34_1381
.LBB34_1307:
	s_and_not1_b32 vcc_lo, exec_lo, s15
	s_cbranch_vccnz .LBB34_1997
	s_branch .LBB34_1429
.LBB34_1308:
	s_mov_b32 s16, -1
	s_mov_b32 s15, 0
	s_mov_b32 s9, 0
                                        ; implicit-def: $vgpr1
	s_branch .LBB34_1344
.LBB34_1309:
	s_mov_b32 s16, -1
	s_mov_b32 s15, 0
	s_mov_b32 s9, 0
                                        ; implicit-def: $vgpr1
	s_branch .LBB34_1325
.LBB34_1310:
	s_mov_b32 s16, -1
	s_mov_b32 s15, 0
	s_mov_b32 s9, 0
                                        ; implicit-def: $vgpr1
	s_branch .LBB34_1320
.LBB34_1311:
	s_or_b32 s1, s1, exec_lo
	s_trap 2
	s_cbranch_execz .LBB34_1248
	s_branch .LBB34_1249
.LBB34_1312:
	s_mov_b32 s16, -1
	s_mov_b32 s15, 0
	s_mov_b32 s9, 0
	s_branch .LBB34_1314
.LBB34_1313:
	s_mov_b32 s9, -1
	s_mov_b32 s15, 0
.LBB34_1314:
                                        ; implicit-def: $vgpr1
.LBB34_1315:
	s_and_b32 vcc_lo, exec_lo, s16
	s_cbranch_vccz .LBB34_1319
; %bb.1316:
	s_cmp_eq_u32 s0, 44
	s_cbranch_scc0 .LBB34_1318
; %bb.1317:
	s_wait_loadcnt 0x0
	global_load_u8 v1, v[2:3], off
	s_mov_b32 s9, 0
	s_mov_b32 s15, -1
	s_wait_loadcnt 0x0
	v_lshlrev_b32_e32 v7, 23, v1
	v_cmp_ne_u32_e32 vcc_lo, 0xff, v1
	s_delay_alu instid0(VALU_DEP_2) | instskip(SKIP_1) | instid1(VALU_DEP_2)
	v_cndmask_b32_e32 v7, 0x7f800001, v7, vcc_lo
	v_cmp_ne_u32_e32 vcc_lo, 0, v1
	v_cndmask_b32_e32 v1, 0x400000, v7, vcc_lo
	s_delay_alu instid0(VALU_DEP_1) | instskip(SKIP_1) | instid1(VALU_DEP_2)
	v_add_nc_u32_e32 v7, 0x7fff, v1
	v_cmp_o_f32_e32 vcc_lo, v1, v1
	v_lshrrev_b32_e32 v7, 16, v7
	s_delay_alu instid0(VALU_DEP_1)
	v_cndmask_b32_e32 v1, 0x7fc0, v7, vcc_lo
	s_branch .LBB34_1319
.LBB34_1318:
	s_mov_b32 s9, -1
                                        ; implicit-def: $vgpr1
.LBB34_1319:
	s_mov_b32 s16, 0
.LBB34_1320:
	s_delay_alu instid0(SALU_CYCLE_1)
	s_and_b32 vcc_lo, exec_lo, s16
	s_cbranch_vccz .LBB34_1324
; %bb.1321:
	s_cmp_eq_u32 s0, 29
	s_cbranch_scc0 .LBB34_1323
; %bb.1322:
	global_load_b64 v[8:9], v[2:3], off
	s_mov_b32 s9, 0
	s_mov_b32 s15, -1
	s_mov_b32 s16, 0
	s_wait_loadcnt 0x0
	v_clz_i32_u32_e32 v1, v9
	s_delay_alu instid0(VALU_DEP_1) | instskip(NEXT) | instid1(VALU_DEP_1)
	v_min_u32_e32 v1, 32, v1
	v_lshlrev_b64_e32 v[8:9], v1, v[8:9]
	v_sub_nc_u32_e32 v1, 32, v1
	s_delay_alu instid0(VALU_DEP_2) | instskip(NEXT) | instid1(VALU_DEP_1)
	v_min_u32_e32 v7, 1, v8
	v_or_b32_e32 v7, v9, v7
	s_delay_alu instid0(VALU_DEP_1) | instskip(NEXT) | instid1(VALU_DEP_1)
	v_cvt_f32_u32_e32 v7, v7
	v_ldexp_f32 v1, v7, v1
	s_delay_alu instid0(VALU_DEP_1) | instskip(NEXT) | instid1(VALU_DEP_1)
	v_bfe_u32 v7, v1, 16, 1
	v_add3_u32 v1, v1, v7, 0x7fff
	s_delay_alu instid0(VALU_DEP_1)
	v_lshrrev_b32_e32 v1, 16, v1
	s_branch .LBB34_1325
.LBB34_1323:
	s_mov_b32 s9, -1
                                        ; implicit-def: $vgpr1
.LBB34_1324:
	s_mov_b32 s16, 0
.LBB34_1325:
	s_delay_alu instid0(SALU_CYCLE_1)
	s_and_b32 vcc_lo, exec_lo, s16
	s_cbranch_vccz .LBB34_1343
; %bb.1326:
	s_cmp_lt_i32 s0, 27
	s_cbranch_scc1 .LBB34_1329
; %bb.1327:
	s_cmp_gt_i32 s0, 27
	s_cbranch_scc0 .LBB34_1330
; %bb.1328:
	s_wait_loadcnt 0x0
	global_load_b32 v1, v[2:3], off
	s_mov_b32 s15, 0
	s_wait_loadcnt 0x0
	v_cvt_f32_u32_e32 v1, v1
	s_delay_alu instid0(VALU_DEP_1) | instskip(NEXT) | instid1(VALU_DEP_1)
	v_bfe_u32 v7, v1, 16, 1
	v_add3_u32 v1, v1, v7, 0x7fff
	s_delay_alu instid0(VALU_DEP_1)
	v_lshrrev_b32_e32 v1, 16, v1
	s_branch .LBB34_1331
.LBB34_1329:
	s_mov_b32 s15, -1
                                        ; implicit-def: $vgpr1
	s_branch .LBB34_1334
.LBB34_1330:
	s_mov_b32 s15, -1
                                        ; implicit-def: $vgpr1
.LBB34_1331:
	s_delay_alu instid0(SALU_CYCLE_1)
	s_and_not1_b32 vcc_lo, exec_lo, s15
	s_cbranch_vccnz .LBB34_1333
; %bb.1332:
	s_wait_loadcnt 0x0
	global_load_u16 v1, v[2:3], off
	s_wait_loadcnt 0x0
	v_cvt_f32_u32_e32 v1, v1
	s_delay_alu instid0(VALU_DEP_1) | instskip(NEXT) | instid1(VALU_DEP_1)
	v_bfe_u32 v7, v1, 16, 1
	v_add3_u32 v1, v1, v7, 0x7fff
	s_delay_alu instid0(VALU_DEP_1)
	v_lshrrev_b32_e32 v1, 16, v1
.LBB34_1333:
	s_mov_b32 s15, 0
.LBB34_1334:
	s_delay_alu instid0(SALU_CYCLE_1)
	s_and_not1_b32 vcc_lo, exec_lo, s15
	s_cbranch_vccnz .LBB34_1342
; %bb.1335:
	s_wait_loadcnt 0x0
	global_load_u8 v1, v[2:3], off
	s_mov_b32 s15, 0
	s_mov_b32 s16, exec_lo
	s_wait_loadcnt 0x0
	v_cmpx_lt_i16_e32 0x7f, v1
	s_xor_b32 s16, exec_lo, s16
	s_cbranch_execz .LBB34_1356
; %bb.1336:
	s_mov_b32 s15, -1
	s_mov_b32 s17, exec_lo
	v_cmpx_eq_u16_e32 0x80, v1
; %bb.1337:
	s_xor_b32 s15, exec_lo, -1
; %bb.1338:
	s_or_b32 exec_lo, exec_lo, s17
	s_delay_alu instid0(SALU_CYCLE_1)
	s_and_b32 s15, s15, exec_lo
	s_or_saveexec_b32 s16, s16
	v_mov_b32_e32 v7, 0x7f800001
	s_xor_b32 exec_lo, exec_lo, s16
	s_cbranch_execnz .LBB34_1357
.LBB34_1339:
	s_or_b32 exec_lo, exec_lo, s16
	s_and_saveexec_b32 s16, s15
	s_cbranch_execz .LBB34_1341
.LBB34_1340:
	v_and_b32_e32 v7, 0xffff, v1
	s_delay_alu instid0(VALU_DEP_1) | instskip(SKIP_1) | instid1(VALU_DEP_2)
	v_and_b32_e32 v8, 7, v7
	v_bfe_u32 v11, v7, 3, 4
	v_clz_i32_u32_e32 v9, v8
	s_delay_alu instid0(VALU_DEP_2) | instskip(NEXT) | instid1(VALU_DEP_2)
	v_cmp_eq_u32_e32 vcc_lo, 0, v11
	v_min_u32_e32 v9, 32, v9
	s_delay_alu instid0(VALU_DEP_1) | instskip(NEXT) | instid1(VALU_DEP_1)
	v_subrev_nc_u32_e32 v10, 28, v9
	v_dual_lshlrev_b32 v7, v10, v7 :: v_dual_sub_nc_u32 v9, 29, v9
	s_delay_alu instid0(VALU_DEP_1) | instskip(NEXT) | instid1(VALU_DEP_1)
	v_dual_lshlrev_b32 v1, 24, v1 :: v_dual_bitop2_b32 v7, 7, v7 bitop3:0x40
	v_dual_cndmask_b32 v7, v8, v7, vcc_lo :: v_dual_cndmask_b32 v9, v11, v9, vcc_lo
	s_delay_alu instid0(VALU_DEP_2) | instskip(NEXT) | instid1(VALU_DEP_2)
	v_and_b32_e32 v1, 0x80000000, v1
	v_lshlrev_b32_e32 v7, 20, v7
	s_delay_alu instid0(VALU_DEP_3) | instskip(NEXT) | instid1(VALU_DEP_1)
	v_lshl_add_u32 v8, v9, 23, 0x3b800000
	v_or3_b32 v7, v1, v8, v7
.LBB34_1341:
	s_or_b32 exec_lo, exec_lo, s16
	s_delay_alu instid0(VALU_DEP_1) | instskip(SKIP_1) | instid1(VALU_DEP_2)
	v_bfe_u32 v1, v7, 16, 1
	v_cmp_o_f32_e32 vcc_lo, v7, v7
	v_add3_u32 v1, v7, v1, 0x7fff
	s_delay_alu instid0(VALU_DEP_1) | instskip(NEXT) | instid1(VALU_DEP_1)
	v_lshrrev_b32_e32 v1, 16, v1
	v_cndmask_b32_e32 v1, 0x7fc0, v1, vcc_lo
.LBB34_1342:
	s_mov_b32 s15, -1
.LBB34_1343:
	s_mov_b32 s16, 0
.LBB34_1344:
	s_delay_alu instid0(SALU_CYCLE_1)
	s_and_b32 vcc_lo, exec_lo, s16
	s_cbranch_vccz .LBB34_1377
; %bb.1345:
	s_cmp_gt_i32 s0, 22
	s_cbranch_scc0 .LBB34_1355
; %bb.1346:
	s_cmp_lt_i32 s0, 24
	s_cbranch_scc1 .LBB34_1358
; %bb.1347:
	s_cmp_gt_i32 s0, 24
	s_cbranch_scc0 .LBB34_1359
; %bb.1348:
	s_wait_loadcnt 0x0
	global_load_u8 v1, v[2:3], off
	s_mov_b32 s15, exec_lo
	s_wait_loadcnt 0x0
	v_cmpx_lt_i16_e32 0x7f, v1
	s_xor_b32 s15, exec_lo, s15
	s_cbranch_execz .LBB34_1371
; %bb.1349:
	s_mov_b32 s14, -1
	s_mov_b32 s16, exec_lo
	v_cmpx_eq_u16_e32 0x80, v1
; %bb.1350:
	s_xor_b32 s14, exec_lo, -1
; %bb.1351:
	s_or_b32 exec_lo, exec_lo, s16
	s_delay_alu instid0(SALU_CYCLE_1)
	s_and_b32 s14, s14, exec_lo
	s_or_saveexec_b32 s15, s15
	v_mov_b32_e32 v7, 0x7f800001
	s_xor_b32 exec_lo, exec_lo, s15
	s_cbranch_execnz .LBB34_1372
.LBB34_1352:
	s_or_b32 exec_lo, exec_lo, s15
	s_and_saveexec_b32 s15, s14
	s_cbranch_execz .LBB34_1354
.LBB34_1353:
	v_and_b32_e32 v7, 0xffff, v1
	s_delay_alu instid0(VALU_DEP_1) | instskip(SKIP_1) | instid1(VALU_DEP_2)
	v_and_b32_e32 v8, 3, v7
	v_bfe_u32 v11, v7, 2, 5
	v_clz_i32_u32_e32 v9, v8
	s_delay_alu instid0(VALU_DEP_2) | instskip(NEXT) | instid1(VALU_DEP_2)
	v_cmp_eq_u32_e32 vcc_lo, 0, v11
	v_min_u32_e32 v9, 32, v9
	s_delay_alu instid0(VALU_DEP_1) | instskip(NEXT) | instid1(VALU_DEP_1)
	v_subrev_nc_u32_e32 v10, 29, v9
	v_dual_lshlrev_b32 v7, v10, v7 :: v_dual_sub_nc_u32 v9, 30, v9
	s_delay_alu instid0(VALU_DEP_1) | instskip(NEXT) | instid1(VALU_DEP_1)
	v_dual_lshlrev_b32 v1, 24, v1 :: v_dual_bitop2_b32 v7, 3, v7 bitop3:0x40
	v_dual_cndmask_b32 v7, v8, v7, vcc_lo :: v_dual_cndmask_b32 v9, v11, v9, vcc_lo
	s_delay_alu instid0(VALU_DEP_2) | instskip(NEXT) | instid1(VALU_DEP_2)
	v_and_b32_e32 v1, 0x80000000, v1
	v_lshlrev_b32_e32 v7, 21, v7
	s_delay_alu instid0(VALU_DEP_3) | instskip(NEXT) | instid1(VALU_DEP_1)
	v_lshl_add_u32 v8, v9, 23, 0x37800000
	v_or3_b32 v7, v1, v8, v7
.LBB34_1354:
	s_or_b32 exec_lo, exec_lo, s15
	s_delay_alu instid0(VALU_DEP_1) | instskip(SKIP_2) | instid1(VALU_DEP_2)
	v_bfe_u32 v1, v7, 16, 1
	v_cmp_o_f32_e32 vcc_lo, v7, v7
	s_mov_b32 s14, 0
	v_add3_u32 v1, v7, v1, 0x7fff
	s_delay_alu instid0(VALU_DEP_1) | instskip(NEXT) | instid1(VALU_DEP_1)
	v_lshrrev_b32_e32 v1, 16, v1
	v_cndmask_b32_e32 v1, 0x7fc0, v1, vcc_lo
	s_branch .LBB34_1360
.LBB34_1355:
	s_mov_b32 s14, -1
                                        ; implicit-def: $vgpr1
	s_branch .LBB34_1366
.LBB34_1356:
	s_or_saveexec_b32 s16, s16
	v_mov_b32_e32 v7, 0x7f800001
	s_xor_b32 exec_lo, exec_lo, s16
	s_cbranch_execz .LBB34_1339
.LBB34_1357:
	v_cmp_ne_u16_e32 vcc_lo, 0, v1
	v_mov_b32_e32 v7, 0
	s_and_not1_b32 s15, s15, exec_lo
	s_and_b32 s17, vcc_lo, exec_lo
	s_delay_alu instid0(SALU_CYCLE_1)
	s_or_b32 s15, s15, s17
	s_or_b32 exec_lo, exec_lo, s16
	s_and_saveexec_b32 s16, s15
	s_cbranch_execnz .LBB34_1340
	s_branch .LBB34_1341
.LBB34_1358:
	s_mov_b32 s14, -1
                                        ; implicit-def: $vgpr1
	s_branch .LBB34_1363
.LBB34_1359:
	s_mov_b32 s14, -1
                                        ; implicit-def: $vgpr1
.LBB34_1360:
	s_delay_alu instid0(SALU_CYCLE_1)
	s_and_b32 vcc_lo, exec_lo, s14
	s_cbranch_vccz .LBB34_1362
; %bb.1361:
	s_wait_loadcnt 0x0
	global_load_u8 v1, v[2:3], off
	s_wait_loadcnt 0x0
	v_lshlrev_b32_e32 v1, 24, v1
	s_delay_alu instid0(VALU_DEP_1) | instskip(NEXT) | instid1(VALU_DEP_1)
	v_and_b32_e32 v7, 0x7f000000, v1
	v_clz_i32_u32_e32 v8, v7
	v_cmp_ne_u32_e32 vcc_lo, 0, v7
	v_add_nc_u32_e32 v10, 0x1000000, v7
	s_delay_alu instid0(VALU_DEP_3) | instskip(NEXT) | instid1(VALU_DEP_1)
	v_min_u32_e32 v8, 32, v8
	v_sub_nc_u32_e64 v8, v8, 4 clamp
	s_delay_alu instid0(VALU_DEP_1) | instskip(NEXT) | instid1(VALU_DEP_1)
	v_dual_lshlrev_b32 v9, v8, v7 :: v_dual_lshlrev_b32 v8, 23, v8
	v_lshrrev_b32_e32 v9, 4, v9
	s_delay_alu instid0(VALU_DEP_1) | instskip(NEXT) | instid1(VALU_DEP_1)
	v_dual_sub_nc_u32 v8, v9, v8 :: v_dual_ashrrev_i32 v9, 8, v10
	v_add_nc_u32_e32 v8, 0x3c000000, v8
	s_delay_alu instid0(VALU_DEP_1) | instskip(NEXT) | instid1(VALU_DEP_1)
	v_and_or_b32 v8, 0x7f800000, v9, v8
	v_cndmask_b32_e32 v7, 0, v8, vcc_lo
	s_delay_alu instid0(VALU_DEP_1) | instskip(SKIP_1) | instid1(VALU_DEP_2)
	v_and_or_b32 v1, 0x80000000, v1, v7
	v_bfe_u32 v7, v7, 16, 1
	v_cmp_o_f32_e32 vcc_lo, v1, v1
	s_delay_alu instid0(VALU_DEP_2) | instskip(NEXT) | instid1(VALU_DEP_1)
	v_add3_u32 v7, v1, v7, 0x7fff
	v_lshrrev_b32_e32 v7, 16, v7
	s_delay_alu instid0(VALU_DEP_1)
	v_cndmask_b32_e32 v1, 0x7fc0, v7, vcc_lo
.LBB34_1362:
	s_mov_b32 s14, 0
.LBB34_1363:
	s_delay_alu instid0(SALU_CYCLE_1)
	s_and_not1_b32 vcc_lo, exec_lo, s14
	s_cbranch_vccnz .LBB34_1365
; %bb.1364:
	s_wait_loadcnt 0x0
	global_load_u8 v1, v[2:3], off
	s_wait_loadcnt 0x0
	v_lshlrev_b32_e32 v7, 25, v1
	v_lshlrev_b16 v1, 8, v1
	s_delay_alu instid0(VALU_DEP_1) | instskip(NEXT) | instid1(VALU_DEP_3)
	v_and_or_b32 v9, 0x7f00, v1, 0.5
	v_lshrrev_b32_e32 v8, 4, v7
	v_bfe_i32 v1, v1, 0, 16
	s_delay_alu instid0(VALU_DEP_3) | instskip(NEXT) | instid1(VALU_DEP_3)
	v_add_f32_e32 v9, -0.5, v9
	v_or_b32_e32 v8, 0x70000000, v8
	s_delay_alu instid0(VALU_DEP_1) | instskip(SKIP_1) | instid1(VALU_DEP_2)
	v_mul_f32_e32 v8, 0x7800000, v8
	v_cmp_gt_u32_e32 vcc_lo, 0x8000000, v7
	v_cndmask_b32_e32 v7, v8, v9, vcc_lo
	s_delay_alu instid0(VALU_DEP_1) | instskip(SKIP_1) | instid1(VALU_DEP_2)
	v_and_or_b32 v1, 0x80000000, v1, v7
	v_bfe_u32 v7, v7, 16, 1
	v_cmp_o_f32_e32 vcc_lo, v1, v1
	s_delay_alu instid0(VALU_DEP_2) | instskip(NEXT) | instid1(VALU_DEP_1)
	v_add3_u32 v7, v1, v7, 0x7fff
	v_lshrrev_b32_e32 v7, 16, v7
	s_delay_alu instid0(VALU_DEP_1)
	v_cndmask_b32_e32 v1, 0x7fc0, v7, vcc_lo
.LBB34_1365:
	s_mov_b32 s14, 0
	s_mov_b32 s15, -1
.LBB34_1366:
	s_and_not1_b32 vcc_lo, exec_lo, s14
	s_mov_b32 s14, 0
	s_cbranch_vccnz .LBB34_1377
; %bb.1367:
	s_cmp_gt_i32 s0, 14
	s_cbranch_scc0 .LBB34_1370
; %bb.1368:
	s_cmp_eq_u32 s0, 15
	s_cbranch_scc0 .LBB34_1373
; %bb.1369:
	s_wait_loadcnt 0x0
	global_load_u16 v1, v[2:3], off
	s_mov_b32 s9, 0
	s_mov_b32 s15, -1
	s_branch .LBB34_1375
.LBB34_1370:
	s_mov_b32 s14, -1
	s_branch .LBB34_1374
.LBB34_1371:
	s_or_saveexec_b32 s15, s15
	v_mov_b32_e32 v7, 0x7f800001
	s_xor_b32 exec_lo, exec_lo, s15
	s_cbranch_execz .LBB34_1352
.LBB34_1372:
	v_cmp_ne_u16_e32 vcc_lo, 0, v1
	v_mov_b32_e32 v7, 0
	s_and_not1_b32 s14, s14, exec_lo
	s_and_b32 s16, vcc_lo, exec_lo
	s_delay_alu instid0(SALU_CYCLE_1)
	s_or_b32 s14, s14, s16
	s_or_b32 exec_lo, exec_lo, s15
	s_and_saveexec_b32 s15, s14
	s_cbranch_execnz .LBB34_1353
	s_branch .LBB34_1354
.LBB34_1373:
	s_mov_b32 s9, -1
.LBB34_1374:
                                        ; implicit-def: $vgpr1
.LBB34_1375:
	s_and_b32 vcc_lo, exec_lo, s14
	s_mov_b32 s14, 0
	s_cbranch_vccz .LBB34_1377
; %bb.1376:
	s_cmp_lg_u32 s0, 11
	s_mov_b32 s14, -1
	s_cselect_b32 s9, -1, 0
.LBB34_1377:
	s_delay_alu instid0(SALU_CYCLE_1)
	s_and_b32 vcc_lo, exec_lo, s9
	s_cbranch_vccnz .LBB34_1442
; %bb.1378:
	s_and_not1_b32 vcc_lo, exec_lo, s14
	s_cbranch_vccnz .LBB34_1380
.LBB34_1379:
	s_wait_loadcnt 0x0
	global_load_u8 v1, v[2:3], off
	s_mov_b32 s15, -1
	s_wait_loadcnt 0x0
	v_cmp_ne_u16_e32 vcc_lo, 0, v1
	v_cndmask_b32_e64 v1, 0, 1.0, vcc_lo
	s_delay_alu instid0(VALU_DEP_1)
	v_lshrrev_b32_e32 v1, 16, v1
.LBB34_1380:
	s_branch .LBB34_1307
.LBB34_1381:
	s_cmp_lt_i32 s0, 5
	s_cbranch_scc1 .LBB34_1386
; %bb.1382:
	s_cmp_lt_i32 s0, 8
	s_cbranch_scc1 .LBB34_1387
; %bb.1383:
	;; [unrolled: 3-line block ×3, first 2 shown]
	s_cmp_gt_i32 s0, 9
	s_cbranch_scc0 .LBB34_1389
; %bb.1385:
	global_load_b64 v[8:9], v[2:3], off
	s_mov_b32 s9, 0
	s_wait_loadcnt 0x0
	v_cvt_f32_f64_e32 v1, v[8:9]
	s_delay_alu instid0(VALU_DEP_1) | instskip(SKIP_1) | instid1(VALU_DEP_2)
	v_bfe_u32 v7, v1, 16, 1
	v_cmp_o_f32_e32 vcc_lo, v1, v1
	v_add3_u32 v7, v1, v7, 0x7fff
	s_delay_alu instid0(VALU_DEP_1) | instskip(NEXT) | instid1(VALU_DEP_1)
	v_lshrrev_b32_e32 v7, 16, v7
	v_cndmask_b32_e32 v1, 0x7fc0, v7, vcc_lo
	s_branch .LBB34_1390
.LBB34_1386:
	s_mov_b32 s9, -1
                                        ; implicit-def: $vgpr1
	s_branch .LBB34_1408
.LBB34_1387:
	s_mov_b32 s9, -1
                                        ; implicit-def: $vgpr1
	s_branch .LBB34_1396
.LBB34_1388:
	s_mov_b32 s9, -1
                                        ; implicit-def: $vgpr1
	s_branch .LBB34_1393
.LBB34_1389:
	s_mov_b32 s9, -1
                                        ; implicit-def: $vgpr1
.LBB34_1390:
	s_delay_alu instid0(SALU_CYCLE_1)
	s_and_not1_b32 vcc_lo, exec_lo, s9
	s_cbranch_vccnz .LBB34_1392
; %bb.1391:
	s_wait_loadcnt 0x0
	global_load_b32 v1, v[2:3], off
	s_wait_loadcnt 0x0
	v_bfe_u32 v7, v1, 16, 1
	v_cmp_o_f32_e32 vcc_lo, v1, v1
	s_delay_alu instid0(VALU_DEP_2) | instskip(NEXT) | instid1(VALU_DEP_1)
	v_add3_u32 v7, v1, v7, 0x7fff
	v_lshrrev_b32_e32 v7, 16, v7
	s_delay_alu instid0(VALU_DEP_1)
	v_cndmask_b32_e32 v1, 0x7fc0, v7, vcc_lo
.LBB34_1392:
	s_mov_b32 s9, 0
.LBB34_1393:
	s_delay_alu instid0(SALU_CYCLE_1)
	s_and_not1_b32 vcc_lo, exec_lo, s9
	s_cbranch_vccnz .LBB34_1395
; %bb.1394:
	s_wait_loadcnt 0x0
	global_load_b32 v1, v[2:3], off
	s_wait_loadcnt 0x0
	v_cvt_f32_f16_e32 v7, v1
	v_cmp_o_f16_e32 vcc_lo, v1, v1
	s_delay_alu instid0(VALU_DEP_2) | instskip(NEXT) | instid1(VALU_DEP_1)
	v_bfe_u32 v8, v7, 16, 1
	v_add3_u32 v7, v7, v8, 0x7fff
	s_delay_alu instid0(VALU_DEP_1) | instskip(NEXT) | instid1(VALU_DEP_1)
	v_lshrrev_b32_e32 v7, 16, v7
	v_cndmask_b32_e32 v1, 0x7fc0, v7, vcc_lo
.LBB34_1395:
	s_mov_b32 s9, 0
.LBB34_1396:
	s_delay_alu instid0(SALU_CYCLE_1)
	s_and_not1_b32 vcc_lo, exec_lo, s9
	s_cbranch_vccnz .LBB34_1407
; %bb.1397:
	s_cmp_lt_i32 s0, 6
	s_cbranch_scc1 .LBB34_1400
; %bb.1398:
	s_cmp_gt_i32 s0, 6
	s_cbranch_scc0 .LBB34_1401
; %bb.1399:
	global_load_b64 v[8:9], v[2:3], off
	s_mov_b32 s9, 0
	s_wait_loadcnt 0x0
	v_cvt_f32_f64_e32 v1, v[8:9]
	s_delay_alu instid0(VALU_DEP_1) | instskip(SKIP_1) | instid1(VALU_DEP_2)
	v_bfe_u32 v7, v1, 16, 1
	v_cmp_o_f32_e32 vcc_lo, v1, v1
	v_add3_u32 v7, v1, v7, 0x7fff
	s_delay_alu instid0(VALU_DEP_1) | instskip(NEXT) | instid1(VALU_DEP_1)
	v_lshrrev_b32_e32 v7, 16, v7
	v_cndmask_b32_e32 v1, 0x7fc0, v7, vcc_lo
	s_branch .LBB34_1402
.LBB34_1400:
	s_mov_b32 s9, -1
                                        ; implicit-def: $vgpr1
	s_branch .LBB34_1405
.LBB34_1401:
	s_mov_b32 s9, -1
                                        ; implicit-def: $vgpr1
.LBB34_1402:
	s_delay_alu instid0(SALU_CYCLE_1)
	s_and_not1_b32 vcc_lo, exec_lo, s9
	s_cbranch_vccnz .LBB34_1404
; %bb.1403:
	s_wait_loadcnt 0x0
	global_load_b32 v1, v[2:3], off
	s_wait_loadcnt 0x0
	v_bfe_u32 v7, v1, 16, 1
	v_cmp_o_f32_e32 vcc_lo, v1, v1
	s_delay_alu instid0(VALU_DEP_2) | instskip(NEXT) | instid1(VALU_DEP_1)
	v_add3_u32 v7, v1, v7, 0x7fff
	v_lshrrev_b32_e32 v7, 16, v7
	s_delay_alu instid0(VALU_DEP_1)
	v_cndmask_b32_e32 v1, 0x7fc0, v7, vcc_lo
.LBB34_1404:
	s_mov_b32 s9, 0
.LBB34_1405:
	s_delay_alu instid0(SALU_CYCLE_1)
	s_and_not1_b32 vcc_lo, exec_lo, s9
	s_cbranch_vccnz .LBB34_1407
; %bb.1406:
	s_wait_loadcnt 0x0
	global_load_u16 v1, v[2:3], off
	s_wait_loadcnt 0x0
	v_cvt_f32_f16_e32 v7, v1
	v_cmp_o_f16_e32 vcc_lo, v1, v1
	s_delay_alu instid0(VALU_DEP_2) | instskip(NEXT) | instid1(VALU_DEP_1)
	v_bfe_u32 v8, v7, 16, 1
	v_add3_u32 v7, v7, v8, 0x7fff
	s_delay_alu instid0(VALU_DEP_1) | instskip(NEXT) | instid1(VALU_DEP_1)
	v_lshrrev_b32_e32 v7, 16, v7
	v_cndmask_b32_e32 v1, 0x7fc0, v7, vcc_lo
.LBB34_1407:
	s_mov_b32 s9, 0
.LBB34_1408:
	s_delay_alu instid0(SALU_CYCLE_1)
	s_and_not1_b32 vcc_lo, exec_lo, s9
	s_cbranch_vccnz .LBB34_1428
; %bb.1409:
	s_cmp_lt_i32 s0, 2
	s_cbranch_scc1 .LBB34_1413
; %bb.1410:
	s_cmp_lt_i32 s0, 3
	s_cbranch_scc1 .LBB34_1414
; %bb.1411:
	s_cmp_gt_i32 s0, 3
	s_cbranch_scc0 .LBB34_1415
; %bb.1412:
	global_load_b64 v[8:9], v[2:3], off
	s_mov_b32 s9, 0
	s_wait_loadcnt 0x0
	v_xor_b32_e32 v1, v8, v9
	v_cls_i32_e32 v7, v9
	s_delay_alu instid0(VALU_DEP_2) | instskip(NEXT) | instid1(VALU_DEP_1)
	v_ashrrev_i32_e32 v1, 31, v1
	v_add_nc_u32_e32 v1, 32, v1
	s_delay_alu instid0(VALU_DEP_1) | instskip(NEXT) | instid1(VALU_DEP_1)
	v_add_min_u32_e64 v1, v7, -1, v1
	v_lshlrev_b64_e32 v[8:9], v1, v[8:9]
	v_sub_nc_u32_e32 v1, 32, v1
	s_delay_alu instid0(VALU_DEP_2) | instskip(NEXT) | instid1(VALU_DEP_1)
	v_min_u32_e32 v7, 1, v8
	v_or_b32_e32 v7, v9, v7
	s_delay_alu instid0(VALU_DEP_1) | instskip(NEXT) | instid1(VALU_DEP_1)
	v_cvt_f32_i32_e32 v7, v7
	v_ldexp_f32 v1, v7, v1
	s_delay_alu instid0(VALU_DEP_1) | instskip(NEXT) | instid1(VALU_DEP_1)
	v_bfe_u32 v7, v1, 16, 1
	v_add3_u32 v1, v1, v7, 0x7fff
	s_delay_alu instid0(VALU_DEP_1)
	v_lshrrev_b32_e32 v1, 16, v1
	s_branch .LBB34_1416
.LBB34_1413:
	s_mov_b32 s9, -1
                                        ; implicit-def: $vgpr1
	s_branch .LBB34_1422
.LBB34_1414:
	s_mov_b32 s9, -1
                                        ; implicit-def: $vgpr1
	s_branch .LBB34_1419
.LBB34_1415:
	s_mov_b32 s9, -1
                                        ; implicit-def: $vgpr1
.LBB34_1416:
	s_delay_alu instid0(SALU_CYCLE_1)
	s_and_not1_b32 vcc_lo, exec_lo, s9
	s_cbranch_vccnz .LBB34_1418
; %bb.1417:
	s_wait_loadcnt 0x0
	global_load_b32 v1, v[2:3], off
	s_wait_loadcnt 0x0
	v_cvt_f32_i32_e32 v1, v1
	s_delay_alu instid0(VALU_DEP_1) | instskip(NEXT) | instid1(VALU_DEP_1)
	v_bfe_u32 v7, v1, 16, 1
	v_add3_u32 v1, v1, v7, 0x7fff
	s_delay_alu instid0(VALU_DEP_1)
	v_lshrrev_b32_e32 v1, 16, v1
.LBB34_1418:
	s_mov_b32 s9, 0
.LBB34_1419:
	s_delay_alu instid0(SALU_CYCLE_1)
	s_and_not1_b32 vcc_lo, exec_lo, s9
	s_cbranch_vccnz .LBB34_1421
; %bb.1420:
	s_wait_loadcnt 0x0
	global_load_i16 v1, v[2:3], off
	s_wait_loadcnt 0x0
	v_cvt_f32_i32_e32 v1, v1
	s_delay_alu instid0(VALU_DEP_1) | instskip(NEXT) | instid1(VALU_DEP_1)
	v_bfe_u32 v7, v1, 16, 1
	v_add3_u32 v1, v1, v7, 0x7fff
	s_delay_alu instid0(VALU_DEP_1)
	v_lshrrev_b32_e32 v1, 16, v1
.LBB34_1421:
	s_mov_b32 s9, 0
.LBB34_1422:
	s_delay_alu instid0(SALU_CYCLE_1)
	s_and_not1_b32 vcc_lo, exec_lo, s9
	s_cbranch_vccnz .LBB34_1428
; %bb.1423:
	s_cmp_gt_i32 s0, 0
	s_mov_b32 s9, 0
	s_cbranch_scc0 .LBB34_1425
; %bb.1424:
	s_wait_loadcnt 0x0
	global_load_i8 v1, v[2:3], off
	s_wait_loadcnt 0x0
	v_cvt_f32_i32_e32 v1, v1
	s_delay_alu instid0(VALU_DEP_1) | instskip(NEXT) | instid1(VALU_DEP_1)
	v_bfe_u32 v7, v1, 16, 1
	v_add3_u32 v1, v1, v7, 0x7fff
	s_delay_alu instid0(VALU_DEP_1)
	v_lshrrev_b32_e32 v1, 16, v1
	s_branch .LBB34_1426
.LBB34_1425:
	s_mov_b32 s9, -1
                                        ; implicit-def: $vgpr1
.LBB34_1426:
	s_delay_alu instid0(SALU_CYCLE_1)
	s_and_not1_b32 vcc_lo, exec_lo, s9
	s_cbranch_vccnz .LBB34_1428
; %bb.1427:
	s_wait_loadcnt 0x0
	global_load_u8 v1, v[2:3], off
	s_wait_loadcnt 0x0
	v_cvt_f32_ubyte0_e32 v1, v1
	s_wait_xcnt 0x0
	s_delay_alu instid0(VALU_DEP_1) | instskip(NEXT) | instid1(VALU_DEP_1)
	v_bfe_u32 v2, v1, 16, 1
	v_add3_u32 v1, v1, v2, 0x7fff
	s_delay_alu instid0(VALU_DEP_1)
	v_lshrrev_b32_e32 v1, 16, v1
.LBB34_1428:
.LBB34_1429:
	s_wait_loadcnt 0x0
	s_delay_alu instid0(VALU_DEP_1) | instskip(SKIP_1) | instid1(VALU_DEP_1)
	v_lshlrev_b32_e32 v7, 16, v1
	s_mov_b32 s9, exec_lo
	v_mul_f32_e32 v1, s10, v7
	s_wait_xcnt 0x0
	s_delay_alu instid0(VALU_DEP_1)
	v_cmpx_nlt_f32_e32 s11, v1
	s_cbranch_execz .LBB34_1431
; %bb.1430:
	v_mul_f32_e32 v2, 0x3fb8aa3b, v1
	v_cmp_ngt_f32_e32 vcc_lo, 0xc2ce8ed0, v1
	s_mov_b32 s14, 0x3e9b6dac
	s_delay_alu instid0(VALU_DEP_2) | instskip(SKIP_1) | instid1(VALU_DEP_1)
	v_rndne_f32_e32 v3, v2
	v_fma_f32 v7, 0x3fb8aa3b, v1, -v2
	v_dual_sub_f32 v2, v2, v3 :: v_dual_fmamk_f32 v7, v1, 0x32a5705f, v7
	v_cvt_i32_f32_e32 v3, v3
	s_delay_alu instid0(VALU_DEP_2) | instskip(NEXT) | instid1(VALU_DEP_1)
	v_add_f32_e32 v2, v2, v7
	v_exp_f32_e32 v2, v2
	v_nop
	s_delay_alu instid0(TRANS32_DEP_1) | instskip(NEXT) | instid1(VALU_DEP_1)
	v_ldexp_f32 v2, v2, v3
	v_cndmask_b32_e32 v2, 0, v2, vcc_lo
	v_cmp_nlt_f32_e32 vcc_lo, 0x42b17218, v1
	s_delay_alu instid0(VALU_DEP_2) | instskip(NEXT) | instid1(VALU_DEP_1)
	v_cndmask_b32_e32 v7, 0x7f800000, v2, vcc_lo
	v_add_f32_e32 v1, 1.0, v7
	s_delay_alu instid0(VALU_DEP_1) | instskip(NEXT) | instid1(VALU_DEP_1)
	v_cvt_f64_f32_e32 v[2:3], v1
	v_frexp_exp_i32_f64_e32 v2, v[2:3]
	v_frexp_mant_f32_e32 v3, v1
	s_delay_alu instid0(VALU_DEP_1) | instskip(NEXT) | instid1(VALU_DEP_3)
	v_cmp_gt_f32_e32 vcc_lo, 0x3f2aaaab, v3
	v_subrev_co_ci_u32_e64 v12, null, 0, v2, vcc_lo
	v_add_f32_e32 v2, -1.0, v1
	v_cmp_neq_f32_e32 vcc_lo, 0x7f800000, v7
	s_delay_alu instid0(VALU_DEP_2) | instskip(SKIP_1) | instid1(VALU_DEP_2)
	v_dual_sub_f32 v8, v2, v1 :: v_dual_sub_nc_u32 v3, 0, v12
	v_sub_f32_e32 v2, v7, v2
	v_ldexp_f32 v1, v1, v3
	s_delay_alu instid0(VALU_DEP_1) | instskip(NEXT) | instid1(VALU_DEP_1)
	v_dual_add_f32 v8, 1.0, v8 :: v_dual_add_f32 v9, 1.0, v1
	v_add_f32_e32 v2, v2, v8
	s_delay_alu instid0(VALU_DEP_1) | instskip(NEXT) | instid1(VALU_DEP_3)
	v_ldexp_f32 v2, v2, v3
	v_add_f32_e32 v8, -1.0, v9
	s_delay_alu instid0(VALU_DEP_1) | instskip(NEXT) | instid1(VALU_DEP_1)
	v_dual_add_f32 v11, -1.0, v1 :: v_dual_sub_f32 v3, v1, v8
	v_add_f32_e32 v10, v2, v3
	s_delay_alu instid0(VALU_DEP_1) | instskip(NEXT) | instid1(VALU_DEP_1)
	v_dual_add_f32 v8, 1.0, v11 :: v_dual_add_f32 v13, v9, v10
	v_rcp_f32_e32 v14, v13
	s_delay_alu instid0(VALU_DEP_1) | instskip(NEXT) | instid1(VALU_DEP_1)
	v_sub_f32_e32 v1, v1, v8
	v_add_f32_e32 v1, v2, v1
	v_sub_f32_e32 v2, v9, v13
	s_delay_alu instid0(VALU_DEP_1)
	v_dual_add_f32 v3, v11, v1 :: v_dual_add_f32 v16, v10, v2
	s_delay_alu instid0(TRANS32_DEP_1) | instid1(VALU_DEP_1)
	v_mul_f32_e32 v15, v3, v14
	v_sub_f32_e32 v17, v11, v3
	s_delay_alu instid0(VALU_DEP_2) | instskip(NEXT) | instid1(VALU_DEP_2)
	v_mul_f32_e32 v8, v13, v15
	v_add_f32_e32 v1, v1, v17
	s_delay_alu instid0(VALU_DEP_2) | instskip(NEXT) | instid1(VALU_DEP_1)
	v_fma_f32 v10, v15, v13, -v8
	v_fmac_f32_e32 v10, v15, v16
	s_delay_alu instid0(VALU_DEP_1) | instskip(NEXT) | instid1(VALU_DEP_1)
	v_add_f32_e32 v2, v8, v10
	v_dual_sub_f32 v9, v3, v2 :: v_dual_mov_b32 v11, v2
	s_delay_alu instid0(VALU_DEP_1) | instskip(NEXT) | instid1(VALU_DEP_1)
	v_pk_add_f32 v[2:3], v[2:3], v[8:9] neg_lo:[0,1] neg_hi:[0,1]
	v_pk_add_f32 v[2:3], v[2:3], v[10:11] neg_lo:[0,1] neg_hi:[0,1]
	s_delay_alu instid0(VALU_DEP_1) | instskip(NEXT) | instid1(VALU_DEP_1)
	v_add_f32_e32 v1, v1, v3
	v_add_f32_e32 v1, v2, v1
	s_delay_alu instid0(VALU_DEP_1) | instskip(NEXT) | instid1(VALU_DEP_1)
	v_add_f32_e32 v3, v9, v1
	v_mul_f32_e32 v17, v14, v3
	s_delay_alu instid0(VALU_DEP_1) | instskip(NEXT) | instid1(VALU_DEP_1)
	v_mul_f32_e32 v10, v13, v17
	v_fma_f32 v8, v17, v13, -v10
	s_delay_alu instid0(VALU_DEP_1) | instskip(NEXT) | instid1(VALU_DEP_1)
	v_fmac_f32_e32 v8, v17, v16
	v_dual_add_f32 v2, v10, v8 :: v_dual_sub_f32 v13, v9, v3
	s_delay_alu instid0(VALU_DEP_1) | instskip(NEXT) | instid1(VALU_DEP_1)
	v_dual_sub_f32 v11, v3, v2 :: v_dual_mov_b32 v9, v2
	v_pk_add_f32 v[2:3], v[2:3], v[10:11] neg_lo:[0,1] neg_hi:[0,1]
	v_add_f32_e32 v10, v15, v17
	s_delay_alu instid0(VALU_DEP_4) | instskip(NEXT) | instid1(VALU_DEP_3)
	v_add_f32_e32 v1, v1, v13
	v_pk_add_f32 v[2:3], v[2:3], v[8:9] neg_lo:[0,1] neg_hi:[0,1]
	v_cvt_f32_i32_e32 v8, v12
	s_delay_alu instid0(VALU_DEP_2) | instskip(NEXT) | instid1(VALU_DEP_1)
	v_add_f32_e32 v1, v1, v3
	v_add_f32_e32 v1, v2, v1
	v_sub_f32_e32 v2, v10, v15
	s_delay_alu instid0(VALU_DEP_1) | instskip(NEXT) | instid1(VALU_DEP_1)
	v_dual_sub_f32 v2, v17, v2 :: v_dual_add_f32 v1, v11, v1
	v_mul_f32_e32 v1, v14, v1
	s_delay_alu instid0(VALU_DEP_1) | instskip(NEXT) | instid1(VALU_DEP_1)
	v_dual_add_f32 v1, v2, v1 :: v_dual_mov_b32 v2, 0x3f317218
	v_add_f32_e32 v11, v10, v1
	s_delay_alu instid0(VALU_DEP_1) | instskip(NEXT) | instid1(VALU_DEP_1)
	v_mul_f32_e32 v3, v11, v11
	v_fmaak_f32 v13, s14, v3, 0x3ecc95a3
	v_mul_f32_e32 v9, v11, v3
	s_delay_alu instid0(VALU_DEP_2) | instskip(NEXT) | instid1(VALU_DEP_1)
	v_fmaak_f32 v3, v3, v13, 0x3f2aaada
	v_pk_mul_f32 v[2:3], v[8:9], v[2:3]
	s_delay_alu instid0(VALU_DEP_1) | instskip(NEXT) | instid1(VALU_DEP_1)
	v_fma_f32 v12, 0x3f317218, v8, -v2
	v_fmamk_f32 v8, v8, 0xb102e308, v12
	v_sub_f32_e32 v12, v11, v10
	s_delay_alu instid0(VALU_DEP_1) | instskip(SKIP_2) | instid1(VALU_DEP_3)
	v_sub_f32_e32 v1, v1, v12
	v_ldexp_f32 v9, v11, 1
	v_mov_b32_e32 v12, v2
	v_ldexp_f32 v1, v1, 1
	s_delay_alu instid0(VALU_DEP_3) | instskip(NEXT) | instid1(VALU_DEP_1)
	v_pk_add_f32 v[10:11], v[2:3], v[8:9]
	v_dual_sub_f32 v9, v11, v9 :: v_dual_mov_b32 v20, v11
	s_delay_alu instid0(VALU_DEP_1) | instskip(NEXT) | instid1(VALU_DEP_3)
	v_sub_f32_e32 v9, v3, v9
	v_pk_add_f32 v[2:3], v[10:11], v[2:3] neg_lo:[0,1] neg_hi:[0,1]
	s_delay_alu instid0(VALU_DEP_2) | instskip(NEXT) | instid1(VALU_DEP_1)
	v_dual_add_f32 v13, v1, v9 :: v_dual_mov_b32 v9, v10
	v_pk_add_f32 v[14:15], v[10:11], v[12:13]
	s_delay_alu instid0(VALU_DEP_1) | instskip(NEXT) | instid1(VALU_DEP_1)
	v_mov_b32_e32 v3, v15
	v_pk_add_f32 v[16:17], v[8:9], v[2:3]
	v_mov_b32_e32 v16, v15
	v_pk_add_f32 v[2:3], v[8:9], v[2:3] neg_lo:[0,1] neg_hi:[0,1]
	s_delay_alu instid0(VALU_DEP_3) | instskip(NEXT) | instid1(VALU_DEP_1)
	v_dual_mov_b32 v12, v17 :: v_dual_mov_b32 v3, v17
	v_pk_add_f32 v[18:19], v[12:13], v[10:11] neg_lo:[0,1] neg_hi:[0,1]
	v_dual_mov_b32 v11, v10 :: v_dual_mov_b32 v10, v13
	s_delay_alu instid0(VALU_DEP_2) | instskip(NEXT) | instid1(VALU_DEP_1)
	v_dual_mov_b32 v1, v18 :: v_dual_mov_b32 v21, v18
	v_pk_add_f32 v[14:15], v[14:15], v[0:1] neg_lo:[0,1] neg_hi:[0,1]
	s_delay_alu instid0(VALU_DEP_2) | instskip(SKIP_1) | instid1(VALU_DEP_2)
	v_pk_add_f32 v[8:9], v[16:17], v[20:21] neg_lo:[0,1] neg_hi:[0,1]
	v_mov_b32_e32 v14, v2
	v_pk_add_f32 v[8:9], v[10:11], v[8:9] neg_lo:[0,1] neg_hi:[0,1]
	s_delay_alu instid0(VALU_DEP_1) | instskip(NEXT) | instid1(VALU_DEP_1)
	v_pk_add_f32 v[10:11], v[14:15], v[8:9]
	v_mov_b32_e32 v14, v11
	s_delay_alu instid0(VALU_DEP_1) | instskip(NEXT) | instid1(VALU_DEP_1)
	v_pk_add_f32 v[14:15], v[10:11], v[14:15]
	v_pk_add_f32 v[12:13], v[12:13], v[14:15]
	s_delay_alu instid0(VALU_DEP_1) | instskip(NEXT) | instid1(VALU_DEP_1)
	v_mov_b32_e32 v11, v12
	v_pk_add_f32 v[16:17], v[10:11], v[2:3] neg_lo:[0,1] neg_hi:[0,1]
	s_delay_alu instid0(VALU_DEP_1) | instskip(NEXT) | instid1(VALU_DEP_1)
	v_sub_f32_e32 v1, v10, v16
	v_sub_f32_e32 v1, v2, v1
	v_mov_b32_e32 v9, v14
	s_delay_alu instid0(VALU_DEP_1) | instskip(NEXT) | instid1(VALU_DEP_1)
	v_pk_add_f32 v[8:9], v[8:9], v[16:17] neg_lo:[0,1] neg_hi:[0,1]
	v_add_f32_e32 v1, v8, v1
	s_delay_alu instid0(VALU_DEP_1) | instskip(NEXT) | instid1(VALU_DEP_1)
	v_add_f32_e32 v1, v1, v9
	v_add_f32_e32 v1, v12, v1
	s_delay_alu instid0(VALU_DEP_1) | instskip(SKIP_1) | instid1(VALU_DEP_2)
	v_cndmask_b32_e32 v1, 0x7f800000, v1, vcc_lo
	v_cmp_gt_f32_e64 vcc_lo, 0x33800000, |v7|
	v_cndmask_b32_e32 v1, v1, v7, vcc_lo
	s_delay_alu instid0(VALU_DEP_1) | instskip(NEXT) | instid1(VALU_DEP_1)
	v_div_scale_f32 v2, null, s10, s10, v1
	v_rcp_f32_e32 v3, v2
	v_nop
	s_delay_alu instid0(TRANS32_DEP_1) | instskip(NEXT) | instid1(VALU_DEP_1)
	v_fma_f32 v7, -v2, v3, 1.0
	v_fmac_f32_e32 v3, v7, v3
	v_div_scale_f32 v7, vcc_lo, v1, s10, v1
	s_delay_alu instid0(VALU_DEP_1) | instskip(NEXT) | instid1(VALU_DEP_1)
	v_mul_f32_e32 v8, v7, v3
	v_fma_f32 v9, -v2, v8, v7
	s_delay_alu instid0(VALU_DEP_1) | instskip(NEXT) | instid1(VALU_DEP_1)
	v_fmac_f32_e32 v8, v9, v3
	v_fma_f32 v2, -v2, v8, v7
	s_delay_alu instid0(VALU_DEP_1) | instskip(NEXT) | instid1(VALU_DEP_1)
	v_div_fmas_f32 v2, v2, v3, v8
	v_div_fixup_f32 v7, v2, s10, v1
.LBB34_1431:
	s_or_b32 exec_lo, exec_lo, s9
	v_add_nc_u32_e32 v0, s3, v0
	s_cmp_lt_i32 s0, 11
	s_delay_alu instid0(VALU_DEP_1) | instskip(NEXT) | instid1(VALU_DEP_1)
	v_ashrrev_i32_e32 v1, 31, v0
	v_add_nc_u64_e32 v[0:1], s[6:7], v[0:1]
	s_cbranch_scc1 .LBB34_1438
; %bb.1432:
	s_cmp_gt_i32 s0, 25
	s_mov_b32 s6, 0
	s_cbranch_scc0 .LBB34_1439
; %bb.1433:
	s_cmp_gt_i32 s0, 28
	s_cbranch_scc0 .LBB34_1440
; %bb.1434:
	s_cmp_gt_i32 s0, 43
	;; [unrolled: 3-line block ×3, first 2 shown]
	s_cbranch_scc0 .LBB34_1443
; %bb.1436:
	s_cmp_eq_u32 s0, 46
	s_mov_b32 s9, 0
	s_cbranch_scc0 .LBB34_1444
; %bb.1437:
	global_load_b32 v2, v[0:1], off
	s_mov_b32 s3, 0
	s_mov_b32 s7, -1
	s_branch .LBB34_1446
.LBB34_1438:
	s_mov_b32 s3, -1
	s_mov_b32 s7, 0
                                        ; implicit-def: $vgpr2
	s_branch .LBB34_1512
.LBB34_1439:
	s_mov_b32 s9, -1
	s_mov_b32 s7, 0
	s_mov_b32 s3, 0
                                        ; implicit-def: $vgpr2
	s_branch .LBB34_1475
.LBB34_1440:
	s_mov_b32 s9, -1
	s_mov_b32 s7, 0
	s_mov_b32 s3, 0
                                        ; implicit-def: $vgpr2
	s_branch .LBB34_1456
.LBB34_1441:
	s_mov_b32 s9, -1
	s_mov_b32 s7, 0
	s_mov_b32 s3, 0
                                        ; implicit-def: $vgpr2
	s_branch .LBB34_1451
.LBB34_1442:
	s_or_b32 s1, s1, exec_lo
	s_trap 2
	s_cbranch_execz .LBB34_1379
	s_branch .LBB34_1380
.LBB34_1443:
	s_mov_b32 s9, -1
	s_mov_b32 s7, 0
	s_mov_b32 s3, 0
	s_branch .LBB34_1445
.LBB34_1444:
	s_mov_b32 s3, -1
	s_mov_b32 s7, 0
.LBB34_1445:
                                        ; implicit-def: $vgpr2
.LBB34_1446:
	s_and_b32 vcc_lo, exec_lo, s9
	s_cbranch_vccz .LBB34_1450
; %bb.1447:
	s_cmp_eq_u32 s0, 44
	s_cbranch_scc0 .LBB34_1449
; %bb.1448:
	s_wait_loadcnt 0x0
	global_load_u8 v2, v[0:1], off
	s_mov_b32 s3, 0
	s_mov_b32 s7, -1
	s_wait_loadcnt 0x0
	v_lshlrev_b32_e32 v3, 23, v2
	v_cmp_ne_u32_e32 vcc_lo, 0xff, v2
	s_delay_alu instid0(VALU_DEP_2) | instskip(SKIP_1) | instid1(VALU_DEP_2)
	v_cndmask_b32_e32 v3, 0x7f800001, v3, vcc_lo
	v_cmp_ne_u32_e32 vcc_lo, 0, v2
	v_cndmask_b32_e32 v2, 0x400000, v3, vcc_lo
	s_delay_alu instid0(VALU_DEP_1) | instskip(NEXT) | instid1(VALU_DEP_1)
	v_add_nc_u32_e32 v3, 0x7fff, v2
	v_lshrrev_b32_e32 v3, 16, v3
	v_cmp_o_f32_e32 vcc_lo, v2, v2
	s_delay_alu instid0(VALU_DEP_2)
	v_cndmask_b32_e32 v2, 0x7fc0, v3, vcc_lo
	s_branch .LBB34_1450
.LBB34_1449:
	s_mov_b32 s3, -1
                                        ; implicit-def: $vgpr2
.LBB34_1450:
	s_mov_b32 s9, 0
.LBB34_1451:
	s_delay_alu instid0(SALU_CYCLE_1)
	s_and_b32 vcc_lo, exec_lo, s9
	s_cbranch_vccz .LBB34_1455
; %bb.1452:
	s_cmp_eq_u32 s0, 29
	s_cbranch_scc0 .LBB34_1454
; %bb.1453:
	s_wait_loadcnt 0x0
	global_load_b64 v[2:3], v[0:1], off
	s_mov_b32 s3, 0
	s_mov_b32 s7, -1
	s_mov_b32 s9, 0
	s_wait_loadcnt 0x0
	v_clz_i32_u32_e32 v8, v3
	s_delay_alu instid0(VALU_DEP_1) | instskip(NEXT) | instid1(VALU_DEP_1)
	v_min_u32_e32 v8, 32, v8
	v_lshlrev_b64_e32 v[2:3], v8, v[2:3]
	s_delay_alu instid0(VALU_DEP_1) | instskip(NEXT) | instid1(VALU_DEP_1)
	v_min_u32_e32 v2, 1, v2
	v_dual_sub_nc_u32 v3, 32, v8 :: v_dual_bitop2_b32 v2, v3, v2 bitop3:0x54
	s_delay_alu instid0(VALU_DEP_1) | instskip(NEXT) | instid1(VALU_DEP_1)
	v_cvt_f32_u32_e32 v2, v2
	v_ldexp_f32 v2, v2, v3
	s_delay_alu instid0(VALU_DEP_1) | instskip(NEXT) | instid1(VALU_DEP_1)
	v_bfe_u32 v3, v2, 16, 1
	v_add3_u32 v2, v2, v3, 0x7fff
	s_delay_alu instid0(VALU_DEP_1)
	v_lshrrev_b32_e32 v2, 16, v2
	s_branch .LBB34_1456
.LBB34_1454:
	s_mov_b32 s3, -1
                                        ; implicit-def: $vgpr2
.LBB34_1455:
	s_mov_b32 s9, 0
.LBB34_1456:
	s_delay_alu instid0(SALU_CYCLE_1)
	s_and_b32 vcc_lo, exec_lo, s9
	s_cbranch_vccz .LBB34_1474
; %bb.1457:
	s_cmp_lt_i32 s0, 27
	s_cbranch_scc1 .LBB34_1460
; %bb.1458:
	s_cmp_gt_i32 s0, 27
	s_cbranch_scc0 .LBB34_1461
; %bb.1459:
	s_wait_loadcnt 0x0
	global_load_b32 v2, v[0:1], off
	s_mov_b32 s7, 0
	s_wait_loadcnt 0x0
	v_cvt_f32_u32_e32 v2, v2
	s_delay_alu instid0(VALU_DEP_1) | instskip(NEXT) | instid1(VALU_DEP_1)
	v_bfe_u32 v3, v2, 16, 1
	v_add3_u32 v2, v2, v3, 0x7fff
	s_delay_alu instid0(VALU_DEP_1)
	v_lshrrev_b32_e32 v2, 16, v2
	s_branch .LBB34_1462
.LBB34_1460:
	s_mov_b32 s7, -1
                                        ; implicit-def: $vgpr2
	s_branch .LBB34_1465
.LBB34_1461:
	s_mov_b32 s7, -1
                                        ; implicit-def: $vgpr2
.LBB34_1462:
	s_delay_alu instid0(SALU_CYCLE_1)
	s_and_not1_b32 vcc_lo, exec_lo, s7
	s_cbranch_vccnz .LBB34_1464
; %bb.1463:
	s_wait_loadcnt 0x0
	global_load_u16 v2, v[0:1], off
	s_wait_loadcnt 0x0
	v_cvt_f32_u32_e32 v2, v2
	s_delay_alu instid0(VALU_DEP_1) | instskip(NEXT) | instid1(VALU_DEP_1)
	v_bfe_u32 v3, v2, 16, 1
	v_add3_u32 v2, v2, v3, 0x7fff
	s_delay_alu instid0(VALU_DEP_1)
	v_lshrrev_b32_e32 v2, 16, v2
.LBB34_1464:
	s_mov_b32 s7, 0
.LBB34_1465:
	s_delay_alu instid0(SALU_CYCLE_1)
	s_and_not1_b32 vcc_lo, exec_lo, s7
	s_cbranch_vccnz .LBB34_1473
; %bb.1466:
	s_wait_loadcnt 0x0
	global_load_u8 v2, v[0:1], off
	s_mov_b32 s7, 0
	s_mov_b32 s9, exec_lo
	s_wait_loadcnt 0x0
	v_cmpx_lt_i16_e32 0x7f, v2
	s_xor_b32 s9, exec_lo, s9
	s_cbranch_execz .LBB34_1487
; %bb.1467:
	s_mov_b32 s7, -1
	s_mov_b32 s14, exec_lo
	v_cmpx_eq_u16_e32 0x80, v2
; %bb.1468:
	s_xor_b32 s7, exec_lo, -1
; %bb.1469:
	s_or_b32 exec_lo, exec_lo, s14
	s_delay_alu instid0(SALU_CYCLE_1)
	s_and_b32 s7, s7, exec_lo
	s_or_saveexec_b32 s9, s9
	v_mov_b32_e32 v3, 0x7f800001
	s_xor_b32 exec_lo, exec_lo, s9
	s_cbranch_execnz .LBB34_1488
.LBB34_1470:
	s_or_b32 exec_lo, exec_lo, s9
	s_and_saveexec_b32 s9, s7
	s_cbranch_execz .LBB34_1472
.LBB34_1471:
	v_and_b32_e32 v3, 0xffff, v2
	s_delay_alu instid0(VALU_DEP_1) | instskip(SKIP_1) | instid1(VALU_DEP_2)
	v_and_b32_e32 v8, 7, v3
	v_bfe_u32 v11, v3, 3, 4
	v_clz_i32_u32_e32 v9, v8
	s_delay_alu instid0(VALU_DEP_2) | instskip(NEXT) | instid1(VALU_DEP_2)
	v_cmp_eq_u32_e32 vcc_lo, 0, v11
	v_min_u32_e32 v9, 32, v9
	s_delay_alu instid0(VALU_DEP_1) | instskip(NEXT) | instid1(VALU_DEP_1)
	v_subrev_nc_u32_e32 v10, 28, v9
	v_dual_lshlrev_b32 v3, v10, v3 :: v_dual_sub_nc_u32 v9, 29, v9
	s_delay_alu instid0(VALU_DEP_1) | instskip(NEXT) | instid1(VALU_DEP_1)
	v_dual_lshlrev_b32 v2, 24, v2 :: v_dual_bitop2_b32 v3, 7, v3 bitop3:0x40
	v_dual_cndmask_b32 v9, v11, v9, vcc_lo :: v_dual_cndmask_b32 v3, v8, v3, vcc_lo
	s_delay_alu instid0(VALU_DEP_2) | instskip(NEXT) | instid1(VALU_DEP_2)
	v_and_b32_e32 v2, 0x80000000, v2
	v_lshl_add_u32 v8, v9, 23, 0x3b800000
	s_delay_alu instid0(VALU_DEP_3) | instskip(NEXT) | instid1(VALU_DEP_1)
	v_lshlrev_b32_e32 v3, 20, v3
	v_or3_b32 v3, v2, v8, v3
.LBB34_1472:
	s_or_b32 exec_lo, exec_lo, s9
	s_delay_alu instid0(VALU_DEP_1) | instskip(SKIP_1) | instid1(VALU_DEP_2)
	v_bfe_u32 v2, v3, 16, 1
	v_cmp_o_f32_e32 vcc_lo, v3, v3
	v_add3_u32 v2, v3, v2, 0x7fff
	s_delay_alu instid0(VALU_DEP_1) | instskip(NEXT) | instid1(VALU_DEP_1)
	v_lshrrev_b32_e32 v2, 16, v2
	v_cndmask_b32_e32 v2, 0x7fc0, v2, vcc_lo
.LBB34_1473:
	s_mov_b32 s7, -1
.LBB34_1474:
	s_mov_b32 s9, 0
.LBB34_1475:
	s_delay_alu instid0(SALU_CYCLE_1)
	s_and_b32 vcc_lo, exec_lo, s9
	s_cbranch_vccz .LBB34_1508
; %bb.1476:
	s_cmp_gt_i32 s0, 22
	s_cbranch_scc0 .LBB34_1486
; %bb.1477:
	s_cmp_lt_i32 s0, 24
	s_cbranch_scc1 .LBB34_1489
; %bb.1478:
	s_cmp_gt_i32 s0, 24
	s_cbranch_scc0 .LBB34_1490
; %bb.1479:
	s_wait_loadcnt 0x0
	global_load_u8 v2, v[0:1], off
	s_mov_b32 s7, exec_lo
	s_wait_loadcnt 0x0
	v_cmpx_lt_i16_e32 0x7f, v2
	s_xor_b32 s7, exec_lo, s7
	s_cbranch_execz .LBB34_1502
; %bb.1480:
	s_mov_b32 s6, -1
	s_mov_b32 s9, exec_lo
	v_cmpx_eq_u16_e32 0x80, v2
; %bb.1481:
	s_xor_b32 s6, exec_lo, -1
; %bb.1482:
	s_or_b32 exec_lo, exec_lo, s9
	s_delay_alu instid0(SALU_CYCLE_1)
	s_and_b32 s6, s6, exec_lo
	s_or_saveexec_b32 s7, s7
	v_mov_b32_e32 v3, 0x7f800001
	s_xor_b32 exec_lo, exec_lo, s7
	s_cbranch_execnz .LBB34_1503
.LBB34_1483:
	s_or_b32 exec_lo, exec_lo, s7
	s_and_saveexec_b32 s7, s6
	s_cbranch_execz .LBB34_1485
.LBB34_1484:
	v_and_b32_e32 v3, 0xffff, v2
	s_delay_alu instid0(VALU_DEP_1) | instskip(SKIP_1) | instid1(VALU_DEP_2)
	v_and_b32_e32 v8, 3, v3
	v_bfe_u32 v11, v3, 2, 5
	v_clz_i32_u32_e32 v9, v8
	s_delay_alu instid0(VALU_DEP_2) | instskip(NEXT) | instid1(VALU_DEP_2)
	v_cmp_eq_u32_e32 vcc_lo, 0, v11
	v_min_u32_e32 v9, 32, v9
	s_delay_alu instid0(VALU_DEP_1) | instskip(NEXT) | instid1(VALU_DEP_1)
	v_subrev_nc_u32_e32 v10, 29, v9
	v_dual_lshlrev_b32 v3, v10, v3 :: v_dual_sub_nc_u32 v9, 30, v9
	s_delay_alu instid0(VALU_DEP_1) | instskip(NEXT) | instid1(VALU_DEP_1)
	v_dual_lshlrev_b32 v2, 24, v2 :: v_dual_bitop2_b32 v3, 3, v3 bitop3:0x40
	v_dual_cndmask_b32 v9, v11, v9, vcc_lo :: v_dual_cndmask_b32 v3, v8, v3, vcc_lo
	s_delay_alu instid0(VALU_DEP_2) | instskip(NEXT) | instid1(VALU_DEP_2)
	v_and_b32_e32 v2, 0x80000000, v2
	v_lshl_add_u32 v8, v9, 23, 0x37800000
	s_delay_alu instid0(VALU_DEP_3) | instskip(NEXT) | instid1(VALU_DEP_1)
	v_lshlrev_b32_e32 v3, 21, v3
	v_or3_b32 v3, v2, v8, v3
.LBB34_1485:
	s_or_b32 exec_lo, exec_lo, s7
	s_delay_alu instid0(VALU_DEP_1) | instskip(SKIP_2) | instid1(VALU_DEP_2)
	v_bfe_u32 v2, v3, 16, 1
	v_cmp_o_f32_e32 vcc_lo, v3, v3
	s_mov_b32 s6, 0
	v_add3_u32 v2, v3, v2, 0x7fff
	s_delay_alu instid0(VALU_DEP_1) | instskip(NEXT) | instid1(VALU_DEP_1)
	v_lshrrev_b32_e32 v2, 16, v2
	v_cndmask_b32_e32 v2, 0x7fc0, v2, vcc_lo
	s_branch .LBB34_1491
.LBB34_1486:
	s_mov_b32 s6, -1
                                        ; implicit-def: $vgpr2
	s_branch .LBB34_1497
.LBB34_1487:
	s_or_saveexec_b32 s9, s9
	v_mov_b32_e32 v3, 0x7f800001
	s_xor_b32 exec_lo, exec_lo, s9
	s_cbranch_execz .LBB34_1470
.LBB34_1488:
	v_cmp_ne_u16_e32 vcc_lo, 0, v2
	v_mov_b32_e32 v3, 0
	s_and_not1_b32 s7, s7, exec_lo
	s_and_b32 s14, vcc_lo, exec_lo
	s_delay_alu instid0(SALU_CYCLE_1)
	s_or_b32 s7, s7, s14
	s_or_b32 exec_lo, exec_lo, s9
	s_and_saveexec_b32 s9, s7
	s_cbranch_execnz .LBB34_1471
	s_branch .LBB34_1472
.LBB34_1489:
	s_mov_b32 s6, -1
                                        ; implicit-def: $vgpr2
	s_branch .LBB34_1494
.LBB34_1490:
	s_mov_b32 s6, -1
                                        ; implicit-def: $vgpr2
.LBB34_1491:
	s_delay_alu instid0(SALU_CYCLE_1)
	s_and_b32 vcc_lo, exec_lo, s6
	s_cbranch_vccz .LBB34_1493
; %bb.1492:
	s_wait_loadcnt 0x0
	global_load_u8 v2, v[0:1], off
	s_wait_loadcnt 0x0
	v_lshlrev_b32_e32 v2, 24, v2
	s_delay_alu instid0(VALU_DEP_1) | instskip(NEXT) | instid1(VALU_DEP_1)
	v_and_b32_e32 v3, 0x7f000000, v2
	v_clz_i32_u32_e32 v8, v3
	v_cmp_ne_u32_e32 vcc_lo, 0, v3
	v_add_nc_u32_e32 v10, 0x1000000, v3
	s_delay_alu instid0(VALU_DEP_3) | instskip(NEXT) | instid1(VALU_DEP_1)
	v_min_u32_e32 v8, 32, v8
	v_sub_nc_u32_e64 v8, v8, 4 clamp
	s_delay_alu instid0(VALU_DEP_1) | instskip(NEXT) | instid1(VALU_DEP_1)
	v_dual_lshlrev_b32 v9, v8, v3 :: v_dual_lshlrev_b32 v8, 23, v8
	v_lshrrev_b32_e32 v9, 4, v9
	s_delay_alu instid0(VALU_DEP_1) | instskip(NEXT) | instid1(VALU_DEP_1)
	v_dual_sub_nc_u32 v8, v9, v8 :: v_dual_ashrrev_i32 v9, 8, v10
	v_add_nc_u32_e32 v8, 0x3c000000, v8
	s_delay_alu instid0(VALU_DEP_1) | instskip(NEXT) | instid1(VALU_DEP_1)
	v_and_or_b32 v8, 0x7f800000, v9, v8
	v_cndmask_b32_e32 v3, 0, v8, vcc_lo
	s_delay_alu instid0(VALU_DEP_1) | instskip(SKIP_1) | instid1(VALU_DEP_2)
	v_and_or_b32 v2, 0x80000000, v2, v3
	v_bfe_u32 v3, v3, 16, 1
	v_cmp_o_f32_e32 vcc_lo, v2, v2
	s_delay_alu instid0(VALU_DEP_2) | instskip(NEXT) | instid1(VALU_DEP_1)
	v_add3_u32 v3, v2, v3, 0x7fff
	v_lshrrev_b32_e32 v3, 16, v3
	s_delay_alu instid0(VALU_DEP_1)
	v_cndmask_b32_e32 v2, 0x7fc0, v3, vcc_lo
.LBB34_1493:
	s_mov_b32 s6, 0
.LBB34_1494:
	s_delay_alu instid0(SALU_CYCLE_1)
	s_and_not1_b32 vcc_lo, exec_lo, s6
	s_cbranch_vccnz .LBB34_1496
; %bb.1495:
	s_wait_loadcnt 0x0
	global_load_u8 v2, v[0:1], off
	s_wait_loadcnt 0x0
	v_lshlrev_b32_e32 v3, 25, v2
	v_lshlrev_b16 v2, 8, v2
	s_delay_alu instid0(VALU_DEP_1) | instskip(SKIP_1) | instid1(VALU_DEP_2)
	v_and_or_b32 v9, 0x7f00, v2, 0.5
	v_bfe_i32 v2, v2, 0, 16
	v_dual_add_f32 v9, -0.5, v9 :: v_dual_lshrrev_b32 v8, 4, v3
	v_cmp_gt_u32_e32 vcc_lo, 0x8000000, v3
	s_delay_alu instid0(VALU_DEP_2) | instskip(NEXT) | instid1(VALU_DEP_1)
	v_or_b32_e32 v8, 0x70000000, v8
	v_mul_f32_e32 v8, 0x7800000, v8
	s_delay_alu instid0(VALU_DEP_1) | instskip(NEXT) | instid1(VALU_DEP_1)
	v_cndmask_b32_e32 v3, v8, v9, vcc_lo
	v_and_or_b32 v2, 0x80000000, v2, v3
	v_bfe_u32 v3, v3, 16, 1
	s_delay_alu instid0(VALU_DEP_2) | instskip(NEXT) | instid1(VALU_DEP_2)
	v_cmp_o_f32_e32 vcc_lo, v2, v2
	v_add3_u32 v3, v2, v3, 0x7fff
	s_delay_alu instid0(VALU_DEP_1) | instskip(NEXT) | instid1(VALU_DEP_1)
	v_lshrrev_b32_e32 v3, 16, v3
	v_cndmask_b32_e32 v2, 0x7fc0, v3, vcc_lo
.LBB34_1496:
	s_mov_b32 s6, 0
	s_mov_b32 s7, -1
.LBB34_1497:
	s_and_not1_b32 vcc_lo, exec_lo, s6
	s_mov_b32 s6, 0
	s_cbranch_vccnz .LBB34_1508
; %bb.1498:
	s_cmp_gt_i32 s0, 14
	s_cbranch_scc0 .LBB34_1501
; %bb.1499:
	s_cmp_eq_u32 s0, 15
	s_cbranch_scc0 .LBB34_1504
; %bb.1500:
	s_wait_loadcnt 0x0
	global_load_u16 v2, v[0:1], off
	s_mov_b32 s3, 0
	s_mov_b32 s7, -1
	s_branch .LBB34_1506
.LBB34_1501:
	s_mov_b32 s6, -1
	s_branch .LBB34_1505
.LBB34_1502:
	s_or_saveexec_b32 s7, s7
	v_mov_b32_e32 v3, 0x7f800001
	s_xor_b32 exec_lo, exec_lo, s7
	s_cbranch_execz .LBB34_1483
.LBB34_1503:
	v_cmp_ne_u16_e32 vcc_lo, 0, v2
	v_mov_b32_e32 v3, 0
	s_and_not1_b32 s6, s6, exec_lo
	s_and_b32 s9, vcc_lo, exec_lo
	s_delay_alu instid0(SALU_CYCLE_1)
	s_or_b32 s6, s6, s9
	s_or_b32 exec_lo, exec_lo, s7
	s_and_saveexec_b32 s7, s6
	s_cbranch_execnz .LBB34_1484
	s_branch .LBB34_1485
.LBB34_1504:
	s_mov_b32 s3, -1
.LBB34_1505:
                                        ; implicit-def: $vgpr2
.LBB34_1506:
	s_and_b32 vcc_lo, exec_lo, s6
	s_mov_b32 s6, 0
	s_cbranch_vccz .LBB34_1508
; %bb.1507:
	s_cmp_lg_u32 s0, 11
	s_mov_b32 s6, -1
	s_cselect_b32 s3, -1, 0
.LBB34_1508:
	s_delay_alu instid0(SALU_CYCLE_1)
	s_and_b32 vcc_lo, exec_lo, s3
	s_cbranch_vccnz .LBB34_2043
; %bb.1509:
	s_and_not1_b32 vcc_lo, exec_lo, s6
	s_cbranch_vccnz .LBB34_1511
.LBB34_1510:
	s_wait_loadcnt 0x0
	global_load_u8 v2, v[0:1], off
	s_mov_b32 s7, -1
	s_wait_loadcnt 0x0
	v_cmp_ne_u16_e32 vcc_lo, 0, v2
	v_cndmask_b32_e64 v2, 0, 1.0, vcc_lo
	s_delay_alu instid0(VALU_DEP_1)
	v_lshrrev_b32_e32 v2, 16, v2
.LBB34_1511:
	s_mov_b32 s3, 0
.LBB34_1512:
	s_delay_alu instid0(SALU_CYCLE_1)
	s_and_b32 vcc_lo, exec_lo, s3
	s_cbranch_vccz .LBB34_1561
; %bb.1513:
	s_cmp_lt_i32 s0, 5
	s_cbranch_scc1 .LBB34_1518
; %bb.1514:
	s_cmp_lt_i32 s0, 8
	s_cbranch_scc1 .LBB34_1519
	;; [unrolled: 3-line block ×3, first 2 shown]
; %bb.1516:
	s_cmp_gt_i32 s0, 9
	s_cbranch_scc0 .LBB34_1521
; %bb.1517:
	s_wait_loadcnt 0x0
	global_load_b64 v[2:3], v[0:1], off
	s_mov_b32 s3, 0
	s_wait_loadcnt 0x0
	v_cvt_f32_f64_e32 v2, v[2:3]
	s_delay_alu instid0(VALU_DEP_1) | instskip(SKIP_1) | instid1(VALU_DEP_2)
	v_bfe_u32 v3, v2, 16, 1
	v_cmp_o_f32_e32 vcc_lo, v2, v2
	v_add3_u32 v3, v2, v3, 0x7fff
	s_delay_alu instid0(VALU_DEP_1) | instskip(NEXT) | instid1(VALU_DEP_1)
	v_lshrrev_b32_e32 v3, 16, v3
	v_cndmask_b32_e32 v2, 0x7fc0, v3, vcc_lo
	s_branch .LBB34_1522
.LBB34_1518:
	s_mov_b32 s3, -1
                                        ; implicit-def: $vgpr2
	s_branch .LBB34_1540
.LBB34_1519:
	s_mov_b32 s3, -1
                                        ; implicit-def: $vgpr2
	s_branch .LBB34_1528
.LBB34_1520:
	s_mov_b32 s3, -1
                                        ; implicit-def: $vgpr2
	s_branch .LBB34_1525
.LBB34_1521:
	s_mov_b32 s3, -1
                                        ; implicit-def: $vgpr2
.LBB34_1522:
	s_delay_alu instid0(SALU_CYCLE_1)
	s_and_not1_b32 vcc_lo, exec_lo, s3
	s_cbranch_vccnz .LBB34_1524
; %bb.1523:
	s_wait_loadcnt 0x0
	global_load_b32 v2, v[0:1], off
	s_wait_loadcnt 0x0
	v_bfe_u32 v3, v2, 16, 1
	v_cmp_o_f32_e32 vcc_lo, v2, v2
	s_delay_alu instid0(VALU_DEP_2) | instskip(NEXT) | instid1(VALU_DEP_1)
	v_add3_u32 v3, v2, v3, 0x7fff
	v_lshrrev_b32_e32 v3, 16, v3
	s_delay_alu instid0(VALU_DEP_1)
	v_cndmask_b32_e32 v2, 0x7fc0, v3, vcc_lo
.LBB34_1524:
	s_mov_b32 s3, 0
.LBB34_1525:
	s_delay_alu instid0(SALU_CYCLE_1)
	s_and_not1_b32 vcc_lo, exec_lo, s3
	s_cbranch_vccnz .LBB34_1527
; %bb.1526:
	s_wait_loadcnt 0x0
	global_load_b32 v2, v[0:1], off
	s_wait_loadcnt 0x0
	v_cvt_f32_f16_e32 v3, v2
	v_cmp_o_f16_e32 vcc_lo, v2, v2
	s_delay_alu instid0(VALU_DEP_2) | instskip(NEXT) | instid1(VALU_DEP_1)
	v_bfe_u32 v8, v3, 16, 1
	v_add3_u32 v3, v3, v8, 0x7fff
	s_delay_alu instid0(VALU_DEP_1) | instskip(NEXT) | instid1(VALU_DEP_1)
	v_lshrrev_b32_e32 v3, 16, v3
	v_cndmask_b32_e32 v2, 0x7fc0, v3, vcc_lo
.LBB34_1527:
	s_mov_b32 s3, 0
.LBB34_1528:
	s_delay_alu instid0(SALU_CYCLE_1)
	s_and_not1_b32 vcc_lo, exec_lo, s3
	s_cbranch_vccnz .LBB34_1539
; %bb.1529:
	s_cmp_lt_i32 s0, 6
	s_cbranch_scc1 .LBB34_1532
; %bb.1530:
	s_cmp_gt_i32 s0, 6
	s_cbranch_scc0 .LBB34_1533
; %bb.1531:
	s_wait_loadcnt 0x0
	global_load_b64 v[2:3], v[0:1], off
	s_mov_b32 s3, 0
	s_wait_loadcnt 0x0
	v_cvt_f32_f64_e32 v2, v[2:3]
	s_delay_alu instid0(VALU_DEP_1) | instskip(SKIP_1) | instid1(VALU_DEP_2)
	v_bfe_u32 v3, v2, 16, 1
	v_cmp_o_f32_e32 vcc_lo, v2, v2
	v_add3_u32 v3, v2, v3, 0x7fff
	s_delay_alu instid0(VALU_DEP_1) | instskip(NEXT) | instid1(VALU_DEP_1)
	v_lshrrev_b32_e32 v3, 16, v3
	v_cndmask_b32_e32 v2, 0x7fc0, v3, vcc_lo
	s_branch .LBB34_1534
.LBB34_1532:
	s_mov_b32 s3, -1
                                        ; implicit-def: $vgpr2
	s_branch .LBB34_1537
.LBB34_1533:
	s_mov_b32 s3, -1
                                        ; implicit-def: $vgpr2
.LBB34_1534:
	s_delay_alu instid0(SALU_CYCLE_1)
	s_and_not1_b32 vcc_lo, exec_lo, s3
	s_cbranch_vccnz .LBB34_1536
; %bb.1535:
	s_wait_loadcnt 0x0
	global_load_b32 v2, v[0:1], off
	s_wait_loadcnt 0x0
	v_bfe_u32 v3, v2, 16, 1
	v_cmp_o_f32_e32 vcc_lo, v2, v2
	s_delay_alu instid0(VALU_DEP_2) | instskip(NEXT) | instid1(VALU_DEP_1)
	v_add3_u32 v3, v2, v3, 0x7fff
	v_lshrrev_b32_e32 v3, 16, v3
	s_delay_alu instid0(VALU_DEP_1)
	v_cndmask_b32_e32 v2, 0x7fc0, v3, vcc_lo
.LBB34_1536:
	s_mov_b32 s3, 0
.LBB34_1537:
	s_delay_alu instid0(SALU_CYCLE_1)
	s_and_not1_b32 vcc_lo, exec_lo, s3
	s_cbranch_vccnz .LBB34_1539
; %bb.1538:
	s_wait_loadcnt 0x0
	global_load_u16 v2, v[0:1], off
	s_wait_loadcnt 0x0
	v_cvt_f32_f16_e32 v3, v2
	v_cmp_o_f16_e32 vcc_lo, v2, v2
	s_delay_alu instid0(VALU_DEP_2) | instskip(NEXT) | instid1(VALU_DEP_1)
	v_bfe_u32 v8, v3, 16, 1
	v_add3_u32 v3, v3, v8, 0x7fff
	s_delay_alu instid0(VALU_DEP_1) | instskip(NEXT) | instid1(VALU_DEP_1)
	v_lshrrev_b32_e32 v3, 16, v3
	v_cndmask_b32_e32 v2, 0x7fc0, v3, vcc_lo
.LBB34_1539:
	s_mov_b32 s3, 0
.LBB34_1540:
	s_delay_alu instid0(SALU_CYCLE_1)
	s_and_not1_b32 vcc_lo, exec_lo, s3
	s_cbranch_vccnz .LBB34_1560
; %bb.1541:
	s_cmp_lt_i32 s0, 2
	s_cbranch_scc1 .LBB34_1545
; %bb.1542:
	s_cmp_lt_i32 s0, 3
	s_cbranch_scc1 .LBB34_1546
; %bb.1543:
	s_cmp_gt_i32 s0, 3
	s_cbranch_scc0 .LBB34_1547
; %bb.1544:
	s_wait_loadcnt 0x0
	global_load_b64 v[2:3], v[0:1], off
	s_mov_b32 s3, 0
	s_wait_loadcnt 0x0
	v_xor_b32_e32 v8, v2, v3
	v_cls_i32_e32 v9, v3
	s_delay_alu instid0(VALU_DEP_2) | instskip(NEXT) | instid1(VALU_DEP_1)
	v_ashrrev_i32_e32 v8, 31, v8
	v_add_nc_u32_e32 v8, 32, v8
	s_delay_alu instid0(VALU_DEP_1) | instskip(NEXT) | instid1(VALU_DEP_1)
	v_add_min_u32_e64 v8, v9, -1, v8
	v_lshlrev_b64_e32 v[2:3], v8, v[2:3]
	s_delay_alu instid0(VALU_DEP_1) | instskip(NEXT) | instid1(VALU_DEP_1)
	v_min_u32_e32 v2, 1, v2
	v_dual_sub_nc_u32 v3, 32, v8 :: v_dual_bitop2_b32 v2, v3, v2 bitop3:0x54
	s_delay_alu instid0(VALU_DEP_1) | instskip(NEXT) | instid1(VALU_DEP_1)
	v_cvt_f32_i32_e32 v2, v2
	v_ldexp_f32 v2, v2, v3
	s_delay_alu instid0(VALU_DEP_1) | instskip(NEXT) | instid1(VALU_DEP_1)
	v_bfe_u32 v3, v2, 16, 1
	v_add3_u32 v2, v2, v3, 0x7fff
	s_delay_alu instid0(VALU_DEP_1)
	v_lshrrev_b32_e32 v2, 16, v2
	s_branch .LBB34_1548
.LBB34_1545:
	s_mov_b32 s3, -1
                                        ; implicit-def: $vgpr2
	s_branch .LBB34_1554
.LBB34_1546:
	s_mov_b32 s3, -1
                                        ; implicit-def: $vgpr2
	s_branch .LBB34_1551
.LBB34_1547:
	s_mov_b32 s3, -1
                                        ; implicit-def: $vgpr2
.LBB34_1548:
	s_delay_alu instid0(SALU_CYCLE_1)
	s_and_not1_b32 vcc_lo, exec_lo, s3
	s_cbranch_vccnz .LBB34_1550
; %bb.1549:
	s_wait_loadcnt 0x0
	global_load_b32 v2, v[0:1], off
	s_wait_loadcnt 0x0
	v_cvt_f32_i32_e32 v2, v2
	s_delay_alu instid0(VALU_DEP_1) | instskip(NEXT) | instid1(VALU_DEP_1)
	v_bfe_u32 v3, v2, 16, 1
	v_add3_u32 v2, v2, v3, 0x7fff
	s_delay_alu instid0(VALU_DEP_1)
	v_lshrrev_b32_e32 v2, 16, v2
.LBB34_1550:
	s_mov_b32 s3, 0
.LBB34_1551:
	s_delay_alu instid0(SALU_CYCLE_1)
	s_and_not1_b32 vcc_lo, exec_lo, s3
	s_cbranch_vccnz .LBB34_1553
; %bb.1552:
	s_wait_loadcnt 0x0
	global_load_i16 v2, v[0:1], off
	s_wait_loadcnt 0x0
	v_cvt_f32_i32_e32 v2, v2
	s_delay_alu instid0(VALU_DEP_1) | instskip(NEXT) | instid1(VALU_DEP_1)
	v_bfe_u32 v3, v2, 16, 1
	v_add3_u32 v2, v2, v3, 0x7fff
	s_delay_alu instid0(VALU_DEP_1)
	v_lshrrev_b32_e32 v2, 16, v2
.LBB34_1553:
	s_mov_b32 s3, 0
.LBB34_1554:
	s_delay_alu instid0(SALU_CYCLE_1)
	s_and_not1_b32 vcc_lo, exec_lo, s3
	s_cbranch_vccnz .LBB34_1560
; %bb.1555:
	s_cmp_gt_i32 s0, 0
	s_mov_b32 s0, 0
	s_cbranch_scc0 .LBB34_1557
; %bb.1556:
	s_wait_loadcnt 0x0
	global_load_i8 v2, v[0:1], off
	s_wait_loadcnt 0x0
	v_cvt_f32_i32_e32 v2, v2
	s_delay_alu instid0(VALU_DEP_1) | instskip(NEXT) | instid1(VALU_DEP_1)
	v_bfe_u32 v3, v2, 16, 1
	v_add3_u32 v2, v2, v3, 0x7fff
	s_delay_alu instid0(VALU_DEP_1)
	v_lshrrev_b32_e32 v2, 16, v2
	s_branch .LBB34_1558
.LBB34_1557:
	s_mov_b32 s0, -1
                                        ; implicit-def: $vgpr2
.LBB34_1558:
	s_delay_alu instid0(SALU_CYCLE_1)
	s_and_not1_b32 vcc_lo, exec_lo, s0
	s_cbranch_vccnz .LBB34_1560
; %bb.1559:
	global_load_u8 v0, v[0:1], off
	s_wait_loadcnt 0x0
	v_cvt_f32_ubyte0_e32 v0, v0
	s_delay_alu instid0(VALU_DEP_1) | instskip(NEXT) | instid1(VALU_DEP_1)
	v_bfe_u32 v1, v0, 16, 1
	v_add3_u32 v0, v0, v1, 0x7fff
	s_delay_alu instid0(VALU_DEP_1)
	v_lshrrev_b32_e32 v2, 16, v0
.LBB34_1560:
	s_mov_b32 s7, -1
.LBB34_1561:
	s_delay_alu instid0(SALU_CYCLE_1)
	s_and_not1_b32 vcc_lo, exec_lo, s7
	s_cbranch_vccnz .LBB34_1997
; %bb.1562:
	s_wait_loadcnt 0x0
	v_lshlrev_b32_e32 v8, 16, v2
	s_mov_b32 s0, exec_lo
	s_wait_xcnt 0x0
	s_delay_alu instid0(VALU_DEP_1) | instskip(NEXT) | instid1(VALU_DEP_1)
	v_mul_f32_e32 v0, s10, v8
	v_cmpx_nlt_f32_e32 s11, v0
	s_cbranch_execz .LBB34_1564
; %bb.1563:
	v_mul_f32_e32 v1, 0x3fb8aa3b, v0
	v_cmp_ngt_f32_e32 vcc_lo, 0xc2ce8ed0, v0
	s_mov_b32 s3, 0x3e9b6dac
	s_delay_alu instid0(VALU_DEP_2) | instskip(SKIP_1) | instid1(VALU_DEP_2)
	v_rndne_f32_e32 v2, v1
	v_fma_f32 v3, 0x3fb8aa3b, v0, -v1
	v_sub_f32_e32 v1, v1, v2
	s_delay_alu instid0(VALU_DEP_2) | instskip(SKIP_1) | instid1(VALU_DEP_2)
	v_fmamk_f32 v3, v0, 0x32a5705f, v3
	v_cvt_i32_f32_e32 v2, v2
	v_add_f32_e32 v1, v1, v3
	s_delay_alu instid0(VALU_DEP_1) | instskip(SKIP_1) | instid1(TRANS32_DEP_1)
	v_exp_f32_e32 v1, v1
	v_nop
	v_ldexp_f32 v1, v1, v2
	s_delay_alu instid0(VALU_DEP_1) | instskip(SKIP_1) | instid1(VALU_DEP_2)
	v_cndmask_b32_e32 v1, 0, v1, vcc_lo
	v_cmp_nlt_f32_e32 vcc_lo, 0x42b17218, v0
	v_cndmask_b32_e32 v20, 0x7f800000, v1, vcc_lo
	s_delay_alu instid0(VALU_DEP_1) | instskip(NEXT) | instid1(VALU_DEP_1)
	v_add_f32_e32 v2, 1.0, v20
	v_cvt_f64_f32_e32 v[0:1], v2
	s_delay_alu instid0(VALU_DEP_1) | instskip(SKIP_1) | instid1(VALU_DEP_1)
	v_frexp_exp_i32_f64_e32 v0, v[0:1]
	v_frexp_mant_f32_e32 v1, v2
	v_cmp_gt_f32_e32 vcc_lo, 0x3f2aaaab, v1
	s_delay_alu instid0(VALU_DEP_3) | instskip(SKIP_1) | instid1(VALU_DEP_2)
	v_subrev_co_ci_u32_e64 v10, null, 0, v0, vcc_lo
	v_add_f32_e32 v0, -1.0, v2
	v_sub_nc_u32_e32 v1, 0, v10
	v_cmp_neq_f32_e32 vcc_lo, 0x7f800000, v20
	s_delay_alu instid0(VALU_DEP_3) | instskip(SKIP_1) | instid1(VALU_DEP_4)
	v_sub_f32_e32 v3, v0, v2
	v_sub_f32_e32 v0, v20, v0
	v_ldexp_f32 v2, v2, v1
	s_delay_alu instid0(VALU_DEP_1) | instskip(NEXT) | instid1(VALU_DEP_1)
	v_dual_add_f32 v3, 1.0, v3 :: v_dual_add_f32 v9, -1.0, v2
	v_dual_add_f32 v8, 1.0, v2 :: v_dual_add_f32 v0, v0, v3
	s_delay_alu instid0(VALU_DEP_1) | instskip(NEXT) | instid1(VALU_DEP_2)
	v_add_f32_e32 v3, -1.0, v8
	v_ldexp_f32 v0, v0, v1
	s_delay_alu instid0(VALU_DEP_2) | instskip(NEXT) | instid1(VALU_DEP_1)
	v_dual_sub_f32 v1, v2, v3 :: v_dual_add_f32 v3, 1.0, v9
	v_dual_add_f32 v11, v0, v1 :: v_dual_sub_f32 v1, v2, v3
	s_delay_alu instid0(VALU_DEP_1) | instskip(NEXT) | instid1(VALU_DEP_1)
	v_add_f32_e32 v13, v0, v1
	v_dual_add_f32 v12, v8, v11 :: v_dual_add_f32 v1, v9, v13
	s_delay_alu instid0(VALU_DEP_1) | instskip(NEXT) | instid1(VALU_DEP_1)
	v_rcp_f32_e32 v14, v12
	v_sub_f32_e32 v16, v9, v1
	s_delay_alu instid0(TRANS32_DEP_1) | instskip(NEXT) | instid1(VALU_DEP_1)
	v_mul_f32_e32 v15, v1, v14
	v_mul_f32_e32 v2, v12, v15
	s_delay_alu instid0(VALU_DEP_1) | instskip(NEXT) | instid1(VALU_DEP_1)
	v_dual_sub_f32 v0, v8, v12 :: v_dual_fma_f32 v8, v15, v12, -v2
	v_add_f32_e32 v11, v11, v0
	s_delay_alu instid0(VALU_DEP_1) | instskip(NEXT) | instid1(VALU_DEP_1)
	v_fmac_f32_e32 v8, v15, v11
	v_add_f32_e32 v0, v2, v8
	s_delay_alu instid0(VALU_DEP_1) | instskip(NEXT) | instid1(VALU_DEP_1)
	v_dual_sub_f32 v3, v1, v0 :: v_dual_mov_b32 v9, v0
	v_pk_add_f32 v[0:1], v[0:1], v[2:3] neg_lo:[0,1] neg_hi:[0,1]
	v_add_f32_e32 v2, v13, v16
	s_delay_alu instid0(VALU_DEP_2) | instskip(NEXT) | instid1(VALU_DEP_1)
	v_pk_add_f32 v[0:1], v[0:1], v[8:9] neg_lo:[0,1] neg_hi:[0,1]
	v_add_f32_e32 v1, v2, v1
	s_delay_alu instid0(VALU_DEP_1) | instskip(NEXT) | instid1(VALU_DEP_1)
	v_add_f32_e32 v13, v0, v1
	v_add_f32_e32 v1, v3, v13
	s_delay_alu instid0(VALU_DEP_1) | instskip(NEXT) | instid1(VALU_DEP_1)
	v_mul_f32_e32 v16, v14, v1
	v_mul_f32_e32 v8, v12, v16
	s_delay_alu instid0(VALU_DEP_1) | instskip(NEXT) | instid1(VALU_DEP_1)
	v_fma_f32 v2, v16, v12, -v8
	v_dual_fmac_f32 v2, v16, v11 :: v_dual_sub_f32 v11, v3, v1
	s_delay_alu instid0(VALU_DEP_1) | instskip(NEXT) | instid1(VALU_DEP_1)
	v_add_f32_e32 v0, v8, v2
	v_dual_sub_f32 v9, v1, v0 :: v_dual_mov_b32 v3, v0
	s_delay_alu instid0(VALU_DEP_1) | instskip(NEXT) | instid1(VALU_DEP_4)
	v_pk_add_f32 v[0:1], v[0:1], v[8:9] neg_lo:[0,1] neg_hi:[0,1]
	v_add_f32_e32 v8, v13, v11
	s_delay_alu instid0(VALU_DEP_2) | instskip(SKIP_1) | instid1(VALU_DEP_2)
	v_pk_add_f32 v[0:1], v[0:1], v[2:3] neg_lo:[0,1] neg_hi:[0,1]
	v_cvt_f32_i32_e32 v2, v10
	v_dual_add_f32 v1, v8, v1 :: v_dual_add_f32 v8, v15, v16
	s_delay_alu instid0(VALU_DEP_1) | instskip(NEXT) | instid1(VALU_DEP_1)
	v_add_f32_e32 v0, v0, v1
	v_dual_sub_f32 v1, v8, v15 :: v_dual_add_f32 v0, v9, v0
	s_delay_alu instid0(VALU_DEP_1) | instskip(NEXT) | instid1(VALU_DEP_1)
	v_dual_sub_f32 v1, v16, v1 :: v_dual_mul_f32 v0, v14, v0
	v_dual_add_f32 v11, v1, v0 :: v_dual_mov_b32 v0, 0x3f317218
	s_delay_alu instid0(VALU_DEP_1) | instskip(NEXT) | instid1(VALU_DEP_1)
	v_add_f32_e32 v9, v8, v11
	v_mul_f32_e32 v1, v9, v9
	s_delay_alu instid0(VALU_DEP_1) | instskip(NEXT) | instid1(VALU_DEP_1)
	v_dual_fmaak_f32 v12, s3, v1, 0x3ecc95a3 :: v_dual_mul_f32 v3, v9, v1
	v_fmaak_f32 v1, v1, v12, 0x3f2aaada
	s_delay_alu instid0(VALU_DEP_1) | instskip(SKIP_1) | instid1(VALU_DEP_2)
	v_pk_mul_f32 v[0:1], v[2:3], v[0:1]
	v_ldexp_f32 v3, v9, 1
	v_fma_f32 v10, 0x3f317218, v2, -v0
	s_delay_alu instid0(VALU_DEP_1) | instskip(SKIP_1) | instid1(VALU_DEP_2)
	v_fmamk_f32 v2, v2, 0xb102e308, v10
	v_sub_f32_e32 v10, v9, v8
	v_pk_add_f32 v[8:9], v[0:1], v[2:3]
	s_delay_alu instid0(VALU_DEP_1) | instskip(NEXT) | instid1(VALU_DEP_1)
	v_dual_sub_f32 v3, v9, v3 :: v_dual_sub_f32 v10, v11, v10
	v_sub_f32_e32 v3, v1, v3
	s_delay_alu instid0(VALU_DEP_2) | instskip(SKIP_2) | instid1(VALU_DEP_3)
	v_ldexp_f32 v11, v10, 1
	v_mov_b32_e32 v10, v0
	v_pk_add_f32 v[0:1], v[8:9], v[0:1] neg_lo:[0,1] neg_hi:[0,1]
	v_dual_add_f32 v11, v11, v3 :: v_dual_mov_b32 v3, v8
	s_delay_alu instid0(VALU_DEP_1) | instskip(NEXT) | instid1(VALU_DEP_1)
	v_pk_add_f32 v[12:13], v[8:9], v[10:11]
	v_dual_mov_b32 v18, v9 :: v_dual_mov_b32 v1, v13
	s_delay_alu instid0(VALU_DEP_1) | instskip(NEXT) | instid1(VALU_DEP_1)
	v_pk_add_f32 v[14:15], v[2:3], v[0:1]
	v_dual_mov_b32 v14, v13 :: v_dual_mov_b32 v10, v15
	v_pk_add_f32 v[0:1], v[2:3], v[0:1] neg_lo:[0,1] neg_hi:[0,1]
	v_mov_b32_e32 v1, v15
	s_delay_alu instid0(VALU_DEP_3) | instskip(SKIP_1) | instid1(VALU_DEP_2)
	v_pk_add_f32 v[16:17], v[10:11], v[8:9] neg_lo:[0,1] neg_hi:[0,1]
	v_dual_mov_b32 v9, v8 :: v_dual_mov_b32 v8, v11
	v_dual_mov_b32 v11, v16 :: v_dual_mov_b32 v19, v16
	s_delay_alu instid0(VALU_DEP_1) | instskip(NEXT) | instid1(VALU_DEP_2)
	v_pk_add_f32 v[12:13], v[12:13], v[10:11] neg_lo:[0,1] neg_hi:[0,1]
	v_pk_add_f32 v[2:3], v[14:15], v[18:19] neg_lo:[0,1] neg_hi:[0,1]
	v_mov_b32_e32 v12, v0
	s_delay_alu instid0(VALU_DEP_2) | instskip(NEXT) | instid1(VALU_DEP_1)
	v_pk_add_f32 v[2:3], v[8:9], v[2:3] neg_lo:[0,1] neg_hi:[0,1]
	v_pk_add_f32 v[8:9], v[12:13], v[2:3]
	s_delay_alu instid0(VALU_DEP_1) | instskip(NEXT) | instid1(VALU_DEP_1)
	v_mov_b32_e32 v12, v9
	v_pk_add_f32 v[12:13], v[8:9], v[12:13]
	s_delay_alu instid0(VALU_DEP_1) | instskip(NEXT) | instid1(VALU_DEP_1)
	v_pk_add_f32 v[10:11], v[10:11], v[12:13]
	v_mov_b32_e32 v9, v10
	s_delay_alu instid0(VALU_DEP_1) | instskip(NEXT) | instid1(VALU_DEP_1)
	v_pk_add_f32 v[14:15], v[8:9], v[0:1] neg_lo:[0,1] neg_hi:[0,1]
	v_sub_f32_e32 v1, v8, v14
	s_delay_alu instid0(VALU_DEP_1) | instskip(SKIP_1) | instid1(VALU_DEP_1)
	v_sub_f32_e32 v0, v0, v1
	v_mov_b32_e32 v3, v12
	v_pk_add_f32 v[2:3], v[2:3], v[14:15] neg_lo:[0,1] neg_hi:[0,1]
	s_delay_alu instid0(VALU_DEP_1) | instskip(NEXT) | instid1(VALU_DEP_1)
	v_add_f32_e32 v0, v2, v0
	v_add_f32_e32 v0, v0, v3
	s_delay_alu instid0(VALU_DEP_1) | instskip(NEXT) | instid1(VALU_DEP_1)
	v_add_f32_e32 v0, v10, v0
	v_cndmask_b32_e32 v0, 0x7f800000, v0, vcc_lo
	v_cmp_gt_f32_e64 vcc_lo, 0x33800000, |v20|
	s_delay_alu instid0(VALU_DEP_2) | instskip(NEXT) | instid1(VALU_DEP_1)
	v_cndmask_b32_e32 v0, v0, v20, vcc_lo
	v_div_scale_f32 v1, null, s10, s10, v0
	s_delay_alu instid0(VALU_DEP_1) | instskip(SKIP_1) | instid1(TRANS32_DEP_1)
	v_rcp_f32_e32 v2, v1
	v_nop
	v_fma_f32 v3, -v1, v2, 1.0
	s_delay_alu instid0(VALU_DEP_1) | instskip(SKIP_1) | instid1(VALU_DEP_1)
	v_fmac_f32_e32 v2, v3, v2
	v_div_scale_f32 v3, vcc_lo, v0, s10, v0
	v_mul_f32_e32 v8, v3, v2
	s_delay_alu instid0(VALU_DEP_1) | instskip(NEXT) | instid1(VALU_DEP_1)
	v_fma_f32 v9, -v1, v8, v3
	v_fmac_f32_e32 v8, v9, v2
	s_delay_alu instid0(VALU_DEP_1) | instskip(NEXT) | instid1(VALU_DEP_1)
	v_fma_f32 v1, -v1, v8, v3
	v_div_fmas_f32 v1, v1, v2, v8
	s_delay_alu instid0(VALU_DEP_1)
	v_div_fixup_f32 v8, v1, s10, v0
.LBB34_1564:
	s_or_b32 exec_lo, exec_lo, s0
	v_mul_lo_u32 v0, s8, v4
	v_bfe_u32 v1, v5, 16, 1
	v_cmp_o_f32_e32 vcc_lo, v5, v5
	s_and_b32 s14, s2, 0xff
	s_delay_alu instid0(SALU_CYCLE_1) | instskip(NEXT) | instid1(VALU_DEP_2)
	s_cmp_lt_i32 s14, 11
	v_add3_u32 v2, v5, v1, 0x7fff
	s_delay_alu instid0(VALU_DEP_1) | instskip(NEXT) | instid1(VALU_DEP_1)
	v_dual_ashrrev_i32 v1, 31, v0 :: v_dual_lshrrev_b32 v4, 16, v2
	v_add_nc_u64_e32 v[2:3], s[4:5], v[0:1]
	s_delay_alu instid0(VALU_DEP_2)
	v_cndmask_b32_e32 v1, 0x7fc0, v4, vcc_lo
	s_cbranch_scc1 .LBB34_1642
; %bb.1565:
	s_and_b32 s2, 0xffff, s14
	s_mov_b32 s7, -1
	s_mov_b32 s3, 0
	s_cmp_gt_i32 s2, 25
	s_mov_b32 s6, 0
	s_mov_b32 s0, 0
	s_cbranch_scc0 .LBB34_1598
; %bb.1566:
	s_cmp_gt_i32 s2, 28
	s_cbranch_scc0 .LBB34_1581
; %bb.1567:
	s_cmp_gt_i32 s2, 43
	s_cbranch_scc0 .LBB34_1577
; %bb.1568:
	s_cmp_gt_i32 s2, 45
	s_cbranch_scc0 .LBB34_1571
; %bb.1569:
	s_mov_b32 s0, -1
	s_mov_b32 s7, 0
	s_cmp_eq_u32 s2, 46
	s_cbranch_scc0 .LBB34_1571
; %bb.1570:
	v_and_b32_e32 v4, 0xffff, v1
	s_mov_b32 s0, 0
	s_mov_b32 s6, -1
	global_store_b32 v[2:3], v4, off
.LBB34_1571:
	s_and_b32 vcc_lo, exec_lo, s7
	s_cbranch_vccz .LBB34_1576
; %bb.1572:
	s_cmp_eq_u32 s2, 44
	s_mov_b32 s0, -1
	s_cbranch_scc0 .LBB34_1576
; %bb.1573:
	s_wait_xcnt 0x0
	v_and_b32_e32 v4, 0xffff, v1
	v_mov_b32_e32 v5, 0xff
	s_mov_b32 s6, exec_lo
	s_delay_alu instid0(VALU_DEP_2) | instskip(NEXT) | instid1(VALU_DEP_1)
	v_bfe_u32 v9, v4, 7, 8
	v_cmpx_ne_u32_e32 0xff, v9
	s_cbranch_execz .LBB34_1575
; %bb.1574:
	v_dual_lshlrev_b32 v5, 16, v4 :: v_dual_bitop2_b32 v10, 64, v4 bitop3:0x40
	v_lshrrev_b32_e32 v4, 7, v4
	s_delay_alu instid0(VALU_DEP_2) | instskip(NEXT) | instid1(VALU_DEP_3)
	v_and_or_b32 v5, 0x3f0000, v5, v9
	v_cmp_ne_u32_e32 vcc_lo, 0, v10
	s_delay_alu instid0(VALU_DEP_2) | instskip(SKIP_1) | instid1(SALU_CYCLE_1)
	v_cmp_ne_u32_e64 s0, 0, v5
	s_and_b32 s0, vcc_lo, s0
	v_cndmask_b32_e64 v5, 0, 1, s0
	s_delay_alu instid0(VALU_DEP_1)
	v_add_nc_u32_e32 v5, v4, v5
.LBB34_1575:
	s_or_b32 exec_lo, exec_lo, s6
	s_mov_b32 s0, 0
	s_mov_b32 s6, -1
	global_store_b8 v[2:3], v5, off
.LBB34_1576:
	s_mov_b32 s7, 0
.LBB34_1577:
	s_delay_alu instid0(SALU_CYCLE_1)
	s_and_b32 vcc_lo, exec_lo, s7
	s_cbranch_vccz .LBB34_1580
; %bb.1578:
	s_cmp_eq_u32 s2, 29
	s_mov_b32 s0, -1
	s_cbranch_scc0 .LBB34_1580
; %bb.1579:
	s_wait_xcnt 0x0
	v_lshlrev_b32_e32 v4, 16, v1
	s_mov_b32 s0, 0
	s_mov_b32 s6, -1
	s_delay_alu instid0(VALU_DEP_1) | instskip(NEXT) | instid1(VALU_DEP_1)
	v_trunc_f32_e32 v4, v4
	v_mul_f32_e32 v5, 0x2f800000, v4
	s_delay_alu instid0(VALU_DEP_1) | instskip(NEXT) | instid1(VALU_DEP_1)
	v_floor_f32_e32 v5, v5
	v_fmamk_f32 v4, v5, 0xcf800000, v4
	v_cvt_u32_f32_e32 v5, v5
	s_delay_alu instid0(VALU_DEP_2)
	v_cvt_u32_f32_e32 v4, v4
	global_store_b64 v[2:3], v[4:5], off
.LBB34_1580:
	s_mov_b32 s7, 0
.LBB34_1581:
	s_delay_alu instid0(SALU_CYCLE_1)
	s_and_b32 vcc_lo, exec_lo, s7
	s_cbranch_vccz .LBB34_1597
; %bb.1582:
	s_cmp_lt_i32 s2, 27
	s_mov_b32 s6, -1
	s_cbranch_scc1 .LBB34_1588
; %bb.1583:
	s_cmp_gt_i32 s2, 27
	s_cbranch_scc0 .LBB34_1585
; %bb.1584:
	s_wait_xcnt 0x0
	v_lshlrev_b32_e32 v4, 16, v1
	s_mov_b32 s6, 0
	s_delay_alu instid0(VALU_DEP_1)
	v_cvt_u32_f32_e32 v4, v4
	global_store_b32 v[2:3], v4, off
.LBB34_1585:
	s_and_not1_b32 vcc_lo, exec_lo, s6
	s_cbranch_vccnz .LBB34_1587
; %bb.1586:
	s_wait_xcnt 0x0
	v_lshlrev_b32_e32 v4, 16, v1
	s_delay_alu instid0(VALU_DEP_1)
	v_cvt_u32_f32_e32 v4, v4
	global_store_b16 v[2:3], v4, off
.LBB34_1587:
	s_mov_b32 s6, 0
.LBB34_1588:
	s_delay_alu instid0(SALU_CYCLE_1)
	s_and_not1_b32 vcc_lo, exec_lo, s6
	s_cbranch_vccnz .LBB34_1596
; %bb.1589:
	v_dual_mov_b32 v10, 0x80 :: v_dual_lshlrev_b32 v9, 16, v1
	s_mov_b32 s6, exec_lo
	s_wait_xcnt 0x0
	s_delay_alu instid0(VALU_DEP_1) | instskip(NEXT) | instid1(VALU_DEP_1)
	v_and_b32_e32 v5, 0x7fffffff, v9
	v_cmpx_gt_u32_e32 0x43800000, v5
	s_cbranch_execz .LBB34_1595
; %bb.1590:
	v_and_b32_e32 v4, 0xffff, v1
	v_cmp_lt_u32_e32 vcc_lo, 0x3bffffff, v5
	s_mov_b32 s7, 0
                                        ; implicit-def: $vgpr5
	s_and_saveexec_b32 s9, vcc_lo
	s_delay_alu instid0(SALU_CYCLE_1)
	s_xor_b32 s9, exec_lo, s9
	s_cbranch_execz .LBB34_2044
; %bb.1591:
	v_bfe_u32 v5, v4, 4, 1
	s_mov_b32 s7, exec_lo
	s_delay_alu instid0(VALU_DEP_1) | instskip(NEXT) | instid1(VALU_DEP_1)
	v_add3_u32 v5, v9, v5, 0x487ffff
                                        ; implicit-def: $vgpr9
	v_lshrrev_b32_e32 v5, 20, v5
	s_and_not1_saveexec_b32 s9, s9
	s_cbranch_execnz .LBB34_2045
.LBB34_1592:
	s_or_b32 exec_lo, exec_lo, s9
	v_mov_b32_e32 v10, 0
	s_and_saveexec_b32 s9, s7
.LBB34_1593:
	v_lshrrev_b32_e32 v4, 8, v4
	s_delay_alu instid0(VALU_DEP_1)
	v_and_or_b32 v10, 0x80, v4, v5
.LBB34_1594:
	s_or_b32 exec_lo, exec_lo, s9
.LBB34_1595:
	s_delay_alu instid0(SALU_CYCLE_1)
	s_or_b32 exec_lo, exec_lo, s6
	global_store_b8 v[2:3], v10, off
.LBB34_1596:
	s_mov_b32 s6, -1
.LBB34_1597:
	s_mov_b32 s7, 0
.LBB34_1598:
	s_delay_alu instid0(SALU_CYCLE_1)
	s_and_b32 vcc_lo, exec_lo, s7
	s_cbranch_vccz .LBB34_1638
; %bb.1599:
	s_cmp_gt_i32 s2, 22
	s_mov_b32 s3, -1
	s_cbranch_scc0 .LBB34_1631
; %bb.1600:
	s_cmp_lt_i32 s2, 24
	s_cbranch_scc1 .LBB34_1620
; %bb.1601:
	s_cmp_gt_i32 s2, 24
	s_cbranch_scc0 .LBB34_1609
; %bb.1602:
	s_wait_xcnt 0x0
	v_dual_mov_b32 v10, 0x80 :: v_dual_lshlrev_b32 v9, 16, v1
	s_mov_b32 s3, exec_lo
	s_delay_alu instid0(VALU_DEP_1) | instskip(NEXT) | instid1(VALU_DEP_1)
	v_and_b32_e32 v5, 0x7fffffff, v9
	v_cmpx_gt_u32_e32 0x47800000, v5
	s_cbranch_execz .LBB34_1608
; %bb.1603:
	v_and_b32_e32 v4, 0xffff, v1
	v_cmp_lt_u32_e32 vcc_lo, 0x37ffffff, v5
	s_mov_b32 s6, 0
                                        ; implicit-def: $vgpr5
	s_and_saveexec_b32 s7, vcc_lo
	s_delay_alu instid0(SALU_CYCLE_1)
	s_xor_b32 s7, exec_lo, s7
	s_cbranch_execz .LBB34_2047
; %bb.1604:
	v_bfe_u32 v5, v4, 5, 1
	s_mov_b32 s6, exec_lo
	s_delay_alu instid0(VALU_DEP_1) | instskip(NEXT) | instid1(VALU_DEP_1)
	v_add3_u32 v5, v9, v5, 0x88fffff
                                        ; implicit-def: $vgpr9
	v_lshrrev_b32_e32 v5, 21, v5
	s_and_not1_saveexec_b32 s7, s7
	s_cbranch_execnz .LBB34_2048
.LBB34_1605:
	s_or_b32 exec_lo, exec_lo, s7
	v_mov_b32_e32 v10, 0
	s_and_saveexec_b32 s7, s6
.LBB34_1606:
	v_lshrrev_b32_e32 v4, 8, v4
	s_delay_alu instid0(VALU_DEP_1)
	v_and_or_b32 v10, 0x80, v4, v5
.LBB34_1607:
	s_or_b32 exec_lo, exec_lo, s7
.LBB34_1608:
	s_delay_alu instid0(SALU_CYCLE_1)
	s_or_b32 exec_lo, exec_lo, s3
	s_mov_b32 s3, 0
	global_store_b8 v[2:3], v10, off
.LBB34_1609:
	s_and_b32 vcc_lo, exec_lo, s3
	s_cbranch_vccz .LBB34_1619
; %bb.1610:
	v_lshlrev_b32_e32 v9, 16, v1
	s_wait_xcnt 0x0
	v_and_b32_e32 v4, 0xffff, v1
	s_mov_b32 s3, exec_lo
                                        ; implicit-def: $vgpr5
	s_delay_alu instid0(VALU_DEP_2) | instskip(NEXT) | instid1(VALU_DEP_1)
	v_and_b32_e32 v10, 0x7fffffff, v9
	v_cmpx_gt_u32_e32 0x43f00000, v10
	s_xor_b32 s3, exec_lo, s3
	s_cbranch_execz .LBB34_1616
; %bb.1611:
	s_mov_b32 s6, exec_lo
                                        ; implicit-def: $vgpr5
	v_cmpx_lt_u32_e32 0x3c7fffff, v10
	s_xor_b32 s6, exec_lo, s6
; %bb.1612:
	v_bfe_u32 v5, v4, 4, 1
	s_delay_alu instid0(VALU_DEP_1) | instskip(NEXT) | instid1(VALU_DEP_1)
	v_add3_u32 v5, v9, v5, 0x407ffff
	v_and_b32_e32 v9, 0xff00000, v5
	v_lshrrev_b32_e32 v5, 20, v5
	s_delay_alu instid0(VALU_DEP_2) | instskip(NEXT) | instid1(VALU_DEP_2)
	v_cmp_ne_u32_e32 vcc_lo, 0x7f00000, v9
                                        ; implicit-def: $vgpr9
	v_cndmask_b32_e32 v5, 0x7e, v5, vcc_lo
; %bb.1613:
	s_and_not1_saveexec_b32 s6, s6
; %bb.1614:
	v_add_f32_e64 v5, 0x46800000, |v9|
; %bb.1615:
	s_or_b32 exec_lo, exec_lo, s6
                                        ; implicit-def: $vgpr10
.LBB34_1616:
	s_and_not1_saveexec_b32 s3, s3
; %bb.1617:
	v_mov_b32_e32 v5, 0x7f
	v_cmp_lt_u32_e32 vcc_lo, 0x7f800000, v10
	s_delay_alu instid0(VALU_DEP_2)
	v_cndmask_b32_e32 v5, 0x7e, v5, vcc_lo
; %bb.1618:
	s_or_b32 exec_lo, exec_lo, s3
	v_lshrrev_b32_e32 v4, 8, v4
	s_delay_alu instid0(VALU_DEP_1)
	v_and_or_b32 v4, 0x80, v4, v5
	global_store_b8 v[2:3], v4, off
.LBB34_1619:
	s_mov_b32 s3, 0
.LBB34_1620:
	s_delay_alu instid0(SALU_CYCLE_1)
	s_and_not1_b32 vcc_lo, exec_lo, s3
	s_cbranch_vccnz .LBB34_1630
; %bb.1621:
	v_lshlrev_b32_e32 v9, 16, v1
	s_wait_xcnt 0x0
	v_and_b32_e32 v4, 0xffff, v1
	s_mov_b32 s3, exec_lo
                                        ; implicit-def: $vgpr5
	s_delay_alu instid0(VALU_DEP_2) | instskip(NEXT) | instid1(VALU_DEP_1)
	v_and_b32_e32 v10, 0x7fffffff, v9
	v_cmpx_gt_u32_e32 0x47800000, v10
	s_xor_b32 s3, exec_lo, s3
	s_cbranch_execz .LBB34_1627
; %bb.1622:
	s_mov_b32 s6, exec_lo
                                        ; implicit-def: $vgpr5
	v_cmpx_lt_u32_e32 0x387fffff, v10
	s_xor_b32 s6, exec_lo, s6
; %bb.1623:
	v_bfe_u32 v5, v4, 5, 1
	s_delay_alu instid0(VALU_DEP_1) | instskip(NEXT) | instid1(VALU_DEP_1)
	v_add3_u32 v5, v9, v5, 0x80fffff
                                        ; implicit-def: $vgpr9
	v_lshrrev_b32_e32 v5, 21, v5
; %bb.1624:
	s_and_not1_saveexec_b32 s6, s6
; %bb.1625:
	v_add_f32_e64 v5, 0x43000000, |v9|
; %bb.1626:
	s_or_b32 exec_lo, exec_lo, s6
                                        ; implicit-def: $vgpr10
.LBB34_1627:
	s_and_not1_saveexec_b32 s3, s3
; %bb.1628:
	v_mov_b32_e32 v5, 0x7f
	v_cmp_lt_u32_e32 vcc_lo, 0x7f800000, v10
	s_delay_alu instid0(VALU_DEP_2)
	v_cndmask_b32_e32 v5, 0x7c, v5, vcc_lo
; %bb.1629:
	s_or_b32 exec_lo, exec_lo, s3
	v_lshrrev_b32_e32 v4, 8, v4
	s_delay_alu instid0(VALU_DEP_1)
	v_and_or_b32 v4, 0x80, v4, v5
	global_store_b8 v[2:3], v4, off
.LBB34_1630:
	s_mov_b32 s3, 0
	s_mov_b32 s6, -1
.LBB34_1631:
	s_and_not1_b32 vcc_lo, exec_lo, s3
	s_mov_b32 s3, 0
	s_cbranch_vccnz .LBB34_1638
; %bb.1632:
	s_cmp_gt_i32 s2, 14
	s_mov_b32 s3, -1
	s_cbranch_scc0 .LBB34_1636
; %bb.1633:
	s_cmp_eq_u32 s2, 15
	s_mov_b32 s0, -1
	s_cbranch_scc0 .LBB34_1635
; %bb.1634:
	s_mov_b32 s0, 0
	s_mov_b32 s6, -1
	global_store_b16 v[2:3], v1, off
.LBB34_1635:
	s_mov_b32 s3, 0
.LBB34_1636:
	s_delay_alu instid0(SALU_CYCLE_1)
	s_and_b32 vcc_lo, exec_lo, s3
	s_mov_b32 s3, 0
	s_cbranch_vccz .LBB34_1638
; %bb.1637:
	s_cmp_lg_u32 s2, 11
	s_mov_b32 s3, -1
	s_cselect_b32 s0, -1, 0
.LBB34_1638:
	s_delay_alu instid0(SALU_CYCLE_1)
	s_and_b32 vcc_lo, exec_lo, s0
	s_cbranch_vccnz .LBB34_2046
; %bb.1639:
	s_and_not1_b32 vcc_lo, exec_lo, s3
	s_cbranch_vccnz .LBB34_1641
.LBB34_1640:
	s_wait_xcnt 0x0
	v_and_b32_e32 v4, 0x7fff, v1
	s_mov_b32 s6, -1
	s_delay_alu instid0(VALU_DEP_1)
	v_cmp_ne_u16_e32 vcc_lo, 0, v4
	v_cndmask_b32_e64 v4, 0, 1, vcc_lo
	global_store_b8 v[2:3], v4, off
.LBB34_1641:
	s_mov_b32 s0, 0
	s_branch .LBB34_1643
.LBB34_1642:
	s_mov_b32 s0, -1
	s_mov_b32 s6, 0
.LBB34_1643:
	s_and_b32 vcc_lo, exec_lo, s0
	s_cbranch_vccz .LBB34_1682
; %bb.1644:
	s_and_b32 s0, 0xffff, s14
	s_mov_b32 s2, -1
	s_cmp_lt_i32 s0, 5
	s_cbranch_scc1 .LBB34_1665
; %bb.1645:
	s_cmp_lt_i32 s0, 8
	s_cbranch_scc1 .LBB34_1655
; %bb.1646:
	;; [unrolled: 3-line block ×3, first 2 shown]
	s_cmp_gt_i32 s0, 9
	s_cbranch_scc0 .LBB34_1649
; %bb.1648:
	s_wait_xcnt 0x0
	v_dual_lshlrev_b32 v4, 16, v1 :: v_dual_mov_b32 v12, 0
	s_mov_b32 s2, 0
	s_delay_alu instid0(VALU_DEP_1) | instskip(NEXT) | instid1(VALU_DEP_2)
	v_cvt_f64_f32_e32 v[10:11], v4
	v_mov_b32_e32 v13, v12
	global_store_b128 v[2:3], v[10:13], off
.LBB34_1649:
	s_and_not1_b32 vcc_lo, exec_lo, s2
	s_cbranch_vccnz .LBB34_1651
; %bb.1650:
	s_wait_xcnt 0x0
	v_dual_mov_b32 v5, 0 :: v_dual_lshlrev_b32 v4, 16, v1
	global_store_b64 v[2:3], v[4:5], off
.LBB34_1651:
	s_mov_b32 s2, 0
.LBB34_1652:
	s_delay_alu instid0(SALU_CYCLE_1)
	s_and_not1_b32 vcc_lo, exec_lo, s2
	s_cbranch_vccnz .LBB34_1654
; %bb.1653:
	s_wait_xcnt 0x0
	v_lshlrev_b32_e32 v4, 16, v1
	s_delay_alu instid0(VALU_DEP_1) | instskip(NEXT) | instid1(VALU_DEP_1)
	v_cvt_f16_f32_e32 v4, v4
	v_and_b32_e32 v4, 0xffff, v4
	global_store_b32 v[2:3], v4, off
.LBB34_1654:
	s_mov_b32 s2, 0
.LBB34_1655:
	s_delay_alu instid0(SALU_CYCLE_1)
	s_and_not1_b32 vcc_lo, exec_lo, s2
	s_cbranch_vccnz .LBB34_1664
; %bb.1656:
	s_cmp_lt_i32 s0, 6
	s_mov_b32 s2, -1
	s_cbranch_scc1 .LBB34_1662
; %bb.1657:
	s_cmp_gt_i32 s0, 6
	s_cbranch_scc0 .LBB34_1659
; %bb.1658:
	s_wait_xcnt 0x0
	v_lshlrev_b32_e32 v4, 16, v1
	s_mov_b32 s2, 0
	s_delay_alu instid0(VALU_DEP_1)
	v_cvt_f64_f32_e32 v[4:5], v4
	global_store_b64 v[2:3], v[4:5], off
.LBB34_1659:
	s_and_not1_b32 vcc_lo, exec_lo, s2
	s_cbranch_vccnz .LBB34_1661
; %bb.1660:
	s_wait_xcnt 0x0
	v_lshlrev_b32_e32 v4, 16, v1
	global_store_b32 v[2:3], v4, off
.LBB34_1661:
	s_mov_b32 s2, 0
.LBB34_1662:
	s_delay_alu instid0(SALU_CYCLE_1)
	s_and_not1_b32 vcc_lo, exec_lo, s2
	s_cbranch_vccnz .LBB34_1664
; %bb.1663:
	s_wait_xcnt 0x0
	v_lshlrev_b32_e32 v4, 16, v1
	s_delay_alu instid0(VALU_DEP_1)
	v_cvt_f16_f32_e32 v4, v4
	global_store_b16 v[2:3], v4, off
.LBB34_1664:
	s_mov_b32 s2, 0
.LBB34_1665:
	s_delay_alu instid0(SALU_CYCLE_1)
	s_and_not1_b32 vcc_lo, exec_lo, s2
	s_cbranch_vccnz .LBB34_1681
; %bb.1666:
	s_cmp_lt_i32 s0, 2
	s_mov_b32 s2, -1
	s_cbranch_scc1 .LBB34_1676
; %bb.1667:
	s_cmp_lt_i32 s0, 3
	s_cbranch_scc1 .LBB34_1673
; %bb.1668:
	s_cmp_gt_i32 s0, 3
	s_cbranch_scc0 .LBB34_1670
; %bb.1669:
	s_wait_xcnt 0x0
	v_lshlrev_b32_e32 v4, 16, v1
	s_mov_b32 s2, 0
	s_delay_alu instid0(VALU_DEP_1) | instskip(NEXT) | instid1(VALU_DEP_1)
	v_trunc_f32_e32 v4, v4
	v_mul_f32_e64 v5, 0x2f800000, |v4|
	s_delay_alu instid0(VALU_DEP_1) | instskip(NEXT) | instid1(VALU_DEP_1)
	v_floor_f32_e32 v5, v5
	v_fma_f32 v9, 0xcf800000, v5, |v4|
	v_ashrrev_i32_e32 v4, 31, v4
	v_cvt_u32_f32_e32 v10, v5
	s_delay_alu instid0(VALU_DEP_3) | instskip(NEXT) | instid1(VALU_DEP_2)
	v_cvt_u32_f32_e32 v9, v9
	v_dual_mov_b32 v5, v4 :: v_dual_bitop2_b32 v11, v10, v4 bitop3:0x14
	s_delay_alu instid0(VALU_DEP_2) | instskip(NEXT) | instid1(VALU_DEP_1)
	v_xor_b32_e32 v10, v9, v4
	v_sub_nc_u64_e32 v[4:5], v[10:11], v[4:5]
	global_store_b64 v[2:3], v[4:5], off
.LBB34_1670:
	s_and_not1_b32 vcc_lo, exec_lo, s2
	s_cbranch_vccnz .LBB34_1672
; %bb.1671:
	s_wait_xcnt 0x0
	v_lshlrev_b32_e32 v4, 16, v1
	s_delay_alu instid0(VALU_DEP_1)
	v_cvt_i32_f32_e32 v4, v4
	global_store_b32 v[2:3], v4, off
.LBB34_1672:
	s_mov_b32 s2, 0
.LBB34_1673:
	s_delay_alu instid0(SALU_CYCLE_1)
	s_and_not1_b32 vcc_lo, exec_lo, s2
	s_cbranch_vccnz .LBB34_1675
; %bb.1674:
	s_wait_xcnt 0x0
	v_lshlrev_b32_e32 v4, 16, v1
	s_delay_alu instid0(VALU_DEP_1)
	v_cvt_i32_f32_e32 v4, v4
	global_store_b16 v[2:3], v4, off
.LBB34_1675:
	s_mov_b32 s2, 0
.LBB34_1676:
	s_delay_alu instid0(SALU_CYCLE_1)
	s_and_not1_b32 vcc_lo, exec_lo, s2
	s_cbranch_vccnz .LBB34_1681
; %bb.1677:
	s_wait_xcnt 0x0
	v_lshlrev_b32_e32 v1, 16, v1
	s_cmp_gt_i32 s0, 0
	s_mov_b32 s0, -1
	s_cbranch_scc0 .LBB34_1679
; %bb.1678:
	s_delay_alu instid0(VALU_DEP_1)
	v_cvt_i32_f32_e32 v4, v1
	s_mov_b32 s0, 0
	global_store_b8 v[2:3], v4, off
.LBB34_1679:
	s_and_not1_b32 vcc_lo, exec_lo, s0
	s_cbranch_vccnz .LBB34_1681
; %bb.1680:
	v_trunc_f32_e32 v1, v1
	s_wait_xcnt 0x0
	s_delay_alu instid0(VALU_DEP_1) | instskip(NEXT) | instid1(VALU_DEP_1)
	v_mul_f32_e64 v4, 0x2f800000, |v1|
	v_floor_f32_e32 v4, v4
	s_delay_alu instid0(VALU_DEP_1) | instskip(SKIP_1) | instid1(VALU_DEP_2)
	v_fma_f32 v4, 0xcf800000, v4, |v1|
	v_ashrrev_i32_e32 v1, 31, v1
	v_cvt_u32_f32_e32 v4, v4
	s_delay_alu instid0(VALU_DEP_1) | instskip(NEXT) | instid1(VALU_DEP_1)
	v_xor_b32_e32 v4, v4, v1
	v_sub_nc_u32_e32 v1, v4, v1
	global_store_b8 v[2:3], v1, off
.LBB34_1681:
	s_mov_b32 s6, -1
.LBB34_1682:
	s_delay_alu instid0(SALU_CYCLE_1)
	s_and_not1_b32 vcc_lo, exec_lo, s6
	s_cbranch_vccnz .LBB34_1997
; %bb.1683:
	s_wait_xcnt 0x0
	v_bfe_u32 v1, v6, 16, 1
	s_lshl_b32 s2, s8, 7
	v_cmp_o_f32_e32 vcc_lo, v6, v6
	s_cmp_lt_i32 s14, 11
	s_delay_alu instid0(VALU_DEP_2) | instskip(NEXT) | instid1(VALU_DEP_1)
	v_add3_u32 v2, v6, v1, 0x7fff
	v_dual_add_nc_u32 v0, s2, v0 :: v_dual_lshrrev_b32 v4, 16, v2
	s_delay_alu instid0(VALU_DEP_1) | instskip(NEXT) | instid1(VALU_DEP_1)
	v_ashrrev_i32_e32 v1, 31, v0
	v_add_nc_u64_e32 v[2:3], s[4:5], v[0:1]
	s_delay_alu instid0(VALU_DEP_3)
	v_cndmask_b32_e32 v1, 0x7fc0, v4, vcc_lo
	s_cbranch_scc1 .LBB34_1761
; %bb.1684:
	s_and_b32 s3, 0xffff, s14
	s_mov_b32 s8, -1
	s_mov_b32 s6, 0
	s_cmp_gt_i32 s3, 25
	s_mov_b32 s7, 0
	s_mov_b32 s0, 0
	s_cbranch_scc0 .LBB34_1717
; %bb.1685:
	s_cmp_gt_i32 s3, 28
	s_cbranch_scc0 .LBB34_1700
; %bb.1686:
	s_cmp_gt_i32 s3, 43
	;; [unrolled: 3-line block ×3, first 2 shown]
	s_cbranch_scc0 .LBB34_1690
; %bb.1688:
	s_mov_b32 s0, -1
	s_mov_b32 s8, 0
	s_cmp_eq_u32 s3, 46
	s_cbranch_scc0 .LBB34_1690
; %bb.1689:
	v_and_b32_e32 v4, 0xffff, v1
	s_mov_b32 s0, 0
	s_mov_b32 s7, -1
	global_store_b32 v[2:3], v4, off
.LBB34_1690:
	s_and_b32 vcc_lo, exec_lo, s8
	s_cbranch_vccz .LBB34_1695
; %bb.1691:
	s_cmp_eq_u32 s3, 44
	s_mov_b32 s0, -1
	s_cbranch_scc0 .LBB34_1695
; %bb.1692:
	s_wait_xcnt 0x0
	v_and_b32_e32 v4, 0xffff, v1
	v_mov_b32_e32 v5, 0xff
	s_mov_b32 s7, exec_lo
	s_delay_alu instid0(VALU_DEP_2) | instskip(NEXT) | instid1(VALU_DEP_1)
	v_bfe_u32 v6, v4, 7, 8
	v_cmpx_ne_u32_e32 0xff, v6
	s_cbranch_execz .LBB34_1694
; %bb.1693:
	v_dual_lshlrev_b32 v5, 16, v4 :: v_dual_bitop2_b32 v9, 64, v4 bitop3:0x40
	v_lshrrev_b32_e32 v4, 7, v4
	s_delay_alu instid0(VALU_DEP_2) | instskip(NEXT) | instid1(VALU_DEP_3)
	v_and_or_b32 v5, 0x3f0000, v5, v6
	v_cmp_ne_u32_e32 vcc_lo, 0, v9
	s_delay_alu instid0(VALU_DEP_2) | instskip(SKIP_1) | instid1(SALU_CYCLE_1)
	v_cmp_ne_u32_e64 s0, 0, v5
	s_and_b32 s0, vcc_lo, s0
	v_cndmask_b32_e64 v5, 0, 1, s0
	s_delay_alu instid0(VALU_DEP_1)
	v_add_nc_u32_e32 v5, v4, v5
.LBB34_1694:
	s_or_b32 exec_lo, exec_lo, s7
	s_mov_b32 s0, 0
	s_mov_b32 s7, -1
	global_store_b8 v[2:3], v5, off
.LBB34_1695:
	s_mov_b32 s8, 0
.LBB34_1696:
	s_delay_alu instid0(SALU_CYCLE_1)
	s_and_b32 vcc_lo, exec_lo, s8
	s_cbranch_vccz .LBB34_1699
; %bb.1697:
	s_cmp_eq_u32 s3, 29
	s_mov_b32 s0, -1
	s_cbranch_scc0 .LBB34_1699
; %bb.1698:
	s_wait_xcnt 0x0
	v_lshlrev_b32_e32 v4, 16, v1
	s_mov_b32 s0, 0
	s_mov_b32 s7, -1
	s_delay_alu instid0(VALU_DEP_1) | instskip(NEXT) | instid1(VALU_DEP_1)
	v_trunc_f32_e32 v4, v4
	v_mul_f32_e32 v5, 0x2f800000, v4
	s_delay_alu instid0(VALU_DEP_1) | instskip(NEXT) | instid1(VALU_DEP_1)
	v_floor_f32_e32 v5, v5
	v_fmamk_f32 v4, v5, 0xcf800000, v4
	v_cvt_u32_f32_e32 v5, v5
	s_delay_alu instid0(VALU_DEP_2)
	v_cvt_u32_f32_e32 v4, v4
	global_store_b64 v[2:3], v[4:5], off
.LBB34_1699:
	s_mov_b32 s8, 0
.LBB34_1700:
	s_delay_alu instid0(SALU_CYCLE_1)
	s_and_b32 vcc_lo, exec_lo, s8
	s_cbranch_vccz .LBB34_1716
; %bb.1701:
	s_cmp_lt_i32 s3, 27
	s_mov_b32 s7, -1
	s_cbranch_scc1 .LBB34_1707
; %bb.1702:
	s_cmp_gt_i32 s3, 27
	s_cbranch_scc0 .LBB34_1704
; %bb.1703:
	s_wait_xcnt 0x0
	v_lshlrev_b32_e32 v4, 16, v1
	s_mov_b32 s7, 0
	s_delay_alu instid0(VALU_DEP_1)
	v_cvt_u32_f32_e32 v4, v4
	global_store_b32 v[2:3], v4, off
.LBB34_1704:
	s_and_not1_b32 vcc_lo, exec_lo, s7
	s_cbranch_vccnz .LBB34_1706
; %bb.1705:
	s_wait_xcnt 0x0
	v_lshlrev_b32_e32 v4, 16, v1
	s_delay_alu instid0(VALU_DEP_1)
	v_cvt_u32_f32_e32 v4, v4
	global_store_b16 v[2:3], v4, off
.LBB34_1706:
	s_mov_b32 s7, 0
.LBB34_1707:
	s_delay_alu instid0(SALU_CYCLE_1)
	s_and_not1_b32 vcc_lo, exec_lo, s7
	s_cbranch_vccnz .LBB34_1715
; %bb.1708:
	v_dual_mov_b32 v9, 0x80 :: v_dual_lshlrev_b32 v6, 16, v1
	s_mov_b32 s7, exec_lo
	s_wait_xcnt 0x0
	s_delay_alu instid0(VALU_DEP_1) | instskip(NEXT) | instid1(VALU_DEP_1)
	v_and_b32_e32 v5, 0x7fffffff, v6
	v_cmpx_gt_u32_e32 0x43800000, v5
	s_cbranch_execz .LBB34_1714
; %bb.1709:
	v_and_b32_e32 v4, 0xffff, v1
	v_cmp_lt_u32_e32 vcc_lo, 0x3bffffff, v5
	s_mov_b32 s8, 0
                                        ; implicit-def: $vgpr5
	s_and_saveexec_b32 s9, vcc_lo
	s_delay_alu instid0(SALU_CYCLE_1)
	s_xor_b32 s9, exec_lo, s9
	s_cbranch_execz .LBB34_2049
; %bb.1710:
	v_bfe_u32 v5, v4, 4, 1
	s_mov_b32 s8, exec_lo
	s_delay_alu instid0(VALU_DEP_1) | instskip(NEXT) | instid1(VALU_DEP_1)
	v_add3_u32 v5, v6, v5, 0x487ffff
                                        ; implicit-def: $vgpr6
	v_lshrrev_b32_e32 v5, 20, v5
	s_and_not1_saveexec_b32 s9, s9
	s_cbranch_execnz .LBB34_2050
.LBB34_1711:
	s_or_b32 exec_lo, exec_lo, s9
	v_mov_b32_e32 v9, 0
	s_and_saveexec_b32 s9, s8
.LBB34_1712:
	v_lshrrev_b32_e32 v4, 8, v4
	s_delay_alu instid0(VALU_DEP_1)
	v_and_or_b32 v9, 0x80, v4, v5
.LBB34_1713:
	s_or_b32 exec_lo, exec_lo, s9
.LBB34_1714:
	s_delay_alu instid0(SALU_CYCLE_1)
	s_or_b32 exec_lo, exec_lo, s7
	global_store_b8 v[2:3], v9, off
.LBB34_1715:
	s_mov_b32 s7, -1
.LBB34_1716:
	s_mov_b32 s8, 0
.LBB34_1717:
	s_delay_alu instid0(SALU_CYCLE_1)
	s_and_b32 vcc_lo, exec_lo, s8
	s_cbranch_vccz .LBB34_1757
; %bb.1718:
	s_cmp_gt_i32 s3, 22
	s_mov_b32 s6, -1
	s_cbranch_scc0 .LBB34_1750
; %bb.1719:
	s_cmp_lt_i32 s3, 24
	s_cbranch_scc1 .LBB34_1739
; %bb.1720:
	s_cmp_gt_i32 s3, 24
	s_cbranch_scc0 .LBB34_1728
; %bb.1721:
	s_wait_xcnt 0x0
	v_dual_mov_b32 v9, 0x80 :: v_dual_lshlrev_b32 v6, 16, v1
	s_mov_b32 s6, exec_lo
	s_delay_alu instid0(VALU_DEP_1) | instskip(NEXT) | instid1(VALU_DEP_1)
	v_and_b32_e32 v5, 0x7fffffff, v6
	v_cmpx_gt_u32_e32 0x47800000, v5
	s_cbranch_execz .LBB34_1727
; %bb.1722:
	v_and_b32_e32 v4, 0xffff, v1
	v_cmp_lt_u32_e32 vcc_lo, 0x37ffffff, v5
	s_mov_b32 s7, 0
                                        ; implicit-def: $vgpr5
	s_and_saveexec_b32 s8, vcc_lo
	s_delay_alu instid0(SALU_CYCLE_1)
	s_xor_b32 s8, exec_lo, s8
	s_cbranch_execz .LBB34_2052
; %bb.1723:
	v_bfe_u32 v5, v4, 5, 1
	s_mov_b32 s7, exec_lo
	s_delay_alu instid0(VALU_DEP_1) | instskip(NEXT) | instid1(VALU_DEP_1)
	v_add3_u32 v5, v6, v5, 0x88fffff
                                        ; implicit-def: $vgpr6
	v_lshrrev_b32_e32 v5, 21, v5
	s_and_not1_saveexec_b32 s8, s8
	s_cbranch_execnz .LBB34_2053
.LBB34_1724:
	s_or_b32 exec_lo, exec_lo, s8
	v_mov_b32_e32 v9, 0
	s_and_saveexec_b32 s8, s7
.LBB34_1725:
	v_lshrrev_b32_e32 v4, 8, v4
	s_delay_alu instid0(VALU_DEP_1)
	v_and_or_b32 v9, 0x80, v4, v5
.LBB34_1726:
	s_or_b32 exec_lo, exec_lo, s8
.LBB34_1727:
	s_delay_alu instid0(SALU_CYCLE_1)
	s_or_b32 exec_lo, exec_lo, s6
	s_mov_b32 s6, 0
	global_store_b8 v[2:3], v9, off
.LBB34_1728:
	s_and_b32 vcc_lo, exec_lo, s6
	s_cbranch_vccz .LBB34_1738
; %bb.1729:
	v_lshlrev_b32_e32 v6, 16, v1
	s_wait_xcnt 0x0
	v_and_b32_e32 v4, 0xffff, v1
	s_mov_b32 s6, exec_lo
                                        ; implicit-def: $vgpr5
	s_delay_alu instid0(VALU_DEP_2) | instskip(NEXT) | instid1(VALU_DEP_1)
	v_and_b32_e32 v9, 0x7fffffff, v6
	v_cmpx_gt_u32_e32 0x43f00000, v9
	s_xor_b32 s6, exec_lo, s6
	s_cbranch_execz .LBB34_1735
; %bb.1730:
	s_mov_b32 s7, exec_lo
                                        ; implicit-def: $vgpr5
	v_cmpx_lt_u32_e32 0x3c7fffff, v9
	s_xor_b32 s7, exec_lo, s7
; %bb.1731:
	v_bfe_u32 v5, v4, 4, 1
	s_delay_alu instid0(VALU_DEP_1) | instskip(NEXT) | instid1(VALU_DEP_1)
	v_add3_u32 v5, v6, v5, 0x407ffff
	v_and_b32_e32 v6, 0xff00000, v5
	v_lshrrev_b32_e32 v5, 20, v5
	s_delay_alu instid0(VALU_DEP_2) | instskip(NEXT) | instid1(VALU_DEP_2)
	v_cmp_ne_u32_e32 vcc_lo, 0x7f00000, v6
                                        ; implicit-def: $vgpr6
	v_cndmask_b32_e32 v5, 0x7e, v5, vcc_lo
; %bb.1732:
	s_and_not1_saveexec_b32 s7, s7
; %bb.1733:
	v_add_f32_e64 v5, 0x46800000, |v6|
; %bb.1734:
	s_or_b32 exec_lo, exec_lo, s7
                                        ; implicit-def: $vgpr9
.LBB34_1735:
	s_and_not1_saveexec_b32 s6, s6
; %bb.1736:
	v_mov_b32_e32 v5, 0x7f
	v_cmp_lt_u32_e32 vcc_lo, 0x7f800000, v9
	s_delay_alu instid0(VALU_DEP_2)
	v_cndmask_b32_e32 v5, 0x7e, v5, vcc_lo
; %bb.1737:
	s_or_b32 exec_lo, exec_lo, s6
	v_lshrrev_b32_e32 v4, 8, v4
	s_delay_alu instid0(VALU_DEP_1)
	v_and_or_b32 v4, 0x80, v4, v5
	global_store_b8 v[2:3], v4, off
.LBB34_1738:
	s_mov_b32 s6, 0
.LBB34_1739:
	s_delay_alu instid0(SALU_CYCLE_1)
	s_and_not1_b32 vcc_lo, exec_lo, s6
	s_cbranch_vccnz .LBB34_1749
; %bb.1740:
	v_lshlrev_b32_e32 v6, 16, v1
	s_wait_xcnt 0x0
	v_and_b32_e32 v4, 0xffff, v1
	s_mov_b32 s6, exec_lo
                                        ; implicit-def: $vgpr5
	s_delay_alu instid0(VALU_DEP_2) | instskip(NEXT) | instid1(VALU_DEP_1)
	v_and_b32_e32 v9, 0x7fffffff, v6
	v_cmpx_gt_u32_e32 0x47800000, v9
	s_xor_b32 s6, exec_lo, s6
	s_cbranch_execz .LBB34_1746
; %bb.1741:
	s_mov_b32 s7, exec_lo
                                        ; implicit-def: $vgpr5
	v_cmpx_lt_u32_e32 0x387fffff, v9
	s_xor_b32 s7, exec_lo, s7
; %bb.1742:
	v_bfe_u32 v5, v4, 5, 1
	s_delay_alu instid0(VALU_DEP_1) | instskip(NEXT) | instid1(VALU_DEP_1)
	v_add3_u32 v5, v6, v5, 0x80fffff
                                        ; implicit-def: $vgpr6
	v_lshrrev_b32_e32 v5, 21, v5
; %bb.1743:
	s_and_not1_saveexec_b32 s7, s7
; %bb.1744:
	v_add_f32_e64 v5, 0x43000000, |v6|
; %bb.1745:
	s_or_b32 exec_lo, exec_lo, s7
                                        ; implicit-def: $vgpr9
.LBB34_1746:
	s_and_not1_saveexec_b32 s6, s6
; %bb.1747:
	v_mov_b32_e32 v5, 0x7f
	v_cmp_lt_u32_e32 vcc_lo, 0x7f800000, v9
	s_delay_alu instid0(VALU_DEP_2)
	v_cndmask_b32_e32 v5, 0x7c, v5, vcc_lo
; %bb.1748:
	s_or_b32 exec_lo, exec_lo, s6
	v_lshrrev_b32_e32 v4, 8, v4
	s_delay_alu instid0(VALU_DEP_1)
	v_and_or_b32 v4, 0x80, v4, v5
	global_store_b8 v[2:3], v4, off
.LBB34_1749:
	s_mov_b32 s6, 0
	s_mov_b32 s7, -1
.LBB34_1750:
	s_and_not1_b32 vcc_lo, exec_lo, s6
	s_mov_b32 s6, 0
	s_cbranch_vccnz .LBB34_1757
; %bb.1751:
	s_cmp_gt_i32 s3, 14
	s_mov_b32 s6, -1
	s_cbranch_scc0 .LBB34_1755
; %bb.1752:
	s_cmp_eq_u32 s3, 15
	s_mov_b32 s0, -1
	s_cbranch_scc0 .LBB34_1754
; %bb.1753:
	s_mov_b32 s0, 0
	s_mov_b32 s7, -1
	global_store_b16 v[2:3], v1, off
.LBB34_1754:
	s_mov_b32 s6, 0
.LBB34_1755:
	s_delay_alu instid0(SALU_CYCLE_1)
	s_and_b32 vcc_lo, exec_lo, s6
	s_mov_b32 s6, 0
	s_cbranch_vccz .LBB34_1757
; %bb.1756:
	s_cmp_lg_u32 s3, 11
	s_mov_b32 s6, -1
	s_cselect_b32 s0, -1, 0
.LBB34_1757:
	s_delay_alu instid0(SALU_CYCLE_1)
	s_and_b32 vcc_lo, exec_lo, s0
	s_cbranch_vccnz .LBB34_2051
; %bb.1758:
	s_and_not1_b32 vcc_lo, exec_lo, s6
	s_cbranch_vccnz .LBB34_1760
.LBB34_1759:
	s_wait_xcnt 0x0
	v_and_b32_e32 v4, 0x7fff, v1
	s_mov_b32 s7, -1
	s_delay_alu instid0(VALU_DEP_1)
	v_cmp_ne_u16_e32 vcc_lo, 0, v4
	v_cndmask_b32_e64 v4, 0, 1, vcc_lo
	global_store_b8 v[2:3], v4, off
.LBB34_1760:
	s_mov_b32 s0, 0
	s_branch .LBB34_1762
.LBB34_1761:
	s_mov_b32 s0, -1
	s_mov_b32 s7, 0
.LBB34_1762:
	s_and_b32 vcc_lo, exec_lo, s0
	s_cbranch_vccz .LBB34_1801
; %bb.1763:
	s_and_b32 s0, 0xffff, s14
	s_mov_b32 s3, -1
	s_cmp_lt_i32 s0, 5
	s_cbranch_scc1 .LBB34_1784
; %bb.1764:
	s_cmp_lt_i32 s0, 8
	s_cbranch_scc1 .LBB34_1774
; %bb.1765:
	;; [unrolled: 3-line block ×3, first 2 shown]
	s_cmp_gt_i32 s0, 9
	s_cbranch_scc0 .LBB34_1768
; %bb.1767:
	s_wait_xcnt 0x0
	v_dual_lshlrev_b32 v4, 16, v1 :: v_dual_mov_b32 v12, 0
	s_mov_b32 s3, 0
	s_delay_alu instid0(VALU_DEP_1) | instskip(NEXT) | instid1(VALU_DEP_2)
	v_cvt_f64_f32_e32 v[10:11], v4
	v_mov_b32_e32 v13, v12
	global_store_b128 v[2:3], v[10:13], off
.LBB34_1768:
	s_and_not1_b32 vcc_lo, exec_lo, s3
	s_cbranch_vccnz .LBB34_1770
; %bb.1769:
	s_wait_xcnt 0x0
	v_dual_mov_b32 v5, 0 :: v_dual_lshlrev_b32 v4, 16, v1
	global_store_b64 v[2:3], v[4:5], off
.LBB34_1770:
	s_mov_b32 s3, 0
.LBB34_1771:
	s_delay_alu instid0(SALU_CYCLE_1)
	s_and_not1_b32 vcc_lo, exec_lo, s3
	s_cbranch_vccnz .LBB34_1773
; %bb.1772:
	s_wait_xcnt 0x0
	v_lshlrev_b32_e32 v4, 16, v1
	s_delay_alu instid0(VALU_DEP_1) | instskip(NEXT) | instid1(VALU_DEP_1)
	v_cvt_f16_f32_e32 v4, v4
	v_and_b32_e32 v4, 0xffff, v4
	global_store_b32 v[2:3], v4, off
.LBB34_1773:
	s_mov_b32 s3, 0
.LBB34_1774:
	s_delay_alu instid0(SALU_CYCLE_1)
	s_and_not1_b32 vcc_lo, exec_lo, s3
	s_cbranch_vccnz .LBB34_1783
; %bb.1775:
	s_cmp_lt_i32 s0, 6
	s_mov_b32 s3, -1
	s_cbranch_scc1 .LBB34_1781
; %bb.1776:
	s_cmp_gt_i32 s0, 6
	s_cbranch_scc0 .LBB34_1778
; %bb.1777:
	s_wait_xcnt 0x0
	v_lshlrev_b32_e32 v4, 16, v1
	s_mov_b32 s3, 0
	s_delay_alu instid0(VALU_DEP_1)
	v_cvt_f64_f32_e32 v[4:5], v4
	global_store_b64 v[2:3], v[4:5], off
.LBB34_1778:
	s_and_not1_b32 vcc_lo, exec_lo, s3
	s_cbranch_vccnz .LBB34_1780
; %bb.1779:
	s_wait_xcnt 0x0
	v_lshlrev_b32_e32 v4, 16, v1
	global_store_b32 v[2:3], v4, off
.LBB34_1780:
	s_mov_b32 s3, 0
.LBB34_1781:
	s_delay_alu instid0(SALU_CYCLE_1)
	s_and_not1_b32 vcc_lo, exec_lo, s3
	s_cbranch_vccnz .LBB34_1783
; %bb.1782:
	s_wait_xcnt 0x0
	v_lshlrev_b32_e32 v4, 16, v1
	s_delay_alu instid0(VALU_DEP_1)
	v_cvt_f16_f32_e32 v4, v4
	global_store_b16 v[2:3], v4, off
.LBB34_1783:
	s_mov_b32 s3, 0
.LBB34_1784:
	s_delay_alu instid0(SALU_CYCLE_1)
	s_and_not1_b32 vcc_lo, exec_lo, s3
	s_cbranch_vccnz .LBB34_1800
; %bb.1785:
	s_cmp_lt_i32 s0, 2
	s_mov_b32 s3, -1
	s_cbranch_scc1 .LBB34_1795
; %bb.1786:
	s_cmp_lt_i32 s0, 3
	s_cbranch_scc1 .LBB34_1792
; %bb.1787:
	s_cmp_gt_i32 s0, 3
	s_cbranch_scc0 .LBB34_1789
; %bb.1788:
	s_wait_xcnt 0x0
	v_lshlrev_b32_e32 v4, 16, v1
	s_mov_b32 s3, 0
	s_delay_alu instid0(VALU_DEP_1) | instskip(NEXT) | instid1(VALU_DEP_1)
	v_trunc_f32_e32 v4, v4
	v_mul_f32_e64 v5, 0x2f800000, |v4|
	s_delay_alu instid0(VALU_DEP_1) | instskip(NEXT) | instid1(VALU_DEP_1)
	v_floor_f32_e32 v5, v5
	v_fma_f32 v6, 0xcf800000, v5, |v4|
	v_ashrrev_i32_e32 v4, 31, v4
	v_cvt_u32_f32_e32 v9, v5
	s_delay_alu instid0(VALU_DEP_3) | instskip(NEXT) | instid1(VALU_DEP_2)
	v_cvt_u32_f32_e32 v6, v6
	v_dual_mov_b32 v5, v4 :: v_dual_bitop2_b32 v11, v9, v4 bitop3:0x14
	s_delay_alu instid0(VALU_DEP_2) | instskip(NEXT) | instid1(VALU_DEP_1)
	v_xor_b32_e32 v10, v6, v4
	v_sub_nc_u64_e32 v[4:5], v[10:11], v[4:5]
	global_store_b64 v[2:3], v[4:5], off
.LBB34_1789:
	s_and_not1_b32 vcc_lo, exec_lo, s3
	s_cbranch_vccnz .LBB34_1791
; %bb.1790:
	s_wait_xcnt 0x0
	v_lshlrev_b32_e32 v4, 16, v1
	s_delay_alu instid0(VALU_DEP_1)
	v_cvt_i32_f32_e32 v4, v4
	global_store_b32 v[2:3], v4, off
.LBB34_1791:
	s_mov_b32 s3, 0
.LBB34_1792:
	s_delay_alu instid0(SALU_CYCLE_1)
	s_and_not1_b32 vcc_lo, exec_lo, s3
	s_cbranch_vccnz .LBB34_1794
; %bb.1793:
	s_wait_xcnt 0x0
	v_lshlrev_b32_e32 v4, 16, v1
	s_delay_alu instid0(VALU_DEP_1)
	v_cvt_i32_f32_e32 v4, v4
	global_store_b16 v[2:3], v4, off
.LBB34_1794:
	s_mov_b32 s3, 0
.LBB34_1795:
	s_delay_alu instid0(SALU_CYCLE_1)
	s_and_not1_b32 vcc_lo, exec_lo, s3
	s_cbranch_vccnz .LBB34_1800
; %bb.1796:
	s_wait_xcnt 0x0
	v_lshlrev_b32_e32 v1, 16, v1
	s_cmp_gt_i32 s0, 0
	s_mov_b32 s0, -1
	s_cbranch_scc0 .LBB34_1798
; %bb.1797:
	s_delay_alu instid0(VALU_DEP_1)
	v_cvt_i32_f32_e32 v4, v1
	s_mov_b32 s0, 0
	global_store_b8 v[2:3], v4, off
.LBB34_1798:
	s_and_not1_b32 vcc_lo, exec_lo, s0
	s_cbranch_vccnz .LBB34_1800
; %bb.1799:
	v_trunc_f32_e32 v1, v1
	s_wait_xcnt 0x0
	s_delay_alu instid0(VALU_DEP_1) | instskip(NEXT) | instid1(VALU_DEP_1)
	v_mul_f32_e64 v4, 0x2f800000, |v1|
	v_floor_f32_e32 v4, v4
	s_delay_alu instid0(VALU_DEP_1) | instskip(SKIP_1) | instid1(VALU_DEP_2)
	v_fma_f32 v4, 0xcf800000, v4, |v1|
	v_ashrrev_i32_e32 v1, 31, v1
	v_cvt_u32_f32_e32 v4, v4
	s_delay_alu instid0(VALU_DEP_1) | instskip(NEXT) | instid1(VALU_DEP_1)
	v_xor_b32_e32 v4, v4, v1
	v_sub_nc_u32_e32 v1, v4, v1
	global_store_b8 v[2:3], v1, off
.LBB34_1800:
	s_mov_b32 s7, -1
.LBB34_1801:
	s_delay_alu instid0(SALU_CYCLE_1)
	s_and_not1_b32 vcc_lo, exec_lo, s7
	s_cbranch_vccnz .LBB34_1997
; %bb.1802:
	s_wait_xcnt 0x0
	v_bfe_u32 v1, v7, 16, 1
	v_cmp_o_f32_e32 vcc_lo, v7, v7
	s_cmp_lt_i32 s14, 11
	s_delay_alu instid0(VALU_DEP_2) | instskip(NEXT) | instid1(VALU_DEP_1)
	v_add3_u32 v2, v7, v1, 0x7fff
	v_dual_add_nc_u32 v0, s2, v0 :: v_dual_lshrrev_b32 v4, 16, v2
	s_delay_alu instid0(VALU_DEP_1) | instskip(NEXT) | instid1(VALU_DEP_1)
	v_ashrrev_i32_e32 v1, 31, v0
	v_add_nc_u64_e32 v[2:3], s[4:5], v[0:1]
	s_delay_alu instid0(VALU_DEP_3)
	v_cndmask_b32_e32 v1, 0x7fc0, v4, vcc_lo
	s_cbranch_scc1 .LBB34_1880
; %bb.1803:
	s_and_b32 s3, 0xffff, s14
	s_mov_b32 s8, -1
	s_mov_b32 s6, 0
	s_cmp_gt_i32 s3, 25
	s_mov_b32 s7, 0
	s_mov_b32 s0, 0
	s_cbranch_scc0 .LBB34_1836
; %bb.1804:
	s_cmp_gt_i32 s3, 28
	s_cbranch_scc0 .LBB34_1819
; %bb.1805:
	s_cmp_gt_i32 s3, 43
	;; [unrolled: 3-line block ×3, first 2 shown]
	s_cbranch_scc0 .LBB34_1809
; %bb.1807:
	s_mov_b32 s0, -1
	s_mov_b32 s8, 0
	s_cmp_eq_u32 s3, 46
	s_cbranch_scc0 .LBB34_1809
; %bb.1808:
	v_and_b32_e32 v4, 0xffff, v1
	s_mov_b32 s0, 0
	s_mov_b32 s7, -1
	global_store_b32 v[2:3], v4, off
.LBB34_1809:
	s_and_b32 vcc_lo, exec_lo, s8
	s_cbranch_vccz .LBB34_1814
; %bb.1810:
	s_cmp_eq_u32 s3, 44
	s_mov_b32 s0, -1
	s_cbranch_scc0 .LBB34_1814
; %bb.1811:
	s_wait_xcnt 0x0
	v_and_b32_e32 v4, 0xffff, v1
	v_mov_b32_e32 v5, 0xff
	s_mov_b32 s7, exec_lo
	s_delay_alu instid0(VALU_DEP_2) | instskip(NEXT) | instid1(VALU_DEP_1)
	v_bfe_u32 v6, v4, 7, 8
	v_cmpx_ne_u32_e32 0xff, v6
	s_cbranch_execz .LBB34_1813
; %bb.1812:
	v_dual_lshlrev_b32 v5, 16, v4 :: v_dual_bitop2_b32 v7, 64, v4 bitop3:0x40
	v_lshrrev_b32_e32 v4, 7, v4
	s_delay_alu instid0(VALU_DEP_2) | instskip(NEXT) | instid1(VALU_DEP_3)
	v_and_or_b32 v5, 0x3f0000, v5, v6
	v_cmp_ne_u32_e32 vcc_lo, 0, v7
	s_delay_alu instid0(VALU_DEP_2) | instskip(SKIP_1) | instid1(SALU_CYCLE_1)
	v_cmp_ne_u32_e64 s0, 0, v5
	s_and_b32 s0, vcc_lo, s0
	v_cndmask_b32_e64 v5, 0, 1, s0
	s_delay_alu instid0(VALU_DEP_1)
	v_add_nc_u32_e32 v5, v4, v5
.LBB34_1813:
	s_or_b32 exec_lo, exec_lo, s7
	s_mov_b32 s0, 0
	s_mov_b32 s7, -1
	global_store_b8 v[2:3], v5, off
.LBB34_1814:
	s_mov_b32 s8, 0
.LBB34_1815:
	s_delay_alu instid0(SALU_CYCLE_1)
	s_and_b32 vcc_lo, exec_lo, s8
	s_cbranch_vccz .LBB34_1818
; %bb.1816:
	s_cmp_eq_u32 s3, 29
	s_mov_b32 s0, -1
	s_cbranch_scc0 .LBB34_1818
; %bb.1817:
	s_wait_xcnt 0x0
	v_lshlrev_b32_e32 v4, 16, v1
	s_mov_b32 s0, 0
	s_mov_b32 s7, -1
	s_delay_alu instid0(VALU_DEP_1) | instskip(NEXT) | instid1(VALU_DEP_1)
	v_trunc_f32_e32 v4, v4
	v_mul_f32_e32 v5, 0x2f800000, v4
	s_delay_alu instid0(VALU_DEP_1) | instskip(NEXT) | instid1(VALU_DEP_1)
	v_floor_f32_e32 v5, v5
	v_fmamk_f32 v4, v5, 0xcf800000, v4
	v_cvt_u32_f32_e32 v5, v5
	s_delay_alu instid0(VALU_DEP_2)
	v_cvt_u32_f32_e32 v4, v4
	global_store_b64 v[2:3], v[4:5], off
.LBB34_1818:
	s_mov_b32 s8, 0
.LBB34_1819:
	s_delay_alu instid0(SALU_CYCLE_1)
	s_and_b32 vcc_lo, exec_lo, s8
	s_cbranch_vccz .LBB34_1835
; %bb.1820:
	s_cmp_lt_i32 s3, 27
	s_mov_b32 s7, -1
	s_cbranch_scc1 .LBB34_1826
; %bb.1821:
	s_cmp_gt_i32 s3, 27
	s_cbranch_scc0 .LBB34_1823
; %bb.1822:
	s_wait_xcnt 0x0
	v_lshlrev_b32_e32 v4, 16, v1
	s_mov_b32 s7, 0
	s_delay_alu instid0(VALU_DEP_1)
	v_cvt_u32_f32_e32 v4, v4
	global_store_b32 v[2:3], v4, off
.LBB34_1823:
	s_and_not1_b32 vcc_lo, exec_lo, s7
	s_cbranch_vccnz .LBB34_1825
; %bb.1824:
	s_wait_xcnt 0x0
	v_lshlrev_b32_e32 v4, 16, v1
	s_delay_alu instid0(VALU_DEP_1)
	v_cvt_u32_f32_e32 v4, v4
	global_store_b16 v[2:3], v4, off
.LBB34_1825:
	s_mov_b32 s7, 0
.LBB34_1826:
	s_delay_alu instid0(SALU_CYCLE_1)
	s_and_not1_b32 vcc_lo, exec_lo, s7
	s_cbranch_vccnz .LBB34_1834
; %bb.1827:
	v_dual_mov_b32 v7, 0x80 :: v_dual_lshlrev_b32 v6, 16, v1
	s_mov_b32 s7, exec_lo
	s_wait_xcnt 0x0
	s_delay_alu instid0(VALU_DEP_1) | instskip(NEXT) | instid1(VALU_DEP_1)
	v_and_b32_e32 v5, 0x7fffffff, v6
	v_cmpx_gt_u32_e32 0x43800000, v5
	s_cbranch_execz .LBB34_1833
; %bb.1828:
	v_and_b32_e32 v4, 0xffff, v1
	v_cmp_lt_u32_e32 vcc_lo, 0x3bffffff, v5
	s_mov_b32 s8, 0
                                        ; implicit-def: $vgpr5
	s_and_saveexec_b32 s9, vcc_lo
	s_delay_alu instid0(SALU_CYCLE_1)
	s_xor_b32 s9, exec_lo, s9
	s_cbranch_execz .LBB34_2054
; %bb.1829:
	v_bfe_u32 v5, v4, 4, 1
	s_mov_b32 s8, exec_lo
	s_delay_alu instid0(VALU_DEP_1) | instskip(NEXT) | instid1(VALU_DEP_1)
	v_add3_u32 v5, v6, v5, 0x487ffff
                                        ; implicit-def: $vgpr6
	v_lshrrev_b32_e32 v5, 20, v5
	s_and_not1_saveexec_b32 s9, s9
	s_cbranch_execnz .LBB34_2055
.LBB34_1830:
	s_or_b32 exec_lo, exec_lo, s9
	v_mov_b32_e32 v7, 0
	s_and_saveexec_b32 s9, s8
.LBB34_1831:
	v_lshrrev_b32_e32 v4, 8, v4
	s_delay_alu instid0(VALU_DEP_1)
	v_and_or_b32 v7, 0x80, v4, v5
.LBB34_1832:
	s_or_b32 exec_lo, exec_lo, s9
.LBB34_1833:
	s_delay_alu instid0(SALU_CYCLE_1)
	s_or_b32 exec_lo, exec_lo, s7
	global_store_b8 v[2:3], v7, off
.LBB34_1834:
	s_mov_b32 s7, -1
.LBB34_1835:
	s_mov_b32 s8, 0
.LBB34_1836:
	s_delay_alu instid0(SALU_CYCLE_1)
	s_and_b32 vcc_lo, exec_lo, s8
	s_cbranch_vccz .LBB34_1876
; %bb.1837:
	s_cmp_gt_i32 s3, 22
	s_mov_b32 s6, -1
	s_cbranch_scc0 .LBB34_1869
; %bb.1838:
	s_cmp_lt_i32 s3, 24
	s_cbranch_scc1 .LBB34_1858
; %bb.1839:
	s_cmp_gt_i32 s3, 24
	s_cbranch_scc0 .LBB34_1847
; %bb.1840:
	s_wait_xcnt 0x0
	v_dual_mov_b32 v7, 0x80 :: v_dual_lshlrev_b32 v6, 16, v1
	s_mov_b32 s6, exec_lo
	s_delay_alu instid0(VALU_DEP_1) | instskip(NEXT) | instid1(VALU_DEP_1)
	v_and_b32_e32 v5, 0x7fffffff, v6
	v_cmpx_gt_u32_e32 0x47800000, v5
	s_cbranch_execz .LBB34_1846
; %bb.1841:
	v_and_b32_e32 v4, 0xffff, v1
	v_cmp_lt_u32_e32 vcc_lo, 0x37ffffff, v5
	s_mov_b32 s7, 0
                                        ; implicit-def: $vgpr5
	s_and_saveexec_b32 s8, vcc_lo
	s_delay_alu instid0(SALU_CYCLE_1)
	s_xor_b32 s8, exec_lo, s8
	s_cbranch_execz .LBB34_2057
; %bb.1842:
	v_bfe_u32 v5, v4, 5, 1
	s_mov_b32 s7, exec_lo
	s_delay_alu instid0(VALU_DEP_1) | instskip(NEXT) | instid1(VALU_DEP_1)
	v_add3_u32 v5, v6, v5, 0x88fffff
                                        ; implicit-def: $vgpr6
	v_lshrrev_b32_e32 v5, 21, v5
	s_and_not1_saveexec_b32 s8, s8
	s_cbranch_execnz .LBB34_2058
.LBB34_1843:
	s_or_b32 exec_lo, exec_lo, s8
	v_mov_b32_e32 v7, 0
	s_and_saveexec_b32 s8, s7
.LBB34_1844:
	v_lshrrev_b32_e32 v4, 8, v4
	s_delay_alu instid0(VALU_DEP_1)
	v_and_or_b32 v7, 0x80, v4, v5
.LBB34_1845:
	s_or_b32 exec_lo, exec_lo, s8
.LBB34_1846:
	s_delay_alu instid0(SALU_CYCLE_1)
	s_or_b32 exec_lo, exec_lo, s6
	s_mov_b32 s6, 0
	global_store_b8 v[2:3], v7, off
.LBB34_1847:
	s_and_b32 vcc_lo, exec_lo, s6
	s_cbranch_vccz .LBB34_1857
; %bb.1848:
	v_lshlrev_b32_e32 v6, 16, v1
	s_wait_xcnt 0x0
	v_and_b32_e32 v4, 0xffff, v1
	s_mov_b32 s6, exec_lo
                                        ; implicit-def: $vgpr5
	s_delay_alu instid0(VALU_DEP_2) | instskip(NEXT) | instid1(VALU_DEP_1)
	v_and_b32_e32 v7, 0x7fffffff, v6
	v_cmpx_gt_u32_e32 0x43f00000, v7
	s_xor_b32 s6, exec_lo, s6
	s_cbranch_execz .LBB34_1854
; %bb.1849:
	s_mov_b32 s7, exec_lo
                                        ; implicit-def: $vgpr5
	v_cmpx_lt_u32_e32 0x3c7fffff, v7
	s_xor_b32 s7, exec_lo, s7
; %bb.1850:
	v_bfe_u32 v5, v4, 4, 1
	s_delay_alu instid0(VALU_DEP_1) | instskip(NEXT) | instid1(VALU_DEP_1)
	v_add3_u32 v5, v6, v5, 0x407ffff
	v_and_b32_e32 v6, 0xff00000, v5
	v_lshrrev_b32_e32 v5, 20, v5
	s_delay_alu instid0(VALU_DEP_2) | instskip(NEXT) | instid1(VALU_DEP_2)
	v_cmp_ne_u32_e32 vcc_lo, 0x7f00000, v6
                                        ; implicit-def: $vgpr6
	v_cndmask_b32_e32 v5, 0x7e, v5, vcc_lo
; %bb.1851:
	s_and_not1_saveexec_b32 s7, s7
; %bb.1852:
	v_add_f32_e64 v5, 0x46800000, |v6|
; %bb.1853:
	s_or_b32 exec_lo, exec_lo, s7
                                        ; implicit-def: $vgpr7
.LBB34_1854:
	s_and_not1_saveexec_b32 s6, s6
; %bb.1855:
	v_mov_b32_e32 v5, 0x7f
	v_cmp_lt_u32_e32 vcc_lo, 0x7f800000, v7
	s_delay_alu instid0(VALU_DEP_2)
	v_cndmask_b32_e32 v5, 0x7e, v5, vcc_lo
; %bb.1856:
	s_or_b32 exec_lo, exec_lo, s6
	v_lshrrev_b32_e32 v4, 8, v4
	s_delay_alu instid0(VALU_DEP_1)
	v_and_or_b32 v4, 0x80, v4, v5
	global_store_b8 v[2:3], v4, off
.LBB34_1857:
	s_mov_b32 s6, 0
.LBB34_1858:
	s_delay_alu instid0(SALU_CYCLE_1)
	s_and_not1_b32 vcc_lo, exec_lo, s6
	s_cbranch_vccnz .LBB34_1868
; %bb.1859:
	v_lshlrev_b32_e32 v6, 16, v1
	s_wait_xcnt 0x0
	v_and_b32_e32 v4, 0xffff, v1
	s_mov_b32 s6, exec_lo
                                        ; implicit-def: $vgpr5
	s_delay_alu instid0(VALU_DEP_2) | instskip(NEXT) | instid1(VALU_DEP_1)
	v_and_b32_e32 v7, 0x7fffffff, v6
	v_cmpx_gt_u32_e32 0x47800000, v7
	s_xor_b32 s6, exec_lo, s6
	s_cbranch_execz .LBB34_1865
; %bb.1860:
	s_mov_b32 s7, exec_lo
                                        ; implicit-def: $vgpr5
	v_cmpx_lt_u32_e32 0x387fffff, v7
	s_xor_b32 s7, exec_lo, s7
; %bb.1861:
	v_bfe_u32 v5, v4, 5, 1
	s_delay_alu instid0(VALU_DEP_1) | instskip(NEXT) | instid1(VALU_DEP_1)
	v_add3_u32 v5, v6, v5, 0x80fffff
                                        ; implicit-def: $vgpr6
	v_lshrrev_b32_e32 v5, 21, v5
; %bb.1862:
	s_and_not1_saveexec_b32 s7, s7
; %bb.1863:
	v_add_f32_e64 v5, 0x43000000, |v6|
; %bb.1864:
	s_or_b32 exec_lo, exec_lo, s7
                                        ; implicit-def: $vgpr7
.LBB34_1865:
	s_and_not1_saveexec_b32 s6, s6
; %bb.1866:
	v_mov_b32_e32 v5, 0x7f
	v_cmp_lt_u32_e32 vcc_lo, 0x7f800000, v7
	s_delay_alu instid0(VALU_DEP_2)
	v_cndmask_b32_e32 v5, 0x7c, v5, vcc_lo
; %bb.1867:
	s_or_b32 exec_lo, exec_lo, s6
	v_lshrrev_b32_e32 v4, 8, v4
	s_delay_alu instid0(VALU_DEP_1)
	v_and_or_b32 v4, 0x80, v4, v5
	global_store_b8 v[2:3], v4, off
.LBB34_1868:
	s_mov_b32 s6, 0
	s_mov_b32 s7, -1
.LBB34_1869:
	s_and_not1_b32 vcc_lo, exec_lo, s6
	s_mov_b32 s6, 0
	s_cbranch_vccnz .LBB34_1876
; %bb.1870:
	s_cmp_gt_i32 s3, 14
	s_mov_b32 s6, -1
	s_cbranch_scc0 .LBB34_1874
; %bb.1871:
	s_cmp_eq_u32 s3, 15
	s_mov_b32 s0, -1
	s_cbranch_scc0 .LBB34_1873
; %bb.1872:
	s_mov_b32 s0, 0
	s_mov_b32 s7, -1
	global_store_b16 v[2:3], v1, off
.LBB34_1873:
	s_mov_b32 s6, 0
.LBB34_1874:
	s_delay_alu instid0(SALU_CYCLE_1)
	s_and_b32 vcc_lo, exec_lo, s6
	s_mov_b32 s6, 0
	s_cbranch_vccz .LBB34_1876
; %bb.1875:
	s_cmp_lg_u32 s3, 11
	s_mov_b32 s6, -1
	s_cselect_b32 s0, -1, 0
.LBB34_1876:
	s_delay_alu instid0(SALU_CYCLE_1)
	s_and_b32 vcc_lo, exec_lo, s0
	s_cbranch_vccnz .LBB34_2056
; %bb.1877:
	s_and_not1_b32 vcc_lo, exec_lo, s6
	s_cbranch_vccnz .LBB34_1879
.LBB34_1878:
	s_wait_xcnt 0x0
	v_and_b32_e32 v4, 0x7fff, v1
	s_mov_b32 s7, -1
	s_delay_alu instid0(VALU_DEP_1)
	v_cmp_ne_u16_e32 vcc_lo, 0, v4
	v_cndmask_b32_e64 v4, 0, 1, vcc_lo
	global_store_b8 v[2:3], v4, off
.LBB34_1879:
	s_mov_b32 s0, 0
	s_branch .LBB34_1881
.LBB34_1880:
	s_mov_b32 s0, -1
	s_mov_b32 s7, 0
.LBB34_1881:
	s_and_b32 vcc_lo, exec_lo, s0
	s_cbranch_vccz .LBB34_1920
; %bb.1882:
	s_and_b32 s0, 0xffff, s14
	s_mov_b32 s3, -1
	s_cmp_lt_i32 s0, 5
	s_cbranch_scc1 .LBB34_1903
; %bb.1883:
	s_cmp_lt_i32 s0, 8
	s_cbranch_scc1 .LBB34_1893
; %bb.1884:
	;; [unrolled: 3-line block ×3, first 2 shown]
	s_cmp_gt_i32 s0, 9
	s_cbranch_scc0 .LBB34_1887
; %bb.1886:
	s_wait_xcnt 0x0
	v_dual_lshlrev_b32 v4, 16, v1 :: v_dual_mov_b32 v6, 0
	s_mov_b32 s3, 0
	s_delay_alu instid0(VALU_DEP_1) | instskip(NEXT) | instid1(VALU_DEP_2)
	v_cvt_f64_f32_e32 v[4:5], v4
	v_mov_b32_e32 v7, v6
	global_store_b128 v[2:3], v[4:7], off
.LBB34_1887:
	s_and_not1_b32 vcc_lo, exec_lo, s3
	s_cbranch_vccnz .LBB34_1889
; %bb.1888:
	s_wait_xcnt 0x0
	v_dual_mov_b32 v5, 0 :: v_dual_lshlrev_b32 v4, 16, v1
	global_store_b64 v[2:3], v[4:5], off
.LBB34_1889:
	s_mov_b32 s3, 0
.LBB34_1890:
	s_delay_alu instid0(SALU_CYCLE_1)
	s_and_not1_b32 vcc_lo, exec_lo, s3
	s_cbranch_vccnz .LBB34_1892
; %bb.1891:
	s_wait_xcnt 0x0
	v_lshlrev_b32_e32 v4, 16, v1
	s_delay_alu instid0(VALU_DEP_1) | instskip(NEXT) | instid1(VALU_DEP_1)
	v_cvt_f16_f32_e32 v4, v4
	v_and_b32_e32 v4, 0xffff, v4
	global_store_b32 v[2:3], v4, off
.LBB34_1892:
	s_mov_b32 s3, 0
.LBB34_1893:
	s_delay_alu instid0(SALU_CYCLE_1)
	s_and_not1_b32 vcc_lo, exec_lo, s3
	s_cbranch_vccnz .LBB34_1902
; %bb.1894:
	s_cmp_lt_i32 s0, 6
	s_mov_b32 s3, -1
	s_cbranch_scc1 .LBB34_1900
; %bb.1895:
	s_cmp_gt_i32 s0, 6
	s_cbranch_scc0 .LBB34_1897
; %bb.1896:
	s_wait_xcnt 0x0
	v_lshlrev_b32_e32 v4, 16, v1
	s_mov_b32 s3, 0
	s_delay_alu instid0(VALU_DEP_1)
	v_cvt_f64_f32_e32 v[4:5], v4
	global_store_b64 v[2:3], v[4:5], off
.LBB34_1897:
	s_and_not1_b32 vcc_lo, exec_lo, s3
	s_cbranch_vccnz .LBB34_1899
; %bb.1898:
	s_wait_xcnt 0x0
	v_lshlrev_b32_e32 v4, 16, v1
	global_store_b32 v[2:3], v4, off
.LBB34_1899:
	s_mov_b32 s3, 0
.LBB34_1900:
	s_delay_alu instid0(SALU_CYCLE_1)
	s_and_not1_b32 vcc_lo, exec_lo, s3
	s_cbranch_vccnz .LBB34_1902
; %bb.1901:
	s_wait_xcnt 0x0
	v_lshlrev_b32_e32 v4, 16, v1
	s_delay_alu instid0(VALU_DEP_1)
	v_cvt_f16_f32_e32 v4, v4
	global_store_b16 v[2:3], v4, off
.LBB34_1902:
	s_mov_b32 s3, 0
.LBB34_1903:
	s_delay_alu instid0(SALU_CYCLE_1)
	s_and_not1_b32 vcc_lo, exec_lo, s3
	s_cbranch_vccnz .LBB34_1919
; %bb.1904:
	s_cmp_lt_i32 s0, 2
	s_mov_b32 s3, -1
	s_cbranch_scc1 .LBB34_1914
; %bb.1905:
	s_cmp_lt_i32 s0, 3
	s_cbranch_scc1 .LBB34_1911
; %bb.1906:
	s_cmp_gt_i32 s0, 3
	s_cbranch_scc0 .LBB34_1908
; %bb.1907:
	s_wait_xcnt 0x0
	v_lshlrev_b32_e32 v4, 16, v1
	s_mov_b32 s3, 0
	s_delay_alu instid0(VALU_DEP_1) | instskip(NEXT) | instid1(VALU_DEP_1)
	v_trunc_f32_e32 v4, v4
	v_mul_f32_e64 v5, 0x2f800000, |v4|
	s_delay_alu instid0(VALU_DEP_1) | instskip(NEXT) | instid1(VALU_DEP_1)
	v_floor_f32_e32 v5, v5
	v_fma_f32 v6, 0xcf800000, v5, |v4|
	v_ashrrev_i32_e32 v4, 31, v4
	v_cvt_u32_f32_e32 v7, v5
	s_delay_alu instid0(VALU_DEP_3) | instskip(NEXT) | instid1(VALU_DEP_2)
	v_cvt_u32_f32_e32 v6, v6
	v_dual_mov_b32 v5, v4 :: v_dual_bitop2_b32 v7, v7, v4 bitop3:0x14
	s_delay_alu instid0(VALU_DEP_2) | instskip(NEXT) | instid1(VALU_DEP_1)
	v_xor_b32_e32 v6, v6, v4
	v_sub_nc_u64_e32 v[4:5], v[6:7], v[4:5]
	global_store_b64 v[2:3], v[4:5], off
.LBB34_1908:
	s_and_not1_b32 vcc_lo, exec_lo, s3
	s_cbranch_vccnz .LBB34_1910
; %bb.1909:
	s_wait_xcnt 0x0
	v_lshlrev_b32_e32 v4, 16, v1
	s_delay_alu instid0(VALU_DEP_1)
	v_cvt_i32_f32_e32 v4, v4
	global_store_b32 v[2:3], v4, off
.LBB34_1910:
	s_mov_b32 s3, 0
.LBB34_1911:
	s_delay_alu instid0(SALU_CYCLE_1)
	s_and_not1_b32 vcc_lo, exec_lo, s3
	s_cbranch_vccnz .LBB34_1913
; %bb.1912:
	s_wait_xcnt 0x0
	v_lshlrev_b32_e32 v4, 16, v1
	s_delay_alu instid0(VALU_DEP_1)
	v_cvt_i32_f32_e32 v4, v4
	global_store_b16 v[2:3], v4, off
.LBB34_1913:
	s_mov_b32 s3, 0
.LBB34_1914:
	s_delay_alu instid0(SALU_CYCLE_1)
	s_and_not1_b32 vcc_lo, exec_lo, s3
	s_cbranch_vccnz .LBB34_1919
; %bb.1915:
	s_wait_xcnt 0x0
	v_lshlrev_b32_e32 v1, 16, v1
	s_cmp_gt_i32 s0, 0
	s_mov_b32 s0, -1
	s_cbranch_scc0 .LBB34_1917
; %bb.1916:
	s_delay_alu instid0(VALU_DEP_1)
	v_cvt_i32_f32_e32 v4, v1
	s_mov_b32 s0, 0
	global_store_b8 v[2:3], v4, off
.LBB34_1917:
	s_and_not1_b32 vcc_lo, exec_lo, s0
	s_cbranch_vccnz .LBB34_1919
; %bb.1918:
	v_trunc_f32_e32 v1, v1
	s_wait_xcnt 0x0
	s_delay_alu instid0(VALU_DEP_1) | instskip(NEXT) | instid1(VALU_DEP_1)
	v_mul_f32_e64 v4, 0x2f800000, |v1|
	v_floor_f32_e32 v4, v4
	s_delay_alu instid0(VALU_DEP_1) | instskip(SKIP_1) | instid1(VALU_DEP_2)
	v_fma_f32 v4, 0xcf800000, v4, |v1|
	v_ashrrev_i32_e32 v1, 31, v1
	v_cvt_u32_f32_e32 v4, v4
	s_delay_alu instid0(VALU_DEP_1) | instskip(NEXT) | instid1(VALU_DEP_1)
	v_xor_b32_e32 v4, v4, v1
	v_sub_nc_u32_e32 v1, v4, v1
	global_store_b8 v[2:3], v1, off
.LBB34_1919:
	s_mov_b32 s7, -1
.LBB34_1920:
	s_delay_alu instid0(SALU_CYCLE_1)
	s_and_not1_b32 vcc_lo, exec_lo, s7
	s_cbranch_vccnz .LBB34_1997
; %bb.1921:
	s_wait_xcnt 0x0
	v_bfe_u32 v1, v8, 16, 1
	v_cmp_o_f32_e32 vcc_lo, v8, v8
	s_cmp_lt_i32 s14, 11
	s_delay_alu instid0(VALU_DEP_2) | instskip(NEXT) | instid1(VALU_DEP_1)
	v_add3_u32 v2, v8, v1, 0x7fff
	v_dual_add_nc_u32 v0, s2, v0 :: v_dual_lshrrev_b32 v2, 16, v2
	s_delay_alu instid0(VALU_DEP_1) | instskip(NEXT) | instid1(VALU_DEP_1)
	v_dual_cndmask_b32 v2, 0x7fc0, v2 :: v_dual_ashrrev_i32 v1, 31, v0
	v_add_nc_u64_e32 v[0:1], s[4:5], v[0:1]
	s_cbranch_scc1 .LBB34_2042
; %bb.1922:
	s_and_b32 s2, 0xffff, s14
	s_mov_b32 s4, -1
	s_mov_b32 s3, 0
	s_cmp_gt_i32 s2, 25
	s_mov_b32 s0, 0
	s_cbranch_scc0 .LBB34_1955
; %bb.1923:
	s_cmp_gt_i32 s2, 28
	s_cbranch_scc0 .LBB34_1939
; %bb.1924:
	s_cmp_gt_i32 s2, 43
	;; [unrolled: 3-line block ×3, first 2 shown]
	s_cbranch_scc0 .LBB34_1929
; %bb.1926:
	s_cmp_eq_u32 s2, 46
	s_mov_b32 s0, -1
	s_cbranch_scc0 .LBB34_1928
; %bb.1927:
	v_and_b32_e32 v3, 0xffff, v2
	s_mov_b32 s0, 0
	global_store_b32 v[0:1], v3, off
.LBB34_1928:
	s_mov_b32 s4, 0
.LBB34_1929:
	s_delay_alu instid0(SALU_CYCLE_1)
	s_and_b32 vcc_lo, exec_lo, s4
	s_cbranch_vccz .LBB34_1934
; %bb.1930:
	s_cmp_eq_u32 s2, 44
	s_mov_b32 s0, -1
	s_cbranch_scc0 .LBB34_1934
; %bb.1931:
	s_wait_xcnt 0x0
	v_and_b32_e32 v3, 0xffff, v2
	v_mov_b32_e32 v4, 0xff
	s_mov_b32 s4, exec_lo
	s_delay_alu instid0(VALU_DEP_2) | instskip(NEXT) | instid1(VALU_DEP_1)
	v_bfe_u32 v5, v3, 7, 8
	v_cmpx_ne_u32_e32 0xff, v5
	s_cbranch_execz .LBB34_1933
; %bb.1932:
	v_dual_lshlrev_b32 v4, 16, v3 :: v_dual_bitop2_b32 v6, 64, v3 bitop3:0x40
	v_lshrrev_b32_e32 v3, 7, v3
	s_delay_alu instid0(VALU_DEP_2) | instskip(NEXT) | instid1(VALU_DEP_3)
	v_and_or_b32 v4, 0x3f0000, v4, v5
	v_cmp_ne_u32_e32 vcc_lo, 0, v6
	s_delay_alu instid0(VALU_DEP_2) | instskip(SKIP_1) | instid1(SALU_CYCLE_1)
	v_cmp_ne_u32_e64 s0, 0, v4
	s_and_b32 s0, vcc_lo, s0
	v_cndmask_b32_e64 v4, 0, 1, s0
	s_delay_alu instid0(VALU_DEP_1)
	v_add_nc_u32_e32 v4, v3, v4
.LBB34_1933:
	s_or_b32 exec_lo, exec_lo, s4
	s_mov_b32 s0, 0
	global_store_b8 v[0:1], v4, off
.LBB34_1934:
	s_mov_b32 s4, 0
.LBB34_1935:
	s_delay_alu instid0(SALU_CYCLE_1)
	s_and_b32 vcc_lo, exec_lo, s4
	s_cbranch_vccz .LBB34_1938
; %bb.1936:
	s_cmp_eq_u32 s2, 29
	s_mov_b32 s0, -1
	s_cbranch_scc0 .LBB34_1938
; %bb.1937:
	s_wait_xcnt 0x0
	v_lshlrev_b32_e32 v3, 16, v2
	s_mov_b32 s0, 0
	s_delay_alu instid0(VALU_DEP_1) | instskip(NEXT) | instid1(VALU_DEP_1)
	v_trunc_f32_e32 v3, v3
	v_mul_f32_e32 v4, 0x2f800000, v3
	s_delay_alu instid0(VALU_DEP_1) | instskip(NEXT) | instid1(VALU_DEP_1)
	v_floor_f32_e32 v4, v4
	v_fmamk_f32 v3, v4, 0xcf800000, v3
	v_cvt_u32_f32_e32 v5, v4
	s_delay_alu instid0(VALU_DEP_2)
	v_cvt_u32_f32_e32 v4, v3
	global_store_b64 v[0:1], v[4:5], off
.LBB34_1938:
	s_mov_b32 s4, 0
.LBB34_1939:
	s_delay_alu instid0(SALU_CYCLE_1)
	s_and_b32 vcc_lo, exec_lo, s4
	s_cbranch_vccz .LBB34_1954
; %bb.1940:
	s_cmp_lt_i32 s2, 27
	s_mov_b32 s4, -1
	s_cbranch_scc1 .LBB34_1946
; %bb.1941:
	s_cmp_gt_i32 s2, 27
	s_cbranch_scc0 .LBB34_1943
; %bb.1942:
	s_wait_xcnt 0x0
	v_lshlrev_b32_e32 v3, 16, v2
	s_mov_b32 s4, 0
	s_delay_alu instid0(VALU_DEP_1)
	v_cvt_u32_f32_e32 v3, v3
	global_store_b32 v[0:1], v3, off
.LBB34_1943:
	s_and_not1_b32 vcc_lo, exec_lo, s4
	s_cbranch_vccnz .LBB34_1945
; %bb.1944:
	s_wait_xcnt 0x0
	v_lshlrev_b32_e32 v3, 16, v2
	s_delay_alu instid0(VALU_DEP_1)
	v_cvt_u32_f32_e32 v3, v3
	global_store_b16 v[0:1], v3, off
.LBB34_1945:
	s_mov_b32 s4, 0
.LBB34_1946:
	s_delay_alu instid0(SALU_CYCLE_1)
	s_and_not1_b32 vcc_lo, exec_lo, s4
	s_cbranch_vccnz .LBB34_1954
; %bb.1947:
	s_wait_xcnt 0x0
	v_dual_mov_b32 v6, 0x80 :: v_dual_lshlrev_b32 v5, 16, v2
	s_mov_b32 s4, exec_lo
	s_delay_alu instid0(VALU_DEP_1) | instskip(NEXT) | instid1(VALU_DEP_1)
	v_and_b32_e32 v4, 0x7fffffff, v5
	v_cmpx_gt_u32_e32 0x43800000, v4
	s_cbranch_execz .LBB34_1953
; %bb.1948:
	v_and_b32_e32 v3, 0xffff, v2
	v_cmp_lt_u32_e32 vcc_lo, 0x3bffffff, v4
	s_mov_b32 s5, 0
                                        ; implicit-def: $vgpr4
	s_and_saveexec_b32 s6, vcc_lo
	s_delay_alu instid0(SALU_CYCLE_1)
	s_xor_b32 s6, exec_lo, s6
	s_cbranch_execz .LBB34_2059
; %bb.1949:
	v_bfe_u32 v4, v3, 4, 1
	s_mov_b32 s5, exec_lo
	s_delay_alu instid0(VALU_DEP_1) | instskip(NEXT) | instid1(VALU_DEP_1)
	v_add3_u32 v4, v5, v4, 0x487ffff
                                        ; implicit-def: $vgpr5
	v_lshrrev_b32_e32 v4, 20, v4
	s_and_not1_saveexec_b32 s6, s6
	s_cbranch_execnz .LBB34_2060
.LBB34_1950:
	s_or_b32 exec_lo, exec_lo, s6
	v_mov_b32_e32 v6, 0
	s_and_saveexec_b32 s6, s5
.LBB34_1951:
	v_lshrrev_b32_e32 v3, 8, v3
	s_delay_alu instid0(VALU_DEP_1)
	v_and_or_b32 v6, 0x80, v3, v4
.LBB34_1952:
	s_or_b32 exec_lo, exec_lo, s6
.LBB34_1953:
	s_delay_alu instid0(SALU_CYCLE_1)
	s_or_b32 exec_lo, exec_lo, s4
	global_store_b8 v[0:1], v6, off
.LBB34_1954:
	s_mov_b32 s4, 0
.LBB34_1955:
	s_delay_alu instid0(SALU_CYCLE_1)
	s_and_b32 vcc_lo, exec_lo, s4
	s_cbranch_vccz .LBB34_1995
; %bb.1956:
	s_cmp_gt_i32 s2, 22
	s_mov_b32 s3, -1
	s_cbranch_scc0 .LBB34_1988
; %bb.1957:
	s_cmp_lt_i32 s2, 24
	s_cbranch_scc1 .LBB34_1977
; %bb.1958:
	s_cmp_gt_i32 s2, 24
	s_cbranch_scc0 .LBB34_1966
; %bb.1959:
	s_wait_xcnt 0x0
	v_dual_mov_b32 v6, 0x80 :: v_dual_lshlrev_b32 v5, 16, v2
	s_mov_b32 s3, exec_lo
	s_delay_alu instid0(VALU_DEP_1) | instskip(NEXT) | instid1(VALU_DEP_1)
	v_and_b32_e32 v4, 0x7fffffff, v5
	v_cmpx_gt_u32_e32 0x47800000, v4
	s_cbranch_execz .LBB34_1965
; %bb.1960:
	v_and_b32_e32 v3, 0xffff, v2
	v_cmp_lt_u32_e32 vcc_lo, 0x37ffffff, v4
	s_mov_b32 s4, 0
                                        ; implicit-def: $vgpr4
	s_and_saveexec_b32 s5, vcc_lo
	s_delay_alu instid0(SALU_CYCLE_1)
	s_xor_b32 s5, exec_lo, s5
	s_cbranch_execz .LBB34_2062
; %bb.1961:
	v_bfe_u32 v4, v3, 5, 1
	s_mov_b32 s4, exec_lo
	s_delay_alu instid0(VALU_DEP_1) | instskip(NEXT) | instid1(VALU_DEP_1)
	v_add3_u32 v4, v5, v4, 0x88fffff
                                        ; implicit-def: $vgpr5
	v_lshrrev_b32_e32 v4, 21, v4
	s_and_not1_saveexec_b32 s5, s5
	s_cbranch_execnz .LBB34_2063
.LBB34_1962:
	s_or_b32 exec_lo, exec_lo, s5
	v_mov_b32_e32 v6, 0
	s_and_saveexec_b32 s5, s4
.LBB34_1963:
	v_lshrrev_b32_e32 v3, 8, v3
	s_delay_alu instid0(VALU_DEP_1)
	v_and_or_b32 v6, 0x80, v3, v4
.LBB34_1964:
	s_or_b32 exec_lo, exec_lo, s5
.LBB34_1965:
	s_delay_alu instid0(SALU_CYCLE_1)
	s_or_b32 exec_lo, exec_lo, s3
	s_mov_b32 s3, 0
	global_store_b8 v[0:1], v6, off
.LBB34_1966:
	s_and_b32 vcc_lo, exec_lo, s3
	s_cbranch_vccz .LBB34_1976
; %bb.1967:
	s_wait_xcnt 0x0
	v_lshlrev_b32_e32 v5, 16, v2
	v_and_b32_e32 v3, 0xffff, v2
	s_mov_b32 s3, exec_lo
                                        ; implicit-def: $vgpr4
	s_delay_alu instid0(VALU_DEP_2) | instskip(NEXT) | instid1(VALU_DEP_1)
	v_and_b32_e32 v6, 0x7fffffff, v5
	v_cmpx_gt_u32_e32 0x43f00000, v6
	s_xor_b32 s3, exec_lo, s3
	s_cbranch_execz .LBB34_1973
; %bb.1968:
	s_mov_b32 s4, exec_lo
                                        ; implicit-def: $vgpr4
	v_cmpx_lt_u32_e32 0x3c7fffff, v6
	s_xor_b32 s4, exec_lo, s4
; %bb.1969:
	v_bfe_u32 v4, v3, 4, 1
	s_delay_alu instid0(VALU_DEP_1) | instskip(NEXT) | instid1(VALU_DEP_1)
	v_add3_u32 v4, v5, v4, 0x407ffff
	v_and_b32_e32 v5, 0xff00000, v4
	v_lshrrev_b32_e32 v4, 20, v4
	s_delay_alu instid0(VALU_DEP_2) | instskip(NEXT) | instid1(VALU_DEP_2)
	v_cmp_ne_u32_e32 vcc_lo, 0x7f00000, v5
                                        ; implicit-def: $vgpr5
	v_cndmask_b32_e32 v4, 0x7e, v4, vcc_lo
; %bb.1970:
	s_and_not1_saveexec_b32 s4, s4
; %bb.1971:
	v_add_f32_e64 v4, 0x46800000, |v5|
; %bb.1972:
	s_or_b32 exec_lo, exec_lo, s4
                                        ; implicit-def: $vgpr6
.LBB34_1973:
	s_and_not1_saveexec_b32 s3, s3
; %bb.1974:
	v_mov_b32_e32 v4, 0x7f
	v_cmp_lt_u32_e32 vcc_lo, 0x7f800000, v6
	s_delay_alu instid0(VALU_DEP_2)
	v_cndmask_b32_e32 v4, 0x7e, v4, vcc_lo
; %bb.1975:
	s_or_b32 exec_lo, exec_lo, s3
	v_lshrrev_b32_e32 v3, 8, v3
	s_delay_alu instid0(VALU_DEP_1)
	v_and_or_b32 v3, 0x80, v3, v4
	global_store_b8 v[0:1], v3, off
.LBB34_1976:
	s_mov_b32 s3, 0
.LBB34_1977:
	s_delay_alu instid0(SALU_CYCLE_1)
	s_and_not1_b32 vcc_lo, exec_lo, s3
	s_cbranch_vccnz .LBB34_1987
; %bb.1978:
	s_wait_xcnt 0x0
	v_lshlrev_b32_e32 v5, 16, v2
	v_and_b32_e32 v3, 0xffff, v2
	s_mov_b32 s3, exec_lo
                                        ; implicit-def: $vgpr4
	s_delay_alu instid0(VALU_DEP_2) | instskip(NEXT) | instid1(VALU_DEP_1)
	v_and_b32_e32 v6, 0x7fffffff, v5
	v_cmpx_gt_u32_e32 0x47800000, v6
	s_xor_b32 s3, exec_lo, s3
	s_cbranch_execz .LBB34_1984
; %bb.1979:
	s_mov_b32 s4, exec_lo
                                        ; implicit-def: $vgpr4
	v_cmpx_lt_u32_e32 0x387fffff, v6
	s_xor_b32 s4, exec_lo, s4
; %bb.1980:
	v_bfe_u32 v4, v3, 5, 1
	s_delay_alu instid0(VALU_DEP_1) | instskip(NEXT) | instid1(VALU_DEP_1)
	v_add3_u32 v4, v5, v4, 0x80fffff
                                        ; implicit-def: $vgpr5
	v_lshrrev_b32_e32 v4, 21, v4
; %bb.1981:
	s_and_not1_saveexec_b32 s4, s4
; %bb.1982:
	v_add_f32_e64 v4, 0x43000000, |v5|
; %bb.1983:
	s_or_b32 exec_lo, exec_lo, s4
                                        ; implicit-def: $vgpr6
.LBB34_1984:
	s_and_not1_saveexec_b32 s3, s3
; %bb.1985:
	v_mov_b32_e32 v4, 0x7f
	v_cmp_lt_u32_e32 vcc_lo, 0x7f800000, v6
	s_delay_alu instid0(VALU_DEP_2)
	v_cndmask_b32_e32 v4, 0x7c, v4, vcc_lo
; %bb.1986:
	s_or_b32 exec_lo, exec_lo, s3
	v_lshrrev_b32_e32 v3, 8, v3
	s_delay_alu instid0(VALU_DEP_1)
	v_and_or_b32 v3, 0x80, v3, v4
	global_store_b8 v[0:1], v3, off
.LBB34_1987:
	s_mov_b32 s3, 0
.LBB34_1988:
	s_delay_alu instid0(SALU_CYCLE_1)
	s_and_not1_b32 vcc_lo, exec_lo, s3
	s_mov_b32 s3, 0
	s_cbranch_vccnz .LBB34_1995
; %bb.1989:
	s_cmp_gt_i32 s2, 14
	s_mov_b32 s3, -1
	s_cbranch_scc0 .LBB34_1993
; %bb.1990:
	s_cmp_eq_u32 s2, 15
	s_mov_b32 s0, -1
	s_cbranch_scc0 .LBB34_1992
; %bb.1991:
	s_mov_b32 s0, 0
	global_store_b16 v[0:1], v2, off
.LBB34_1992:
	s_mov_b32 s3, 0
.LBB34_1993:
	s_delay_alu instid0(SALU_CYCLE_1)
	s_and_b32 vcc_lo, exec_lo, s3
	s_mov_b32 s3, 0
	s_cbranch_vccz .LBB34_1995
; %bb.1994:
	s_cmp_lg_u32 s2, 11
	s_mov_b32 s3, -1
	s_cselect_b32 s0, -1, 0
.LBB34_1995:
	s_delay_alu instid0(SALU_CYCLE_1)
	s_and_b32 vcc_lo, exec_lo, s0
	s_cbranch_vccnz .LBB34_2061
.LBB34_1996:
	s_mov_b32 s0, 0
	s_branch .LBB34_1998
.LBB34_1997:
	s_mov_b32 s0, 0
	s_mov_b32 s3, 0
                                        ; implicit-def: $sgpr14
                                        ; implicit-def: $vgpr0_vgpr1
                                        ; implicit-def: $vgpr2
.LBB34_1998:
	s_and_not1_b32 s2, s13, exec_lo
	s_and_b32 s4, s1, exec_lo
	s_and_b32 s0, s0, exec_lo
	s_and_b32 s1, s3, exec_lo
	s_or_b32 s13, s2, s4
.LBB34_1999:
	s_wait_xcnt 0x0
	s_or_b32 exec_lo, exec_lo, s12
	s_and_saveexec_b32 s2, s13
	s_cbranch_execz .LBB34_2002
; %bb.2000:
	; divergent unreachable
	s_or_b32 exec_lo, exec_lo, s2
	s_and_saveexec_b32 s2, s1
	s_delay_alu instid0(SALU_CYCLE_1)
	s_xor_b32 s1, exec_lo, s2
	s_cbranch_execnz .LBB34_2003
.LBB34_2001:
	s_or_b32 exec_lo, exec_lo, s1
	s_and_saveexec_b32 s1, s0
	s_cbranch_execnz .LBB34_2004
	s_branch .LBB34_2041
.LBB34_2002:
	s_or_b32 exec_lo, exec_lo, s2
	s_and_saveexec_b32 s2, s1
	s_delay_alu instid0(SALU_CYCLE_1)
	s_xor_b32 s1, exec_lo, s2
	s_cbranch_execz .LBB34_2001
.LBB34_2003:
	s_wait_loadcnt 0x0
	v_and_b32_e32 v3, 0x7fff, v2
	s_delay_alu instid0(VALU_DEP_1)
	v_cmp_ne_u16_e32 vcc_lo, 0, v3
	v_cndmask_b32_e64 v3, 0, 1, vcc_lo
	global_store_b8 v[0:1], v3, off
	s_wait_xcnt 0x0
	s_or_b32 exec_lo, exec_lo, s1
	s_and_saveexec_b32 s1, s0
	s_cbranch_execz .LBB34_2041
.LBB34_2004:
	s_sext_i32_i16 s1, s14
	s_mov_b32 s0, -1
	s_cmp_lt_i32 s1, 5
	s_cbranch_scc1 .LBB34_2025
; %bb.2005:
	s_cmp_lt_i32 s1, 8
	s_cbranch_scc1 .LBB34_2015
; %bb.2006:
	;; [unrolled: 3-line block ×3, first 2 shown]
	s_cmp_gt_i32 s1, 9
	s_cbranch_scc0 .LBB34_2009
; %bb.2008:
	s_wait_loadcnt 0x0
	v_dual_mov_b32 v6, 0 :: v_dual_lshlrev_b32 v3, 16, v2
	s_mov_b32 s0, 0
	s_delay_alu instid0(VALU_DEP_1) | instskip(NEXT) | instid1(VALU_DEP_2)
	v_cvt_f64_f32_e32 v[4:5], v3
	v_mov_b32_e32 v7, v6
	global_store_b128 v[0:1], v[4:7], off
.LBB34_2009:
	s_and_not1_b32 vcc_lo, exec_lo, s0
	s_cbranch_vccnz .LBB34_2011
; %bb.2010:
	s_wait_loadcnt 0x0
	v_dual_mov_b32 v5, 0 :: v_dual_lshlrev_b32 v4, 16, v2
	global_store_b64 v[0:1], v[4:5], off
.LBB34_2011:
	s_mov_b32 s0, 0
.LBB34_2012:
	s_delay_alu instid0(SALU_CYCLE_1)
	s_and_not1_b32 vcc_lo, exec_lo, s0
	s_cbranch_vccnz .LBB34_2014
; %bb.2013:
	s_wait_loadcnt 0x0
	v_lshlrev_b32_e32 v3, 16, v2
	s_delay_alu instid0(VALU_DEP_1) | instskip(NEXT) | instid1(VALU_DEP_1)
	v_cvt_f16_f32_e32 v3, v3
	v_and_b32_e32 v3, 0xffff, v3
	global_store_b32 v[0:1], v3, off
.LBB34_2014:
	s_mov_b32 s0, 0
.LBB34_2015:
	s_delay_alu instid0(SALU_CYCLE_1)
	s_and_not1_b32 vcc_lo, exec_lo, s0
	s_cbranch_vccnz .LBB34_2024
; %bb.2016:
	s_sext_i32_i16 s1, s14
	s_mov_b32 s0, -1
	s_cmp_lt_i32 s1, 6
	s_cbranch_scc1 .LBB34_2022
; %bb.2017:
	s_cmp_gt_i32 s1, 6
	s_cbranch_scc0 .LBB34_2019
; %bb.2018:
	s_wait_loadcnt 0x0
	v_lshlrev_b32_e32 v3, 16, v2
	s_mov_b32 s0, 0
	s_delay_alu instid0(VALU_DEP_1)
	v_cvt_f64_f32_e32 v[4:5], v3
	global_store_b64 v[0:1], v[4:5], off
.LBB34_2019:
	s_and_not1_b32 vcc_lo, exec_lo, s0
	s_cbranch_vccnz .LBB34_2021
; %bb.2020:
	s_wait_loadcnt 0x0
	v_lshlrev_b32_e32 v3, 16, v2
	global_store_b32 v[0:1], v3, off
.LBB34_2021:
	s_mov_b32 s0, 0
.LBB34_2022:
	s_delay_alu instid0(SALU_CYCLE_1)
	s_and_not1_b32 vcc_lo, exec_lo, s0
	s_cbranch_vccnz .LBB34_2024
; %bb.2023:
	s_wait_loadcnt 0x0
	v_lshlrev_b32_e32 v3, 16, v2
	s_delay_alu instid0(VALU_DEP_1)
	v_cvt_f16_f32_e32 v3, v3
	global_store_b16 v[0:1], v3, off
.LBB34_2024:
	s_mov_b32 s0, 0
.LBB34_2025:
	s_delay_alu instid0(SALU_CYCLE_1)
	s_and_not1_b32 vcc_lo, exec_lo, s0
	s_cbranch_vccnz .LBB34_2041
; %bb.2026:
	s_sext_i32_i16 s1, s14
	s_mov_b32 s0, -1
	s_cmp_lt_i32 s1, 2
	s_cbranch_scc1 .LBB34_2036
; %bb.2027:
	s_cmp_lt_i32 s1, 3
	s_cbranch_scc1 .LBB34_2033
; %bb.2028:
	s_cmp_gt_i32 s1, 3
	s_cbranch_scc0 .LBB34_2030
; %bb.2029:
	s_wait_loadcnt 0x0
	v_lshlrev_b32_e32 v3, 16, v2
	s_mov_b32 s0, 0
	s_delay_alu instid0(VALU_DEP_1) | instskip(NEXT) | instid1(VALU_DEP_1)
	v_trunc_f32_e32 v3, v3
	v_mul_f32_e64 v4, 0x2f800000, |v3|
	s_delay_alu instid0(VALU_DEP_1) | instskip(SKIP_1) | instid1(VALU_DEP_2)
	v_floor_f32_e32 v5, v4
	v_ashrrev_i32_e32 v4, 31, v3
	v_fma_f32 v6, 0xcf800000, v5, |v3|
	v_cvt_u32_f32_e32 v3, v5
	s_delay_alu instid0(VALU_DEP_3) | instskip(NEXT) | instid1(VALU_DEP_3)
	v_mov_b32_e32 v5, v4
	v_cvt_u32_f32_e32 v6, v6
	s_delay_alu instid0(VALU_DEP_3) | instskip(NEXT) | instid1(VALU_DEP_2)
	v_xor_b32_e32 v7, v3, v4
	v_xor_b32_e32 v6, v6, v4
	s_delay_alu instid0(VALU_DEP_1)
	v_sub_nc_u64_e32 v[4:5], v[6:7], v[4:5]
	global_store_b64 v[0:1], v[4:5], off
.LBB34_2030:
	s_and_not1_b32 vcc_lo, exec_lo, s0
	s_cbranch_vccnz .LBB34_2032
; %bb.2031:
	s_wait_loadcnt 0x0
	v_lshlrev_b32_e32 v3, 16, v2
	s_delay_alu instid0(VALU_DEP_1)
	v_cvt_i32_f32_e32 v3, v3
	global_store_b32 v[0:1], v3, off
.LBB34_2032:
	s_mov_b32 s0, 0
.LBB34_2033:
	s_delay_alu instid0(SALU_CYCLE_1)
	s_and_not1_b32 vcc_lo, exec_lo, s0
	s_cbranch_vccnz .LBB34_2035
; %bb.2034:
	s_wait_loadcnt 0x0
	v_lshlrev_b32_e32 v3, 16, v2
	s_delay_alu instid0(VALU_DEP_1)
	v_cvt_i32_f32_e32 v3, v3
	global_store_b16 v[0:1], v3, off
.LBB34_2035:
	s_mov_b32 s0, 0
.LBB34_2036:
	s_delay_alu instid0(SALU_CYCLE_1)
	s_and_not1_b32 vcc_lo, exec_lo, s0
	s_cbranch_vccnz .LBB34_2041
; %bb.2037:
	s_wait_loadcnt 0x0
	v_lshlrev_b32_e32 v2, 16, v2
	s_sext_i32_i16 s0, s14
	s_delay_alu instid0(SALU_CYCLE_1)
	s_cmp_gt_i32 s0, 0
	s_mov_b32 s0, -1
	s_cbranch_scc0 .LBB34_2039
; %bb.2038:
	s_wait_xcnt 0x0
	v_cvt_i32_f32_e32 v3, v2
	s_mov_b32 s0, 0
	global_store_b8 v[0:1], v3, off
.LBB34_2039:
	s_and_not1_b32 vcc_lo, exec_lo, s0
	s_cbranch_vccnz .LBB34_2041
; %bb.2040:
	v_trunc_f32_e32 v2, v2
	s_wait_xcnt 0x0
	s_delay_alu instid0(VALU_DEP_1) | instskip(NEXT) | instid1(VALU_DEP_1)
	v_mul_f32_e64 v3, 0x2f800000, |v2|
	v_floor_f32_e32 v3, v3
	s_delay_alu instid0(VALU_DEP_1) | instskip(SKIP_1) | instid1(VALU_DEP_2)
	v_fma_f32 v3, 0xcf800000, v3, |v2|
	v_ashrrev_i32_e32 v2, 31, v2
	v_cvt_u32_f32_e32 v3, v3
	s_delay_alu instid0(VALU_DEP_1) | instskip(NEXT) | instid1(VALU_DEP_1)
	v_xor_b32_e32 v3, v3, v2
	v_sub_nc_u32_e32 v2, v3, v2
	global_store_b8 v[0:1], v2, off
	s_endpgm
.LBB34_2041:
	s_endpgm
.LBB34_2042:
	s_mov_b32 s3, 0
	s_mov_b32 s0, -1
	s_branch .LBB34_1998
.LBB34_2043:
	s_or_b32 s1, s1, exec_lo
	s_trap 2
	s_cbranch_execz .LBB34_1510
	s_branch .LBB34_1511
.LBB34_2044:
	s_and_not1_saveexec_b32 s9, s9
	s_cbranch_execz .LBB34_1592
.LBB34_2045:
	v_add_f32_e64 v5, 0x46000000, |v9|
	s_and_not1_b32 s7, s7, exec_lo
	s_delay_alu instid0(VALU_DEP_1) | instskip(NEXT) | instid1(VALU_DEP_1)
	v_and_b32_e32 v5, 0xff, v5
	v_cmp_ne_u32_e32 vcc_lo, 0, v5
	s_and_b32 s10, vcc_lo, exec_lo
	s_delay_alu instid0(SALU_CYCLE_1)
	s_or_b32 s7, s7, s10
	s_or_b32 exec_lo, exec_lo, s9
	v_mov_b32_e32 v10, 0
	s_and_saveexec_b32 s9, s7
	s_cbranch_execnz .LBB34_1593
	s_branch .LBB34_1594
.LBB34_2046:
	s_or_b32 s1, s1, exec_lo
	s_trap 2
	s_cbranch_execz .LBB34_1640
	s_branch .LBB34_1641
.LBB34_2047:
	s_and_not1_saveexec_b32 s7, s7
	s_cbranch_execz .LBB34_1605
.LBB34_2048:
	v_add_f32_e64 v5, 0x42800000, |v9|
	s_and_not1_b32 s6, s6, exec_lo
	s_delay_alu instid0(VALU_DEP_1) | instskip(NEXT) | instid1(VALU_DEP_1)
	v_and_b32_e32 v5, 0xff, v5
	v_cmp_ne_u32_e32 vcc_lo, 0, v5
	s_and_b32 s9, vcc_lo, exec_lo
	s_delay_alu instid0(SALU_CYCLE_1)
	s_or_b32 s6, s6, s9
	s_or_b32 exec_lo, exec_lo, s7
	v_mov_b32_e32 v10, 0
	s_and_saveexec_b32 s7, s6
	s_cbranch_execnz .LBB34_1606
	s_branch .LBB34_1607
.LBB34_2049:
	s_and_not1_saveexec_b32 s9, s9
	s_cbranch_execz .LBB34_1711
.LBB34_2050:
	v_add_f32_e64 v5, 0x46000000, |v6|
	s_and_not1_b32 s8, s8, exec_lo
	s_delay_alu instid0(VALU_DEP_1) | instskip(NEXT) | instid1(VALU_DEP_1)
	v_and_b32_e32 v5, 0xff, v5
	v_cmp_ne_u32_e32 vcc_lo, 0, v5
	s_and_b32 s10, vcc_lo, exec_lo
	s_delay_alu instid0(SALU_CYCLE_1)
	s_or_b32 s8, s8, s10
	s_or_b32 exec_lo, exec_lo, s9
	v_mov_b32_e32 v9, 0
	s_and_saveexec_b32 s9, s8
	s_cbranch_execnz .LBB34_1712
	s_branch .LBB34_1713
.LBB34_2051:
	s_or_b32 s1, s1, exec_lo
	s_trap 2
	s_cbranch_execz .LBB34_1759
	s_branch .LBB34_1760
.LBB34_2052:
	s_and_not1_saveexec_b32 s8, s8
	s_cbranch_execz .LBB34_1724
.LBB34_2053:
	v_add_f32_e64 v5, 0x42800000, |v6|
	s_and_not1_b32 s7, s7, exec_lo
	s_delay_alu instid0(VALU_DEP_1) | instskip(NEXT) | instid1(VALU_DEP_1)
	v_and_b32_e32 v5, 0xff, v5
	v_cmp_ne_u32_e32 vcc_lo, 0, v5
	s_and_b32 s9, vcc_lo, exec_lo
	s_delay_alu instid0(SALU_CYCLE_1)
	s_or_b32 s7, s7, s9
	s_or_b32 exec_lo, exec_lo, s8
	v_mov_b32_e32 v9, 0
	s_and_saveexec_b32 s8, s7
	s_cbranch_execnz .LBB34_1725
	s_branch .LBB34_1726
.LBB34_2054:
	s_and_not1_saveexec_b32 s9, s9
	s_cbranch_execz .LBB34_1830
.LBB34_2055:
	v_add_f32_e64 v5, 0x46000000, |v6|
	s_and_not1_b32 s8, s8, exec_lo
	s_delay_alu instid0(VALU_DEP_1) | instskip(NEXT) | instid1(VALU_DEP_1)
	v_and_b32_e32 v5, 0xff, v5
	v_cmp_ne_u32_e32 vcc_lo, 0, v5
	s_and_b32 s10, vcc_lo, exec_lo
	s_delay_alu instid0(SALU_CYCLE_1)
	s_or_b32 s8, s8, s10
	s_or_b32 exec_lo, exec_lo, s9
	v_mov_b32_e32 v7, 0
	s_and_saveexec_b32 s9, s8
	s_cbranch_execnz .LBB34_1831
	s_branch .LBB34_1832
.LBB34_2056:
	s_or_b32 s1, s1, exec_lo
	s_trap 2
	s_cbranch_execz .LBB34_1878
	s_branch .LBB34_1879
.LBB34_2057:
	s_and_not1_saveexec_b32 s8, s8
	s_cbranch_execz .LBB34_1843
.LBB34_2058:
	v_add_f32_e64 v5, 0x42800000, |v6|
	s_and_not1_b32 s7, s7, exec_lo
	s_delay_alu instid0(VALU_DEP_1) | instskip(NEXT) | instid1(VALU_DEP_1)
	v_and_b32_e32 v5, 0xff, v5
	v_cmp_ne_u32_e32 vcc_lo, 0, v5
	s_and_b32 s9, vcc_lo, exec_lo
	s_delay_alu instid0(SALU_CYCLE_1)
	s_or_b32 s7, s7, s9
	s_or_b32 exec_lo, exec_lo, s8
	v_mov_b32_e32 v7, 0
	s_and_saveexec_b32 s8, s7
	s_cbranch_execnz .LBB34_1844
	s_branch .LBB34_1845
.LBB34_2059:
	s_and_not1_saveexec_b32 s6, s6
	s_cbranch_execz .LBB34_1950
.LBB34_2060:
	v_add_f32_e64 v4, 0x46000000, |v5|
	s_and_not1_b32 s5, s5, exec_lo
	s_delay_alu instid0(VALU_DEP_1) | instskip(NEXT) | instid1(VALU_DEP_1)
	v_and_b32_e32 v4, 0xff, v4
	v_cmp_ne_u32_e32 vcc_lo, 0, v4
	s_and_b32 s7, vcc_lo, exec_lo
	s_delay_alu instid0(SALU_CYCLE_1)
	s_or_b32 s5, s5, s7
	s_or_b32 exec_lo, exec_lo, s6
	v_mov_b32_e32 v6, 0
	s_and_saveexec_b32 s6, s5
	s_cbranch_execnz .LBB34_1951
	s_branch .LBB34_1952
.LBB34_2061:
	s_mov_b32 s3, 0
	s_or_b32 s1, s1, exec_lo
	s_trap 2
	s_branch .LBB34_1996
.LBB34_2062:
	s_and_not1_saveexec_b32 s5, s5
	s_cbranch_execz .LBB34_1962
.LBB34_2063:
	v_add_f32_e64 v4, 0x42800000, |v5|
	s_and_not1_b32 s4, s4, exec_lo
	s_delay_alu instid0(VALU_DEP_1) | instskip(NEXT) | instid1(VALU_DEP_1)
	v_and_b32_e32 v4, 0xff, v4
	v_cmp_ne_u32_e32 vcc_lo, 0, v4
	s_and_b32 s6, vcc_lo, exec_lo
	s_delay_alu instid0(SALU_CYCLE_1)
	s_or_b32 s4, s4, s6
	s_or_b32 exec_lo, exec_lo, s5
	v_mov_b32_e32 v6, 0
	s_and_saveexec_b32 s5, s4
	s_cbranch_execnz .LBB34_1963
	s_branch .LBB34_1964
	.section	.rodata,"a",@progbits
	.p2align	6, 0x0
	.amdhsa_kernel _ZN2at6native32elementwise_kernel_manual_unrollILi128ELi4EZNS0_15gpu_kernel_implIZZZNS0_12_GLOBAL__N_115softplus_kernelERNS_18TensorIteratorBaseERKN3c106ScalarES9_ENKUlvE_clEvENKUlvE2_clEvEUlNS6_8BFloat16EE_EEvS5_RKT_EUlibE_EEviT1_
		.amdhsa_group_segment_fixed_size 0
		.amdhsa_private_segment_fixed_size 0
		.amdhsa_kernarg_size 48
		.amdhsa_user_sgpr_count 2
		.amdhsa_user_sgpr_dispatch_ptr 0
		.amdhsa_user_sgpr_queue_ptr 0
		.amdhsa_user_sgpr_kernarg_segment_ptr 1
		.amdhsa_user_sgpr_dispatch_id 0
		.amdhsa_user_sgpr_kernarg_preload_length 0
		.amdhsa_user_sgpr_kernarg_preload_offset 0
		.amdhsa_user_sgpr_private_segment_size 0
		.amdhsa_wavefront_size32 1
		.amdhsa_uses_dynamic_stack 0
		.amdhsa_enable_private_segment 0
		.amdhsa_system_sgpr_workgroup_id_x 1
		.amdhsa_system_sgpr_workgroup_id_y 0
		.amdhsa_system_sgpr_workgroup_id_z 0
		.amdhsa_system_sgpr_workgroup_info 0
		.amdhsa_system_vgpr_workitem_id 0
		.amdhsa_next_free_vgpr 22
		.amdhsa_next_free_sgpr 28
		.amdhsa_named_barrier_count 0
		.amdhsa_reserve_vcc 1
		.amdhsa_float_round_mode_32 0
		.amdhsa_float_round_mode_16_64 0
		.amdhsa_float_denorm_mode_32 3
		.amdhsa_float_denorm_mode_16_64 3
		.amdhsa_fp16_overflow 0
		.amdhsa_memory_ordered 1
		.amdhsa_forward_progress 1
		.amdhsa_inst_pref_size 255
		.amdhsa_round_robin_scheduling 0
		.amdhsa_exception_fp_ieee_invalid_op 0
		.amdhsa_exception_fp_denorm_src 0
		.amdhsa_exception_fp_ieee_div_zero 0
		.amdhsa_exception_fp_ieee_overflow 0
		.amdhsa_exception_fp_ieee_underflow 0
		.amdhsa_exception_fp_ieee_inexact 0
		.amdhsa_exception_int_div_zero 0
	.end_amdhsa_kernel
	.section	.text._ZN2at6native32elementwise_kernel_manual_unrollILi128ELi4EZNS0_15gpu_kernel_implIZZZNS0_12_GLOBAL__N_115softplus_kernelERNS_18TensorIteratorBaseERKN3c106ScalarES9_ENKUlvE_clEvENKUlvE2_clEvEUlNS6_8BFloat16EE_EEvS5_RKT_EUlibE_EEviT1_,"axG",@progbits,_ZN2at6native32elementwise_kernel_manual_unrollILi128ELi4EZNS0_15gpu_kernel_implIZZZNS0_12_GLOBAL__N_115softplus_kernelERNS_18TensorIteratorBaseERKN3c106ScalarES9_ENKUlvE_clEvENKUlvE2_clEvEUlNS6_8BFloat16EE_EEvS5_RKT_EUlibE_EEviT1_,comdat
.Lfunc_end34:
	.size	_ZN2at6native32elementwise_kernel_manual_unrollILi128ELi4EZNS0_15gpu_kernel_implIZZZNS0_12_GLOBAL__N_115softplus_kernelERNS_18TensorIteratorBaseERKN3c106ScalarES9_ENKUlvE_clEvENKUlvE2_clEvEUlNS6_8BFloat16EE_EEvS5_RKT_EUlibE_EEviT1_, .Lfunc_end34-_ZN2at6native32elementwise_kernel_manual_unrollILi128ELi4EZNS0_15gpu_kernel_implIZZZNS0_12_GLOBAL__N_115softplus_kernelERNS_18TensorIteratorBaseERKN3c106ScalarES9_ENKUlvE_clEvENKUlvE2_clEvEUlNS6_8BFloat16EE_EEvS5_RKT_EUlibE_EEviT1_
                                        ; -- End function
	.set _ZN2at6native32elementwise_kernel_manual_unrollILi128ELi4EZNS0_15gpu_kernel_implIZZZNS0_12_GLOBAL__N_115softplus_kernelERNS_18TensorIteratorBaseERKN3c106ScalarES9_ENKUlvE_clEvENKUlvE2_clEvEUlNS6_8BFloat16EE_EEvS5_RKT_EUlibE_EEviT1_.num_vgpr, 22
	.set _ZN2at6native32elementwise_kernel_manual_unrollILi128ELi4EZNS0_15gpu_kernel_implIZZZNS0_12_GLOBAL__N_115softplus_kernelERNS_18TensorIteratorBaseERKN3c106ScalarES9_ENKUlvE_clEvENKUlvE2_clEvEUlNS6_8BFloat16EE_EEvS5_RKT_EUlibE_EEviT1_.num_agpr, 0
	.set _ZN2at6native32elementwise_kernel_manual_unrollILi128ELi4EZNS0_15gpu_kernel_implIZZZNS0_12_GLOBAL__N_115softplus_kernelERNS_18TensorIteratorBaseERKN3c106ScalarES9_ENKUlvE_clEvENKUlvE2_clEvEUlNS6_8BFloat16EE_EEvS5_RKT_EUlibE_EEviT1_.numbered_sgpr, 28
	.set _ZN2at6native32elementwise_kernel_manual_unrollILi128ELi4EZNS0_15gpu_kernel_implIZZZNS0_12_GLOBAL__N_115softplus_kernelERNS_18TensorIteratorBaseERKN3c106ScalarES9_ENKUlvE_clEvENKUlvE2_clEvEUlNS6_8BFloat16EE_EEvS5_RKT_EUlibE_EEviT1_.num_named_barrier, 0
	.set _ZN2at6native32elementwise_kernel_manual_unrollILi128ELi4EZNS0_15gpu_kernel_implIZZZNS0_12_GLOBAL__N_115softplus_kernelERNS_18TensorIteratorBaseERKN3c106ScalarES9_ENKUlvE_clEvENKUlvE2_clEvEUlNS6_8BFloat16EE_EEvS5_RKT_EUlibE_EEviT1_.private_seg_size, 0
	.set _ZN2at6native32elementwise_kernel_manual_unrollILi128ELi4EZNS0_15gpu_kernel_implIZZZNS0_12_GLOBAL__N_115softplus_kernelERNS_18TensorIteratorBaseERKN3c106ScalarES9_ENKUlvE_clEvENKUlvE2_clEvEUlNS6_8BFloat16EE_EEvS5_RKT_EUlibE_EEviT1_.uses_vcc, 1
	.set _ZN2at6native32elementwise_kernel_manual_unrollILi128ELi4EZNS0_15gpu_kernel_implIZZZNS0_12_GLOBAL__N_115softplus_kernelERNS_18TensorIteratorBaseERKN3c106ScalarES9_ENKUlvE_clEvENKUlvE2_clEvEUlNS6_8BFloat16EE_EEvS5_RKT_EUlibE_EEviT1_.uses_flat_scratch, 0
	.set _ZN2at6native32elementwise_kernel_manual_unrollILi128ELi4EZNS0_15gpu_kernel_implIZZZNS0_12_GLOBAL__N_115softplus_kernelERNS_18TensorIteratorBaseERKN3c106ScalarES9_ENKUlvE_clEvENKUlvE2_clEvEUlNS6_8BFloat16EE_EEvS5_RKT_EUlibE_EEviT1_.has_dyn_sized_stack, 0
	.set _ZN2at6native32elementwise_kernel_manual_unrollILi128ELi4EZNS0_15gpu_kernel_implIZZZNS0_12_GLOBAL__N_115softplus_kernelERNS_18TensorIteratorBaseERKN3c106ScalarES9_ENKUlvE_clEvENKUlvE2_clEvEUlNS6_8BFloat16EE_EEvS5_RKT_EUlibE_EEviT1_.has_recursion, 0
	.set _ZN2at6native32elementwise_kernel_manual_unrollILi128ELi4EZNS0_15gpu_kernel_implIZZZNS0_12_GLOBAL__N_115softplus_kernelERNS_18TensorIteratorBaseERKN3c106ScalarES9_ENKUlvE_clEvENKUlvE2_clEvEUlNS6_8BFloat16EE_EEvS5_RKT_EUlibE_EEviT1_.has_indirect_call, 0
	.section	.AMDGPU.csdata,"",@progbits
; Kernel info:
; codeLenInByte = 52748
; TotalNumSgprs: 30
; NumVgprs: 22
; ScratchSize: 0
; MemoryBound: 0
; FloatMode: 240
; IeeeMode: 1
; LDSByteSize: 0 bytes/workgroup (compile time only)
; SGPRBlocks: 0
; VGPRBlocks: 1
; NumSGPRsForWavesPerEU: 30
; NumVGPRsForWavesPerEU: 22
; NamedBarCnt: 0
; Occupancy: 16
; WaveLimiterHint : 0
; COMPUTE_PGM_RSRC2:SCRATCH_EN: 0
; COMPUTE_PGM_RSRC2:USER_SGPR: 2
; COMPUTE_PGM_RSRC2:TRAP_HANDLER: 0
; COMPUTE_PGM_RSRC2:TGID_X_EN: 1
; COMPUTE_PGM_RSRC2:TGID_Y_EN: 0
; COMPUTE_PGM_RSRC2:TGID_Z_EN: 0
; COMPUTE_PGM_RSRC2:TIDIG_COMP_CNT: 0
	.section	.text._ZN2at6native32elementwise_kernel_manual_unrollILi128ELi4EZNS0_15gpu_kernel_implIZZZNS0_12_GLOBAL__N_115softplus_kernelERNS_18TensorIteratorBaseERKN3c106ScalarES9_ENKUlvE_clEvENKUlvE2_clEvEUlNS6_8BFloat16EE_EEvS5_RKT_EUlibE0_EEviT1_,"axG",@progbits,_ZN2at6native32elementwise_kernel_manual_unrollILi128ELi4EZNS0_15gpu_kernel_implIZZZNS0_12_GLOBAL__N_115softplus_kernelERNS_18TensorIteratorBaseERKN3c106ScalarES9_ENKUlvE_clEvENKUlvE2_clEvEUlNS6_8BFloat16EE_EEvS5_RKT_EUlibE0_EEviT1_,comdat
	.globl	_ZN2at6native32elementwise_kernel_manual_unrollILi128ELi4EZNS0_15gpu_kernel_implIZZZNS0_12_GLOBAL__N_115softplus_kernelERNS_18TensorIteratorBaseERKN3c106ScalarES9_ENKUlvE_clEvENKUlvE2_clEvEUlNS6_8BFloat16EE_EEvS5_RKT_EUlibE0_EEviT1_ ; -- Begin function _ZN2at6native32elementwise_kernel_manual_unrollILi128ELi4EZNS0_15gpu_kernel_implIZZZNS0_12_GLOBAL__N_115softplus_kernelERNS_18TensorIteratorBaseERKN3c106ScalarES9_ENKUlvE_clEvENKUlvE2_clEvEUlNS6_8BFloat16EE_EEvS5_RKT_EUlibE0_EEviT1_
	.p2align	8
	.type	_ZN2at6native32elementwise_kernel_manual_unrollILi128ELi4EZNS0_15gpu_kernel_implIZZZNS0_12_GLOBAL__N_115softplus_kernelERNS_18TensorIteratorBaseERKN3c106ScalarES9_ENKUlvE_clEvENKUlvE2_clEvEUlNS6_8BFloat16EE_EEvS5_RKT_EUlibE0_EEviT1_,@function
_ZN2at6native32elementwise_kernel_manual_unrollILi128ELi4EZNS0_15gpu_kernel_implIZZZNS0_12_GLOBAL__N_115softplus_kernelERNS_18TensorIteratorBaseERKN3c106ScalarES9_ENKUlvE_clEvENKUlvE2_clEvEUlNS6_8BFloat16EE_EEvS5_RKT_EUlibE0_EEviT1_: ; @_ZN2at6native32elementwise_kernel_manual_unrollILi128ELi4EZNS0_15gpu_kernel_implIZZZNS0_12_GLOBAL__N_115softplus_kernelERNS_18TensorIteratorBaseERKN3c106ScalarES9_ENKUlvE_clEvENKUlvE2_clEvEUlNS6_8BFloat16EE_EEvS5_RKT_EUlibE0_EEviT1_
; %bb.0:
	s_clause 0x1
	s_load_b32 s19, s[0:1], 0x8
	s_load_b32 s38, s[0:1], 0x0
	s_bfe_u32 s2, ttmp6, 0x4000c
	s_and_b32 s3, ttmp6, 15
	s_add_co_i32 s2, s2, 1
	s_getreg_b32 s4, hwreg(HW_REG_IB_STS2, 6, 4)
	s_mul_i32 s2, ttmp9, s2
	s_mov_b32 s34, 0
	s_add_co_i32 s3, s3, s2
	s_cmp_eq_u32 s4, 0
	s_mov_b32 s27, -1
	s_cselect_b32 s2, ttmp9, s3
	s_mov_b32 s8, 0
	v_lshl_or_b32 v0, s2, 9, v0
	s_add_nc_u64 s[2:3], s[0:1], 8
	s_wait_xcnt 0x0
	s_mov_b32 s0, exec_lo
	s_delay_alu instid0(VALU_DEP_1) | instskip(SKIP_2) | instid1(SALU_CYCLE_1)
	v_or_b32_e32 v9, 0x180, v0
	s_wait_kmcnt 0x0
	s_add_co_i32 s33, s19, -1
	s_cmp_gt_u32 s33, 1
	s_cselect_b32 s35, -1, 0
	v_cmpx_le_i32_e64 s38, v9
	s_xor_b32 s36, exec_lo, s0
	s_cbranch_execz .LBB35_1104
; %bb.1:
	s_clause 0x4
	s_load_b128 s[8:11], s[2:3], 0x4
	s_load_b64 s[0:1], s[2:3], 0x14
	s_load_b96 s[16:18], s[2:3], 0x158
	s_load_b128 s[12:15], s[2:3], 0xc4
	s_load_b128 s[4:7], s[2:3], 0x148
	s_cmp_lg_u32 s19, 0
	s_mov_b32 s21, 0
	s_cselect_b32 s40, -1, 0
	s_min_u32 s39, s33, 15
	s_cmp_gt_u32 s19, 1
	s_add_nc_u64 s[24:25], s[2:3], 0xc4
	s_mov_b32 s23, s21
	s_mov_b32 s42, s21
	s_cselect_b32 s37, -1, 0
	s_mov_b32 s41, s21
	s_mov_b32 s43, exec_lo
	s_wait_kmcnt 0x0
	s_mov_b32 s20, s9
	s_mov_b32 s22, s0
	s_bfe_u32 s9, s18, 0x80008
	v_cmpx_gt_i32_e64 s38, v0
	s_cbranch_execz .LBB35_269
; %bb.2:
	s_and_not1_b32 vcc_lo, exec_lo, s35
	s_cbranch_vccnz .LBB35_8
; %bb.3:
	s_and_not1_b32 vcc_lo, exec_lo, s40
	s_cbranch_vccnz .LBB35_9
; %bb.4:
	s_add_co_i32 s0, s39, 1
	s_cmp_eq_u32 s33, 2
	s_cbranch_scc1 .LBB35_10
; %bb.5:
	v_dual_mov_b32 v2, 0 :: v_dual_mov_b32 v4, 0
	v_mov_b32_e32 v1, v0
	s_and_b32 s26, s0, 28
	s_mov_b32 s27, 0
	s_mov_b64 s[28:29], s[2:3]
	s_mov_b64 s[30:31], s[24:25]
.LBB35_6:                               ; =>This Inner Loop Header: Depth=1
	s_clause 0x1
	s_load_b256 s[44:51], s[28:29], 0x4
	s_load_b128 s[60:63], s[28:29], 0x24
	s_load_b256 s[52:59], s[30:31], 0x0
	s_add_co_i32 s27, s27, 4
	s_wait_xcnt 0x0
	s_add_nc_u64 s[28:29], s[28:29], 48
	s_cmp_lg_u32 s26, s27
	s_add_nc_u64 s[30:31], s[30:31], 32
	s_wait_kmcnt 0x0
	v_mul_hi_u32 v3, s45, v1
	s_delay_alu instid0(VALU_DEP_1) | instskip(NEXT) | instid1(VALU_DEP_1)
	v_add_nc_u32_e32 v3, v1, v3
	v_lshrrev_b32_e32 v3, s46, v3
	s_delay_alu instid0(VALU_DEP_1) | instskip(NEXT) | instid1(VALU_DEP_1)
	v_mul_hi_u32 v5, s48, v3
	v_add_nc_u32_e32 v5, v3, v5
	s_delay_alu instid0(VALU_DEP_1) | instskip(NEXT) | instid1(VALU_DEP_1)
	v_lshrrev_b32_e32 v5, s49, v5
	v_mul_hi_u32 v6, s51, v5
	s_delay_alu instid0(VALU_DEP_1) | instskip(SKIP_1) | instid1(VALU_DEP_1)
	v_add_nc_u32_e32 v6, v5, v6
	v_mul_lo_u32 v7, v3, s44
	v_sub_nc_u32_e32 v1, v1, v7
	v_mul_lo_u32 v7, v5, s47
	s_delay_alu instid0(VALU_DEP_4) | instskip(NEXT) | instid1(VALU_DEP_3)
	v_lshrrev_b32_e32 v6, s60, v6
	v_mad_u32 v4, v1, s53, v4
	v_mad_u32 v1, v1, s52, v2
	s_delay_alu instid0(VALU_DEP_4) | instskip(NEXT) | instid1(VALU_DEP_4)
	v_sub_nc_u32_e32 v2, v3, v7
	v_mul_hi_u32 v8, s62, v6
	v_mul_lo_u32 v3, v6, s50
	s_delay_alu instid0(VALU_DEP_3) | instskip(SKIP_1) | instid1(VALU_DEP_3)
	v_mad_u32 v4, v2, s55, v4
	v_mad_u32 v2, v2, s54, v1
	v_dual_add_nc_u32 v7, v6, v8 :: v_dual_sub_nc_u32 v3, v5, v3
	s_delay_alu instid0(VALU_DEP_1) | instskip(NEXT) | instid1(VALU_DEP_2)
	v_lshrrev_b32_e32 v1, s63, v7
	v_mad_u32 v4, v3, s57, v4
	s_delay_alu instid0(VALU_DEP_4) | instskip(NEXT) | instid1(VALU_DEP_3)
	v_mad_u32 v2, v3, s56, v2
	v_mul_lo_u32 v5, v1, s61
	s_delay_alu instid0(VALU_DEP_1) | instskip(NEXT) | instid1(VALU_DEP_1)
	v_sub_nc_u32_e32 v3, v6, v5
	v_mad_u32 v4, v3, s59, v4
	s_delay_alu instid0(VALU_DEP_4)
	v_mad_u32 v2, v3, s58, v2
	s_cbranch_scc1 .LBB35_6
; %bb.7:
	s_delay_alu instid0(VALU_DEP_2)
	v_mov_b32_e32 v3, v4
	s_and_b32 s0, s0, 3
	s_mov_b32 s27, 0
	s_cmp_eq_u32 s0, 0
	s_cbranch_scc0 .LBB35_11
	s_branch .LBB35_14
.LBB35_8:
                                        ; implicit-def: $vgpr4
                                        ; implicit-def: $vgpr2
	s_branch .LBB35_15
.LBB35_9:
	v_dual_mov_b32 v4, 0 :: v_dual_mov_b32 v2, 0
	s_branch .LBB35_14
.LBB35_10:
	v_mov_b64_e32 v[2:3], 0
	v_mov_b32_e32 v1, v0
	s_mov_b32 s26, 0
                                        ; implicit-def: $vgpr4
	s_and_b32 s0, s0, 3
	s_mov_b32 s27, 0
	s_cmp_eq_u32 s0, 0
	s_cbranch_scc1 .LBB35_14
.LBB35_11:
	s_lshl_b32 s28, s26, 3
	s_mov_b32 s29, s27
	s_mul_u64 s[30:31], s[26:27], 12
	s_add_nc_u64 s[28:29], s[2:3], s[28:29]
	s_delay_alu instid0(SALU_CYCLE_1)
	s_add_nc_u64 s[26:27], s[28:29], 0xc4
	s_add_nc_u64 s[28:29], s[2:3], s[30:31]
.LBB35_12:                              ; =>This Inner Loop Header: Depth=1
	s_load_b96 s[44:46], s[28:29], 0x4
	s_load_b64 s[30:31], s[26:27], 0x0
	s_add_co_i32 s0, s0, -1
	s_wait_xcnt 0x0
	s_add_nc_u64 s[28:29], s[28:29], 12
	s_cmp_lg_u32 s0, 0
	s_add_nc_u64 s[26:27], s[26:27], 8
	s_wait_kmcnt 0x0
	v_mul_hi_u32 v4, s45, v1
	s_delay_alu instid0(VALU_DEP_1) | instskip(NEXT) | instid1(VALU_DEP_1)
	v_add_nc_u32_e32 v4, v1, v4
	v_lshrrev_b32_e32 v4, s46, v4
	s_delay_alu instid0(VALU_DEP_1) | instskip(NEXT) | instid1(VALU_DEP_1)
	v_mul_lo_u32 v5, v4, s44
	v_sub_nc_u32_e32 v1, v1, v5
	s_delay_alu instid0(VALU_DEP_1)
	v_mad_u32 v3, v1, s31, v3
	v_mad_u32 v2, v1, s30, v2
	v_mov_b32_e32 v1, v4
	s_cbranch_scc1 .LBB35_12
; %bb.13:
	s_delay_alu instid0(VALU_DEP_3)
	v_mov_b32_e32 v4, v3
.LBB35_14:
	s_cbranch_execnz .LBB35_17
.LBB35_15:
	v_mov_b32_e32 v1, 0
	s_and_not1_b32 vcc_lo, exec_lo, s37
	s_delay_alu instid0(VALU_DEP_1) | instskip(NEXT) | instid1(VALU_DEP_1)
	v_mul_u64_e32 v[2:3], s[20:21], v[0:1]
	v_add_nc_u32_e32 v2, v0, v3
	s_delay_alu instid0(VALU_DEP_1) | instskip(NEXT) | instid1(VALU_DEP_1)
	v_lshrrev_b32_e32 v6, s10, v2
	v_mul_lo_u32 v2, v6, s8
	s_delay_alu instid0(VALU_DEP_1) | instskip(NEXT) | instid1(VALU_DEP_1)
	v_sub_nc_u32_e32 v2, v0, v2
	v_mul_lo_u32 v4, v2, s13
	v_mul_lo_u32 v2, v2, s12
	s_cbranch_vccnz .LBB35_17
; %bb.16:
	v_mov_b32_e32 v7, v1
	s_delay_alu instid0(VALU_DEP_1) | instskip(NEXT) | instid1(VALU_DEP_1)
	v_mul_u64_e32 v[8:9], s[22:23], v[6:7]
	v_add_nc_u32_e32 v1, v6, v9
	s_delay_alu instid0(VALU_DEP_1) | instskip(NEXT) | instid1(VALU_DEP_1)
	v_lshrrev_b32_e32 v1, s1, v1
	v_mul_lo_u32 v1, v1, s11
	s_delay_alu instid0(VALU_DEP_1) | instskip(NEXT) | instid1(VALU_DEP_1)
	v_sub_nc_u32_e32 v1, v6, v1
	v_mad_u32 v2, v1, s14, v2
	v_mad_u32 v4, v1, s15, v4
.LBB35_17:
	v_mov_b32_e32 v5, 0
	s_and_b32 s0, 0xffff, s9
	s_delay_alu instid0(SALU_CYCLE_1) | instskip(NEXT) | instid1(VALU_DEP_1)
	s_cmp_lt_i32 s0, 11
	v_add_nc_u64_e32 v[4:5], s[6:7], v[4:5]
	s_cbranch_scc1 .LBB35_24
; %bb.18:
	s_cmp_gt_i32 s0, 25
	s_cbranch_scc0 .LBB35_35
; %bb.19:
	s_cmp_gt_i32 s0, 28
	s_cbranch_scc0 .LBB35_38
	;; [unrolled: 3-line block ×4, first 2 shown]
; %bb.22:
	s_cmp_eq_u32 s0, 46
	s_mov_b32 s28, 0
	s_cbranch_scc0 .LBB35_44
; %bb.23:
	global_load_b32 v1, v[4:5], off
	s_mov_b32 s27, -1
	s_mov_b32 s26, 0
	s_branch .LBB35_46
.LBB35_24:
	s_mov_b32 s26, 0
	s_mov_b32 s27, 0
                                        ; implicit-def: $vgpr1
	s_cbranch_execnz .LBB35_219
.LBB35_25:
	s_and_not1_b32 vcc_lo, exec_lo, s27
	s_cbranch_vccnz .LBB35_266
.LBB35_26:
	s_wait_loadcnt 0x0
	s_delay_alu instid0(VALU_DEP_1) | instskip(SKIP_1) | instid1(VALU_DEP_1)
	v_lshlrev_b32_e32 v1, 16, v1
	s_mov_b32 s0, exec_lo
	v_mul_f32_e32 v3, s16, v1
	s_delay_alu instid0(VALU_DEP_1)
	v_cmpx_nlt_f32_e32 s17, v3
	s_cbranch_execz .LBB35_28
; %bb.27:
	v_mul_f32_e32 v1, 0x3fb8aa3b, v3
	v_cmp_ngt_f32_e32 vcc_lo, 0xc2ce8ed0, v3
	s_mov_b32 s27, 0x3e9b6dac
	s_delay_alu instid0(VALU_DEP_2) | instskip(SKIP_1) | instid1(VALU_DEP_2)
	v_rndne_f32_e32 v4, v1
	v_fma_f32 v5, 0x3fb8aa3b, v3, -v1
	v_sub_f32_e32 v1, v1, v4
	s_delay_alu instid0(VALU_DEP_2) | instskip(SKIP_1) | instid1(VALU_DEP_2)
	v_fmamk_f32 v5, v3, 0x32a5705f, v5
	v_cvt_i32_f32_e32 v4, v4
	v_add_f32_e32 v1, v1, v5
	s_delay_alu instid0(VALU_DEP_1) | instskip(SKIP_1) | instid1(TRANS32_DEP_1)
	v_exp_f32_e32 v1, v1
	v_nop
	v_ldexp_f32 v1, v1, v4
	s_delay_alu instid0(VALU_DEP_1) | instskip(SKIP_1) | instid1(VALU_DEP_2)
	v_cndmask_b32_e32 v1, 0, v1, vcc_lo
	v_cmp_nlt_f32_e32 vcc_lo, 0x42b17218, v3
	v_cndmask_b32_e32 v3, 0x7f800000, v1, vcc_lo
	s_delay_alu instid0(VALU_DEP_1) | instskip(NEXT) | instid1(VALU_DEP_1)
	v_add_f32_e32 v1, 1.0, v3
	v_cvt_f64_f32_e32 v[4:5], v1
	s_delay_alu instid0(VALU_DEP_1) | instskip(SKIP_1) | instid1(VALU_DEP_1)
	v_frexp_exp_i32_f64_e32 v4, v[4:5]
	v_frexp_mant_f32_e32 v5, v1
	v_cmp_gt_f32_e32 vcc_lo, 0x3f2aaaab, v5
	s_delay_alu instid0(VALU_DEP_3) | instskip(NEXT) | instid1(VALU_DEP_1)
	v_subrev_co_ci_u32_e64 v10, null, 0, v4, vcc_lo
	v_dual_add_f32 v4, -1.0, v1 :: v_dual_sub_nc_u32 v5, 0, v10
	s_delay_alu instid0(VALU_DEP_1) | instskip(SKIP_1) | instid1(VALU_DEP_3)
	v_dual_sub_f32 v6, v4, v1 :: v_dual_sub_f32 v4, v3, v4
	v_cmp_neq_f32_e32 vcc_lo, 0x7f800000, v3
	v_ldexp_f32 v1, v1, v5
	s_delay_alu instid0(VALU_DEP_1) | instskip(NEXT) | instid1(VALU_DEP_1)
	v_dual_add_f32 v6, 1.0, v6 :: v_dual_add_f32 v7, 1.0, v1
	v_dual_add_f32 v9, -1.0, v1 :: v_dual_add_f32 v4, v4, v6
	s_delay_alu instid0(VALU_DEP_1) | instskip(NEXT) | instid1(VALU_DEP_3)
	v_ldexp_f32 v4, v4, v5
	v_add_f32_e32 v6, -1.0, v7
	s_delay_alu instid0(VALU_DEP_1) | instskip(NEXT) | instid1(VALU_DEP_1)
	v_dual_sub_f32 v5, v1, v6 :: v_dual_add_f32 v6, 1.0, v9
	v_dual_sub_f32 v1, v1, v6 :: v_dual_add_f32 v8, v4, v5
	s_delay_alu instid0(VALU_DEP_1) | instskip(NEXT) | instid1(VALU_DEP_1)
	v_dual_add_f32 v1, v4, v1 :: v_dual_add_f32 v11, v7, v8
	v_dual_add_f32 v5, v9, v1 :: v_dual_sub_f32 v4, v7, v11
	v_rcp_f32_e32 v12, v11
	s_delay_alu instid0(VALU_DEP_1) | instskip(NEXT) | instid1(TRANS32_DEP_1)
	v_dual_sub_f32 v15, v9, v5 :: v_dual_add_f32 v14, v8, v4
	v_mul_f32_e32 v13, v5, v12
	s_delay_alu instid0(VALU_DEP_1) | instskip(NEXT) | instid1(VALU_DEP_1)
	v_dual_add_f32 v1, v1, v15 :: v_dual_mul_f32 v6, v11, v13
	v_fma_f32 v8, v13, v11, -v6
	s_delay_alu instid0(VALU_DEP_1) | instskip(NEXT) | instid1(VALU_DEP_1)
	v_fmac_f32_e32 v8, v13, v14
	v_add_f32_e32 v4, v6, v8
	s_delay_alu instid0(VALU_DEP_1) | instskip(NEXT) | instid1(VALU_DEP_1)
	v_dual_sub_f32 v7, v5, v4 :: v_dual_mov_b32 v9, v4
	v_pk_add_f32 v[4:5], v[4:5], v[6:7] neg_lo:[0,1] neg_hi:[0,1]
	s_delay_alu instid0(VALU_DEP_1) | instskip(NEXT) | instid1(VALU_DEP_1)
	v_pk_add_f32 v[4:5], v[4:5], v[8:9] neg_lo:[0,1] neg_hi:[0,1]
	v_add_f32_e32 v1, v1, v5
	s_delay_alu instid0(VALU_DEP_1) | instskip(NEXT) | instid1(VALU_DEP_1)
	v_add_f32_e32 v1, v4, v1
	v_add_f32_e32 v5, v7, v1
	s_delay_alu instid0(VALU_DEP_1) | instskip(NEXT) | instid1(VALU_DEP_1)
	v_mul_f32_e32 v15, v12, v5
	v_mul_f32_e32 v8, v11, v15
	s_delay_alu instid0(VALU_DEP_1) | instskip(SKIP_1) | instid1(VALU_DEP_1)
	v_fma_f32 v6, v15, v11, -v8
	v_sub_f32_e32 v11, v7, v5
	v_dual_fmac_f32 v6, v15, v14 :: v_dual_add_f32 v1, v1, v11
	s_delay_alu instid0(VALU_DEP_1) | instskip(NEXT) | instid1(VALU_DEP_1)
	v_add_f32_e32 v4, v8, v6
	v_dual_sub_f32 v9, v5, v4 :: v_dual_mov_b32 v7, v4
	s_delay_alu instid0(VALU_DEP_1) | instskip(NEXT) | instid1(VALU_DEP_1)
	v_pk_add_f32 v[4:5], v[4:5], v[8:9] neg_lo:[0,1] neg_hi:[0,1]
	v_pk_add_f32 v[4:5], v[4:5], v[6:7] neg_lo:[0,1] neg_hi:[0,1]
	v_cvt_f32_i32_e32 v6, v10
	s_delay_alu instid0(VALU_DEP_2) | instskip(NEXT) | instid1(VALU_DEP_1)
	v_add_f32_e32 v1, v1, v5
	v_dual_add_f32 v8, v13, v15 :: v_dual_add_f32 v1, v4, v1
	s_delay_alu instid0(VALU_DEP_1) | instskip(NEXT) | instid1(VALU_DEP_1)
	v_sub_f32_e32 v4, v8, v13
	v_dual_add_f32 v1, v9, v1 :: v_dual_sub_f32 v4, v15, v4
	s_delay_alu instid0(VALU_DEP_1) | instskip(NEXT) | instid1(VALU_DEP_1)
	v_mul_f32_e32 v1, v12, v1
	v_dual_add_f32 v1, v4, v1 :: v_dual_mov_b32 v4, 0x3f317218
	s_delay_alu instid0(VALU_DEP_1) | instskip(NEXT) | instid1(VALU_DEP_1)
	v_add_f32_e32 v9, v8, v1
	v_mul_f32_e32 v5, v9, v9
	s_delay_alu instid0(VALU_DEP_1) | instskip(SKIP_1) | instid1(VALU_DEP_2)
	v_fmaak_f32 v11, s27, v5, 0x3ecc95a3
	v_mul_f32_e32 v7, v9, v5
	v_fmaak_f32 v5, v5, v11, 0x3f2aaada
	s_delay_alu instid0(VALU_DEP_1) | instskip(NEXT) | instid1(VALU_DEP_1)
	v_pk_mul_f32 v[4:5], v[6:7], v[4:5]
	v_fma_f32 v10, 0x3f317218, v6, -v4
	s_delay_alu instid0(VALU_DEP_1) | instskip(SKIP_1) | instid1(VALU_DEP_1)
	v_fmamk_f32 v6, v6, 0xb102e308, v10
	v_sub_f32_e32 v10, v9, v8
	v_sub_f32_e32 v1, v1, v10
	v_ldexp_f32 v7, v9, 1
	v_mov_b32_e32 v10, v4
	s_delay_alu instid0(VALU_DEP_3) | instskip(NEXT) | instid1(VALU_DEP_3)
	v_ldexp_f32 v1, v1, 1
	v_pk_add_f32 v[8:9], v[4:5], v[6:7]
	s_delay_alu instid0(VALU_DEP_1) | instskip(NEXT) | instid1(VALU_DEP_1)
	v_dual_sub_f32 v7, v9, v7 :: v_dual_mov_b32 v18, v9
	v_sub_f32_e32 v7, v5, v7
	s_delay_alu instid0(VALU_DEP_3) | instskip(NEXT) | instid1(VALU_DEP_2)
	v_pk_add_f32 v[4:5], v[8:9], v[4:5] neg_lo:[0,1] neg_hi:[0,1]
	v_dual_add_f32 v11, v1, v7 :: v_dual_mov_b32 v7, v8
	s_delay_alu instid0(VALU_DEP_1) | instskip(NEXT) | instid1(VALU_DEP_1)
	v_pk_add_f32 v[12:13], v[8:9], v[10:11]
	v_mov_b32_e32 v5, v13
	s_delay_alu instid0(VALU_DEP_1) | instskip(SKIP_2) | instid1(VALU_DEP_3)
	v_pk_add_f32 v[14:15], v[6:7], v[4:5]
	v_mov_b32_e32 v14, v13
	v_pk_add_f32 v[4:5], v[6:7], v[4:5] neg_lo:[0,1] neg_hi:[0,1]
	v_dual_mov_b32 v10, v15 :: v_dual_mov_b32 v5, v15
	s_delay_alu instid0(VALU_DEP_1) | instskip(SKIP_1) | instid1(VALU_DEP_2)
	v_pk_add_f32 v[16:17], v[10:11], v[8:9] neg_lo:[0,1] neg_hi:[0,1]
	v_dual_mov_b32 v9, v8 :: v_dual_mov_b32 v8, v11
	v_dual_mov_b32 v1, v16 :: v_dual_mov_b32 v19, v16
	s_delay_alu instid0(VALU_DEP_1) | instskip(NEXT) | instid1(VALU_DEP_2)
	v_pk_add_f32 v[12:13], v[12:13], v[0:1] neg_lo:[0,1] neg_hi:[0,1]
	v_pk_add_f32 v[6:7], v[14:15], v[18:19] neg_lo:[0,1] neg_hi:[0,1]
	v_mov_b32_e32 v12, v4
	s_delay_alu instid0(VALU_DEP_2) | instskip(NEXT) | instid1(VALU_DEP_1)
	v_pk_add_f32 v[6:7], v[8:9], v[6:7] neg_lo:[0,1] neg_hi:[0,1]
	v_pk_add_f32 v[8:9], v[12:13], v[6:7]
	s_delay_alu instid0(VALU_DEP_1) | instskip(NEXT) | instid1(VALU_DEP_1)
	v_mov_b32_e32 v12, v9
	v_pk_add_f32 v[12:13], v[8:9], v[12:13]
	s_delay_alu instid0(VALU_DEP_1) | instskip(NEXT) | instid1(VALU_DEP_1)
	v_pk_add_f32 v[10:11], v[10:11], v[12:13]
	v_mov_b32_e32 v9, v10
	s_delay_alu instid0(VALU_DEP_1) | instskip(NEXT) | instid1(VALU_DEP_1)
	v_pk_add_f32 v[14:15], v[8:9], v[4:5] neg_lo:[0,1] neg_hi:[0,1]
	v_sub_f32_e32 v1, v8, v14
	s_delay_alu instid0(VALU_DEP_1) | instskip(SKIP_1) | instid1(VALU_DEP_1)
	v_sub_f32_e32 v1, v4, v1
	v_mov_b32_e32 v7, v12
	v_pk_add_f32 v[6:7], v[6:7], v[14:15] neg_lo:[0,1] neg_hi:[0,1]
	s_delay_alu instid0(VALU_DEP_1) | instskip(NEXT) | instid1(VALU_DEP_1)
	v_add_f32_e32 v1, v6, v1
	v_add_f32_e32 v1, v1, v7
	s_delay_alu instid0(VALU_DEP_1) | instskip(NEXT) | instid1(VALU_DEP_1)
	v_add_f32_e32 v1, v10, v1
	v_cndmask_b32_e32 v1, 0x7f800000, v1, vcc_lo
	v_cmp_gt_f32_e64 vcc_lo, 0x33800000, |v3|
	s_delay_alu instid0(VALU_DEP_2) | instskip(NEXT) | instid1(VALU_DEP_1)
	v_cndmask_b32_e32 v1, v1, v3, vcc_lo
	v_div_scale_f32 v3, null, s16, s16, v1
	s_delay_alu instid0(VALU_DEP_1) | instskip(SKIP_1) | instid1(TRANS32_DEP_1)
	v_rcp_f32_e32 v4, v3
	v_nop
	v_fma_f32 v5, -v3, v4, 1.0
	s_delay_alu instid0(VALU_DEP_1) | instskip(SKIP_1) | instid1(VALU_DEP_1)
	v_fmac_f32_e32 v4, v5, v4
	v_div_scale_f32 v5, vcc_lo, v1, s16, v1
	v_mul_f32_e32 v6, v5, v4
	s_delay_alu instid0(VALU_DEP_1) | instskip(NEXT) | instid1(VALU_DEP_1)
	v_fma_f32 v7, -v3, v6, v5
	v_fmac_f32_e32 v6, v7, v4
	s_delay_alu instid0(VALU_DEP_1) | instskip(NEXT) | instid1(VALU_DEP_1)
	v_fma_f32 v3, -v3, v6, v5
	v_div_fmas_f32 v3, v3, v4, v6
	s_delay_alu instid0(VALU_DEP_1)
	v_div_fixup_f32 v1, v3, s16, v1
.LBB35_28:
	s_or_b32 exec_lo, exec_lo, s0
	s_delay_alu instid0(VALU_DEP_1) | instskip(SKIP_2) | instid1(SALU_CYCLE_1)
	v_bfe_u32 v3, v1, 16, 1
	v_cmp_o_f32_e32 vcc_lo, v1, v1
	s_and_b32 s27, s18, 0xff
	s_cmp_lt_i32 s27, 11
	s_delay_alu instid0(VALU_DEP_2) | instskip(NEXT) | instid1(VALU_DEP_1)
	v_add3_u32 v4, v1, v3, 0x7fff
	v_dual_mov_b32 v3, 0 :: v_dual_lshrrev_b32 v4, 16, v4
	s_delay_alu instid0(VALU_DEP_1) | instskip(NEXT) | instid1(VALU_DEP_2)
	v_add_nc_u64_e32 v[2:3], s[4:5], v[2:3]
	v_cndmask_b32_e32 v1, 0x7fc0, v4, vcc_lo
	s_cbranch_scc1 .LBB35_36
; %bb.29:
	s_and_b32 s28, 0xffff, s27
	s_delay_alu instid0(SALU_CYCLE_1)
	s_cmp_gt_i32 s28, 25
	s_cbranch_scc0 .LBB35_39
; %bb.30:
	s_cmp_gt_i32 s28, 28
	s_cbranch_scc0 .LBB35_41
; %bb.31:
	;; [unrolled: 3-line block ×4, first 2 shown]
	s_mov_b32 s30, 0
	s_mov_b32 s0, -1
	s_cmp_eq_u32 s28, 46
	s_mov_b32 s29, 0
	s_cbranch_scc0 .LBB35_50
; %bb.34:
	v_and_b32_e32 v4, 0xffff, v1
	s_mov_b32 s29, -1
	s_mov_b32 s0, 0
	global_store_b32 v[2:3], v4, off
	s_branch .LBB35_50
.LBB35_35:
	s_mov_b32 s26, 0
	s_mov_b32 s27, 0
                                        ; implicit-def: $vgpr1
	s_cbranch_execnz .LBB35_184
	s_branch .LBB35_218
.LBB35_36:
	s_mov_b32 s0, 0
	s_mov_b32 s29, 0
	s_cbranch_execnz .LBB35_119
.LBB35_37:
	s_and_not1_b32 vcc_lo, exec_lo, s29
	s_cbranch_vccz .LBB35_157
	s_branch .LBB35_267
.LBB35_38:
	s_mov_b32 s28, -1
	s_mov_b32 s26, 0
	s_mov_b32 s27, 0
                                        ; implicit-def: $vgpr1
	s_branch .LBB35_165
.LBB35_39:
	s_mov_b32 s30, -1
	s_mov_b32 s0, 0
	s_mov_b32 s29, 0
	s_branch .LBB35_77
.LBB35_40:
	s_mov_b32 s28, -1
	s_mov_b32 s26, 0
	s_mov_b32 s27, 0
                                        ; implicit-def: $vgpr1
	s_branch .LBB35_160
.LBB35_41:
	s_mov_b32 s30, -1
	s_mov_b32 s0, 0
	s_mov_b32 s29, 0
	s_branch .LBB35_60
.LBB35_42:
	s_mov_b32 s28, -1
	s_mov_b32 s26, 0
	s_branch .LBB35_45
.LBB35_43:
	s_mov_b32 s30, -1
	s_mov_b32 s0, 0
	s_mov_b32 s29, 0
	s_branch .LBB35_56
.LBB35_44:
	s_mov_b32 s26, -1
.LBB35_45:
	s_mov_b32 s27, 0
                                        ; implicit-def: $vgpr1
.LBB35_46:
	s_and_b32 vcc_lo, exec_lo, s28
	s_cbranch_vccz .LBB35_159
; %bb.47:
	s_cmp_eq_u32 s0, 44
	s_cbranch_scc0 .LBB35_158
; %bb.48:
	s_wait_loadcnt 0x0
	global_load_u8 v1, v[4:5], off
	s_mov_b32 s26, 0
	s_mov_b32 s27, -1
	s_wait_loadcnt 0x0
	v_lshlrev_b32_e32 v3, 23, v1
	v_cmp_ne_u32_e32 vcc_lo, 0xff, v1
	s_delay_alu instid0(VALU_DEP_2) | instskip(SKIP_1) | instid1(VALU_DEP_2)
	v_cndmask_b32_e32 v3, 0x7f800001, v3, vcc_lo
	v_cmp_ne_u32_e32 vcc_lo, 0, v1
	v_cndmask_b32_e32 v1, 0x400000, v3, vcc_lo
	s_delay_alu instid0(VALU_DEP_1) | instskip(SKIP_1) | instid1(VALU_DEP_2)
	v_add_nc_u32_e32 v3, 0x7fff, v1
	v_cmp_o_f32_e32 vcc_lo, v1, v1
	v_lshrrev_b32_e32 v3, 16, v3
	s_delay_alu instid0(VALU_DEP_1)
	v_cndmask_b32_e32 v1, 0x7fc0, v3, vcc_lo
	s_branch .LBB35_159
.LBB35_49:
	s_mov_b32 s30, -1
	s_mov_b32 s0, 0
	s_mov_b32 s29, 0
.LBB35_50:
	s_and_b32 vcc_lo, exec_lo, s30
	s_cbranch_vccz .LBB35_55
; %bb.51:
	s_cmp_eq_u32 s28, 44
	s_mov_b32 s0, -1
	s_cbranch_scc0 .LBB35_55
; %bb.52:
	s_wait_xcnt 0x0
	v_and_b32_e32 v4, 0xffff, v1
	v_mov_b32_e32 v5, 0xff
	s_mov_b32 s29, exec_lo
	s_delay_alu instid0(VALU_DEP_2) | instskip(NEXT) | instid1(VALU_DEP_1)
	v_bfe_u32 v6, v4, 7, 8
	v_cmpx_ne_u32_e32 0xff, v6
	s_cbranch_execz .LBB35_54
; %bb.53:
	v_dual_lshlrev_b32 v5, 16, v4 :: v_dual_bitop2_b32 v7, 64, v4 bitop3:0x40
	v_lshrrev_b32_e32 v4, 7, v4
	s_delay_alu instid0(VALU_DEP_2) | instskip(NEXT) | instid1(VALU_DEP_3)
	v_and_or_b32 v5, 0x3f0000, v5, v6
	v_cmp_ne_u32_e32 vcc_lo, 0, v7
	s_delay_alu instid0(VALU_DEP_2) | instskip(SKIP_1) | instid1(SALU_CYCLE_1)
	v_cmp_ne_u32_e64 s0, 0, v5
	s_and_b32 s0, vcc_lo, s0
	v_cndmask_b32_e64 v5, 0, 1, s0
	s_delay_alu instid0(VALU_DEP_1)
	v_add_nc_u32_e32 v5, v4, v5
.LBB35_54:
	s_or_b32 exec_lo, exec_lo, s29
	s_mov_b32 s29, -1
	s_mov_b32 s0, 0
	global_store_b8 v[2:3], v5, off
.LBB35_55:
	s_mov_b32 s30, 0
.LBB35_56:
	s_delay_alu instid0(SALU_CYCLE_1)
	s_and_b32 vcc_lo, exec_lo, s30
	s_cbranch_vccz .LBB35_59
; %bb.57:
	s_cmp_eq_u32 s28, 29
	s_mov_b32 s0, -1
	s_cbranch_scc0 .LBB35_59
; %bb.58:
	s_wait_xcnt 0x0
	v_lshlrev_b32_e32 v4, 16, v1
	s_mov_b32 s29, -1
	s_mov_b32 s0, 0
	s_mov_b32 s30, 0
	s_delay_alu instid0(VALU_DEP_1) | instskip(NEXT) | instid1(VALU_DEP_1)
	v_trunc_f32_e32 v4, v4
	v_mul_f32_e32 v5, 0x2f800000, v4
	s_delay_alu instid0(VALU_DEP_1) | instskip(NEXT) | instid1(VALU_DEP_1)
	v_floor_f32_e32 v5, v5
	v_fmamk_f32 v4, v5, 0xcf800000, v4
	v_cvt_u32_f32_e32 v5, v5
	s_delay_alu instid0(VALU_DEP_2)
	v_cvt_u32_f32_e32 v4, v4
	global_store_b64 v[2:3], v[4:5], off
	s_branch .LBB35_60
.LBB35_59:
	s_mov_b32 s30, 0
.LBB35_60:
	s_delay_alu instid0(SALU_CYCLE_1)
	s_and_b32 vcc_lo, exec_lo, s30
	s_cbranch_vccz .LBB35_76
; %bb.61:
	s_cmp_lt_i32 s28, 27
	s_mov_b32 s29, -1
	s_cbranch_scc1 .LBB35_67
; %bb.62:
	s_cmp_gt_i32 s28, 27
	s_cbranch_scc0 .LBB35_64
; %bb.63:
	s_wait_xcnt 0x0
	v_lshlrev_b32_e32 v4, 16, v1
	s_mov_b32 s29, 0
	s_delay_alu instid0(VALU_DEP_1)
	v_cvt_u32_f32_e32 v4, v4
	global_store_b32 v[2:3], v4, off
.LBB35_64:
	s_and_not1_b32 vcc_lo, exec_lo, s29
	s_cbranch_vccnz .LBB35_66
; %bb.65:
	s_wait_xcnt 0x0
	v_lshlrev_b32_e32 v4, 16, v1
	s_delay_alu instid0(VALU_DEP_1)
	v_cvt_u32_f32_e32 v4, v4
	global_store_b16 v[2:3], v4, off
.LBB35_66:
	s_mov_b32 s29, 0
.LBB35_67:
	s_delay_alu instid0(SALU_CYCLE_1)
	s_and_not1_b32 vcc_lo, exec_lo, s29
	s_cbranch_vccnz .LBB35_75
; %bb.68:
	v_dual_mov_b32 v7, 0x80 :: v_dual_lshlrev_b32 v6, 16, v1
	s_mov_b32 s29, exec_lo
	s_wait_xcnt 0x0
	s_delay_alu instid0(VALU_DEP_1) | instskip(NEXT) | instid1(VALU_DEP_1)
	v_and_b32_e32 v5, 0x7fffffff, v6
	v_cmpx_gt_u32_e32 0x43800000, v5
	s_cbranch_execz .LBB35_74
; %bb.69:
	v_and_b32_e32 v4, 0xffff, v1
	v_cmp_lt_u32_e32 vcc_lo, 0x3bffffff, v5
	s_mov_b32 s30, 0
                                        ; implicit-def: $vgpr5
	s_and_saveexec_b32 s31, vcc_lo
	s_delay_alu instid0(SALU_CYCLE_1)
	s_xor_b32 s31, exec_lo, s31
	s_cbranch_execz .LBB35_314
; %bb.70:
	v_bfe_u32 v5, v4, 4, 1
	s_mov_b32 s30, exec_lo
	s_delay_alu instid0(VALU_DEP_1) | instskip(NEXT) | instid1(VALU_DEP_1)
	v_add3_u32 v5, v6, v5, 0x487ffff
                                        ; implicit-def: $vgpr6
	v_lshrrev_b32_e32 v5, 20, v5
	s_and_not1_saveexec_b32 s31, s31
	s_cbranch_execnz .LBB35_315
.LBB35_71:
	s_or_b32 exec_lo, exec_lo, s31
	v_mov_b32_e32 v7, 0
	s_and_saveexec_b32 s31, s30
.LBB35_72:
	v_lshrrev_b32_e32 v4, 8, v4
	s_delay_alu instid0(VALU_DEP_1)
	v_and_or_b32 v7, 0x80, v4, v5
.LBB35_73:
	s_or_b32 exec_lo, exec_lo, s31
.LBB35_74:
	s_delay_alu instid0(SALU_CYCLE_1)
	s_or_b32 exec_lo, exec_lo, s29
	global_store_b8 v[2:3], v7, off
.LBB35_75:
	s_mov_b32 s29, -1
.LBB35_76:
	s_mov_b32 s30, 0
.LBB35_77:
	s_delay_alu instid0(SALU_CYCLE_1)
	s_and_b32 vcc_lo, exec_lo, s30
	s_cbranch_vccz .LBB35_118
; %bb.78:
	s_cmp_gt_i32 s28, 22
	s_mov_b32 s30, -1
	s_cbranch_scc0 .LBB35_110
; %bb.79:
	s_cmp_lt_i32 s28, 24
	s_mov_b32 s29, -1
	s_cbranch_scc1 .LBB35_99
; %bb.80:
	s_cmp_gt_i32 s28, 24
	s_cbranch_scc0 .LBB35_88
; %bb.81:
	s_wait_xcnt 0x0
	v_dual_mov_b32 v7, 0x80 :: v_dual_lshlrev_b32 v6, 16, v1
	s_mov_b32 s29, exec_lo
	s_delay_alu instid0(VALU_DEP_1) | instskip(NEXT) | instid1(VALU_DEP_1)
	v_and_b32_e32 v5, 0x7fffffff, v6
	v_cmpx_gt_u32_e32 0x47800000, v5
	s_cbranch_execz .LBB35_87
; %bb.82:
	v_and_b32_e32 v4, 0xffff, v1
	v_cmp_lt_u32_e32 vcc_lo, 0x37ffffff, v5
	s_mov_b32 s30, 0
                                        ; implicit-def: $vgpr5
	s_and_saveexec_b32 s31, vcc_lo
	s_delay_alu instid0(SALU_CYCLE_1)
	s_xor_b32 s31, exec_lo, s31
	s_cbranch_execz .LBB35_318
; %bb.83:
	v_bfe_u32 v5, v4, 5, 1
	s_mov_b32 s30, exec_lo
	s_delay_alu instid0(VALU_DEP_1) | instskip(NEXT) | instid1(VALU_DEP_1)
	v_add3_u32 v5, v6, v5, 0x88fffff
                                        ; implicit-def: $vgpr6
	v_lshrrev_b32_e32 v5, 21, v5
	s_and_not1_saveexec_b32 s31, s31
	s_cbranch_execnz .LBB35_319
.LBB35_84:
	s_or_b32 exec_lo, exec_lo, s31
	v_mov_b32_e32 v7, 0
	s_and_saveexec_b32 s31, s30
.LBB35_85:
	v_lshrrev_b32_e32 v4, 8, v4
	s_delay_alu instid0(VALU_DEP_1)
	v_and_or_b32 v7, 0x80, v4, v5
.LBB35_86:
	s_or_b32 exec_lo, exec_lo, s31
.LBB35_87:
	s_delay_alu instid0(SALU_CYCLE_1)
	s_or_b32 exec_lo, exec_lo, s29
	s_mov_b32 s29, 0
	global_store_b8 v[2:3], v7, off
.LBB35_88:
	s_and_b32 vcc_lo, exec_lo, s29
	s_cbranch_vccz .LBB35_98
; %bb.89:
	v_lshlrev_b32_e32 v6, 16, v1
	s_wait_xcnt 0x0
	v_and_b32_e32 v4, 0xffff, v1
	s_mov_b32 s29, exec_lo
                                        ; implicit-def: $vgpr5
	s_delay_alu instid0(VALU_DEP_2) | instskip(NEXT) | instid1(VALU_DEP_1)
	v_and_b32_e32 v7, 0x7fffffff, v6
	v_cmpx_gt_u32_e32 0x43f00000, v7
	s_xor_b32 s29, exec_lo, s29
	s_cbranch_execz .LBB35_95
; %bb.90:
	s_mov_b32 s30, exec_lo
                                        ; implicit-def: $vgpr5
	v_cmpx_lt_u32_e32 0x3c7fffff, v7
	s_xor_b32 s30, exec_lo, s30
; %bb.91:
	v_bfe_u32 v5, v4, 4, 1
	s_delay_alu instid0(VALU_DEP_1) | instskip(NEXT) | instid1(VALU_DEP_1)
	v_add3_u32 v5, v6, v5, 0x407ffff
	v_and_b32_e32 v6, 0xff00000, v5
	v_lshrrev_b32_e32 v5, 20, v5
	s_delay_alu instid0(VALU_DEP_2) | instskip(NEXT) | instid1(VALU_DEP_2)
	v_cmp_ne_u32_e32 vcc_lo, 0x7f00000, v6
                                        ; implicit-def: $vgpr6
	v_cndmask_b32_e32 v5, 0x7e, v5, vcc_lo
; %bb.92:
	s_and_not1_saveexec_b32 s30, s30
; %bb.93:
	v_add_f32_e64 v5, 0x46800000, |v6|
; %bb.94:
	s_or_b32 exec_lo, exec_lo, s30
                                        ; implicit-def: $vgpr7
.LBB35_95:
	s_and_not1_saveexec_b32 s29, s29
; %bb.96:
	v_mov_b32_e32 v5, 0x7f
	v_cmp_lt_u32_e32 vcc_lo, 0x7f800000, v7
	s_delay_alu instid0(VALU_DEP_2)
	v_cndmask_b32_e32 v5, 0x7e, v5, vcc_lo
; %bb.97:
	s_or_b32 exec_lo, exec_lo, s29
	v_lshrrev_b32_e32 v4, 8, v4
	s_delay_alu instid0(VALU_DEP_1)
	v_and_or_b32 v4, 0x80, v4, v5
	global_store_b8 v[2:3], v4, off
.LBB35_98:
	s_mov_b32 s29, 0
.LBB35_99:
	s_delay_alu instid0(SALU_CYCLE_1)
	s_and_not1_b32 vcc_lo, exec_lo, s29
	s_cbranch_vccnz .LBB35_109
; %bb.100:
	v_lshlrev_b32_e32 v6, 16, v1
	s_wait_xcnt 0x0
	v_and_b32_e32 v4, 0xffff, v1
	s_mov_b32 s29, exec_lo
                                        ; implicit-def: $vgpr5
	s_delay_alu instid0(VALU_DEP_2) | instskip(NEXT) | instid1(VALU_DEP_1)
	v_and_b32_e32 v7, 0x7fffffff, v6
	v_cmpx_gt_u32_e32 0x47800000, v7
	s_xor_b32 s29, exec_lo, s29
	s_cbranch_execz .LBB35_106
; %bb.101:
	s_mov_b32 s30, exec_lo
                                        ; implicit-def: $vgpr5
	v_cmpx_lt_u32_e32 0x387fffff, v7
	s_xor_b32 s30, exec_lo, s30
; %bb.102:
	v_bfe_u32 v5, v4, 5, 1
	s_delay_alu instid0(VALU_DEP_1) | instskip(NEXT) | instid1(VALU_DEP_1)
	v_add3_u32 v5, v6, v5, 0x80fffff
                                        ; implicit-def: $vgpr6
	v_lshrrev_b32_e32 v5, 21, v5
; %bb.103:
	s_and_not1_saveexec_b32 s30, s30
; %bb.104:
	v_add_f32_e64 v5, 0x43000000, |v6|
; %bb.105:
	s_or_b32 exec_lo, exec_lo, s30
                                        ; implicit-def: $vgpr7
.LBB35_106:
	s_and_not1_saveexec_b32 s29, s29
; %bb.107:
	v_mov_b32_e32 v5, 0x7f
	v_cmp_lt_u32_e32 vcc_lo, 0x7f800000, v7
	s_delay_alu instid0(VALU_DEP_2)
	v_cndmask_b32_e32 v5, 0x7c, v5, vcc_lo
; %bb.108:
	s_or_b32 exec_lo, exec_lo, s29
	v_lshrrev_b32_e32 v4, 8, v4
	s_delay_alu instid0(VALU_DEP_1)
	v_and_or_b32 v4, 0x80, v4, v5
	global_store_b8 v[2:3], v4, off
.LBB35_109:
	s_mov_b32 s30, 0
	s_mov_b32 s29, -1
.LBB35_110:
	s_and_not1_b32 vcc_lo, exec_lo, s30
	s_cbranch_vccnz .LBB35_118
; %bb.111:
	s_cmp_gt_i32 s28, 14
	s_mov_b32 s30, -1
	s_cbranch_scc0 .LBB35_115
; %bb.112:
	s_cmp_eq_u32 s28, 15
	s_mov_b32 s0, -1
	s_cbranch_scc0 .LBB35_114
; %bb.113:
	s_mov_b32 s29, -1
	s_mov_b32 s0, 0
	global_store_b16 v[2:3], v1, off
.LBB35_114:
	s_mov_b32 s30, 0
.LBB35_115:
	s_delay_alu instid0(SALU_CYCLE_1)
	s_and_b32 vcc_lo, exec_lo, s30
	s_cbranch_vccz .LBB35_118
; %bb.116:
	s_cmp_eq_u32 s28, 11
	s_mov_b32 s0, -1
	s_cbranch_scc0 .LBB35_118
; %bb.117:
	s_wait_xcnt 0x0
	v_and_b32_e32 v4, 0x7fff, v1
	s_mov_b32 s0, 0
	s_mov_b32 s29, -1
	s_delay_alu instid0(VALU_DEP_1)
	v_cmp_ne_u16_e32 vcc_lo, 0, v4
	v_cndmask_b32_e64 v4, 0, 1, vcc_lo
	global_store_b8 v[2:3], v4, off
.LBB35_118:
	s_branch .LBB35_37
.LBB35_119:
	s_and_b32 s27, 0xffff, s27
	s_mov_b32 s28, -1
	s_cmp_lt_i32 s27, 5
	s_cbranch_scc1 .LBB35_140
; %bb.120:
	s_cmp_lt_i32 s27, 8
	s_cbranch_scc1 .LBB35_130
; %bb.121:
	;; [unrolled: 3-line block ×3, first 2 shown]
	s_cmp_gt_i32 s27, 9
	s_cbranch_scc0 .LBB35_124
; %bb.123:
	s_wait_xcnt 0x0
	v_dual_lshlrev_b32 v4, 16, v1 :: v_dual_mov_b32 v6, 0
	s_mov_b32 s28, 0
	s_delay_alu instid0(VALU_DEP_1) | instskip(NEXT) | instid1(VALU_DEP_2)
	v_cvt_f64_f32_e32 v[4:5], v4
	v_mov_b32_e32 v7, v6
	global_store_b128 v[2:3], v[4:7], off
.LBB35_124:
	s_and_not1_b32 vcc_lo, exec_lo, s28
	s_cbranch_vccnz .LBB35_126
; %bb.125:
	s_wait_xcnt 0x0
	v_dual_mov_b32 v5, 0 :: v_dual_lshlrev_b32 v4, 16, v1
	global_store_b64 v[2:3], v[4:5], off
.LBB35_126:
	s_mov_b32 s28, 0
.LBB35_127:
	s_delay_alu instid0(SALU_CYCLE_1)
	s_and_not1_b32 vcc_lo, exec_lo, s28
	s_cbranch_vccnz .LBB35_129
; %bb.128:
	s_wait_xcnt 0x0
	v_lshlrev_b32_e32 v4, 16, v1
	s_delay_alu instid0(VALU_DEP_1) | instskip(NEXT) | instid1(VALU_DEP_1)
	v_cvt_f16_f32_e32 v4, v4
	v_and_b32_e32 v4, 0xffff, v4
	global_store_b32 v[2:3], v4, off
.LBB35_129:
	s_mov_b32 s28, 0
.LBB35_130:
	s_delay_alu instid0(SALU_CYCLE_1)
	s_and_not1_b32 vcc_lo, exec_lo, s28
	s_cbranch_vccnz .LBB35_139
; %bb.131:
	s_cmp_lt_i32 s27, 6
	s_mov_b32 s28, -1
	s_cbranch_scc1 .LBB35_137
; %bb.132:
	s_cmp_gt_i32 s27, 6
	s_cbranch_scc0 .LBB35_134
; %bb.133:
	s_wait_xcnt 0x0
	v_lshlrev_b32_e32 v4, 16, v1
	s_mov_b32 s28, 0
	s_delay_alu instid0(VALU_DEP_1)
	v_cvt_f64_f32_e32 v[4:5], v4
	global_store_b64 v[2:3], v[4:5], off
.LBB35_134:
	s_and_not1_b32 vcc_lo, exec_lo, s28
	s_cbranch_vccnz .LBB35_136
; %bb.135:
	s_wait_xcnt 0x0
	v_lshlrev_b32_e32 v4, 16, v1
	global_store_b32 v[2:3], v4, off
.LBB35_136:
	s_mov_b32 s28, 0
.LBB35_137:
	s_delay_alu instid0(SALU_CYCLE_1)
	s_and_not1_b32 vcc_lo, exec_lo, s28
	s_cbranch_vccnz .LBB35_139
; %bb.138:
	s_wait_xcnt 0x0
	v_lshlrev_b32_e32 v4, 16, v1
	s_delay_alu instid0(VALU_DEP_1)
	v_cvt_f16_f32_e32 v4, v4
	global_store_b16 v[2:3], v4, off
.LBB35_139:
	s_mov_b32 s28, 0
.LBB35_140:
	s_delay_alu instid0(SALU_CYCLE_1)
	s_and_not1_b32 vcc_lo, exec_lo, s28
	s_cbranch_vccnz .LBB35_156
; %bb.141:
	s_cmp_lt_i32 s27, 2
	s_mov_b32 s28, -1
	s_cbranch_scc1 .LBB35_151
; %bb.142:
	s_cmp_lt_i32 s27, 3
	s_cbranch_scc1 .LBB35_148
; %bb.143:
	s_cmp_gt_i32 s27, 3
	s_cbranch_scc0 .LBB35_145
; %bb.144:
	s_wait_xcnt 0x0
	v_lshlrev_b32_e32 v4, 16, v1
	s_mov_b32 s28, 0
	s_delay_alu instid0(VALU_DEP_1) | instskip(NEXT) | instid1(VALU_DEP_1)
	v_trunc_f32_e32 v4, v4
	v_mul_f32_e64 v5, 0x2f800000, |v4|
	s_delay_alu instid0(VALU_DEP_1) | instskip(NEXT) | instid1(VALU_DEP_1)
	v_floor_f32_e32 v5, v5
	v_fma_f32 v6, 0xcf800000, v5, |v4|
	v_ashrrev_i32_e32 v4, 31, v4
	v_cvt_u32_f32_e32 v7, v5
	s_delay_alu instid0(VALU_DEP_3) | instskip(NEXT) | instid1(VALU_DEP_2)
	v_cvt_u32_f32_e32 v6, v6
	v_dual_mov_b32 v5, v4 :: v_dual_bitop2_b32 v7, v7, v4 bitop3:0x14
	s_delay_alu instid0(VALU_DEP_2) | instskip(NEXT) | instid1(VALU_DEP_1)
	v_xor_b32_e32 v6, v6, v4
	v_sub_nc_u64_e32 v[4:5], v[6:7], v[4:5]
	global_store_b64 v[2:3], v[4:5], off
.LBB35_145:
	s_and_not1_b32 vcc_lo, exec_lo, s28
	s_cbranch_vccnz .LBB35_147
; %bb.146:
	s_wait_xcnt 0x0
	v_lshlrev_b32_e32 v4, 16, v1
	s_delay_alu instid0(VALU_DEP_1)
	v_cvt_i32_f32_e32 v4, v4
	global_store_b32 v[2:3], v4, off
.LBB35_147:
	s_mov_b32 s28, 0
.LBB35_148:
	s_delay_alu instid0(SALU_CYCLE_1)
	s_and_not1_b32 vcc_lo, exec_lo, s28
	s_cbranch_vccnz .LBB35_150
; %bb.149:
	s_wait_xcnt 0x0
	v_lshlrev_b32_e32 v4, 16, v1
	s_delay_alu instid0(VALU_DEP_1)
	v_cvt_i32_f32_e32 v4, v4
	global_store_b16 v[2:3], v4, off
.LBB35_150:
	s_mov_b32 s28, 0
.LBB35_151:
	s_delay_alu instid0(SALU_CYCLE_1)
	s_and_not1_b32 vcc_lo, exec_lo, s28
	s_cbranch_vccnz .LBB35_156
; %bb.152:
	s_cmp_gt_i32 s27, 0
	s_mov_b32 s27, -1
	s_cbranch_scc0 .LBB35_154
; %bb.153:
	s_wait_xcnt 0x0
	v_lshlrev_b32_e32 v4, 16, v1
	s_mov_b32 s27, 0
	s_delay_alu instid0(VALU_DEP_1)
	v_cvt_i32_f32_e32 v4, v4
	global_store_b8 v[2:3], v4, off
.LBB35_154:
	s_and_not1_b32 vcc_lo, exec_lo, s27
	s_cbranch_vccnz .LBB35_156
; %bb.155:
	s_wait_xcnt 0x0
	v_lshlrev_b32_e32 v1, 16, v1
	s_delay_alu instid0(VALU_DEP_1) | instskip(NEXT) | instid1(VALU_DEP_1)
	v_trunc_f32_e32 v1, v1
	v_mul_f32_e64 v4, 0x2f800000, |v1|
	s_delay_alu instid0(VALU_DEP_1) | instskip(NEXT) | instid1(VALU_DEP_1)
	v_floor_f32_e32 v4, v4
	v_fma_f32 v4, 0xcf800000, v4, |v1|
	v_ashrrev_i32_e32 v1, 31, v1
	s_delay_alu instid0(VALU_DEP_2) | instskip(NEXT) | instid1(VALU_DEP_1)
	v_cvt_u32_f32_e32 v4, v4
	v_xor_b32_e32 v4, v4, v1
	s_delay_alu instid0(VALU_DEP_1)
	v_sub_nc_u32_e32 v1, v4, v1
	global_store_b8 v[2:3], v1, off
.LBB35_156:
.LBB35_157:
	v_add_nc_u32_e32 v0, 0x80, v0
	s_mov_b32 s27, -1
	s_branch .LBB35_268
.LBB35_158:
	s_mov_b32 s26, -1
                                        ; implicit-def: $vgpr1
.LBB35_159:
	s_mov_b32 s28, 0
.LBB35_160:
	s_delay_alu instid0(SALU_CYCLE_1)
	s_and_b32 vcc_lo, exec_lo, s28
	s_cbranch_vccz .LBB35_164
; %bb.161:
	s_cmp_eq_u32 s0, 29
	s_cbranch_scc0 .LBB35_163
; %bb.162:
	global_load_b64 v[6:7], v[4:5], off
	s_mov_b32 s27, -1
	s_mov_b32 s26, 0
	s_mov_b32 s28, 0
	s_wait_loadcnt 0x0
	v_clz_i32_u32_e32 v1, v7
	s_delay_alu instid0(VALU_DEP_1) | instskip(NEXT) | instid1(VALU_DEP_1)
	v_min_u32_e32 v1, 32, v1
	v_lshlrev_b64_e32 v[6:7], v1, v[6:7]
	v_sub_nc_u32_e32 v1, 32, v1
	s_delay_alu instid0(VALU_DEP_2) | instskip(NEXT) | instid1(VALU_DEP_1)
	v_min_u32_e32 v3, 1, v6
	v_or_b32_e32 v3, v7, v3
	s_delay_alu instid0(VALU_DEP_1) | instskip(NEXT) | instid1(VALU_DEP_1)
	v_cvt_f32_u32_e32 v3, v3
	v_ldexp_f32 v1, v3, v1
	s_delay_alu instid0(VALU_DEP_1) | instskip(NEXT) | instid1(VALU_DEP_1)
	v_bfe_u32 v3, v1, 16, 1
	v_add3_u32 v1, v1, v3, 0x7fff
	s_delay_alu instid0(VALU_DEP_1)
	v_lshrrev_b32_e32 v1, 16, v1
	s_branch .LBB35_165
.LBB35_163:
	s_mov_b32 s26, -1
                                        ; implicit-def: $vgpr1
.LBB35_164:
	s_mov_b32 s28, 0
.LBB35_165:
	s_delay_alu instid0(SALU_CYCLE_1)
	s_and_b32 vcc_lo, exec_lo, s28
	s_cbranch_vccz .LBB35_183
; %bb.166:
	s_cmp_lt_i32 s0, 27
	s_cbranch_scc1 .LBB35_169
; %bb.167:
	s_cmp_gt_i32 s0, 27
	s_cbranch_scc0 .LBB35_170
; %bb.168:
	s_wait_loadcnt 0x0
	global_load_b32 v1, v[4:5], off
	s_mov_b32 s27, 0
	s_wait_loadcnt 0x0
	v_cvt_f32_u32_e32 v1, v1
	s_delay_alu instid0(VALU_DEP_1) | instskip(NEXT) | instid1(VALU_DEP_1)
	v_bfe_u32 v3, v1, 16, 1
	v_add3_u32 v1, v1, v3, 0x7fff
	s_delay_alu instid0(VALU_DEP_1)
	v_lshrrev_b32_e32 v1, 16, v1
	s_branch .LBB35_171
.LBB35_169:
	s_mov_b32 s27, -1
                                        ; implicit-def: $vgpr1
	s_branch .LBB35_174
.LBB35_170:
	s_mov_b32 s27, -1
                                        ; implicit-def: $vgpr1
.LBB35_171:
	s_delay_alu instid0(SALU_CYCLE_1)
	s_and_not1_b32 vcc_lo, exec_lo, s27
	s_cbranch_vccnz .LBB35_173
; %bb.172:
	s_wait_loadcnt 0x0
	global_load_u16 v1, v[4:5], off
	s_wait_loadcnt 0x0
	v_cvt_f32_u32_e32 v1, v1
	s_delay_alu instid0(VALU_DEP_1) | instskip(NEXT) | instid1(VALU_DEP_1)
	v_bfe_u32 v3, v1, 16, 1
	v_add3_u32 v1, v1, v3, 0x7fff
	s_delay_alu instid0(VALU_DEP_1)
	v_lshrrev_b32_e32 v1, 16, v1
.LBB35_173:
	s_mov_b32 s27, 0
.LBB35_174:
	s_delay_alu instid0(SALU_CYCLE_1)
	s_and_not1_b32 vcc_lo, exec_lo, s27
	s_cbranch_vccnz .LBB35_182
; %bb.175:
	s_wait_loadcnt 0x0
	global_load_u8 v1, v[4:5], off
	s_mov_b32 s27, 0
	s_mov_b32 s28, exec_lo
	s_wait_loadcnt 0x0
	v_cmpx_lt_i16_e32 0x7f, v1
	s_xor_b32 s28, exec_lo, s28
	s_cbranch_execz .LBB35_195
; %bb.176:
	s_mov_b32 s27, -1
	s_mov_b32 s29, exec_lo
	v_cmpx_eq_u16_e32 0x80, v1
; %bb.177:
	s_xor_b32 s27, exec_lo, -1
; %bb.178:
	s_or_b32 exec_lo, exec_lo, s29
	s_delay_alu instid0(SALU_CYCLE_1)
	s_and_b32 s27, s27, exec_lo
	s_or_saveexec_b32 s28, s28
	v_mov_b32_e32 v3, 0x7f800001
	s_xor_b32 exec_lo, exec_lo, s28
	s_cbranch_execnz .LBB35_196
.LBB35_179:
	s_or_b32 exec_lo, exec_lo, s28
	s_and_saveexec_b32 s28, s27
	s_cbranch_execz .LBB35_181
.LBB35_180:
	v_and_b32_e32 v3, 0xffff, v1
	s_delay_alu instid0(VALU_DEP_1) | instskip(SKIP_1) | instid1(VALU_DEP_2)
	v_dual_lshlrev_b32 v1, 24, v1 :: v_dual_bitop2_b32 v6, 7, v3 bitop3:0x40
	v_bfe_u32 v9, v3, 3, 4
	v_and_b32_e32 v1, 0x80000000, v1
	s_delay_alu instid0(VALU_DEP_3) | instskip(NEXT) | instid1(VALU_DEP_3)
	v_clz_i32_u32_e32 v7, v6
	v_cmp_eq_u32_e32 vcc_lo, 0, v9
	s_delay_alu instid0(VALU_DEP_2) | instskip(NEXT) | instid1(VALU_DEP_1)
	v_min_u32_e32 v7, 32, v7
	v_subrev_nc_u32_e32 v8, 28, v7
	v_sub_nc_u32_e32 v7, 29, v7
	s_delay_alu instid0(VALU_DEP_2) | instskip(NEXT) | instid1(VALU_DEP_2)
	v_lshlrev_b32_e32 v3, v8, v3
	v_cndmask_b32_e32 v7, v9, v7, vcc_lo
	s_delay_alu instid0(VALU_DEP_2) | instskip(NEXT) | instid1(VALU_DEP_1)
	v_and_b32_e32 v3, 7, v3
	v_cndmask_b32_e32 v3, v6, v3, vcc_lo
	s_delay_alu instid0(VALU_DEP_3) | instskip(NEXT) | instid1(VALU_DEP_2)
	v_lshl_add_u32 v6, v7, 23, 0x3b800000
	v_lshlrev_b32_e32 v3, 20, v3
	s_delay_alu instid0(VALU_DEP_1)
	v_or3_b32 v3, v1, v6, v3
.LBB35_181:
	s_or_b32 exec_lo, exec_lo, s28
	s_delay_alu instid0(VALU_DEP_1) | instskip(SKIP_1) | instid1(VALU_DEP_2)
	v_bfe_u32 v1, v3, 16, 1
	v_cmp_o_f32_e32 vcc_lo, v3, v3
	v_add3_u32 v1, v3, v1, 0x7fff
	s_delay_alu instid0(VALU_DEP_1) | instskip(NEXT) | instid1(VALU_DEP_1)
	v_lshrrev_b32_e32 v1, 16, v1
	v_cndmask_b32_e32 v1, 0x7fc0, v1, vcc_lo
.LBB35_182:
	s_mov_b32 s27, -1
.LBB35_183:
	s_branch .LBB35_218
.LBB35_184:
	s_cmp_gt_i32 s0, 22
	s_cbranch_scc0 .LBB35_194
; %bb.185:
	s_cmp_lt_i32 s0, 24
	s_cbranch_scc1 .LBB35_197
; %bb.186:
	s_cmp_gt_i32 s0, 24
	s_cbranch_scc0 .LBB35_198
; %bb.187:
	s_wait_loadcnt 0x0
	global_load_u8 v1, v[4:5], off
	s_mov_b32 s27, 0
	s_mov_b32 s28, exec_lo
	s_wait_loadcnt 0x0
	v_cmpx_lt_i16_e32 0x7f, v1
	s_xor_b32 s28, exec_lo, s28
	s_cbranch_execz .LBB35_210
; %bb.188:
	s_mov_b32 s27, -1
	s_mov_b32 s29, exec_lo
	v_cmpx_eq_u16_e32 0x80, v1
; %bb.189:
	s_xor_b32 s27, exec_lo, -1
; %bb.190:
	s_or_b32 exec_lo, exec_lo, s29
	s_delay_alu instid0(SALU_CYCLE_1)
	s_and_b32 s27, s27, exec_lo
	s_or_saveexec_b32 s28, s28
	v_mov_b32_e32 v3, 0x7f800001
	s_xor_b32 exec_lo, exec_lo, s28
	s_cbranch_execnz .LBB35_211
.LBB35_191:
	s_or_b32 exec_lo, exec_lo, s28
	s_and_saveexec_b32 s28, s27
	s_cbranch_execz .LBB35_193
.LBB35_192:
	v_and_b32_e32 v3, 0xffff, v1
	s_delay_alu instid0(VALU_DEP_1) | instskip(SKIP_1) | instid1(VALU_DEP_2)
	v_dual_lshlrev_b32 v1, 24, v1 :: v_dual_bitop2_b32 v6, 3, v3 bitop3:0x40
	v_bfe_u32 v9, v3, 2, 5
	v_and_b32_e32 v1, 0x80000000, v1
	s_delay_alu instid0(VALU_DEP_3) | instskip(NEXT) | instid1(VALU_DEP_3)
	v_clz_i32_u32_e32 v7, v6
	v_cmp_eq_u32_e32 vcc_lo, 0, v9
	s_delay_alu instid0(VALU_DEP_2) | instskip(NEXT) | instid1(VALU_DEP_1)
	v_min_u32_e32 v7, 32, v7
	v_subrev_nc_u32_e32 v8, 29, v7
	v_sub_nc_u32_e32 v7, 30, v7
	s_delay_alu instid0(VALU_DEP_2) | instskip(NEXT) | instid1(VALU_DEP_2)
	v_lshlrev_b32_e32 v3, v8, v3
	v_cndmask_b32_e32 v7, v9, v7, vcc_lo
	s_delay_alu instid0(VALU_DEP_2) | instskip(NEXT) | instid1(VALU_DEP_1)
	v_and_b32_e32 v3, 3, v3
	v_cndmask_b32_e32 v3, v6, v3, vcc_lo
	s_delay_alu instid0(VALU_DEP_3) | instskip(NEXT) | instid1(VALU_DEP_2)
	v_lshl_add_u32 v6, v7, 23, 0x37800000
	v_lshlrev_b32_e32 v3, 21, v3
	s_delay_alu instid0(VALU_DEP_1)
	v_or3_b32 v3, v1, v6, v3
.LBB35_193:
	s_or_b32 exec_lo, exec_lo, s28
	s_delay_alu instid0(VALU_DEP_1) | instskip(SKIP_2) | instid1(VALU_DEP_2)
	v_bfe_u32 v1, v3, 16, 1
	v_cmp_o_f32_e32 vcc_lo, v3, v3
	s_mov_b32 s27, 0
	v_add3_u32 v1, v3, v1, 0x7fff
	s_delay_alu instid0(VALU_DEP_1) | instskip(NEXT) | instid1(VALU_DEP_1)
	v_lshrrev_b32_e32 v1, 16, v1
	v_cndmask_b32_e32 v1, 0x7fc0, v1, vcc_lo
	s_branch .LBB35_199
.LBB35_194:
	s_mov_b32 s28, -1
                                        ; implicit-def: $vgpr1
	s_branch .LBB35_205
.LBB35_195:
	s_or_saveexec_b32 s28, s28
	v_mov_b32_e32 v3, 0x7f800001
	s_xor_b32 exec_lo, exec_lo, s28
	s_cbranch_execz .LBB35_179
.LBB35_196:
	v_cmp_ne_u16_e32 vcc_lo, 0, v1
	v_mov_b32_e32 v3, 0
	s_and_not1_b32 s27, s27, exec_lo
	s_and_b32 s29, vcc_lo, exec_lo
	s_delay_alu instid0(SALU_CYCLE_1)
	s_or_b32 s27, s27, s29
	s_or_b32 exec_lo, exec_lo, s28
	s_and_saveexec_b32 s28, s27
	s_cbranch_execnz .LBB35_180
	s_branch .LBB35_181
.LBB35_197:
	s_mov_b32 s27, -1
                                        ; implicit-def: $vgpr1
	s_branch .LBB35_202
.LBB35_198:
	s_mov_b32 s27, -1
                                        ; implicit-def: $vgpr1
.LBB35_199:
	s_delay_alu instid0(SALU_CYCLE_1)
	s_and_b32 vcc_lo, exec_lo, s27
	s_cbranch_vccz .LBB35_201
; %bb.200:
	s_wait_loadcnt 0x0
	global_load_u8 v1, v[4:5], off
	s_wait_loadcnt 0x0
	v_lshlrev_b32_e32 v1, 24, v1
	s_delay_alu instid0(VALU_DEP_1) | instskip(NEXT) | instid1(VALU_DEP_1)
	v_and_b32_e32 v3, 0x7f000000, v1
	v_clz_i32_u32_e32 v6, v3
	v_cmp_ne_u32_e32 vcc_lo, 0, v3
	v_add_nc_u32_e32 v8, 0x1000000, v3
	s_delay_alu instid0(VALU_DEP_3) | instskip(NEXT) | instid1(VALU_DEP_1)
	v_min_u32_e32 v6, 32, v6
	v_sub_nc_u32_e64 v6, v6, 4 clamp
	s_delay_alu instid0(VALU_DEP_1) | instskip(NEXT) | instid1(VALU_DEP_1)
	v_dual_lshlrev_b32 v7, v6, v3 :: v_dual_lshlrev_b32 v6, 23, v6
	v_lshrrev_b32_e32 v7, 4, v7
	s_delay_alu instid0(VALU_DEP_1) | instskip(NEXT) | instid1(VALU_DEP_1)
	v_dual_sub_nc_u32 v6, v7, v6 :: v_dual_ashrrev_i32 v7, 8, v8
	v_add_nc_u32_e32 v6, 0x3c000000, v6
	s_delay_alu instid0(VALU_DEP_1) | instskip(NEXT) | instid1(VALU_DEP_1)
	v_and_or_b32 v6, 0x7f800000, v7, v6
	v_cndmask_b32_e32 v3, 0, v6, vcc_lo
	s_delay_alu instid0(VALU_DEP_1) | instskip(SKIP_1) | instid1(VALU_DEP_2)
	v_and_or_b32 v1, 0x80000000, v1, v3
	v_bfe_u32 v3, v3, 16, 1
	v_cmp_o_f32_e32 vcc_lo, v1, v1
	s_delay_alu instid0(VALU_DEP_2) | instskip(NEXT) | instid1(VALU_DEP_1)
	v_add3_u32 v3, v1, v3, 0x7fff
	v_lshrrev_b32_e32 v3, 16, v3
	s_delay_alu instid0(VALU_DEP_1)
	v_cndmask_b32_e32 v1, 0x7fc0, v3, vcc_lo
.LBB35_201:
	s_mov_b32 s27, 0
.LBB35_202:
	s_delay_alu instid0(SALU_CYCLE_1)
	s_and_not1_b32 vcc_lo, exec_lo, s27
	s_cbranch_vccnz .LBB35_204
; %bb.203:
	s_wait_loadcnt 0x0
	global_load_u8 v1, v[4:5], off
	s_wait_loadcnt 0x0
	v_lshlrev_b32_e32 v3, 25, v1
	v_lshlrev_b16 v1, 8, v1
	s_delay_alu instid0(VALU_DEP_1) | instskip(SKIP_1) | instid1(VALU_DEP_2)
	v_and_or_b32 v7, 0x7f00, v1, 0.5
	v_bfe_i32 v1, v1, 0, 16
	v_add_f32_e32 v7, -0.5, v7
	v_lshrrev_b32_e32 v6, 4, v3
	v_cmp_gt_u32_e32 vcc_lo, 0x8000000, v3
	s_delay_alu instid0(VALU_DEP_2) | instskip(NEXT) | instid1(VALU_DEP_1)
	v_or_b32_e32 v6, 0x70000000, v6
	v_mul_f32_e32 v6, 0x7800000, v6
	s_delay_alu instid0(VALU_DEP_1) | instskip(NEXT) | instid1(VALU_DEP_1)
	v_cndmask_b32_e32 v3, v6, v7, vcc_lo
	v_and_or_b32 v1, 0x80000000, v1, v3
	v_bfe_u32 v3, v3, 16, 1
	s_delay_alu instid0(VALU_DEP_2) | instskip(NEXT) | instid1(VALU_DEP_2)
	v_cmp_o_f32_e32 vcc_lo, v1, v1
	v_add3_u32 v3, v1, v3, 0x7fff
	s_delay_alu instid0(VALU_DEP_1) | instskip(NEXT) | instid1(VALU_DEP_1)
	v_lshrrev_b32_e32 v3, 16, v3
	v_cndmask_b32_e32 v1, 0x7fc0, v3, vcc_lo
.LBB35_204:
	s_mov_b32 s28, 0
	s_mov_b32 s27, -1
.LBB35_205:
	s_and_not1_b32 vcc_lo, exec_lo, s28
	s_cbranch_vccnz .LBB35_218
; %bb.206:
	s_cmp_gt_i32 s0, 14
	s_cbranch_scc0 .LBB35_209
; %bb.207:
	s_cmp_eq_u32 s0, 15
	s_cbranch_scc0 .LBB35_212
; %bb.208:
	s_wait_loadcnt 0x0
	global_load_u16 v1, v[4:5], off
	s_mov_b32 s27, -1
	s_mov_b32 s26, 0
	s_branch .LBB35_213
.LBB35_209:
	s_mov_b32 s28, -1
                                        ; implicit-def: $vgpr1
	s_branch .LBB35_214
.LBB35_210:
	s_or_saveexec_b32 s28, s28
	v_mov_b32_e32 v3, 0x7f800001
	s_xor_b32 exec_lo, exec_lo, s28
	s_cbranch_execz .LBB35_191
.LBB35_211:
	v_cmp_ne_u16_e32 vcc_lo, 0, v1
	v_mov_b32_e32 v3, 0
	s_and_not1_b32 s27, s27, exec_lo
	s_and_b32 s29, vcc_lo, exec_lo
	s_delay_alu instid0(SALU_CYCLE_1)
	s_or_b32 s27, s27, s29
	s_or_b32 exec_lo, exec_lo, s28
	s_and_saveexec_b32 s28, s27
	s_cbranch_execnz .LBB35_192
	s_branch .LBB35_193
.LBB35_212:
	s_mov_b32 s26, -1
                                        ; implicit-def: $vgpr1
.LBB35_213:
	s_mov_b32 s28, 0
.LBB35_214:
	s_delay_alu instid0(SALU_CYCLE_1)
	s_and_b32 vcc_lo, exec_lo, s28
	s_cbranch_vccz .LBB35_218
; %bb.215:
	s_cmp_eq_u32 s0, 11
	s_cbranch_scc0 .LBB35_217
; %bb.216:
	s_wait_loadcnt 0x0
	global_load_u8 v1, v[4:5], off
	s_mov_b32 s26, 0
	s_mov_b32 s27, -1
	s_wait_loadcnt 0x0
	v_cmp_ne_u16_e32 vcc_lo, 0, v1
	v_cndmask_b32_e64 v1, 0, 1.0, vcc_lo
	s_delay_alu instid0(VALU_DEP_1)
	v_lshrrev_b32_e32 v1, 16, v1
	s_branch .LBB35_218
.LBB35_217:
	s_mov_b32 s26, -1
                                        ; implicit-def: $vgpr1
.LBB35_218:
	s_branch .LBB35_25
.LBB35_219:
	s_cmp_lt_i32 s0, 5
	s_cbranch_scc1 .LBB35_224
; %bb.220:
	s_cmp_lt_i32 s0, 8
	s_cbranch_scc1 .LBB35_225
; %bb.221:
	;; [unrolled: 3-line block ×3, first 2 shown]
	s_cmp_gt_i32 s0, 9
	s_cbranch_scc0 .LBB35_227
; %bb.223:
	global_load_b64 v[6:7], v[4:5], off
	s_mov_b32 s27, 0
	s_wait_loadcnt 0x0
	v_cvt_f32_f64_e32 v1, v[6:7]
	s_delay_alu instid0(VALU_DEP_1) | instskip(SKIP_1) | instid1(VALU_DEP_2)
	v_bfe_u32 v3, v1, 16, 1
	v_cmp_o_f32_e32 vcc_lo, v1, v1
	v_add3_u32 v3, v1, v3, 0x7fff
	s_delay_alu instid0(VALU_DEP_1) | instskip(NEXT) | instid1(VALU_DEP_1)
	v_lshrrev_b32_e32 v3, 16, v3
	v_cndmask_b32_e32 v1, 0x7fc0, v3, vcc_lo
	s_branch .LBB35_228
.LBB35_224:
                                        ; implicit-def: $vgpr1
	s_branch .LBB35_246
.LBB35_225:
	s_mov_b32 s27, -1
                                        ; implicit-def: $vgpr1
	s_branch .LBB35_234
.LBB35_226:
	s_mov_b32 s27, -1
                                        ; implicit-def: $vgpr1
	s_branch .LBB35_231
.LBB35_227:
	s_mov_b32 s27, -1
                                        ; implicit-def: $vgpr1
.LBB35_228:
	s_delay_alu instid0(SALU_CYCLE_1)
	s_and_not1_b32 vcc_lo, exec_lo, s27
	s_cbranch_vccnz .LBB35_230
; %bb.229:
	s_wait_loadcnt 0x0
	global_load_b32 v1, v[4:5], off
	s_wait_loadcnt 0x0
	v_bfe_u32 v3, v1, 16, 1
	v_cmp_o_f32_e32 vcc_lo, v1, v1
	s_delay_alu instid0(VALU_DEP_2) | instskip(NEXT) | instid1(VALU_DEP_1)
	v_add3_u32 v3, v1, v3, 0x7fff
	v_lshrrev_b32_e32 v3, 16, v3
	s_delay_alu instid0(VALU_DEP_1)
	v_cndmask_b32_e32 v1, 0x7fc0, v3, vcc_lo
.LBB35_230:
	s_mov_b32 s27, 0
.LBB35_231:
	s_delay_alu instid0(SALU_CYCLE_1)
	s_and_not1_b32 vcc_lo, exec_lo, s27
	s_cbranch_vccnz .LBB35_233
; %bb.232:
	s_wait_loadcnt 0x0
	global_load_b32 v1, v[4:5], off
	s_wait_loadcnt 0x0
	v_cvt_f32_f16_e32 v3, v1
	v_cmp_o_f16_e32 vcc_lo, v1, v1
	s_delay_alu instid0(VALU_DEP_2) | instskip(NEXT) | instid1(VALU_DEP_1)
	v_bfe_u32 v6, v3, 16, 1
	v_add3_u32 v3, v3, v6, 0x7fff
	s_delay_alu instid0(VALU_DEP_1) | instskip(NEXT) | instid1(VALU_DEP_1)
	v_lshrrev_b32_e32 v3, 16, v3
	v_cndmask_b32_e32 v1, 0x7fc0, v3, vcc_lo
.LBB35_233:
	s_mov_b32 s27, 0
.LBB35_234:
	s_delay_alu instid0(SALU_CYCLE_1)
	s_and_not1_b32 vcc_lo, exec_lo, s27
	s_cbranch_vccnz .LBB35_245
; %bb.235:
	s_cmp_lt_i32 s0, 6
	s_cbranch_scc1 .LBB35_238
; %bb.236:
	s_cmp_gt_i32 s0, 6
	s_cbranch_scc0 .LBB35_239
; %bb.237:
	global_load_b64 v[6:7], v[4:5], off
	s_mov_b32 s27, 0
	s_wait_loadcnt 0x0
	v_cvt_f32_f64_e32 v1, v[6:7]
	s_delay_alu instid0(VALU_DEP_1) | instskip(SKIP_1) | instid1(VALU_DEP_2)
	v_bfe_u32 v3, v1, 16, 1
	v_cmp_o_f32_e32 vcc_lo, v1, v1
	v_add3_u32 v3, v1, v3, 0x7fff
	s_delay_alu instid0(VALU_DEP_1) | instskip(NEXT) | instid1(VALU_DEP_1)
	v_lshrrev_b32_e32 v3, 16, v3
	v_cndmask_b32_e32 v1, 0x7fc0, v3, vcc_lo
	s_branch .LBB35_240
.LBB35_238:
	s_mov_b32 s27, -1
                                        ; implicit-def: $vgpr1
	s_branch .LBB35_243
.LBB35_239:
	s_mov_b32 s27, -1
                                        ; implicit-def: $vgpr1
.LBB35_240:
	s_delay_alu instid0(SALU_CYCLE_1)
	s_and_not1_b32 vcc_lo, exec_lo, s27
	s_cbranch_vccnz .LBB35_242
; %bb.241:
	s_wait_loadcnt 0x0
	global_load_b32 v1, v[4:5], off
	s_wait_loadcnt 0x0
	v_bfe_u32 v3, v1, 16, 1
	v_cmp_o_f32_e32 vcc_lo, v1, v1
	s_delay_alu instid0(VALU_DEP_2) | instskip(NEXT) | instid1(VALU_DEP_1)
	v_add3_u32 v3, v1, v3, 0x7fff
	v_lshrrev_b32_e32 v3, 16, v3
	s_delay_alu instid0(VALU_DEP_1)
	v_cndmask_b32_e32 v1, 0x7fc0, v3, vcc_lo
.LBB35_242:
	s_mov_b32 s27, 0
.LBB35_243:
	s_delay_alu instid0(SALU_CYCLE_1)
	s_and_not1_b32 vcc_lo, exec_lo, s27
	s_cbranch_vccnz .LBB35_245
; %bb.244:
	s_wait_loadcnt 0x0
	global_load_u16 v1, v[4:5], off
	s_wait_loadcnt 0x0
	v_cvt_f32_f16_e32 v3, v1
	v_cmp_o_f16_e32 vcc_lo, v1, v1
	s_delay_alu instid0(VALU_DEP_2) | instskip(NEXT) | instid1(VALU_DEP_1)
	v_bfe_u32 v6, v3, 16, 1
	v_add3_u32 v3, v3, v6, 0x7fff
	s_delay_alu instid0(VALU_DEP_1) | instskip(NEXT) | instid1(VALU_DEP_1)
	v_lshrrev_b32_e32 v3, 16, v3
	v_cndmask_b32_e32 v1, 0x7fc0, v3, vcc_lo
.LBB35_245:
	s_cbranch_execnz .LBB35_265
.LBB35_246:
	s_cmp_lt_i32 s0, 2
	s_cbranch_scc1 .LBB35_250
; %bb.247:
	s_cmp_lt_i32 s0, 3
	s_cbranch_scc1 .LBB35_251
; %bb.248:
	s_cmp_gt_i32 s0, 3
	s_cbranch_scc0 .LBB35_252
; %bb.249:
	global_load_b64 v[6:7], v[4:5], off
	s_mov_b32 s27, 0
	s_wait_loadcnt 0x0
	v_xor_b32_e32 v1, v6, v7
	v_cls_i32_e32 v3, v7
	s_delay_alu instid0(VALU_DEP_2) | instskip(NEXT) | instid1(VALU_DEP_1)
	v_ashrrev_i32_e32 v1, 31, v1
	v_add_nc_u32_e32 v1, 32, v1
	s_delay_alu instid0(VALU_DEP_1) | instskip(NEXT) | instid1(VALU_DEP_1)
	v_add_min_u32_e64 v1, v3, -1, v1
	v_lshlrev_b64_e32 v[6:7], v1, v[6:7]
	v_sub_nc_u32_e32 v1, 32, v1
	s_delay_alu instid0(VALU_DEP_2) | instskip(NEXT) | instid1(VALU_DEP_1)
	v_min_u32_e32 v3, 1, v6
	v_or_b32_e32 v3, v7, v3
	s_delay_alu instid0(VALU_DEP_1) | instskip(NEXT) | instid1(VALU_DEP_1)
	v_cvt_f32_i32_e32 v3, v3
	v_ldexp_f32 v1, v3, v1
	s_delay_alu instid0(VALU_DEP_1) | instskip(NEXT) | instid1(VALU_DEP_1)
	v_bfe_u32 v3, v1, 16, 1
	v_add3_u32 v1, v1, v3, 0x7fff
	s_delay_alu instid0(VALU_DEP_1)
	v_lshrrev_b32_e32 v1, 16, v1
	s_branch .LBB35_253
.LBB35_250:
	s_mov_b32 s27, -1
                                        ; implicit-def: $vgpr1
	s_branch .LBB35_259
.LBB35_251:
	s_mov_b32 s27, -1
                                        ; implicit-def: $vgpr1
	s_branch .LBB35_256
.LBB35_252:
	s_mov_b32 s27, -1
                                        ; implicit-def: $vgpr1
.LBB35_253:
	s_delay_alu instid0(SALU_CYCLE_1)
	s_and_not1_b32 vcc_lo, exec_lo, s27
	s_cbranch_vccnz .LBB35_255
; %bb.254:
	s_wait_loadcnt 0x0
	global_load_b32 v1, v[4:5], off
	s_wait_loadcnt 0x0
	v_cvt_f32_i32_e32 v1, v1
	s_delay_alu instid0(VALU_DEP_1) | instskip(NEXT) | instid1(VALU_DEP_1)
	v_bfe_u32 v3, v1, 16, 1
	v_add3_u32 v1, v1, v3, 0x7fff
	s_delay_alu instid0(VALU_DEP_1)
	v_lshrrev_b32_e32 v1, 16, v1
.LBB35_255:
	s_mov_b32 s27, 0
.LBB35_256:
	s_delay_alu instid0(SALU_CYCLE_1)
	s_and_not1_b32 vcc_lo, exec_lo, s27
	s_cbranch_vccnz .LBB35_258
; %bb.257:
	s_wait_loadcnt 0x0
	global_load_i16 v1, v[4:5], off
	s_wait_loadcnt 0x0
	v_cvt_f32_i32_e32 v1, v1
	s_delay_alu instid0(VALU_DEP_1) | instskip(NEXT) | instid1(VALU_DEP_1)
	v_bfe_u32 v3, v1, 16, 1
	v_add3_u32 v1, v1, v3, 0x7fff
	s_delay_alu instid0(VALU_DEP_1)
	v_lshrrev_b32_e32 v1, 16, v1
.LBB35_258:
	s_mov_b32 s27, 0
.LBB35_259:
	s_delay_alu instid0(SALU_CYCLE_1)
	s_and_not1_b32 vcc_lo, exec_lo, s27
	s_cbranch_vccnz .LBB35_265
; %bb.260:
	s_cmp_gt_i32 s0, 0
	s_mov_b32 s0, 0
	s_cbranch_scc0 .LBB35_262
; %bb.261:
	s_wait_loadcnt 0x0
	global_load_i8 v1, v[4:5], off
	s_wait_loadcnt 0x0
	v_cvt_f32_i32_e32 v1, v1
	s_delay_alu instid0(VALU_DEP_1) | instskip(NEXT) | instid1(VALU_DEP_1)
	v_bfe_u32 v3, v1, 16, 1
	v_add3_u32 v1, v1, v3, 0x7fff
	s_delay_alu instid0(VALU_DEP_1)
	v_lshrrev_b32_e32 v1, 16, v1
	s_branch .LBB35_263
.LBB35_262:
	s_mov_b32 s0, -1
                                        ; implicit-def: $vgpr1
.LBB35_263:
	s_delay_alu instid0(SALU_CYCLE_1)
	s_and_not1_b32 vcc_lo, exec_lo, s0
	s_cbranch_vccnz .LBB35_265
; %bb.264:
	s_wait_loadcnt 0x0
	global_load_u8 v1, v[4:5], off
	s_wait_loadcnt 0x0
	v_cvt_f32_ubyte0_e32 v1, v1
	s_delay_alu instid0(VALU_DEP_1) | instskip(NEXT) | instid1(VALU_DEP_1)
	v_bfe_u32 v3, v1, 16, 1
	v_add3_u32 v1, v1, v3, 0x7fff
	s_delay_alu instid0(VALU_DEP_1)
	v_lshrrev_b32_e32 v1, 16, v1
.LBB35_265:
	s_branch .LBB35_26
.LBB35_266:
	s_mov_b32 s0, 0
.LBB35_267:
	s_mov_b32 s27, 0
                                        ; implicit-def: $vgpr0
.LBB35_268:
	s_and_b32 s41, s0, exec_lo
	s_and_b32 s42, s26, exec_lo
	s_or_not1_b32 s27, s27, exec_lo
.LBB35_269:
	s_wait_xcnt 0x0
	s_or_b32 exec_lo, exec_lo, s43
	s_mov_b32 s26, 0
	s_mov_b32 s0, 0
                                        ; implicit-def: $vgpr4_vgpr5
                                        ; implicit-def: $vgpr2
                                        ; implicit-def: $vgpr6
	s_and_saveexec_b32 s43, s27
	s_cbranch_execz .LBB35_277
; %bb.270:
	s_mov_b32 s0, -1
	s_mov_b32 s44, s42
	s_mov_b32 s45, s41
	s_mov_b32 s46, exec_lo
	v_cmpx_gt_i32_e64 s38, v0
	s_cbranch_execz .LBB35_550
; %bb.271:
	s_and_not1_b32 vcc_lo, exec_lo, s35
	s_cbranch_vccnz .LBB35_280
; %bb.272:
	s_and_not1_b32 vcc_lo, exec_lo, s40
	s_cbranch_vccnz .LBB35_281
; %bb.273:
	s_add_co_i32 s0, s39, 1
	s_cmp_eq_u32 s33, 2
	s_cbranch_scc1 .LBB35_282
; %bb.274:
	v_dual_mov_b32 v2, 0 :: v_dual_mov_b32 v4, 0
	s_wait_loadcnt 0x0
	v_mov_b32_e32 v1, v0
	s_and_b32 s26, s0, 28
	s_mov_b32 s27, 0
	s_mov_b64 s[28:29], s[2:3]
	s_mov_b64 s[30:31], s[24:25]
.LBB35_275:                             ; =>This Inner Loop Header: Depth=1
	s_clause 0x1
	s_load_b256 s[48:55], s[28:29], 0x4
	s_load_b128 s[64:67], s[28:29], 0x24
	s_load_b256 s[56:63], s[30:31], 0x0
	s_add_co_i32 s27, s27, 4
	s_wait_xcnt 0x0
	s_add_nc_u64 s[28:29], s[28:29], 48
	s_cmp_eq_u32 s26, s27
	s_add_nc_u64 s[30:31], s[30:31], 32
	s_wait_kmcnt 0x0
	v_mul_hi_u32 v3, s49, v1
	s_delay_alu instid0(VALU_DEP_1) | instskip(NEXT) | instid1(VALU_DEP_1)
	v_add_nc_u32_e32 v3, v1, v3
	v_lshrrev_b32_e32 v3, s50, v3
	s_delay_alu instid0(VALU_DEP_1) | instskip(NEXT) | instid1(VALU_DEP_1)
	v_mul_hi_u32 v5, s52, v3
	v_add_nc_u32_e32 v5, v3, v5
	s_delay_alu instid0(VALU_DEP_1) | instskip(NEXT) | instid1(VALU_DEP_1)
	v_lshrrev_b32_e32 v5, s53, v5
	v_mul_hi_u32 v6, s55, v5
	s_delay_alu instid0(VALU_DEP_1) | instskip(SKIP_1) | instid1(VALU_DEP_1)
	v_add_nc_u32_e32 v6, v5, v6
	v_mul_lo_u32 v7, v3, s48
	v_sub_nc_u32_e32 v1, v1, v7
	v_mul_lo_u32 v7, v5, s51
	s_delay_alu instid0(VALU_DEP_4) | instskip(NEXT) | instid1(VALU_DEP_3)
	v_lshrrev_b32_e32 v6, s64, v6
	v_mad_u32 v4, v1, s57, v4
	v_mad_u32 v1, v1, s56, v2
	s_delay_alu instid0(VALU_DEP_4) | instskip(NEXT) | instid1(VALU_DEP_4)
	v_sub_nc_u32_e32 v2, v3, v7
	v_mul_hi_u32 v8, s66, v6
	v_mul_lo_u32 v3, v6, s54
	s_delay_alu instid0(VALU_DEP_3) | instskip(SKIP_1) | instid1(VALU_DEP_3)
	v_mad_u32 v4, v2, s59, v4
	v_mad_u32 v2, v2, s58, v1
	v_dual_add_nc_u32 v7, v6, v8 :: v_dual_sub_nc_u32 v3, v5, v3
	s_delay_alu instid0(VALU_DEP_1) | instskip(NEXT) | instid1(VALU_DEP_2)
	v_lshrrev_b32_e32 v1, s67, v7
	v_mad_u32 v4, v3, s61, v4
	s_delay_alu instid0(VALU_DEP_4) | instskip(NEXT) | instid1(VALU_DEP_3)
	v_mad_u32 v2, v3, s60, v2
	v_mul_lo_u32 v5, v1, s65
	s_delay_alu instid0(VALU_DEP_1) | instskip(NEXT) | instid1(VALU_DEP_1)
	v_sub_nc_u32_e32 v3, v6, v5
	v_mad_u32 v4, v3, s63, v4
	s_delay_alu instid0(VALU_DEP_4)
	v_mad_u32 v2, v3, s62, v2
	s_cbranch_scc0 .LBB35_275
; %bb.276:
	s_delay_alu instid0(VALU_DEP_2)
	v_mov_b32_e32 v3, v4
	s_branch .LBB35_283
.LBB35_277:
	s_or_b32 exec_lo, exec_lo, s43
	s_mov_b32 s1, 0
	s_and_saveexec_b32 s6, s42
	s_cbranch_execnz .LBB35_934
.LBB35_278:
	s_or_b32 exec_lo, exec_lo, s6
	s_and_saveexec_b32 s6, s21
	s_delay_alu instid0(SALU_CYCLE_1)
	s_xor_b32 s6, exec_lo, s6
	s_cbranch_execz .LBB35_935
.LBB35_279:
	global_load_u8 v0, v[4:5], off
	s_or_b32 s0, s0, exec_lo
	s_wait_loadcnt 0x0
	v_cmp_ne_u16_e32 vcc_lo, 0, v0
	v_cndmask_b32_e64 v0, 0, 1.0, vcc_lo
	s_delay_alu instid0(VALU_DEP_1)
	v_lshrrev_b32_e32 v6, 16, v0
	s_wait_xcnt 0x0
	s_or_b32 exec_lo, exec_lo, s6
	s_and_saveexec_b32 s6, s26
	s_cbranch_execz .LBB35_981
	s_branch .LBB35_936
.LBB35_280:
                                        ; implicit-def: $vgpr4
                                        ; implicit-def: $vgpr2
	s_and_not1_b32 vcc_lo, exec_lo, s0
	s_cbranch_vccnz .LBB35_290
	s_branch .LBB35_288
.LBB35_281:
	v_dual_mov_b32 v4, 0 :: v_dual_mov_b32 v2, 0
	s_branch .LBB35_287
.LBB35_282:
	v_mov_b64_e32 v[2:3], 0
	s_wait_loadcnt 0x0
	v_mov_b32_e32 v1, v0
                                        ; implicit-def: $vgpr4
.LBB35_283:
	s_and_b32 s0, s0, 3
	s_mov_b32 s27, 0
	s_cmp_eq_u32 s0, 0
	s_cbranch_scc1 .LBB35_287
; %bb.284:
	s_lshl_b32 s28, s26, 3
	s_mov_b32 s29, s27
	s_mul_u64 s[30:31], s[26:27], 12
	s_add_nc_u64 s[28:29], s[2:3], s[28:29]
	s_delay_alu instid0(SALU_CYCLE_1)
	s_add_nc_u64 s[26:27], s[28:29], 0xc4
	s_add_nc_u64 s[28:29], s[2:3], s[30:31]
.LBB35_285:                             ; =>This Inner Loop Header: Depth=1
	s_load_b96 s[48:50], s[28:29], 0x4
	s_load_b64 s[30:31], s[26:27], 0x0
	s_add_co_i32 s0, s0, -1
	s_wait_xcnt 0x0
	s_add_nc_u64 s[28:29], s[28:29], 12
	s_cmp_lg_u32 s0, 0
	s_add_nc_u64 s[26:27], s[26:27], 8
	s_wait_kmcnt 0x0
	v_mul_hi_u32 v4, s49, v1
	s_delay_alu instid0(VALU_DEP_1) | instskip(NEXT) | instid1(VALU_DEP_1)
	v_add_nc_u32_e32 v4, v1, v4
	v_lshrrev_b32_e32 v4, s50, v4
	s_delay_alu instid0(VALU_DEP_1) | instskip(NEXT) | instid1(VALU_DEP_1)
	v_mul_lo_u32 v5, v4, s48
	v_sub_nc_u32_e32 v1, v1, v5
	s_delay_alu instid0(VALU_DEP_1)
	v_mad_u32 v3, v1, s31, v3
	v_mad_u32 v2, v1, s30, v2
	v_mov_b32_e32 v1, v4
	s_cbranch_scc1 .LBB35_285
; %bb.286:
	s_delay_alu instid0(VALU_DEP_3)
	v_mov_b32_e32 v4, v3
.LBB35_287:
	s_cbranch_execnz .LBB35_290
.LBB35_288:
	s_wait_loadcnt 0x0
	v_mov_b32_e32 v1, 0
	s_and_not1_b32 vcc_lo, exec_lo, s37
	s_delay_alu instid0(VALU_DEP_1) | instskip(NEXT) | instid1(VALU_DEP_1)
	v_mul_u64_e32 v[2:3], s[20:21], v[0:1]
	v_add_nc_u32_e32 v2, v0, v3
	s_delay_alu instid0(VALU_DEP_1) | instskip(NEXT) | instid1(VALU_DEP_1)
	v_lshrrev_b32_e32 v6, s10, v2
	v_mul_lo_u32 v2, v6, s8
	s_delay_alu instid0(VALU_DEP_1) | instskip(NEXT) | instid1(VALU_DEP_1)
	v_sub_nc_u32_e32 v2, v0, v2
	v_mul_lo_u32 v4, v2, s13
	v_mul_lo_u32 v2, v2, s12
	s_cbranch_vccnz .LBB35_290
; %bb.289:
	v_mov_b32_e32 v7, v1
	s_delay_alu instid0(VALU_DEP_1) | instskip(NEXT) | instid1(VALU_DEP_1)
	v_mul_u64_e32 v[8:9], s[22:23], v[6:7]
	v_add_nc_u32_e32 v1, v6, v9
	s_delay_alu instid0(VALU_DEP_1) | instskip(NEXT) | instid1(VALU_DEP_1)
	v_lshrrev_b32_e32 v1, s1, v1
	v_mul_lo_u32 v1, v1, s11
	s_delay_alu instid0(VALU_DEP_1) | instskip(NEXT) | instid1(VALU_DEP_1)
	v_sub_nc_u32_e32 v1, v6, v1
	v_mad_u32 v2, v1, s14, v2
	v_mad_u32 v4, v1, s15, v4
.LBB35_290:
	v_mov_b32_e32 v5, 0
	s_and_b32 s0, 0xffff, s9
	s_delay_alu instid0(SALU_CYCLE_1) | instskip(NEXT) | instid1(VALU_DEP_1)
	s_cmp_lt_i32 s0, 11
	v_add_nc_u64_e32 v[4:5], s[6:7], v[4:5]
	s_cbranch_scc1 .LBB35_297
; %bb.291:
	s_cmp_gt_i32 s0, 25
	s_cbranch_scc0 .LBB35_308
; %bb.292:
	s_cmp_gt_i32 s0, 28
	s_cbranch_scc0 .LBB35_310
	;; [unrolled: 3-line block ×4, first 2 shown]
; %bb.295:
	s_cmp_eq_u32 s0, 46
	s_mov_b32 s28, 0
	s_cbranch_scc0 .LBB35_320
; %bb.296:
	s_wait_loadcnt 0x0
	global_load_b32 v1, v[4:5], off
	s_mov_b32 s27, -1
	s_mov_b32 s26, 0
	s_branch .LBB35_322
.LBB35_297:
	s_mov_b32 s27, 0
	s_mov_b32 s26, s42
                                        ; implicit-def: $vgpr1
	s_cbranch_execnz .LBB35_499
.LBB35_298:
	s_and_not1_b32 vcc_lo, exec_lo, s27
	s_cbranch_vccnz .LBB35_547
.LBB35_299:
	s_wait_loadcnt 0x0
	s_delay_alu instid0(VALU_DEP_1) | instskip(SKIP_1) | instid1(VALU_DEP_1)
	v_lshlrev_b32_e32 v1, 16, v1
	s_mov_b32 s0, exec_lo
	v_mul_f32_e32 v3, s16, v1
	s_wait_xcnt 0x0
	s_delay_alu instid0(VALU_DEP_1)
	v_cmpx_nlt_f32_e32 s17, v3
	s_cbranch_execz .LBB35_301
; %bb.300:
	v_mul_f32_e32 v1, 0x3fb8aa3b, v3
	v_cmp_ngt_f32_e32 vcc_lo, 0xc2ce8ed0, v3
	s_mov_b32 s27, 0x3e9b6dac
	s_delay_alu instid0(VALU_DEP_2) | instskip(SKIP_1) | instid1(VALU_DEP_2)
	v_rndne_f32_e32 v4, v1
	v_fma_f32 v5, 0x3fb8aa3b, v3, -v1
	v_sub_f32_e32 v1, v1, v4
	s_delay_alu instid0(VALU_DEP_2) | instskip(SKIP_1) | instid1(VALU_DEP_2)
	v_fmamk_f32 v5, v3, 0x32a5705f, v5
	v_cvt_i32_f32_e32 v4, v4
	v_add_f32_e32 v1, v1, v5
	s_delay_alu instid0(VALU_DEP_1) | instskip(SKIP_1) | instid1(TRANS32_DEP_1)
	v_exp_f32_e32 v1, v1
	v_nop
	v_ldexp_f32 v1, v1, v4
	s_delay_alu instid0(VALU_DEP_1) | instskip(SKIP_1) | instid1(VALU_DEP_2)
	v_cndmask_b32_e32 v1, 0, v1, vcc_lo
	v_cmp_nlt_f32_e32 vcc_lo, 0x42b17218, v3
	v_cndmask_b32_e32 v3, 0x7f800000, v1, vcc_lo
	s_delay_alu instid0(VALU_DEP_1) | instskip(NEXT) | instid1(VALU_DEP_1)
	v_add_f32_e32 v1, 1.0, v3
	v_cvt_f64_f32_e32 v[4:5], v1
	s_delay_alu instid0(VALU_DEP_1) | instskip(SKIP_1) | instid1(VALU_DEP_1)
	v_frexp_exp_i32_f64_e32 v4, v[4:5]
	v_frexp_mant_f32_e32 v5, v1
	v_cmp_gt_f32_e32 vcc_lo, 0x3f2aaaab, v5
	s_delay_alu instid0(VALU_DEP_3) | instskip(NEXT) | instid1(VALU_DEP_1)
	v_subrev_co_ci_u32_e64 v10, null, 0, v4, vcc_lo
	v_dual_add_f32 v4, -1.0, v1 :: v_dual_sub_nc_u32 v5, 0, v10
	s_delay_alu instid0(VALU_DEP_1) | instskip(SKIP_1) | instid1(VALU_DEP_3)
	v_dual_sub_f32 v6, v4, v1 :: v_dual_sub_f32 v4, v3, v4
	v_cmp_neq_f32_e32 vcc_lo, 0x7f800000, v3
	v_ldexp_f32 v1, v1, v5
	s_delay_alu instid0(VALU_DEP_1) | instskip(NEXT) | instid1(VALU_DEP_1)
	v_dual_add_f32 v6, 1.0, v6 :: v_dual_add_f32 v7, 1.0, v1
	v_dual_add_f32 v9, -1.0, v1 :: v_dual_add_f32 v4, v4, v6
	s_delay_alu instid0(VALU_DEP_1) | instskip(NEXT) | instid1(VALU_DEP_3)
	v_ldexp_f32 v4, v4, v5
	v_add_f32_e32 v6, -1.0, v7
	s_delay_alu instid0(VALU_DEP_1) | instskip(NEXT) | instid1(VALU_DEP_1)
	v_dual_sub_f32 v5, v1, v6 :: v_dual_add_f32 v6, 1.0, v9
	v_dual_sub_f32 v1, v1, v6 :: v_dual_add_f32 v8, v4, v5
	s_delay_alu instid0(VALU_DEP_1) | instskip(NEXT) | instid1(VALU_DEP_1)
	v_dual_add_f32 v1, v4, v1 :: v_dual_add_f32 v11, v7, v8
	v_dual_add_f32 v5, v9, v1 :: v_dual_sub_f32 v4, v7, v11
	v_rcp_f32_e32 v12, v11
	s_delay_alu instid0(VALU_DEP_1) | instskip(NEXT) | instid1(TRANS32_DEP_1)
	v_dual_sub_f32 v15, v9, v5 :: v_dual_add_f32 v14, v8, v4
	v_mul_f32_e32 v13, v5, v12
	s_delay_alu instid0(VALU_DEP_1) | instskip(NEXT) | instid1(VALU_DEP_1)
	v_dual_add_f32 v1, v1, v15 :: v_dual_mul_f32 v6, v11, v13
	v_fma_f32 v8, v13, v11, -v6
	s_delay_alu instid0(VALU_DEP_1) | instskip(NEXT) | instid1(VALU_DEP_1)
	v_fmac_f32_e32 v8, v13, v14
	v_add_f32_e32 v4, v6, v8
	s_delay_alu instid0(VALU_DEP_1) | instskip(NEXT) | instid1(VALU_DEP_1)
	v_dual_sub_f32 v7, v5, v4 :: v_dual_mov_b32 v9, v4
	v_pk_add_f32 v[4:5], v[4:5], v[6:7] neg_lo:[0,1] neg_hi:[0,1]
	s_delay_alu instid0(VALU_DEP_1) | instskip(NEXT) | instid1(VALU_DEP_1)
	v_pk_add_f32 v[4:5], v[4:5], v[8:9] neg_lo:[0,1] neg_hi:[0,1]
	v_add_f32_e32 v1, v1, v5
	s_delay_alu instid0(VALU_DEP_1) | instskip(NEXT) | instid1(VALU_DEP_1)
	v_add_f32_e32 v1, v4, v1
	v_add_f32_e32 v5, v7, v1
	s_delay_alu instid0(VALU_DEP_1) | instskip(NEXT) | instid1(VALU_DEP_1)
	v_mul_f32_e32 v15, v12, v5
	v_mul_f32_e32 v8, v11, v15
	s_delay_alu instid0(VALU_DEP_1) | instskip(SKIP_1) | instid1(VALU_DEP_1)
	v_fma_f32 v6, v15, v11, -v8
	v_sub_f32_e32 v11, v7, v5
	v_dual_fmac_f32 v6, v15, v14 :: v_dual_add_f32 v1, v1, v11
	s_delay_alu instid0(VALU_DEP_1) | instskip(NEXT) | instid1(VALU_DEP_1)
	v_add_f32_e32 v4, v8, v6
	v_dual_sub_f32 v9, v5, v4 :: v_dual_mov_b32 v7, v4
	s_delay_alu instid0(VALU_DEP_1) | instskip(NEXT) | instid1(VALU_DEP_1)
	v_pk_add_f32 v[4:5], v[4:5], v[8:9] neg_lo:[0,1] neg_hi:[0,1]
	v_pk_add_f32 v[4:5], v[4:5], v[6:7] neg_lo:[0,1] neg_hi:[0,1]
	v_cvt_f32_i32_e32 v6, v10
	s_delay_alu instid0(VALU_DEP_2) | instskip(NEXT) | instid1(VALU_DEP_1)
	v_add_f32_e32 v1, v1, v5
	v_dual_add_f32 v8, v13, v15 :: v_dual_add_f32 v1, v4, v1
	s_delay_alu instid0(VALU_DEP_1) | instskip(NEXT) | instid1(VALU_DEP_1)
	v_sub_f32_e32 v4, v8, v13
	v_dual_add_f32 v1, v9, v1 :: v_dual_sub_f32 v4, v15, v4
	s_delay_alu instid0(VALU_DEP_1) | instskip(NEXT) | instid1(VALU_DEP_1)
	v_mul_f32_e32 v1, v12, v1
	v_dual_add_f32 v1, v4, v1 :: v_dual_mov_b32 v4, 0x3f317218
	s_delay_alu instid0(VALU_DEP_1) | instskip(NEXT) | instid1(VALU_DEP_1)
	v_add_f32_e32 v9, v8, v1
	v_mul_f32_e32 v5, v9, v9
	s_delay_alu instid0(VALU_DEP_1) | instskip(SKIP_1) | instid1(VALU_DEP_2)
	v_fmaak_f32 v11, s27, v5, 0x3ecc95a3
	v_mul_f32_e32 v7, v9, v5
	v_fmaak_f32 v5, v5, v11, 0x3f2aaada
	s_delay_alu instid0(VALU_DEP_1) | instskip(NEXT) | instid1(VALU_DEP_1)
	v_pk_mul_f32 v[4:5], v[6:7], v[4:5]
	v_fma_f32 v10, 0x3f317218, v6, -v4
	s_delay_alu instid0(VALU_DEP_1) | instskip(SKIP_1) | instid1(VALU_DEP_1)
	v_fmamk_f32 v6, v6, 0xb102e308, v10
	v_sub_f32_e32 v10, v9, v8
	v_sub_f32_e32 v1, v1, v10
	v_ldexp_f32 v7, v9, 1
	v_mov_b32_e32 v10, v4
	s_delay_alu instid0(VALU_DEP_3) | instskip(NEXT) | instid1(VALU_DEP_3)
	v_ldexp_f32 v1, v1, 1
	v_pk_add_f32 v[8:9], v[4:5], v[6:7]
	s_delay_alu instid0(VALU_DEP_1) | instskip(NEXT) | instid1(VALU_DEP_1)
	v_dual_sub_f32 v7, v9, v7 :: v_dual_mov_b32 v18, v9
	v_sub_f32_e32 v7, v5, v7
	s_delay_alu instid0(VALU_DEP_3) | instskip(NEXT) | instid1(VALU_DEP_2)
	v_pk_add_f32 v[4:5], v[8:9], v[4:5] neg_lo:[0,1] neg_hi:[0,1]
	v_dual_add_f32 v11, v1, v7 :: v_dual_mov_b32 v7, v8
	s_delay_alu instid0(VALU_DEP_1) | instskip(NEXT) | instid1(VALU_DEP_1)
	v_pk_add_f32 v[12:13], v[8:9], v[10:11]
	v_mov_b32_e32 v5, v13
	s_delay_alu instid0(VALU_DEP_1) | instskip(SKIP_2) | instid1(VALU_DEP_3)
	v_pk_add_f32 v[14:15], v[6:7], v[4:5]
	v_mov_b32_e32 v14, v13
	v_pk_add_f32 v[4:5], v[6:7], v[4:5] neg_lo:[0,1] neg_hi:[0,1]
	v_dual_mov_b32 v10, v15 :: v_dual_mov_b32 v5, v15
	s_delay_alu instid0(VALU_DEP_1) | instskip(SKIP_1) | instid1(VALU_DEP_2)
	v_pk_add_f32 v[16:17], v[10:11], v[8:9] neg_lo:[0,1] neg_hi:[0,1]
	v_dual_mov_b32 v9, v8 :: v_dual_mov_b32 v8, v11
	v_dual_mov_b32 v1, v16 :: v_dual_mov_b32 v19, v16
	s_delay_alu instid0(VALU_DEP_1) | instskip(NEXT) | instid1(VALU_DEP_2)
	v_pk_add_f32 v[12:13], v[12:13], v[0:1] neg_lo:[0,1] neg_hi:[0,1]
	v_pk_add_f32 v[6:7], v[14:15], v[18:19] neg_lo:[0,1] neg_hi:[0,1]
	v_mov_b32_e32 v12, v4
	s_delay_alu instid0(VALU_DEP_2) | instskip(NEXT) | instid1(VALU_DEP_1)
	v_pk_add_f32 v[6:7], v[8:9], v[6:7] neg_lo:[0,1] neg_hi:[0,1]
	v_pk_add_f32 v[8:9], v[12:13], v[6:7]
	s_delay_alu instid0(VALU_DEP_1) | instskip(NEXT) | instid1(VALU_DEP_1)
	v_mov_b32_e32 v12, v9
	v_pk_add_f32 v[12:13], v[8:9], v[12:13]
	s_delay_alu instid0(VALU_DEP_1) | instskip(NEXT) | instid1(VALU_DEP_1)
	v_pk_add_f32 v[10:11], v[10:11], v[12:13]
	v_mov_b32_e32 v9, v10
	s_delay_alu instid0(VALU_DEP_1) | instskip(NEXT) | instid1(VALU_DEP_1)
	v_pk_add_f32 v[14:15], v[8:9], v[4:5] neg_lo:[0,1] neg_hi:[0,1]
	v_sub_f32_e32 v1, v8, v14
	s_delay_alu instid0(VALU_DEP_1) | instskip(SKIP_1) | instid1(VALU_DEP_1)
	v_sub_f32_e32 v1, v4, v1
	v_mov_b32_e32 v7, v12
	v_pk_add_f32 v[6:7], v[6:7], v[14:15] neg_lo:[0,1] neg_hi:[0,1]
	s_delay_alu instid0(VALU_DEP_1) | instskip(NEXT) | instid1(VALU_DEP_1)
	v_add_f32_e32 v1, v6, v1
	v_add_f32_e32 v1, v1, v7
	s_delay_alu instid0(VALU_DEP_1) | instskip(NEXT) | instid1(VALU_DEP_1)
	v_add_f32_e32 v1, v10, v1
	v_cndmask_b32_e32 v1, 0x7f800000, v1, vcc_lo
	v_cmp_gt_f32_e64 vcc_lo, 0x33800000, |v3|
	s_delay_alu instid0(VALU_DEP_2) | instskip(NEXT) | instid1(VALU_DEP_1)
	v_cndmask_b32_e32 v1, v1, v3, vcc_lo
	v_div_scale_f32 v3, null, s16, s16, v1
	s_delay_alu instid0(VALU_DEP_1) | instskip(SKIP_1) | instid1(TRANS32_DEP_1)
	v_rcp_f32_e32 v4, v3
	v_nop
	v_fma_f32 v5, -v3, v4, 1.0
	s_delay_alu instid0(VALU_DEP_1) | instskip(SKIP_1) | instid1(VALU_DEP_1)
	v_fmac_f32_e32 v4, v5, v4
	v_div_scale_f32 v5, vcc_lo, v1, s16, v1
	v_mul_f32_e32 v6, v5, v4
	s_delay_alu instid0(VALU_DEP_1) | instskip(NEXT) | instid1(VALU_DEP_1)
	v_fma_f32 v7, -v3, v6, v5
	v_fmac_f32_e32 v6, v7, v4
	s_delay_alu instid0(VALU_DEP_1) | instskip(NEXT) | instid1(VALU_DEP_1)
	v_fma_f32 v3, -v3, v6, v5
	v_div_fmas_f32 v3, v3, v4, v6
	s_delay_alu instid0(VALU_DEP_1)
	v_div_fixup_f32 v1, v3, s16, v1
.LBB35_301:
	s_or_b32 exec_lo, exec_lo, s0
	s_delay_alu instid0(VALU_DEP_1) | instskip(SKIP_2) | instid1(SALU_CYCLE_1)
	v_bfe_u32 v3, v1, 16, 1
	v_cmp_o_f32_e32 vcc_lo, v1, v1
	s_and_b32 s27, s18, 0xff
	s_cmp_lt_i32 s27, 11
	s_delay_alu instid0(VALU_DEP_2) | instskip(NEXT) | instid1(VALU_DEP_1)
	v_add3_u32 v4, v1, v3, 0x7fff
	v_dual_mov_b32 v3, 0 :: v_dual_lshrrev_b32 v4, 16, v4
	s_delay_alu instid0(VALU_DEP_1) | instskip(NEXT) | instid1(VALU_DEP_2)
	v_add_nc_u64_e32 v[2:3], s[4:5], v[2:3]
	v_cndmask_b32_e32 v1, 0x7fc0, v4, vcc_lo
	s_cbranch_scc1 .LBB35_309
; %bb.302:
	s_and_b32 s28, 0xffff, s27
	s_delay_alu instid0(SALU_CYCLE_1)
	s_cmp_gt_i32 s28, 25
	s_cbranch_scc0 .LBB35_311
; %bb.303:
	s_cmp_gt_i32 s28, 28
	s_cbranch_scc0 .LBB35_313
; %bb.304:
	;; [unrolled: 3-line block ×4, first 2 shown]
	s_mov_b32 s30, 0
	s_mov_b32 s0, -1
	s_cmp_eq_u32 s28, 46
	s_mov_b32 s29, 0
	s_cbranch_scc0 .LBB35_326
; %bb.307:
	v_and_b32_e32 v4, 0xffff, v1
	s_mov_b32 s29, -1
	s_mov_b32 s0, 0
	global_store_b32 v[2:3], v4, off
	s_branch .LBB35_326
.LBB35_308:
	s_mov_b32 s28, -1
	s_mov_b32 s27, 0
	s_mov_b32 s26, s42
                                        ; implicit-def: $vgpr1
	s_branch .LBB35_463
.LBB35_309:
	s_mov_b32 s28, -1
	s_mov_b32 s29, 0
	s_mov_b32 s0, s41
	s_branch .LBB35_395
.LBB35_310:
	s_mov_b32 s28, -1
	s_mov_b32 s27, 0
	s_mov_b32 s26, s42
                                        ; implicit-def: $vgpr1
	s_branch .LBB35_444
.LBB35_311:
	s_mov_b32 s30, -1
	s_mov_b32 s29, 0
	s_mov_b32 s0, s41
	s_branch .LBB35_353
.LBB35_312:
	s_mov_b32 s28, -1
	s_mov_b32 s27, 0
	s_mov_b32 s26, s42
                                        ; implicit-def: $vgpr1
	s_branch .LBB35_439
.LBB35_313:
	s_mov_b32 s30, -1
	s_mov_b32 s29, 0
	s_mov_b32 s0, s41
	s_branch .LBB35_336
.LBB35_314:
	s_and_not1_saveexec_b32 s31, s31
	s_cbranch_execz .LBB35_71
.LBB35_315:
	v_add_f32_e64 v5, 0x46000000, |v6|
	s_and_not1_b32 s30, s30, exec_lo
	s_delay_alu instid0(VALU_DEP_1) | instskip(NEXT) | instid1(VALU_DEP_1)
	v_and_b32_e32 v5, 0xff, v5
	v_cmp_ne_u32_e32 vcc_lo, 0, v5
	s_and_b32 s41, vcc_lo, exec_lo
	s_delay_alu instid0(SALU_CYCLE_1)
	s_or_b32 s30, s30, s41
	s_or_b32 exec_lo, exec_lo, s31
	v_mov_b32_e32 v7, 0
	s_and_saveexec_b32 s31, s30
	s_cbranch_execnz .LBB35_72
	s_branch .LBB35_73
.LBB35_316:
	s_mov_b32 s28, -1
	s_mov_b32 s27, 0
	s_mov_b32 s26, s42
	s_branch .LBB35_321
.LBB35_317:
	s_mov_b32 s30, -1
	s_mov_b32 s29, 0
	s_mov_b32 s0, s41
	s_branch .LBB35_332
.LBB35_318:
	s_and_not1_saveexec_b32 s31, s31
	s_cbranch_execz .LBB35_84
.LBB35_319:
	v_add_f32_e64 v5, 0x42800000, |v6|
	s_and_not1_b32 s30, s30, exec_lo
	s_delay_alu instid0(VALU_DEP_1) | instskip(NEXT) | instid1(VALU_DEP_1)
	v_and_b32_e32 v5, 0xff, v5
	v_cmp_ne_u32_e32 vcc_lo, 0, v5
	s_and_b32 s41, vcc_lo, exec_lo
	s_delay_alu instid0(SALU_CYCLE_1)
	s_or_b32 s30, s30, s41
	s_or_b32 exec_lo, exec_lo, s31
	v_mov_b32_e32 v7, 0
	s_and_saveexec_b32 s31, s30
	s_cbranch_execnz .LBB35_85
	s_branch .LBB35_86
.LBB35_320:
	s_mov_b32 s26, -1
	s_mov_b32 s27, 0
.LBB35_321:
                                        ; implicit-def: $vgpr1
.LBB35_322:
	s_and_b32 vcc_lo, exec_lo, s28
	s_cbranch_vccz .LBB35_438
; %bb.323:
	s_cmp_eq_u32 s0, 44
	s_cbranch_scc0 .LBB35_437
; %bb.324:
	s_wait_loadcnt 0x0
	global_load_u8 v1, v[4:5], off
	s_mov_b32 s26, 0
	s_mov_b32 s27, -1
	s_wait_loadcnt 0x0
	v_lshlrev_b32_e32 v3, 23, v1
	v_cmp_ne_u32_e32 vcc_lo, 0xff, v1
	s_delay_alu instid0(VALU_DEP_2) | instskip(SKIP_1) | instid1(VALU_DEP_2)
	v_cndmask_b32_e32 v3, 0x7f800001, v3, vcc_lo
	v_cmp_ne_u32_e32 vcc_lo, 0, v1
	v_cndmask_b32_e32 v1, 0x400000, v3, vcc_lo
	s_delay_alu instid0(VALU_DEP_1) | instskip(SKIP_1) | instid1(VALU_DEP_2)
	v_add_nc_u32_e32 v3, 0x7fff, v1
	v_cmp_o_f32_e32 vcc_lo, v1, v1
	v_lshrrev_b32_e32 v3, 16, v3
	s_delay_alu instid0(VALU_DEP_1)
	v_cndmask_b32_e32 v1, 0x7fc0, v3, vcc_lo
	s_branch .LBB35_438
.LBB35_325:
	s_mov_b32 s30, -1
	s_mov_b32 s29, 0
	s_mov_b32 s0, s41
.LBB35_326:
	s_and_b32 vcc_lo, exec_lo, s30
	s_cbranch_vccz .LBB35_331
; %bb.327:
	s_cmp_eq_u32 s28, 44
	s_mov_b32 s0, -1
	s_cbranch_scc0 .LBB35_331
; %bb.328:
	s_wait_xcnt 0x0
	v_and_b32_e32 v4, 0xffff, v1
	v_mov_b32_e32 v5, 0xff
	s_mov_b32 s29, exec_lo
	s_delay_alu instid0(VALU_DEP_2) | instskip(NEXT) | instid1(VALU_DEP_1)
	v_bfe_u32 v6, v4, 7, 8
	v_cmpx_ne_u32_e32 0xff, v6
	s_cbranch_execz .LBB35_330
; %bb.329:
	v_dual_lshlrev_b32 v5, 16, v4 :: v_dual_bitop2_b32 v7, 64, v4 bitop3:0x40
	v_lshrrev_b32_e32 v4, 7, v4
	s_delay_alu instid0(VALU_DEP_2) | instskip(NEXT) | instid1(VALU_DEP_3)
	v_and_or_b32 v5, 0x3f0000, v5, v6
	v_cmp_ne_u32_e32 vcc_lo, 0, v7
	s_delay_alu instid0(VALU_DEP_2) | instskip(SKIP_1) | instid1(SALU_CYCLE_1)
	v_cmp_ne_u32_e64 s0, 0, v5
	s_and_b32 s0, vcc_lo, s0
	v_cndmask_b32_e64 v5, 0, 1, s0
	s_delay_alu instid0(VALU_DEP_1)
	v_add_nc_u32_e32 v5, v4, v5
.LBB35_330:
	s_or_b32 exec_lo, exec_lo, s29
	s_mov_b32 s29, -1
	s_mov_b32 s0, 0
	global_store_b8 v[2:3], v5, off
.LBB35_331:
	s_mov_b32 s30, 0
.LBB35_332:
	s_delay_alu instid0(SALU_CYCLE_1)
	s_and_b32 vcc_lo, exec_lo, s30
	s_cbranch_vccz .LBB35_335
; %bb.333:
	s_cmp_eq_u32 s28, 29
	s_mov_b32 s0, -1
	s_cbranch_scc0 .LBB35_335
; %bb.334:
	s_wait_xcnt 0x0
	v_lshlrev_b32_e32 v4, 16, v1
	s_mov_b32 s29, -1
	s_mov_b32 s0, 0
	s_mov_b32 s30, 0
	s_delay_alu instid0(VALU_DEP_1) | instskip(NEXT) | instid1(VALU_DEP_1)
	v_trunc_f32_e32 v4, v4
	v_mul_f32_e32 v5, 0x2f800000, v4
	s_delay_alu instid0(VALU_DEP_1) | instskip(NEXT) | instid1(VALU_DEP_1)
	v_floor_f32_e32 v5, v5
	v_fmamk_f32 v4, v5, 0xcf800000, v4
	v_cvt_u32_f32_e32 v5, v5
	s_delay_alu instid0(VALU_DEP_2)
	v_cvt_u32_f32_e32 v4, v4
	global_store_b64 v[2:3], v[4:5], off
	s_branch .LBB35_336
.LBB35_335:
	s_mov_b32 s30, 0
.LBB35_336:
	s_delay_alu instid0(SALU_CYCLE_1)
	s_and_b32 vcc_lo, exec_lo, s30
	s_cbranch_vccz .LBB35_352
; %bb.337:
	s_cmp_lt_i32 s28, 27
	s_mov_b32 s29, -1
	s_cbranch_scc1 .LBB35_343
; %bb.338:
	s_cmp_gt_i32 s28, 27
	s_cbranch_scc0 .LBB35_340
; %bb.339:
	s_wait_xcnt 0x0
	v_lshlrev_b32_e32 v4, 16, v1
	s_mov_b32 s29, 0
	s_delay_alu instid0(VALU_DEP_1)
	v_cvt_u32_f32_e32 v4, v4
	global_store_b32 v[2:3], v4, off
.LBB35_340:
	s_and_not1_b32 vcc_lo, exec_lo, s29
	s_cbranch_vccnz .LBB35_342
; %bb.341:
	s_wait_xcnt 0x0
	v_lshlrev_b32_e32 v4, 16, v1
	s_delay_alu instid0(VALU_DEP_1)
	v_cvt_u32_f32_e32 v4, v4
	global_store_b16 v[2:3], v4, off
.LBB35_342:
	s_mov_b32 s29, 0
.LBB35_343:
	s_delay_alu instid0(SALU_CYCLE_1)
	s_and_not1_b32 vcc_lo, exec_lo, s29
	s_cbranch_vccnz .LBB35_351
; %bb.344:
	v_dual_mov_b32 v7, 0x80 :: v_dual_lshlrev_b32 v6, 16, v1
	s_mov_b32 s29, exec_lo
	s_wait_xcnt 0x0
	s_delay_alu instid0(VALU_DEP_1) | instskip(NEXT) | instid1(VALU_DEP_1)
	v_and_b32_e32 v5, 0x7fffffff, v6
	v_cmpx_gt_u32_e32 0x43800000, v5
	s_cbranch_execz .LBB35_350
; %bb.345:
	v_and_b32_e32 v4, 0xffff, v1
	v_cmp_lt_u32_e32 vcc_lo, 0x3bffffff, v5
	s_mov_b32 s30, 0
                                        ; implicit-def: $vgpr5
	s_and_saveexec_b32 s31, vcc_lo
	s_delay_alu instid0(SALU_CYCLE_1)
	s_xor_b32 s31, exec_lo, s31
	s_cbranch_execz .LBB35_580
; %bb.346:
	v_bfe_u32 v5, v4, 4, 1
	s_mov_b32 s30, exec_lo
	s_delay_alu instid0(VALU_DEP_1) | instskip(NEXT) | instid1(VALU_DEP_1)
	v_add3_u32 v5, v6, v5, 0x487ffff
                                        ; implicit-def: $vgpr6
	v_lshrrev_b32_e32 v5, 20, v5
	s_and_not1_saveexec_b32 s31, s31
	s_cbranch_execnz .LBB35_581
.LBB35_347:
	s_or_b32 exec_lo, exec_lo, s31
	v_mov_b32_e32 v7, 0
	s_and_saveexec_b32 s31, s30
.LBB35_348:
	v_lshrrev_b32_e32 v4, 8, v4
	s_delay_alu instid0(VALU_DEP_1)
	v_and_or_b32 v7, 0x80, v4, v5
.LBB35_349:
	s_or_b32 exec_lo, exec_lo, s31
.LBB35_350:
	s_delay_alu instid0(SALU_CYCLE_1)
	s_or_b32 exec_lo, exec_lo, s29
	global_store_b8 v[2:3], v7, off
.LBB35_351:
	s_mov_b32 s29, -1
.LBB35_352:
	s_mov_b32 s30, 0
.LBB35_353:
	s_delay_alu instid0(SALU_CYCLE_1)
	s_and_b32 vcc_lo, exec_lo, s30
	s_cbranch_vccz .LBB35_394
; %bb.354:
	s_cmp_gt_i32 s28, 22
	s_mov_b32 s30, -1
	s_cbranch_scc0 .LBB35_386
; %bb.355:
	s_cmp_lt_i32 s28, 24
	s_mov_b32 s29, -1
	s_cbranch_scc1 .LBB35_375
; %bb.356:
	s_cmp_gt_i32 s28, 24
	s_cbranch_scc0 .LBB35_364
; %bb.357:
	s_wait_xcnt 0x0
	v_dual_mov_b32 v7, 0x80 :: v_dual_lshlrev_b32 v6, 16, v1
	s_mov_b32 s29, exec_lo
	s_delay_alu instid0(VALU_DEP_1) | instskip(NEXT) | instid1(VALU_DEP_1)
	v_and_b32_e32 v5, 0x7fffffff, v6
	v_cmpx_gt_u32_e32 0x47800000, v5
	s_cbranch_execz .LBB35_363
; %bb.358:
	v_and_b32_e32 v4, 0xffff, v1
	v_cmp_lt_u32_e32 vcc_lo, 0x37ffffff, v5
	s_mov_b32 s30, 0
                                        ; implicit-def: $vgpr5
	s_and_saveexec_b32 s31, vcc_lo
	s_delay_alu instid0(SALU_CYCLE_1)
	s_xor_b32 s31, exec_lo, s31
	s_cbranch_execz .LBB35_583
; %bb.359:
	v_bfe_u32 v5, v4, 5, 1
	s_mov_b32 s30, exec_lo
	s_delay_alu instid0(VALU_DEP_1) | instskip(NEXT) | instid1(VALU_DEP_1)
	v_add3_u32 v5, v6, v5, 0x88fffff
                                        ; implicit-def: $vgpr6
	v_lshrrev_b32_e32 v5, 21, v5
	s_and_not1_saveexec_b32 s31, s31
	s_cbranch_execnz .LBB35_584
.LBB35_360:
	s_or_b32 exec_lo, exec_lo, s31
	v_mov_b32_e32 v7, 0
	s_and_saveexec_b32 s31, s30
.LBB35_361:
	v_lshrrev_b32_e32 v4, 8, v4
	s_delay_alu instid0(VALU_DEP_1)
	v_and_or_b32 v7, 0x80, v4, v5
.LBB35_362:
	s_or_b32 exec_lo, exec_lo, s31
.LBB35_363:
	s_delay_alu instid0(SALU_CYCLE_1)
	s_or_b32 exec_lo, exec_lo, s29
	s_mov_b32 s29, 0
	global_store_b8 v[2:3], v7, off
.LBB35_364:
	s_and_b32 vcc_lo, exec_lo, s29
	s_cbranch_vccz .LBB35_374
; %bb.365:
	v_lshlrev_b32_e32 v6, 16, v1
	s_wait_xcnt 0x0
	v_and_b32_e32 v4, 0xffff, v1
	s_mov_b32 s29, exec_lo
                                        ; implicit-def: $vgpr5
	s_delay_alu instid0(VALU_DEP_2) | instskip(NEXT) | instid1(VALU_DEP_1)
	v_and_b32_e32 v7, 0x7fffffff, v6
	v_cmpx_gt_u32_e32 0x43f00000, v7
	s_xor_b32 s29, exec_lo, s29
	s_cbranch_execz .LBB35_371
; %bb.366:
	s_mov_b32 s30, exec_lo
                                        ; implicit-def: $vgpr5
	v_cmpx_lt_u32_e32 0x3c7fffff, v7
	s_xor_b32 s30, exec_lo, s30
; %bb.367:
	v_bfe_u32 v5, v4, 4, 1
	s_delay_alu instid0(VALU_DEP_1) | instskip(NEXT) | instid1(VALU_DEP_1)
	v_add3_u32 v5, v6, v5, 0x407ffff
	v_and_b32_e32 v6, 0xff00000, v5
	v_lshrrev_b32_e32 v5, 20, v5
	s_delay_alu instid0(VALU_DEP_2) | instskip(NEXT) | instid1(VALU_DEP_2)
	v_cmp_ne_u32_e32 vcc_lo, 0x7f00000, v6
                                        ; implicit-def: $vgpr6
	v_cndmask_b32_e32 v5, 0x7e, v5, vcc_lo
; %bb.368:
	s_and_not1_saveexec_b32 s30, s30
; %bb.369:
	v_add_f32_e64 v5, 0x46800000, |v6|
; %bb.370:
	s_or_b32 exec_lo, exec_lo, s30
                                        ; implicit-def: $vgpr7
.LBB35_371:
	s_and_not1_saveexec_b32 s29, s29
; %bb.372:
	v_mov_b32_e32 v5, 0x7f
	v_cmp_lt_u32_e32 vcc_lo, 0x7f800000, v7
	s_delay_alu instid0(VALU_DEP_2)
	v_cndmask_b32_e32 v5, 0x7e, v5, vcc_lo
; %bb.373:
	s_or_b32 exec_lo, exec_lo, s29
	v_lshrrev_b32_e32 v4, 8, v4
	s_delay_alu instid0(VALU_DEP_1)
	v_and_or_b32 v4, 0x80, v4, v5
	global_store_b8 v[2:3], v4, off
.LBB35_374:
	s_mov_b32 s29, 0
.LBB35_375:
	s_delay_alu instid0(SALU_CYCLE_1)
	s_and_not1_b32 vcc_lo, exec_lo, s29
	s_cbranch_vccnz .LBB35_385
; %bb.376:
	v_lshlrev_b32_e32 v6, 16, v1
	s_wait_xcnt 0x0
	v_and_b32_e32 v4, 0xffff, v1
	s_mov_b32 s29, exec_lo
                                        ; implicit-def: $vgpr5
	s_delay_alu instid0(VALU_DEP_2) | instskip(NEXT) | instid1(VALU_DEP_1)
	v_and_b32_e32 v7, 0x7fffffff, v6
	v_cmpx_gt_u32_e32 0x47800000, v7
	s_xor_b32 s29, exec_lo, s29
	s_cbranch_execz .LBB35_382
; %bb.377:
	s_mov_b32 s30, exec_lo
                                        ; implicit-def: $vgpr5
	v_cmpx_lt_u32_e32 0x387fffff, v7
	s_xor_b32 s30, exec_lo, s30
; %bb.378:
	v_bfe_u32 v5, v4, 5, 1
	s_delay_alu instid0(VALU_DEP_1) | instskip(NEXT) | instid1(VALU_DEP_1)
	v_add3_u32 v5, v6, v5, 0x80fffff
                                        ; implicit-def: $vgpr6
	v_lshrrev_b32_e32 v5, 21, v5
; %bb.379:
	s_and_not1_saveexec_b32 s30, s30
; %bb.380:
	v_add_f32_e64 v5, 0x43000000, |v6|
; %bb.381:
	s_or_b32 exec_lo, exec_lo, s30
                                        ; implicit-def: $vgpr7
.LBB35_382:
	s_and_not1_saveexec_b32 s29, s29
; %bb.383:
	v_mov_b32_e32 v5, 0x7f
	v_cmp_lt_u32_e32 vcc_lo, 0x7f800000, v7
	s_delay_alu instid0(VALU_DEP_2)
	v_cndmask_b32_e32 v5, 0x7c, v5, vcc_lo
; %bb.384:
	s_or_b32 exec_lo, exec_lo, s29
	v_lshrrev_b32_e32 v4, 8, v4
	s_delay_alu instid0(VALU_DEP_1)
	v_and_or_b32 v4, 0x80, v4, v5
	global_store_b8 v[2:3], v4, off
.LBB35_385:
	s_mov_b32 s30, 0
	s_mov_b32 s29, -1
.LBB35_386:
	s_and_not1_b32 vcc_lo, exec_lo, s30
	s_cbranch_vccnz .LBB35_394
; %bb.387:
	s_cmp_gt_i32 s28, 14
	s_mov_b32 s30, -1
	s_cbranch_scc0 .LBB35_391
; %bb.388:
	s_cmp_eq_u32 s28, 15
	s_mov_b32 s0, -1
	s_cbranch_scc0 .LBB35_390
; %bb.389:
	s_mov_b32 s29, -1
	s_mov_b32 s0, 0
	global_store_b16 v[2:3], v1, off
.LBB35_390:
	s_mov_b32 s30, 0
.LBB35_391:
	s_delay_alu instid0(SALU_CYCLE_1)
	s_and_b32 vcc_lo, exec_lo, s30
	s_cbranch_vccz .LBB35_394
; %bb.392:
	s_cmp_eq_u32 s28, 11
	s_mov_b32 s0, -1
	s_cbranch_scc0 .LBB35_394
; %bb.393:
	s_wait_xcnt 0x0
	v_and_b32_e32 v4, 0x7fff, v1
	s_mov_b32 s0, 0
	s_mov_b32 s29, -1
	s_delay_alu instid0(VALU_DEP_1)
	v_cmp_ne_u16_e32 vcc_lo, 0, v4
	v_cndmask_b32_e64 v4, 0, 1, vcc_lo
	global_store_b8 v[2:3], v4, off
.LBB35_394:
	s_mov_b32 s28, 0
.LBB35_395:
	s_delay_alu instid0(SALU_CYCLE_1)
	s_and_b32 vcc_lo, exec_lo, s28
	s_cbranch_vccz .LBB35_434
; %bb.396:
	s_and_b32 s27, 0xffff, s27
	s_mov_b32 s28, -1
	s_cmp_lt_i32 s27, 5
	s_cbranch_scc1 .LBB35_417
; %bb.397:
	s_cmp_lt_i32 s27, 8
	s_cbranch_scc1 .LBB35_407
; %bb.398:
	;; [unrolled: 3-line block ×3, first 2 shown]
	s_cmp_gt_i32 s27, 9
	s_cbranch_scc0 .LBB35_401
; %bb.400:
	s_wait_xcnt 0x0
	v_dual_lshlrev_b32 v4, 16, v1 :: v_dual_mov_b32 v6, 0
	s_mov_b32 s28, 0
	s_delay_alu instid0(VALU_DEP_1) | instskip(NEXT) | instid1(VALU_DEP_2)
	v_cvt_f64_f32_e32 v[4:5], v4
	v_mov_b32_e32 v7, v6
	global_store_b128 v[2:3], v[4:7], off
.LBB35_401:
	s_and_not1_b32 vcc_lo, exec_lo, s28
	s_cbranch_vccnz .LBB35_403
; %bb.402:
	s_wait_xcnt 0x0
	v_dual_mov_b32 v5, 0 :: v_dual_lshlrev_b32 v4, 16, v1
	global_store_b64 v[2:3], v[4:5], off
.LBB35_403:
	s_mov_b32 s28, 0
.LBB35_404:
	s_delay_alu instid0(SALU_CYCLE_1)
	s_and_not1_b32 vcc_lo, exec_lo, s28
	s_cbranch_vccnz .LBB35_406
; %bb.405:
	s_wait_xcnt 0x0
	v_lshlrev_b32_e32 v4, 16, v1
	s_delay_alu instid0(VALU_DEP_1) | instskip(NEXT) | instid1(VALU_DEP_1)
	v_cvt_f16_f32_e32 v4, v4
	v_and_b32_e32 v4, 0xffff, v4
	global_store_b32 v[2:3], v4, off
.LBB35_406:
	s_mov_b32 s28, 0
.LBB35_407:
	s_delay_alu instid0(SALU_CYCLE_1)
	s_and_not1_b32 vcc_lo, exec_lo, s28
	s_cbranch_vccnz .LBB35_416
; %bb.408:
	s_cmp_lt_i32 s27, 6
	s_mov_b32 s28, -1
	s_cbranch_scc1 .LBB35_414
; %bb.409:
	s_cmp_gt_i32 s27, 6
	s_cbranch_scc0 .LBB35_411
; %bb.410:
	s_wait_xcnt 0x0
	v_lshlrev_b32_e32 v4, 16, v1
	s_mov_b32 s28, 0
	s_delay_alu instid0(VALU_DEP_1)
	v_cvt_f64_f32_e32 v[4:5], v4
	global_store_b64 v[2:3], v[4:5], off
.LBB35_411:
	s_and_not1_b32 vcc_lo, exec_lo, s28
	s_cbranch_vccnz .LBB35_413
; %bb.412:
	s_wait_xcnt 0x0
	v_lshlrev_b32_e32 v4, 16, v1
	global_store_b32 v[2:3], v4, off
.LBB35_413:
	s_mov_b32 s28, 0
.LBB35_414:
	s_delay_alu instid0(SALU_CYCLE_1)
	s_and_not1_b32 vcc_lo, exec_lo, s28
	s_cbranch_vccnz .LBB35_416
; %bb.415:
	s_wait_xcnt 0x0
	v_lshlrev_b32_e32 v4, 16, v1
	s_delay_alu instid0(VALU_DEP_1)
	v_cvt_f16_f32_e32 v4, v4
	global_store_b16 v[2:3], v4, off
.LBB35_416:
	s_mov_b32 s28, 0
.LBB35_417:
	s_delay_alu instid0(SALU_CYCLE_1)
	s_and_not1_b32 vcc_lo, exec_lo, s28
	s_cbranch_vccnz .LBB35_433
; %bb.418:
	s_cmp_lt_i32 s27, 2
	s_mov_b32 s28, -1
	s_cbranch_scc1 .LBB35_428
; %bb.419:
	s_cmp_lt_i32 s27, 3
	s_cbranch_scc1 .LBB35_425
; %bb.420:
	s_cmp_gt_i32 s27, 3
	s_cbranch_scc0 .LBB35_422
; %bb.421:
	s_wait_xcnt 0x0
	v_lshlrev_b32_e32 v4, 16, v1
	s_mov_b32 s28, 0
	s_delay_alu instid0(VALU_DEP_1) | instskip(NEXT) | instid1(VALU_DEP_1)
	v_trunc_f32_e32 v4, v4
	v_mul_f32_e64 v5, 0x2f800000, |v4|
	s_delay_alu instid0(VALU_DEP_1) | instskip(NEXT) | instid1(VALU_DEP_1)
	v_floor_f32_e32 v5, v5
	v_fma_f32 v6, 0xcf800000, v5, |v4|
	v_ashrrev_i32_e32 v4, 31, v4
	v_cvt_u32_f32_e32 v7, v5
	s_delay_alu instid0(VALU_DEP_3) | instskip(NEXT) | instid1(VALU_DEP_2)
	v_cvt_u32_f32_e32 v6, v6
	v_dual_mov_b32 v5, v4 :: v_dual_bitop2_b32 v7, v7, v4 bitop3:0x14
	s_delay_alu instid0(VALU_DEP_2) | instskip(NEXT) | instid1(VALU_DEP_1)
	v_xor_b32_e32 v6, v6, v4
	v_sub_nc_u64_e32 v[4:5], v[6:7], v[4:5]
	global_store_b64 v[2:3], v[4:5], off
.LBB35_422:
	s_and_not1_b32 vcc_lo, exec_lo, s28
	s_cbranch_vccnz .LBB35_424
; %bb.423:
	s_wait_xcnt 0x0
	v_lshlrev_b32_e32 v4, 16, v1
	s_delay_alu instid0(VALU_DEP_1)
	v_cvt_i32_f32_e32 v4, v4
	global_store_b32 v[2:3], v4, off
.LBB35_424:
	s_mov_b32 s28, 0
.LBB35_425:
	s_delay_alu instid0(SALU_CYCLE_1)
	s_and_not1_b32 vcc_lo, exec_lo, s28
	s_cbranch_vccnz .LBB35_427
; %bb.426:
	s_wait_xcnt 0x0
	v_lshlrev_b32_e32 v4, 16, v1
	s_delay_alu instid0(VALU_DEP_1)
	v_cvt_i32_f32_e32 v4, v4
	global_store_b16 v[2:3], v4, off
.LBB35_427:
	s_mov_b32 s28, 0
.LBB35_428:
	s_delay_alu instid0(SALU_CYCLE_1)
	s_and_not1_b32 vcc_lo, exec_lo, s28
	s_cbranch_vccnz .LBB35_433
; %bb.429:
	s_wait_xcnt 0x0
	v_lshlrev_b32_e32 v1, 16, v1
	s_cmp_gt_i32 s27, 0
	s_mov_b32 s27, -1
	s_cbranch_scc0 .LBB35_431
; %bb.430:
	s_delay_alu instid0(VALU_DEP_1)
	v_cvt_i32_f32_e32 v4, v1
	s_mov_b32 s27, 0
	global_store_b8 v[2:3], v4, off
.LBB35_431:
	s_and_not1_b32 vcc_lo, exec_lo, s27
	s_cbranch_vccnz .LBB35_433
; %bb.432:
	v_trunc_f32_e32 v1, v1
	s_wait_xcnt 0x0
	s_delay_alu instid0(VALU_DEP_1) | instskip(NEXT) | instid1(VALU_DEP_1)
	v_mul_f32_e64 v4, 0x2f800000, |v1|
	v_floor_f32_e32 v4, v4
	s_delay_alu instid0(VALU_DEP_1) | instskip(SKIP_1) | instid1(VALU_DEP_2)
	v_fma_f32 v4, 0xcf800000, v4, |v1|
	v_ashrrev_i32_e32 v1, 31, v1
	v_cvt_u32_f32_e32 v4, v4
	s_delay_alu instid0(VALU_DEP_1) | instskip(NEXT) | instid1(VALU_DEP_1)
	v_xor_b32_e32 v4, v4, v1
	v_sub_nc_u32_e32 v1, v4, v1
	global_store_b8 v[2:3], v1, off
.LBB35_433:
	s_mov_b32 s29, -1
.LBB35_434:
	s_delay_alu instid0(SALU_CYCLE_1)
	s_and_not1_b32 vcc_lo, exec_lo, s29
	s_cbranch_vccnz .LBB35_436
; %bb.435:
	v_add_nc_u32_e32 v0, 0x80, v0
	s_mov_b32 s27, -1
	s_branch .LBB35_549
.LBB35_436:
	s_mov_b32 s27, 0
	s_branch .LBB35_548
.LBB35_437:
	s_mov_b32 s26, -1
                                        ; implicit-def: $vgpr1
.LBB35_438:
	s_mov_b32 s28, 0
.LBB35_439:
	s_delay_alu instid0(SALU_CYCLE_1)
	s_and_b32 vcc_lo, exec_lo, s28
	s_cbranch_vccz .LBB35_443
; %bb.440:
	s_cmp_eq_u32 s0, 29
	s_cbranch_scc0 .LBB35_442
; %bb.441:
	global_load_b64 v[6:7], v[4:5], off
	s_mov_b32 s27, -1
	s_mov_b32 s26, 0
	s_mov_b32 s28, 0
	s_wait_loadcnt 0x0
	v_clz_i32_u32_e32 v1, v7
	s_delay_alu instid0(VALU_DEP_1) | instskip(NEXT) | instid1(VALU_DEP_1)
	v_min_u32_e32 v1, 32, v1
	v_lshlrev_b64_e32 v[6:7], v1, v[6:7]
	v_sub_nc_u32_e32 v1, 32, v1
	s_delay_alu instid0(VALU_DEP_2) | instskip(NEXT) | instid1(VALU_DEP_1)
	v_min_u32_e32 v3, 1, v6
	v_or_b32_e32 v3, v7, v3
	s_delay_alu instid0(VALU_DEP_1) | instskip(NEXT) | instid1(VALU_DEP_1)
	v_cvt_f32_u32_e32 v3, v3
	v_ldexp_f32 v1, v3, v1
	s_delay_alu instid0(VALU_DEP_1) | instskip(NEXT) | instid1(VALU_DEP_1)
	v_bfe_u32 v3, v1, 16, 1
	v_add3_u32 v1, v1, v3, 0x7fff
	s_delay_alu instid0(VALU_DEP_1)
	v_lshrrev_b32_e32 v1, 16, v1
	s_branch .LBB35_444
.LBB35_442:
	s_mov_b32 s26, -1
                                        ; implicit-def: $vgpr1
.LBB35_443:
	s_mov_b32 s28, 0
.LBB35_444:
	s_delay_alu instid0(SALU_CYCLE_1)
	s_and_b32 vcc_lo, exec_lo, s28
	s_cbranch_vccz .LBB35_462
; %bb.445:
	s_cmp_lt_i32 s0, 27
	s_cbranch_scc1 .LBB35_448
; %bb.446:
	s_cmp_gt_i32 s0, 27
	s_cbranch_scc0 .LBB35_449
; %bb.447:
	s_wait_loadcnt 0x0
	global_load_b32 v1, v[4:5], off
	s_mov_b32 s27, 0
	s_wait_loadcnt 0x0
	v_cvt_f32_u32_e32 v1, v1
	s_delay_alu instid0(VALU_DEP_1) | instskip(NEXT) | instid1(VALU_DEP_1)
	v_bfe_u32 v3, v1, 16, 1
	v_add3_u32 v1, v1, v3, 0x7fff
	s_delay_alu instid0(VALU_DEP_1)
	v_lshrrev_b32_e32 v1, 16, v1
	s_branch .LBB35_450
.LBB35_448:
	s_mov_b32 s27, -1
                                        ; implicit-def: $vgpr1
	s_branch .LBB35_453
.LBB35_449:
	s_mov_b32 s27, -1
                                        ; implicit-def: $vgpr1
.LBB35_450:
	s_delay_alu instid0(SALU_CYCLE_1)
	s_and_not1_b32 vcc_lo, exec_lo, s27
	s_cbranch_vccnz .LBB35_452
; %bb.451:
	s_wait_loadcnt 0x0
	global_load_u16 v1, v[4:5], off
	s_wait_loadcnt 0x0
	v_cvt_f32_u32_e32 v1, v1
	s_delay_alu instid0(VALU_DEP_1) | instskip(NEXT) | instid1(VALU_DEP_1)
	v_bfe_u32 v3, v1, 16, 1
	v_add3_u32 v1, v1, v3, 0x7fff
	s_delay_alu instid0(VALU_DEP_1)
	v_lshrrev_b32_e32 v1, 16, v1
.LBB35_452:
	s_mov_b32 s27, 0
.LBB35_453:
	s_delay_alu instid0(SALU_CYCLE_1)
	s_and_not1_b32 vcc_lo, exec_lo, s27
	s_cbranch_vccnz .LBB35_461
; %bb.454:
	s_wait_loadcnt 0x0
	global_load_u8 v1, v[4:5], off
	s_mov_b32 s27, 0
	s_mov_b32 s28, exec_lo
	s_wait_loadcnt 0x0
	v_cmpx_lt_i16_e32 0x7f, v1
	s_xor_b32 s28, exec_lo, s28
	s_cbranch_execz .LBB35_475
; %bb.455:
	s_mov_b32 s27, -1
	s_mov_b32 s29, exec_lo
	v_cmpx_eq_u16_e32 0x80, v1
; %bb.456:
	s_xor_b32 s27, exec_lo, -1
; %bb.457:
	s_or_b32 exec_lo, exec_lo, s29
	s_delay_alu instid0(SALU_CYCLE_1)
	s_and_b32 s27, s27, exec_lo
	s_or_saveexec_b32 s28, s28
	v_mov_b32_e32 v3, 0x7f800001
	s_xor_b32 exec_lo, exec_lo, s28
	s_cbranch_execnz .LBB35_476
.LBB35_458:
	s_or_b32 exec_lo, exec_lo, s28
	s_and_saveexec_b32 s28, s27
	s_cbranch_execz .LBB35_460
.LBB35_459:
	v_and_b32_e32 v3, 0xffff, v1
	s_delay_alu instid0(VALU_DEP_1) | instskip(SKIP_1) | instid1(VALU_DEP_2)
	v_dual_lshlrev_b32 v1, 24, v1 :: v_dual_bitop2_b32 v6, 7, v3 bitop3:0x40
	v_bfe_u32 v9, v3, 3, 4
	v_and_b32_e32 v1, 0x80000000, v1
	s_delay_alu instid0(VALU_DEP_3) | instskip(NEXT) | instid1(VALU_DEP_3)
	v_clz_i32_u32_e32 v7, v6
	v_cmp_eq_u32_e32 vcc_lo, 0, v9
	s_delay_alu instid0(VALU_DEP_2) | instskip(NEXT) | instid1(VALU_DEP_1)
	v_min_u32_e32 v7, 32, v7
	v_subrev_nc_u32_e32 v8, 28, v7
	v_sub_nc_u32_e32 v7, 29, v7
	s_delay_alu instid0(VALU_DEP_2) | instskip(NEXT) | instid1(VALU_DEP_2)
	v_lshlrev_b32_e32 v3, v8, v3
	v_cndmask_b32_e32 v7, v9, v7, vcc_lo
	s_delay_alu instid0(VALU_DEP_2) | instskip(NEXT) | instid1(VALU_DEP_1)
	v_and_b32_e32 v3, 7, v3
	v_cndmask_b32_e32 v3, v6, v3, vcc_lo
	s_delay_alu instid0(VALU_DEP_3) | instskip(NEXT) | instid1(VALU_DEP_2)
	v_lshl_add_u32 v6, v7, 23, 0x3b800000
	v_lshlrev_b32_e32 v3, 20, v3
	s_delay_alu instid0(VALU_DEP_1)
	v_or3_b32 v3, v1, v6, v3
.LBB35_460:
	s_or_b32 exec_lo, exec_lo, s28
	s_delay_alu instid0(VALU_DEP_1) | instskip(SKIP_1) | instid1(VALU_DEP_2)
	v_bfe_u32 v1, v3, 16, 1
	v_cmp_o_f32_e32 vcc_lo, v3, v3
	v_add3_u32 v1, v3, v1, 0x7fff
	s_delay_alu instid0(VALU_DEP_1) | instskip(NEXT) | instid1(VALU_DEP_1)
	v_lshrrev_b32_e32 v1, 16, v1
	v_cndmask_b32_e32 v1, 0x7fc0, v1, vcc_lo
.LBB35_461:
	s_mov_b32 s27, -1
.LBB35_462:
	s_mov_b32 s28, 0
.LBB35_463:
	s_delay_alu instid0(SALU_CYCLE_1)
	s_and_b32 vcc_lo, exec_lo, s28
	s_cbranch_vccz .LBB35_498
; %bb.464:
	s_cmp_gt_i32 s0, 22
	s_cbranch_scc0 .LBB35_474
; %bb.465:
	s_cmp_lt_i32 s0, 24
	s_cbranch_scc1 .LBB35_477
; %bb.466:
	s_cmp_gt_i32 s0, 24
	s_cbranch_scc0 .LBB35_478
; %bb.467:
	s_wait_loadcnt 0x0
	global_load_u8 v1, v[4:5], off
	s_mov_b32 s27, 0
	s_mov_b32 s28, exec_lo
	s_wait_loadcnt 0x0
	v_cmpx_lt_i16_e32 0x7f, v1
	s_xor_b32 s28, exec_lo, s28
	s_cbranch_execz .LBB35_490
; %bb.468:
	s_mov_b32 s27, -1
	s_mov_b32 s29, exec_lo
	v_cmpx_eq_u16_e32 0x80, v1
; %bb.469:
	s_xor_b32 s27, exec_lo, -1
; %bb.470:
	s_or_b32 exec_lo, exec_lo, s29
	s_delay_alu instid0(SALU_CYCLE_1)
	s_and_b32 s27, s27, exec_lo
	s_or_saveexec_b32 s28, s28
	v_mov_b32_e32 v3, 0x7f800001
	s_xor_b32 exec_lo, exec_lo, s28
	s_cbranch_execnz .LBB35_491
.LBB35_471:
	s_or_b32 exec_lo, exec_lo, s28
	s_and_saveexec_b32 s28, s27
	s_cbranch_execz .LBB35_473
.LBB35_472:
	v_and_b32_e32 v3, 0xffff, v1
	s_delay_alu instid0(VALU_DEP_1) | instskip(SKIP_1) | instid1(VALU_DEP_2)
	v_dual_lshlrev_b32 v1, 24, v1 :: v_dual_bitop2_b32 v6, 3, v3 bitop3:0x40
	v_bfe_u32 v9, v3, 2, 5
	v_and_b32_e32 v1, 0x80000000, v1
	s_delay_alu instid0(VALU_DEP_3) | instskip(NEXT) | instid1(VALU_DEP_3)
	v_clz_i32_u32_e32 v7, v6
	v_cmp_eq_u32_e32 vcc_lo, 0, v9
	s_delay_alu instid0(VALU_DEP_2) | instskip(NEXT) | instid1(VALU_DEP_1)
	v_min_u32_e32 v7, 32, v7
	v_subrev_nc_u32_e32 v8, 29, v7
	v_sub_nc_u32_e32 v7, 30, v7
	s_delay_alu instid0(VALU_DEP_2) | instskip(NEXT) | instid1(VALU_DEP_2)
	v_lshlrev_b32_e32 v3, v8, v3
	v_cndmask_b32_e32 v7, v9, v7, vcc_lo
	s_delay_alu instid0(VALU_DEP_2) | instskip(NEXT) | instid1(VALU_DEP_1)
	v_and_b32_e32 v3, 3, v3
	v_cndmask_b32_e32 v3, v6, v3, vcc_lo
	s_delay_alu instid0(VALU_DEP_3) | instskip(NEXT) | instid1(VALU_DEP_2)
	v_lshl_add_u32 v6, v7, 23, 0x37800000
	v_lshlrev_b32_e32 v3, 21, v3
	s_delay_alu instid0(VALU_DEP_1)
	v_or3_b32 v3, v1, v6, v3
.LBB35_473:
	s_or_b32 exec_lo, exec_lo, s28
	s_delay_alu instid0(VALU_DEP_1) | instskip(SKIP_2) | instid1(VALU_DEP_2)
	v_bfe_u32 v1, v3, 16, 1
	v_cmp_o_f32_e32 vcc_lo, v3, v3
	s_mov_b32 s27, 0
	v_add3_u32 v1, v3, v1, 0x7fff
	s_delay_alu instid0(VALU_DEP_1) | instskip(NEXT) | instid1(VALU_DEP_1)
	v_lshrrev_b32_e32 v1, 16, v1
	v_cndmask_b32_e32 v1, 0x7fc0, v1, vcc_lo
	s_branch .LBB35_479
.LBB35_474:
	s_mov_b32 s28, -1
                                        ; implicit-def: $vgpr1
	s_branch .LBB35_485
.LBB35_475:
	s_or_saveexec_b32 s28, s28
	v_mov_b32_e32 v3, 0x7f800001
	s_xor_b32 exec_lo, exec_lo, s28
	s_cbranch_execz .LBB35_458
.LBB35_476:
	v_cmp_ne_u16_e32 vcc_lo, 0, v1
	v_mov_b32_e32 v3, 0
	s_and_not1_b32 s27, s27, exec_lo
	s_and_b32 s29, vcc_lo, exec_lo
	s_delay_alu instid0(SALU_CYCLE_1)
	s_or_b32 s27, s27, s29
	s_or_b32 exec_lo, exec_lo, s28
	s_and_saveexec_b32 s28, s27
	s_cbranch_execnz .LBB35_459
	s_branch .LBB35_460
.LBB35_477:
	s_mov_b32 s27, -1
                                        ; implicit-def: $vgpr1
	s_branch .LBB35_482
.LBB35_478:
	s_mov_b32 s27, -1
                                        ; implicit-def: $vgpr1
.LBB35_479:
	s_delay_alu instid0(SALU_CYCLE_1)
	s_and_b32 vcc_lo, exec_lo, s27
	s_cbranch_vccz .LBB35_481
; %bb.480:
	s_wait_loadcnt 0x0
	global_load_u8 v1, v[4:5], off
	s_wait_loadcnt 0x0
	v_lshlrev_b32_e32 v1, 24, v1
	s_delay_alu instid0(VALU_DEP_1) | instskip(NEXT) | instid1(VALU_DEP_1)
	v_and_b32_e32 v3, 0x7f000000, v1
	v_clz_i32_u32_e32 v6, v3
	v_cmp_ne_u32_e32 vcc_lo, 0, v3
	v_add_nc_u32_e32 v8, 0x1000000, v3
	s_delay_alu instid0(VALU_DEP_3) | instskip(NEXT) | instid1(VALU_DEP_1)
	v_min_u32_e32 v6, 32, v6
	v_sub_nc_u32_e64 v6, v6, 4 clamp
	s_delay_alu instid0(VALU_DEP_1) | instskip(NEXT) | instid1(VALU_DEP_1)
	v_dual_lshlrev_b32 v7, v6, v3 :: v_dual_lshlrev_b32 v6, 23, v6
	v_lshrrev_b32_e32 v7, 4, v7
	s_delay_alu instid0(VALU_DEP_1) | instskip(NEXT) | instid1(VALU_DEP_1)
	v_dual_sub_nc_u32 v6, v7, v6 :: v_dual_ashrrev_i32 v7, 8, v8
	v_add_nc_u32_e32 v6, 0x3c000000, v6
	s_delay_alu instid0(VALU_DEP_1) | instskip(NEXT) | instid1(VALU_DEP_1)
	v_and_or_b32 v6, 0x7f800000, v7, v6
	v_cndmask_b32_e32 v3, 0, v6, vcc_lo
	s_delay_alu instid0(VALU_DEP_1) | instskip(SKIP_1) | instid1(VALU_DEP_2)
	v_and_or_b32 v1, 0x80000000, v1, v3
	v_bfe_u32 v3, v3, 16, 1
	v_cmp_o_f32_e32 vcc_lo, v1, v1
	s_delay_alu instid0(VALU_DEP_2) | instskip(NEXT) | instid1(VALU_DEP_1)
	v_add3_u32 v3, v1, v3, 0x7fff
	v_lshrrev_b32_e32 v3, 16, v3
	s_delay_alu instid0(VALU_DEP_1)
	v_cndmask_b32_e32 v1, 0x7fc0, v3, vcc_lo
.LBB35_481:
	s_mov_b32 s27, 0
.LBB35_482:
	s_delay_alu instid0(SALU_CYCLE_1)
	s_and_not1_b32 vcc_lo, exec_lo, s27
	s_cbranch_vccnz .LBB35_484
; %bb.483:
	s_wait_loadcnt 0x0
	global_load_u8 v1, v[4:5], off
	s_wait_loadcnt 0x0
	v_lshlrev_b32_e32 v3, 25, v1
	v_lshlrev_b16 v1, 8, v1
	s_delay_alu instid0(VALU_DEP_1) | instskip(SKIP_1) | instid1(VALU_DEP_2)
	v_and_or_b32 v7, 0x7f00, v1, 0.5
	v_bfe_i32 v1, v1, 0, 16
	v_add_f32_e32 v7, -0.5, v7
	v_lshrrev_b32_e32 v6, 4, v3
	v_cmp_gt_u32_e32 vcc_lo, 0x8000000, v3
	s_delay_alu instid0(VALU_DEP_2) | instskip(NEXT) | instid1(VALU_DEP_1)
	v_or_b32_e32 v6, 0x70000000, v6
	v_mul_f32_e32 v6, 0x7800000, v6
	s_delay_alu instid0(VALU_DEP_1) | instskip(NEXT) | instid1(VALU_DEP_1)
	v_cndmask_b32_e32 v3, v6, v7, vcc_lo
	v_and_or_b32 v1, 0x80000000, v1, v3
	v_bfe_u32 v3, v3, 16, 1
	s_delay_alu instid0(VALU_DEP_2) | instskip(NEXT) | instid1(VALU_DEP_2)
	v_cmp_o_f32_e32 vcc_lo, v1, v1
	v_add3_u32 v3, v1, v3, 0x7fff
	s_delay_alu instid0(VALU_DEP_1) | instskip(NEXT) | instid1(VALU_DEP_1)
	v_lshrrev_b32_e32 v3, 16, v3
	v_cndmask_b32_e32 v1, 0x7fc0, v3, vcc_lo
.LBB35_484:
	s_mov_b32 s28, 0
	s_mov_b32 s27, -1
.LBB35_485:
	s_and_not1_b32 vcc_lo, exec_lo, s28
	s_cbranch_vccnz .LBB35_498
; %bb.486:
	s_cmp_gt_i32 s0, 14
	s_cbranch_scc0 .LBB35_489
; %bb.487:
	s_cmp_eq_u32 s0, 15
	s_cbranch_scc0 .LBB35_492
; %bb.488:
	s_wait_loadcnt 0x0
	global_load_u16 v1, v[4:5], off
	s_mov_b32 s27, -1
	s_mov_b32 s26, 0
	s_branch .LBB35_493
.LBB35_489:
	s_mov_b32 s28, -1
                                        ; implicit-def: $vgpr1
	s_branch .LBB35_494
.LBB35_490:
	s_or_saveexec_b32 s28, s28
	v_mov_b32_e32 v3, 0x7f800001
	s_xor_b32 exec_lo, exec_lo, s28
	s_cbranch_execz .LBB35_471
.LBB35_491:
	v_cmp_ne_u16_e32 vcc_lo, 0, v1
	v_mov_b32_e32 v3, 0
	s_and_not1_b32 s27, s27, exec_lo
	s_and_b32 s29, vcc_lo, exec_lo
	s_delay_alu instid0(SALU_CYCLE_1)
	s_or_b32 s27, s27, s29
	s_or_b32 exec_lo, exec_lo, s28
	s_and_saveexec_b32 s28, s27
	s_cbranch_execnz .LBB35_472
	s_branch .LBB35_473
.LBB35_492:
	s_mov_b32 s26, -1
                                        ; implicit-def: $vgpr1
.LBB35_493:
	s_mov_b32 s28, 0
.LBB35_494:
	s_delay_alu instid0(SALU_CYCLE_1)
	s_and_b32 vcc_lo, exec_lo, s28
	s_cbranch_vccz .LBB35_498
; %bb.495:
	s_cmp_eq_u32 s0, 11
	s_cbranch_scc0 .LBB35_497
; %bb.496:
	s_wait_loadcnt 0x0
	global_load_u8 v1, v[4:5], off
	s_mov_b32 s26, 0
	s_mov_b32 s27, -1
	s_wait_loadcnt 0x0
	v_cmp_ne_u16_e32 vcc_lo, 0, v1
	v_cndmask_b32_e64 v1, 0, 1.0, vcc_lo
	s_delay_alu instid0(VALU_DEP_1)
	v_lshrrev_b32_e32 v1, 16, v1
	s_branch .LBB35_498
.LBB35_497:
	s_mov_b32 s26, -1
                                        ; implicit-def: $vgpr1
.LBB35_498:
	s_branch .LBB35_298
.LBB35_499:
	s_cmp_lt_i32 s0, 5
	s_cbranch_scc1 .LBB35_504
; %bb.500:
	s_cmp_lt_i32 s0, 8
	s_cbranch_scc1 .LBB35_505
; %bb.501:
	;; [unrolled: 3-line block ×3, first 2 shown]
	s_cmp_gt_i32 s0, 9
	s_cbranch_scc0 .LBB35_507
; %bb.503:
	global_load_b64 v[6:7], v[4:5], off
	s_mov_b32 s27, 0
	s_wait_loadcnt 0x0
	v_cvt_f32_f64_e32 v1, v[6:7]
	s_delay_alu instid0(VALU_DEP_1) | instskip(SKIP_1) | instid1(VALU_DEP_2)
	v_bfe_u32 v3, v1, 16, 1
	v_cmp_o_f32_e32 vcc_lo, v1, v1
	v_add3_u32 v3, v1, v3, 0x7fff
	s_delay_alu instid0(VALU_DEP_1) | instskip(NEXT) | instid1(VALU_DEP_1)
	v_lshrrev_b32_e32 v3, 16, v3
	v_cndmask_b32_e32 v1, 0x7fc0, v3, vcc_lo
	s_branch .LBB35_508
.LBB35_504:
	s_mov_b32 s27, -1
                                        ; implicit-def: $vgpr1
	s_branch .LBB35_526
.LBB35_505:
	s_mov_b32 s27, -1
                                        ; implicit-def: $vgpr1
	s_branch .LBB35_514
.LBB35_506:
	s_mov_b32 s27, -1
                                        ; implicit-def: $vgpr1
	s_branch .LBB35_511
.LBB35_507:
	s_mov_b32 s27, -1
                                        ; implicit-def: $vgpr1
.LBB35_508:
	s_delay_alu instid0(SALU_CYCLE_1)
	s_and_not1_b32 vcc_lo, exec_lo, s27
	s_cbranch_vccnz .LBB35_510
; %bb.509:
	s_wait_loadcnt 0x0
	global_load_b32 v1, v[4:5], off
	s_wait_loadcnt 0x0
	v_bfe_u32 v3, v1, 16, 1
	v_cmp_o_f32_e32 vcc_lo, v1, v1
	s_delay_alu instid0(VALU_DEP_2) | instskip(NEXT) | instid1(VALU_DEP_1)
	v_add3_u32 v3, v1, v3, 0x7fff
	v_lshrrev_b32_e32 v3, 16, v3
	s_delay_alu instid0(VALU_DEP_1)
	v_cndmask_b32_e32 v1, 0x7fc0, v3, vcc_lo
.LBB35_510:
	s_mov_b32 s27, 0
.LBB35_511:
	s_delay_alu instid0(SALU_CYCLE_1)
	s_and_not1_b32 vcc_lo, exec_lo, s27
	s_cbranch_vccnz .LBB35_513
; %bb.512:
	s_wait_loadcnt 0x0
	global_load_b32 v1, v[4:5], off
	s_wait_loadcnt 0x0
	v_cvt_f32_f16_e32 v3, v1
	v_cmp_o_f16_e32 vcc_lo, v1, v1
	s_delay_alu instid0(VALU_DEP_2) | instskip(NEXT) | instid1(VALU_DEP_1)
	v_bfe_u32 v6, v3, 16, 1
	v_add3_u32 v3, v3, v6, 0x7fff
	s_delay_alu instid0(VALU_DEP_1) | instskip(NEXT) | instid1(VALU_DEP_1)
	v_lshrrev_b32_e32 v3, 16, v3
	v_cndmask_b32_e32 v1, 0x7fc0, v3, vcc_lo
.LBB35_513:
	s_mov_b32 s27, 0
.LBB35_514:
	s_delay_alu instid0(SALU_CYCLE_1)
	s_and_not1_b32 vcc_lo, exec_lo, s27
	s_cbranch_vccnz .LBB35_525
; %bb.515:
	s_cmp_lt_i32 s0, 6
	s_cbranch_scc1 .LBB35_518
; %bb.516:
	s_cmp_gt_i32 s0, 6
	s_cbranch_scc0 .LBB35_519
; %bb.517:
	global_load_b64 v[6:7], v[4:5], off
	s_mov_b32 s27, 0
	s_wait_loadcnt 0x0
	v_cvt_f32_f64_e32 v1, v[6:7]
	s_delay_alu instid0(VALU_DEP_1) | instskip(SKIP_1) | instid1(VALU_DEP_2)
	v_bfe_u32 v3, v1, 16, 1
	v_cmp_o_f32_e32 vcc_lo, v1, v1
	v_add3_u32 v3, v1, v3, 0x7fff
	s_delay_alu instid0(VALU_DEP_1) | instskip(NEXT) | instid1(VALU_DEP_1)
	v_lshrrev_b32_e32 v3, 16, v3
	v_cndmask_b32_e32 v1, 0x7fc0, v3, vcc_lo
	s_branch .LBB35_520
.LBB35_518:
	s_mov_b32 s27, -1
                                        ; implicit-def: $vgpr1
	s_branch .LBB35_523
.LBB35_519:
	s_mov_b32 s27, -1
                                        ; implicit-def: $vgpr1
.LBB35_520:
	s_delay_alu instid0(SALU_CYCLE_1)
	s_and_not1_b32 vcc_lo, exec_lo, s27
	s_cbranch_vccnz .LBB35_522
; %bb.521:
	s_wait_loadcnt 0x0
	global_load_b32 v1, v[4:5], off
	s_wait_loadcnt 0x0
	v_bfe_u32 v3, v1, 16, 1
	v_cmp_o_f32_e32 vcc_lo, v1, v1
	s_delay_alu instid0(VALU_DEP_2) | instskip(NEXT) | instid1(VALU_DEP_1)
	v_add3_u32 v3, v1, v3, 0x7fff
	v_lshrrev_b32_e32 v3, 16, v3
	s_delay_alu instid0(VALU_DEP_1)
	v_cndmask_b32_e32 v1, 0x7fc0, v3, vcc_lo
.LBB35_522:
	s_mov_b32 s27, 0
.LBB35_523:
	s_delay_alu instid0(SALU_CYCLE_1)
	s_and_not1_b32 vcc_lo, exec_lo, s27
	s_cbranch_vccnz .LBB35_525
; %bb.524:
	s_wait_loadcnt 0x0
	global_load_u16 v1, v[4:5], off
	s_wait_loadcnt 0x0
	v_cvt_f32_f16_e32 v3, v1
	v_cmp_o_f16_e32 vcc_lo, v1, v1
	s_delay_alu instid0(VALU_DEP_2) | instskip(NEXT) | instid1(VALU_DEP_1)
	v_bfe_u32 v6, v3, 16, 1
	v_add3_u32 v3, v3, v6, 0x7fff
	s_delay_alu instid0(VALU_DEP_1) | instskip(NEXT) | instid1(VALU_DEP_1)
	v_lshrrev_b32_e32 v3, 16, v3
	v_cndmask_b32_e32 v1, 0x7fc0, v3, vcc_lo
.LBB35_525:
	s_mov_b32 s27, 0
.LBB35_526:
	s_delay_alu instid0(SALU_CYCLE_1)
	s_and_not1_b32 vcc_lo, exec_lo, s27
	s_cbranch_vccnz .LBB35_546
; %bb.527:
	s_cmp_lt_i32 s0, 2
	s_cbranch_scc1 .LBB35_531
; %bb.528:
	s_cmp_lt_i32 s0, 3
	s_cbranch_scc1 .LBB35_532
; %bb.529:
	s_cmp_gt_i32 s0, 3
	s_cbranch_scc0 .LBB35_533
; %bb.530:
	global_load_b64 v[6:7], v[4:5], off
	s_mov_b32 s27, 0
	s_wait_loadcnt 0x0
	v_xor_b32_e32 v1, v6, v7
	v_cls_i32_e32 v3, v7
	s_delay_alu instid0(VALU_DEP_2) | instskip(NEXT) | instid1(VALU_DEP_1)
	v_ashrrev_i32_e32 v1, 31, v1
	v_add_nc_u32_e32 v1, 32, v1
	s_delay_alu instid0(VALU_DEP_1) | instskip(NEXT) | instid1(VALU_DEP_1)
	v_add_min_u32_e64 v1, v3, -1, v1
	v_lshlrev_b64_e32 v[6:7], v1, v[6:7]
	v_sub_nc_u32_e32 v1, 32, v1
	s_delay_alu instid0(VALU_DEP_2) | instskip(NEXT) | instid1(VALU_DEP_1)
	v_min_u32_e32 v3, 1, v6
	v_or_b32_e32 v3, v7, v3
	s_delay_alu instid0(VALU_DEP_1) | instskip(NEXT) | instid1(VALU_DEP_1)
	v_cvt_f32_i32_e32 v3, v3
	v_ldexp_f32 v1, v3, v1
	s_delay_alu instid0(VALU_DEP_1) | instskip(NEXT) | instid1(VALU_DEP_1)
	v_bfe_u32 v3, v1, 16, 1
	v_add3_u32 v1, v1, v3, 0x7fff
	s_delay_alu instid0(VALU_DEP_1)
	v_lshrrev_b32_e32 v1, 16, v1
	s_branch .LBB35_534
.LBB35_531:
	s_mov_b32 s27, -1
                                        ; implicit-def: $vgpr1
	s_branch .LBB35_540
.LBB35_532:
	s_mov_b32 s27, -1
                                        ; implicit-def: $vgpr1
	s_branch .LBB35_537
.LBB35_533:
	s_mov_b32 s27, -1
                                        ; implicit-def: $vgpr1
.LBB35_534:
	s_delay_alu instid0(SALU_CYCLE_1)
	s_and_not1_b32 vcc_lo, exec_lo, s27
	s_cbranch_vccnz .LBB35_536
; %bb.535:
	s_wait_loadcnt 0x0
	global_load_b32 v1, v[4:5], off
	s_wait_loadcnt 0x0
	v_cvt_f32_i32_e32 v1, v1
	s_delay_alu instid0(VALU_DEP_1) | instskip(NEXT) | instid1(VALU_DEP_1)
	v_bfe_u32 v3, v1, 16, 1
	v_add3_u32 v1, v1, v3, 0x7fff
	s_delay_alu instid0(VALU_DEP_1)
	v_lshrrev_b32_e32 v1, 16, v1
.LBB35_536:
	s_mov_b32 s27, 0
.LBB35_537:
	s_delay_alu instid0(SALU_CYCLE_1)
	s_and_not1_b32 vcc_lo, exec_lo, s27
	s_cbranch_vccnz .LBB35_539
; %bb.538:
	s_wait_loadcnt 0x0
	global_load_i16 v1, v[4:5], off
	s_wait_loadcnt 0x0
	v_cvt_f32_i32_e32 v1, v1
	s_delay_alu instid0(VALU_DEP_1) | instskip(NEXT) | instid1(VALU_DEP_1)
	v_bfe_u32 v3, v1, 16, 1
	v_add3_u32 v1, v1, v3, 0x7fff
	s_delay_alu instid0(VALU_DEP_1)
	v_lshrrev_b32_e32 v1, 16, v1
.LBB35_539:
	s_mov_b32 s27, 0
.LBB35_540:
	s_delay_alu instid0(SALU_CYCLE_1)
	s_and_not1_b32 vcc_lo, exec_lo, s27
	s_cbranch_vccnz .LBB35_546
; %bb.541:
	s_cmp_gt_i32 s0, 0
	s_mov_b32 s0, 0
	s_cbranch_scc0 .LBB35_543
; %bb.542:
	s_wait_loadcnt 0x0
	global_load_i8 v1, v[4:5], off
	s_wait_loadcnt 0x0
	v_cvt_f32_i32_e32 v1, v1
	s_delay_alu instid0(VALU_DEP_1) | instskip(NEXT) | instid1(VALU_DEP_1)
	v_bfe_u32 v3, v1, 16, 1
	v_add3_u32 v1, v1, v3, 0x7fff
	s_delay_alu instid0(VALU_DEP_1)
	v_lshrrev_b32_e32 v1, 16, v1
	s_branch .LBB35_544
.LBB35_543:
	s_mov_b32 s0, -1
                                        ; implicit-def: $vgpr1
.LBB35_544:
	s_delay_alu instid0(SALU_CYCLE_1)
	s_and_not1_b32 vcc_lo, exec_lo, s0
	s_cbranch_vccnz .LBB35_546
; %bb.545:
	s_wait_loadcnt 0x0
	global_load_u8 v1, v[4:5], off
	s_wait_loadcnt 0x0
	v_cvt_f32_ubyte0_e32 v1, v1
	s_delay_alu instid0(VALU_DEP_1) | instskip(NEXT) | instid1(VALU_DEP_1)
	v_bfe_u32 v3, v1, 16, 1
	v_add3_u32 v1, v1, v3, 0x7fff
	s_delay_alu instid0(VALU_DEP_1)
	v_lshrrev_b32_e32 v1, 16, v1
.LBB35_546:
	s_branch .LBB35_299
.LBB35_547:
	s_mov_b32 s27, 0
	s_mov_b32 s0, s41
.LBB35_548:
                                        ; implicit-def: $vgpr0
.LBB35_549:
	s_and_not1_b32 s28, s41, exec_lo
	s_and_b32 s0, s0, exec_lo
	s_and_not1_b32 s29, s42, exec_lo
	s_and_b32 s26, s26, exec_lo
	s_or_b32 s45, s28, s0
	s_or_b32 s44, s29, s26
	s_or_not1_b32 s0, s27, exec_lo
.LBB35_550:
	s_wait_xcnt 0x0
	s_or_b32 exec_lo, exec_lo, s46
	s_mov_b32 s27, 0
	s_mov_b32 s26, 0
	;; [unrolled: 1-line block ×3, first 2 shown]
                                        ; implicit-def: $vgpr4_vgpr5
                                        ; implicit-def: $vgpr2
                                        ; implicit-def: $vgpr6
	s_and_saveexec_b32 s46, s0
	s_cbranch_execz .LBB35_933
; %bb.551:
	s_mov_b32 s29, -1
	s_mov_b32 s0, s44
	s_mov_b32 s30, s45
	s_mov_b32 s47, exec_lo
	v_cmpx_gt_i32_e64 s38, v0
	s_cbranch_execz .LBB35_830
; %bb.552:
	s_and_not1_b32 vcc_lo, exec_lo, s35
	s_cbranch_vccnz .LBB35_558
; %bb.553:
	s_and_not1_b32 vcc_lo, exec_lo, s40
	s_cbranch_vccnz .LBB35_559
; %bb.554:
	s_add_co_i32 s0, s39, 1
	s_cmp_eq_u32 s33, 2
	s_cbranch_scc1 .LBB35_560
; %bb.555:
	v_dual_mov_b32 v2, 0 :: v_dual_mov_b32 v4, 0
	s_wait_loadcnt 0x0
	v_mov_b32_e32 v1, v0
	s_and_b32 s26, s0, 28
	s_mov_b64 s[28:29], s[2:3]
	s_mov_b64 s[30:31], s[24:25]
.LBB35_556:                             ; =>This Inner Loop Header: Depth=1
	s_clause 0x1
	s_load_b256 s[48:55], s[28:29], 0x4
	s_load_b128 s[64:67], s[28:29], 0x24
	s_load_b256 s[56:63], s[30:31], 0x0
	s_add_co_i32 s27, s27, 4
	s_wait_xcnt 0x0
	s_add_nc_u64 s[28:29], s[28:29], 48
	s_cmp_eq_u32 s26, s27
	s_add_nc_u64 s[30:31], s[30:31], 32
	s_wait_kmcnt 0x0
	v_mul_hi_u32 v3, s49, v1
	s_delay_alu instid0(VALU_DEP_1) | instskip(NEXT) | instid1(VALU_DEP_1)
	v_add_nc_u32_e32 v3, v1, v3
	v_lshrrev_b32_e32 v3, s50, v3
	s_delay_alu instid0(VALU_DEP_1) | instskip(NEXT) | instid1(VALU_DEP_1)
	v_mul_hi_u32 v5, s52, v3
	v_add_nc_u32_e32 v5, v3, v5
	s_delay_alu instid0(VALU_DEP_1) | instskip(NEXT) | instid1(VALU_DEP_1)
	v_lshrrev_b32_e32 v5, s53, v5
	v_mul_hi_u32 v6, s55, v5
	s_delay_alu instid0(VALU_DEP_1) | instskip(SKIP_1) | instid1(VALU_DEP_1)
	v_add_nc_u32_e32 v6, v5, v6
	v_mul_lo_u32 v7, v3, s48
	v_sub_nc_u32_e32 v1, v1, v7
	v_mul_lo_u32 v7, v5, s51
	s_delay_alu instid0(VALU_DEP_4) | instskip(NEXT) | instid1(VALU_DEP_3)
	v_lshrrev_b32_e32 v6, s64, v6
	v_mad_u32 v4, v1, s57, v4
	v_mad_u32 v1, v1, s56, v2
	s_delay_alu instid0(VALU_DEP_4) | instskip(NEXT) | instid1(VALU_DEP_4)
	v_sub_nc_u32_e32 v2, v3, v7
	v_mul_hi_u32 v8, s66, v6
	v_mul_lo_u32 v3, v6, s54
	s_delay_alu instid0(VALU_DEP_3) | instskip(SKIP_1) | instid1(VALU_DEP_3)
	v_mad_u32 v4, v2, s59, v4
	v_mad_u32 v2, v2, s58, v1
	v_dual_add_nc_u32 v7, v6, v8 :: v_dual_sub_nc_u32 v3, v5, v3
	s_delay_alu instid0(VALU_DEP_1) | instskip(NEXT) | instid1(VALU_DEP_2)
	v_lshrrev_b32_e32 v1, s67, v7
	v_mad_u32 v4, v3, s61, v4
	s_delay_alu instid0(VALU_DEP_4) | instskip(NEXT) | instid1(VALU_DEP_3)
	v_mad_u32 v2, v3, s60, v2
	v_mul_lo_u32 v5, v1, s65
	s_delay_alu instid0(VALU_DEP_1) | instskip(NEXT) | instid1(VALU_DEP_1)
	v_sub_nc_u32_e32 v3, v6, v5
	v_mad_u32 v4, v3, s63, v4
	s_delay_alu instid0(VALU_DEP_4)
	v_mad_u32 v2, v3, s62, v2
	s_cbranch_scc0 .LBB35_556
; %bb.557:
	s_delay_alu instid0(VALU_DEP_2)
	v_mov_b32_e32 v3, v4
	s_branch .LBB35_561
.LBB35_558:
	s_mov_b32 s0, -1
                                        ; implicit-def: $vgpr4
                                        ; implicit-def: $vgpr2
	s_branch .LBB35_566
.LBB35_559:
	v_dual_mov_b32 v4, 0 :: v_dual_mov_b32 v2, 0
	s_branch .LBB35_565
.LBB35_560:
	v_mov_b64_e32 v[2:3], 0
	s_wait_loadcnt 0x0
	v_mov_b32_e32 v1, v0
                                        ; implicit-def: $vgpr4
.LBB35_561:
	s_and_b32 s0, s0, 3
	s_mov_b32 s27, 0
	s_cmp_eq_u32 s0, 0
	s_cbranch_scc1 .LBB35_565
; %bb.562:
	s_lshl_b32 s28, s26, 3
	s_mov_b32 s29, s27
	s_mul_u64 s[30:31], s[26:27], 12
	s_add_nc_u64 s[28:29], s[2:3], s[28:29]
	s_delay_alu instid0(SALU_CYCLE_1)
	s_add_nc_u64 s[26:27], s[28:29], 0xc4
	s_add_nc_u64 s[28:29], s[2:3], s[30:31]
.LBB35_563:                             ; =>This Inner Loop Header: Depth=1
	s_load_b96 s[48:50], s[28:29], 0x4
	s_load_b64 s[30:31], s[26:27], 0x0
	s_add_co_i32 s0, s0, -1
	s_wait_xcnt 0x0
	s_add_nc_u64 s[28:29], s[28:29], 12
	s_cmp_lg_u32 s0, 0
	s_add_nc_u64 s[26:27], s[26:27], 8
	s_wait_kmcnt 0x0
	v_mul_hi_u32 v4, s49, v1
	s_delay_alu instid0(VALU_DEP_1) | instskip(NEXT) | instid1(VALU_DEP_1)
	v_add_nc_u32_e32 v4, v1, v4
	v_lshrrev_b32_e32 v4, s50, v4
	s_delay_alu instid0(VALU_DEP_1) | instskip(NEXT) | instid1(VALU_DEP_1)
	v_mul_lo_u32 v5, v4, s48
	v_sub_nc_u32_e32 v1, v1, v5
	s_delay_alu instid0(VALU_DEP_1)
	v_mad_u32 v3, v1, s31, v3
	v_mad_u32 v2, v1, s30, v2
	v_mov_b32_e32 v1, v4
	s_cbranch_scc1 .LBB35_563
; %bb.564:
	s_delay_alu instid0(VALU_DEP_3)
	v_mov_b32_e32 v4, v3
.LBB35_565:
	s_mov_b32 s0, 0
.LBB35_566:
	s_delay_alu instid0(SALU_CYCLE_1)
	s_and_not1_b32 vcc_lo, exec_lo, s0
	s_cbranch_vccnz .LBB35_569
; %bb.567:
	s_wait_loadcnt 0x0
	v_mov_b32_e32 v1, 0
	s_and_not1_b32 vcc_lo, exec_lo, s37
	s_delay_alu instid0(VALU_DEP_1) | instskip(NEXT) | instid1(VALU_DEP_1)
	v_mul_u64_e32 v[2:3], s[20:21], v[0:1]
	v_add_nc_u32_e32 v2, v0, v3
	s_delay_alu instid0(VALU_DEP_1) | instskip(NEXT) | instid1(VALU_DEP_1)
	v_lshrrev_b32_e32 v6, s10, v2
	v_mul_lo_u32 v2, v6, s8
	s_delay_alu instid0(VALU_DEP_1) | instskip(NEXT) | instid1(VALU_DEP_1)
	v_sub_nc_u32_e32 v2, v0, v2
	v_mul_lo_u32 v4, v2, s13
	v_mul_lo_u32 v2, v2, s12
	s_cbranch_vccnz .LBB35_569
; %bb.568:
	v_mov_b32_e32 v7, v1
	s_delay_alu instid0(VALU_DEP_1) | instskip(NEXT) | instid1(VALU_DEP_1)
	v_mul_u64_e32 v[8:9], s[22:23], v[6:7]
	v_add_nc_u32_e32 v1, v6, v9
	s_delay_alu instid0(VALU_DEP_1) | instskip(NEXT) | instid1(VALU_DEP_1)
	v_lshrrev_b32_e32 v1, s1, v1
	v_mul_lo_u32 v1, v1, s11
	s_delay_alu instid0(VALU_DEP_1) | instskip(NEXT) | instid1(VALU_DEP_1)
	v_sub_nc_u32_e32 v1, v6, v1
	v_mad_u32 v2, v1, s14, v2
	v_mad_u32 v4, v1, s15, v4
.LBB35_569:
	v_mov_b32_e32 v5, 0
	s_and_b32 s0, 0xffff, s9
	s_delay_alu instid0(SALU_CYCLE_1) | instskip(NEXT) | instid1(VALU_DEP_1)
	s_cmp_lt_i32 s0, 11
	v_add_nc_u64_e32 v[4:5], s[6:7], v[4:5]
	s_cbranch_scc1 .LBB35_576
; %bb.570:
	s_cmp_gt_i32 s0, 25
	s_cbranch_scc0 .LBB35_577
; %bb.571:
	s_cmp_gt_i32 s0, 28
	s_cbranch_scc0 .LBB35_578
	;; [unrolled: 3-line block ×4, first 2 shown]
; %bb.574:
	s_cmp_eq_u32 s0, 46
	s_mov_b32 s28, 0
	s_cbranch_scc0 .LBB35_585
; %bb.575:
	s_wait_loadcnt 0x0
	global_load_b32 v1, v[4:5], off
	s_mov_b32 s27, -1
	s_mov_b32 s26, 0
	s_branch .LBB35_587
.LBB35_576:
	s_mov_b32 s28, -1
	s_mov_b32 s27, 0
	s_mov_b32 s26, s44
                                        ; implicit-def: $vgpr1
	s_branch .LBB35_652
.LBB35_577:
	s_mov_b32 s28, -1
	s_mov_b32 s27, 0
	s_mov_b32 s26, s44
                                        ; implicit-def: $vgpr1
	s_branch .LBB35_616
.LBB35_578:
	s_mov_b32 s28, -1
	s_mov_b32 s27, 0
	s_mov_b32 s26, s44
                                        ; implicit-def: $vgpr1
	s_branch .LBB35_597
.LBB35_579:
	s_mov_b32 s28, -1
	s_mov_b32 s27, 0
	s_mov_b32 s26, s44
                                        ; implicit-def: $vgpr1
	s_branch .LBB35_592
.LBB35_580:
	s_and_not1_saveexec_b32 s31, s31
	s_cbranch_execz .LBB35_347
.LBB35_581:
	v_add_f32_e64 v5, 0x46000000, |v6|
	s_and_not1_b32 s30, s30, exec_lo
	s_delay_alu instid0(VALU_DEP_1) | instskip(NEXT) | instid1(VALU_DEP_1)
	v_and_b32_e32 v5, 0xff, v5
	v_cmp_ne_u32_e32 vcc_lo, 0, v5
	s_and_b32 s44, vcc_lo, exec_lo
	s_delay_alu instid0(SALU_CYCLE_1)
	s_or_b32 s30, s30, s44
	s_or_b32 exec_lo, exec_lo, s31
	v_mov_b32_e32 v7, 0
	s_and_saveexec_b32 s31, s30
	s_cbranch_execnz .LBB35_348
	s_branch .LBB35_349
.LBB35_582:
	s_mov_b32 s28, -1
	s_mov_b32 s27, 0
	s_mov_b32 s26, s44
	s_branch .LBB35_586
.LBB35_583:
	s_and_not1_saveexec_b32 s31, s31
	s_cbranch_execz .LBB35_360
.LBB35_584:
	v_add_f32_e64 v5, 0x42800000, |v6|
	s_and_not1_b32 s30, s30, exec_lo
	s_delay_alu instid0(VALU_DEP_1) | instskip(NEXT) | instid1(VALU_DEP_1)
	v_and_b32_e32 v5, 0xff, v5
	v_cmp_ne_u32_e32 vcc_lo, 0, v5
	s_and_b32 s44, vcc_lo, exec_lo
	s_delay_alu instid0(SALU_CYCLE_1)
	s_or_b32 s30, s30, s44
	s_or_b32 exec_lo, exec_lo, s31
	v_mov_b32_e32 v7, 0
	s_and_saveexec_b32 s31, s30
	s_cbranch_execnz .LBB35_361
	s_branch .LBB35_362
.LBB35_585:
	s_mov_b32 s26, -1
	s_mov_b32 s27, 0
.LBB35_586:
                                        ; implicit-def: $vgpr1
.LBB35_587:
	s_and_b32 vcc_lo, exec_lo, s28
	s_cbranch_vccz .LBB35_591
; %bb.588:
	s_cmp_eq_u32 s0, 44
	s_cbranch_scc0 .LBB35_590
; %bb.589:
	s_wait_loadcnt 0x0
	global_load_u8 v1, v[4:5], off
	s_mov_b32 s26, 0
	s_mov_b32 s27, -1
	s_wait_loadcnt 0x0
	v_lshlrev_b32_e32 v3, 23, v1
	v_cmp_ne_u32_e32 vcc_lo, 0xff, v1
	s_delay_alu instid0(VALU_DEP_2) | instskip(SKIP_1) | instid1(VALU_DEP_2)
	v_cndmask_b32_e32 v3, 0x7f800001, v3, vcc_lo
	v_cmp_ne_u32_e32 vcc_lo, 0, v1
	v_cndmask_b32_e32 v1, 0x400000, v3, vcc_lo
	s_delay_alu instid0(VALU_DEP_1) | instskip(SKIP_1) | instid1(VALU_DEP_2)
	v_add_nc_u32_e32 v3, 0x7fff, v1
	v_cmp_o_f32_e32 vcc_lo, v1, v1
	v_lshrrev_b32_e32 v3, 16, v3
	s_delay_alu instid0(VALU_DEP_1)
	v_cndmask_b32_e32 v1, 0x7fc0, v3, vcc_lo
	s_branch .LBB35_591
.LBB35_590:
	s_mov_b32 s26, -1
                                        ; implicit-def: $vgpr1
.LBB35_591:
	s_mov_b32 s28, 0
.LBB35_592:
	s_delay_alu instid0(SALU_CYCLE_1)
	s_and_b32 vcc_lo, exec_lo, s28
	s_cbranch_vccz .LBB35_596
; %bb.593:
	s_cmp_eq_u32 s0, 29
	s_cbranch_scc0 .LBB35_595
; %bb.594:
	global_load_b64 v[6:7], v[4:5], off
	s_mov_b32 s27, -1
	s_mov_b32 s26, 0
	s_mov_b32 s28, 0
	s_wait_loadcnt 0x0
	v_clz_i32_u32_e32 v1, v7
	s_delay_alu instid0(VALU_DEP_1) | instskip(NEXT) | instid1(VALU_DEP_1)
	v_min_u32_e32 v1, 32, v1
	v_lshlrev_b64_e32 v[6:7], v1, v[6:7]
	v_sub_nc_u32_e32 v1, 32, v1
	s_delay_alu instid0(VALU_DEP_2) | instskip(NEXT) | instid1(VALU_DEP_1)
	v_min_u32_e32 v3, 1, v6
	v_or_b32_e32 v3, v7, v3
	s_delay_alu instid0(VALU_DEP_1) | instskip(NEXT) | instid1(VALU_DEP_1)
	v_cvt_f32_u32_e32 v3, v3
	v_ldexp_f32 v1, v3, v1
	s_delay_alu instid0(VALU_DEP_1) | instskip(NEXT) | instid1(VALU_DEP_1)
	v_bfe_u32 v3, v1, 16, 1
	v_add3_u32 v1, v1, v3, 0x7fff
	s_delay_alu instid0(VALU_DEP_1)
	v_lshrrev_b32_e32 v1, 16, v1
	s_branch .LBB35_597
.LBB35_595:
	s_mov_b32 s26, -1
                                        ; implicit-def: $vgpr1
.LBB35_596:
	s_mov_b32 s28, 0
.LBB35_597:
	s_delay_alu instid0(SALU_CYCLE_1)
	s_and_b32 vcc_lo, exec_lo, s28
	s_cbranch_vccz .LBB35_615
; %bb.598:
	s_cmp_lt_i32 s0, 27
	s_cbranch_scc1 .LBB35_601
; %bb.599:
	s_cmp_gt_i32 s0, 27
	s_cbranch_scc0 .LBB35_602
; %bb.600:
	s_wait_loadcnt 0x0
	global_load_b32 v1, v[4:5], off
	s_mov_b32 s27, 0
	s_wait_loadcnt 0x0
	v_cvt_f32_u32_e32 v1, v1
	s_delay_alu instid0(VALU_DEP_1) | instskip(NEXT) | instid1(VALU_DEP_1)
	v_bfe_u32 v3, v1, 16, 1
	v_add3_u32 v1, v1, v3, 0x7fff
	s_delay_alu instid0(VALU_DEP_1)
	v_lshrrev_b32_e32 v1, 16, v1
	s_branch .LBB35_603
.LBB35_601:
	s_mov_b32 s27, -1
                                        ; implicit-def: $vgpr1
	s_branch .LBB35_606
.LBB35_602:
	s_mov_b32 s27, -1
                                        ; implicit-def: $vgpr1
.LBB35_603:
	s_delay_alu instid0(SALU_CYCLE_1)
	s_and_not1_b32 vcc_lo, exec_lo, s27
	s_cbranch_vccnz .LBB35_605
; %bb.604:
	s_wait_loadcnt 0x0
	global_load_u16 v1, v[4:5], off
	s_wait_loadcnt 0x0
	v_cvt_f32_u32_e32 v1, v1
	s_delay_alu instid0(VALU_DEP_1) | instskip(NEXT) | instid1(VALU_DEP_1)
	v_bfe_u32 v3, v1, 16, 1
	v_add3_u32 v1, v1, v3, 0x7fff
	s_delay_alu instid0(VALU_DEP_1)
	v_lshrrev_b32_e32 v1, 16, v1
.LBB35_605:
	s_mov_b32 s27, 0
.LBB35_606:
	s_delay_alu instid0(SALU_CYCLE_1)
	s_and_not1_b32 vcc_lo, exec_lo, s27
	s_cbranch_vccnz .LBB35_614
; %bb.607:
	s_wait_loadcnt 0x0
	global_load_u8 v1, v[4:5], off
	s_mov_b32 s27, 0
	s_mov_b32 s28, exec_lo
	s_wait_loadcnt 0x0
	v_cmpx_lt_i16_e32 0x7f, v1
	s_xor_b32 s28, exec_lo, s28
	s_cbranch_execz .LBB35_628
; %bb.608:
	s_mov_b32 s27, -1
	s_mov_b32 s29, exec_lo
	v_cmpx_eq_u16_e32 0x80, v1
; %bb.609:
	s_xor_b32 s27, exec_lo, -1
; %bb.610:
	s_or_b32 exec_lo, exec_lo, s29
	s_delay_alu instid0(SALU_CYCLE_1)
	s_and_b32 s27, s27, exec_lo
	s_or_saveexec_b32 s28, s28
	v_mov_b32_e32 v3, 0x7f800001
	s_xor_b32 exec_lo, exec_lo, s28
	s_cbranch_execnz .LBB35_629
.LBB35_611:
	s_or_b32 exec_lo, exec_lo, s28
	s_and_saveexec_b32 s28, s27
	s_cbranch_execz .LBB35_613
.LBB35_612:
	v_and_b32_e32 v3, 0xffff, v1
	s_delay_alu instid0(VALU_DEP_1) | instskip(SKIP_1) | instid1(VALU_DEP_2)
	v_dual_lshlrev_b32 v1, 24, v1 :: v_dual_bitop2_b32 v6, 7, v3 bitop3:0x40
	v_bfe_u32 v9, v3, 3, 4
	v_and_b32_e32 v1, 0x80000000, v1
	s_delay_alu instid0(VALU_DEP_3) | instskip(NEXT) | instid1(VALU_DEP_3)
	v_clz_i32_u32_e32 v7, v6
	v_cmp_eq_u32_e32 vcc_lo, 0, v9
	s_delay_alu instid0(VALU_DEP_2) | instskip(NEXT) | instid1(VALU_DEP_1)
	v_min_u32_e32 v7, 32, v7
	v_subrev_nc_u32_e32 v8, 28, v7
	v_sub_nc_u32_e32 v7, 29, v7
	s_delay_alu instid0(VALU_DEP_2) | instskip(NEXT) | instid1(VALU_DEP_2)
	v_lshlrev_b32_e32 v3, v8, v3
	v_cndmask_b32_e32 v7, v9, v7, vcc_lo
	s_delay_alu instid0(VALU_DEP_2) | instskip(NEXT) | instid1(VALU_DEP_1)
	v_and_b32_e32 v3, 7, v3
	v_cndmask_b32_e32 v3, v6, v3, vcc_lo
	s_delay_alu instid0(VALU_DEP_3) | instskip(NEXT) | instid1(VALU_DEP_2)
	v_lshl_add_u32 v6, v7, 23, 0x3b800000
	v_lshlrev_b32_e32 v3, 20, v3
	s_delay_alu instid0(VALU_DEP_1)
	v_or3_b32 v3, v1, v6, v3
.LBB35_613:
	s_or_b32 exec_lo, exec_lo, s28
	s_delay_alu instid0(VALU_DEP_1) | instskip(SKIP_1) | instid1(VALU_DEP_2)
	v_bfe_u32 v1, v3, 16, 1
	v_cmp_o_f32_e32 vcc_lo, v3, v3
	v_add3_u32 v1, v3, v1, 0x7fff
	s_delay_alu instid0(VALU_DEP_1) | instskip(NEXT) | instid1(VALU_DEP_1)
	v_lshrrev_b32_e32 v1, 16, v1
	v_cndmask_b32_e32 v1, 0x7fc0, v1, vcc_lo
.LBB35_614:
	s_mov_b32 s27, -1
.LBB35_615:
	s_mov_b32 s28, 0
.LBB35_616:
	s_delay_alu instid0(SALU_CYCLE_1)
	s_and_b32 vcc_lo, exec_lo, s28
	s_cbranch_vccz .LBB35_651
; %bb.617:
	s_cmp_gt_i32 s0, 22
	s_cbranch_scc0 .LBB35_627
; %bb.618:
	s_cmp_lt_i32 s0, 24
	s_cbranch_scc1 .LBB35_630
; %bb.619:
	s_cmp_gt_i32 s0, 24
	s_cbranch_scc0 .LBB35_631
; %bb.620:
	s_wait_loadcnt 0x0
	global_load_u8 v1, v[4:5], off
	s_mov_b32 s27, 0
	s_mov_b32 s28, exec_lo
	s_wait_loadcnt 0x0
	v_cmpx_lt_i16_e32 0x7f, v1
	s_xor_b32 s28, exec_lo, s28
	s_cbranch_execz .LBB35_643
; %bb.621:
	s_mov_b32 s27, -1
	s_mov_b32 s29, exec_lo
	v_cmpx_eq_u16_e32 0x80, v1
; %bb.622:
	s_xor_b32 s27, exec_lo, -1
; %bb.623:
	s_or_b32 exec_lo, exec_lo, s29
	s_delay_alu instid0(SALU_CYCLE_1)
	s_and_b32 s27, s27, exec_lo
	s_or_saveexec_b32 s28, s28
	v_mov_b32_e32 v3, 0x7f800001
	s_xor_b32 exec_lo, exec_lo, s28
	s_cbranch_execnz .LBB35_644
.LBB35_624:
	s_or_b32 exec_lo, exec_lo, s28
	s_and_saveexec_b32 s28, s27
	s_cbranch_execz .LBB35_626
.LBB35_625:
	v_and_b32_e32 v3, 0xffff, v1
	s_delay_alu instid0(VALU_DEP_1) | instskip(SKIP_1) | instid1(VALU_DEP_2)
	v_dual_lshlrev_b32 v1, 24, v1 :: v_dual_bitop2_b32 v6, 3, v3 bitop3:0x40
	v_bfe_u32 v9, v3, 2, 5
	v_and_b32_e32 v1, 0x80000000, v1
	s_delay_alu instid0(VALU_DEP_3) | instskip(NEXT) | instid1(VALU_DEP_3)
	v_clz_i32_u32_e32 v7, v6
	v_cmp_eq_u32_e32 vcc_lo, 0, v9
	s_delay_alu instid0(VALU_DEP_2) | instskip(NEXT) | instid1(VALU_DEP_1)
	v_min_u32_e32 v7, 32, v7
	v_subrev_nc_u32_e32 v8, 29, v7
	v_sub_nc_u32_e32 v7, 30, v7
	s_delay_alu instid0(VALU_DEP_2) | instskip(NEXT) | instid1(VALU_DEP_2)
	v_lshlrev_b32_e32 v3, v8, v3
	v_cndmask_b32_e32 v7, v9, v7, vcc_lo
	s_delay_alu instid0(VALU_DEP_2) | instskip(NEXT) | instid1(VALU_DEP_1)
	v_and_b32_e32 v3, 3, v3
	v_cndmask_b32_e32 v3, v6, v3, vcc_lo
	s_delay_alu instid0(VALU_DEP_3) | instskip(NEXT) | instid1(VALU_DEP_2)
	v_lshl_add_u32 v6, v7, 23, 0x37800000
	v_lshlrev_b32_e32 v3, 21, v3
	s_delay_alu instid0(VALU_DEP_1)
	v_or3_b32 v3, v1, v6, v3
.LBB35_626:
	s_or_b32 exec_lo, exec_lo, s28
	s_delay_alu instid0(VALU_DEP_1) | instskip(SKIP_2) | instid1(VALU_DEP_2)
	v_bfe_u32 v1, v3, 16, 1
	v_cmp_o_f32_e32 vcc_lo, v3, v3
	s_mov_b32 s27, 0
	v_add3_u32 v1, v3, v1, 0x7fff
	s_delay_alu instid0(VALU_DEP_1) | instskip(NEXT) | instid1(VALU_DEP_1)
	v_lshrrev_b32_e32 v1, 16, v1
	v_cndmask_b32_e32 v1, 0x7fc0, v1, vcc_lo
	s_branch .LBB35_632
.LBB35_627:
	s_mov_b32 s28, -1
                                        ; implicit-def: $vgpr1
	s_branch .LBB35_638
.LBB35_628:
	s_or_saveexec_b32 s28, s28
	v_mov_b32_e32 v3, 0x7f800001
	s_xor_b32 exec_lo, exec_lo, s28
	s_cbranch_execz .LBB35_611
.LBB35_629:
	v_cmp_ne_u16_e32 vcc_lo, 0, v1
	v_mov_b32_e32 v3, 0
	s_and_not1_b32 s27, s27, exec_lo
	s_and_b32 s29, vcc_lo, exec_lo
	s_delay_alu instid0(SALU_CYCLE_1)
	s_or_b32 s27, s27, s29
	s_or_b32 exec_lo, exec_lo, s28
	s_and_saveexec_b32 s28, s27
	s_cbranch_execnz .LBB35_612
	s_branch .LBB35_613
.LBB35_630:
	s_mov_b32 s27, -1
                                        ; implicit-def: $vgpr1
	s_branch .LBB35_635
.LBB35_631:
	s_mov_b32 s27, -1
                                        ; implicit-def: $vgpr1
.LBB35_632:
	s_delay_alu instid0(SALU_CYCLE_1)
	s_and_b32 vcc_lo, exec_lo, s27
	s_cbranch_vccz .LBB35_634
; %bb.633:
	s_wait_loadcnt 0x0
	global_load_u8 v1, v[4:5], off
	s_wait_loadcnt 0x0
	v_lshlrev_b32_e32 v1, 24, v1
	s_delay_alu instid0(VALU_DEP_1) | instskip(NEXT) | instid1(VALU_DEP_1)
	v_and_b32_e32 v3, 0x7f000000, v1
	v_clz_i32_u32_e32 v6, v3
	v_cmp_ne_u32_e32 vcc_lo, 0, v3
	v_add_nc_u32_e32 v8, 0x1000000, v3
	s_delay_alu instid0(VALU_DEP_3) | instskip(NEXT) | instid1(VALU_DEP_1)
	v_min_u32_e32 v6, 32, v6
	v_sub_nc_u32_e64 v6, v6, 4 clamp
	s_delay_alu instid0(VALU_DEP_1) | instskip(NEXT) | instid1(VALU_DEP_1)
	v_dual_lshlrev_b32 v7, v6, v3 :: v_dual_lshlrev_b32 v6, 23, v6
	v_lshrrev_b32_e32 v7, 4, v7
	s_delay_alu instid0(VALU_DEP_1) | instskip(NEXT) | instid1(VALU_DEP_1)
	v_dual_sub_nc_u32 v6, v7, v6 :: v_dual_ashrrev_i32 v7, 8, v8
	v_add_nc_u32_e32 v6, 0x3c000000, v6
	s_delay_alu instid0(VALU_DEP_1) | instskip(NEXT) | instid1(VALU_DEP_1)
	v_and_or_b32 v6, 0x7f800000, v7, v6
	v_cndmask_b32_e32 v3, 0, v6, vcc_lo
	s_delay_alu instid0(VALU_DEP_1) | instskip(SKIP_1) | instid1(VALU_DEP_2)
	v_and_or_b32 v1, 0x80000000, v1, v3
	v_bfe_u32 v3, v3, 16, 1
	v_cmp_o_f32_e32 vcc_lo, v1, v1
	s_delay_alu instid0(VALU_DEP_2) | instskip(NEXT) | instid1(VALU_DEP_1)
	v_add3_u32 v3, v1, v3, 0x7fff
	v_lshrrev_b32_e32 v3, 16, v3
	s_delay_alu instid0(VALU_DEP_1)
	v_cndmask_b32_e32 v1, 0x7fc0, v3, vcc_lo
.LBB35_634:
	s_mov_b32 s27, 0
.LBB35_635:
	s_delay_alu instid0(SALU_CYCLE_1)
	s_and_not1_b32 vcc_lo, exec_lo, s27
	s_cbranch_vccnz .LBB35_637
; %bb.636:
	s_wait_loadcnt 0x0
	global_load_u8 v1, v[4:5], off
	s_wait_loadcnt 0x0
	v_lshlrev_b32_e32 v3, 25, v1
	v_lshlrev_b16 v1, 8, v1
	s_delay_alu instid0(VALU_DEP_1) | instskip(SKIP_1) | instid1(VALU_DEP_2)
	v_and_or_b32 v7, 0x7f00, v1, 0.5
	v_bfe_i32 v1, v1, 0, 16
	v_add_f32_e32 v7, -0.5, v7
	v_lshrrev_b32_e32 v6, 4, v3
	v_cmp_gt_u32_e32 vcc_lo, 0x8000000, v3
	s_delay_alu instid0(VALU_DEP_2) | instskip(NEXT) | instid1(VALU_DEP_1)
	v_or_b32_e32 v6, 0x70000000, v6
	v_mul_f32_e32 v6, 0x7800000, v6
	s_delay_alu instid0(VALU_DEP_1) | instskip(NEXT) | instid1(VALU_DEP_1)
	v_cndmask_b32_e32 v3, v6, v7, vcc_lo
	v_and_or_b32 v1, 0x80000000, v1, v3
	v_bfe_u32 v3, v3, 16, 1
	s_delay_alu instid0(VALU_DEP_2) | instskip(NEXT) | instid1(VALU_DEP_2)
	v_cmp_o_f32_e32 vcc_lo, v1, v1
	v_add3_u32 v3, v1, v3, 0x7fff
	s_delay_alu instid0(VALU_DEP_1) | instskip(NEXT) | instid1(VALU_DEP_1)
	v_lshrrev_b32_e32 v3, 16, v3
	v_cndmask_b32_e32 v1, 0x7fc0, v3, vcc_lo
.LBB35_637:
	s_mov_b32 s28, 0
	s_mov_b32 s27, -1
.LBB35_638:
	s_and_not1_b32 vcc_lo, exec_lo, s28
	s_cbranch_vccnz .LBB35_651
; %bb.639:
	s_cmp_gt_i32 s0, 14
	s_cbranch_scc0 .LBB35_642
; %bb.640:
	s_cmp_eq_u32 s0, 15
	s_cbranch_scc0 .LBB35_645
; %bb.641:
	s_wait_loadcnt 0x0
	global_load_u16 v1, v[4:5], off
	s_mov_b32 s27, -1
	s_mov_b32 s26, 0
	s_branch .LBB35_646
.LBB35_642:
	s_mov_b32 s28, -1
                                        ; implicit-def: $vgpr1
	s_branch .LBB35_647
.LBB35_643:
	s_or_saveexec_b32 s28, s28
	v_mov_b32_e32 v3, 0x7f800001
	s_xor_b32 exec_lo, exec_lo, s28
	s_cbranch_execz .LBB35_624
.LBB35_644:
	v_cmp_ne_u16_e32 vcc_lo, 0, v1
	v_mov_b32_e32 v3, 0
	s_and_not1_b32 s27, s27, exec_lo
	s_and_b32 s29, vcc_lo, exec_lo
	s_delay_alu instid0(SALU_CYCLE_1)
	s_or_b32 s27, s27, s29
	s_or_b32 exec_lo, exec_lo, s28
	s_and_saveexec_b32 s28, s27
	s_cbranch_execnz .LBB35_625
	s_branch .LBB35_626
.LBB35_645:
	s_mov_b32 s26, -1
                                        ; implicit-def: $vgpr1
.LBB35_646:
	s_mov_b32 s28, 0
.LBB35_647:
	s_delay_alu instid0(SALU_CYCLE_1)
	s_and_b32 vcc_lo, exec_lo, s28
	s_cbranch_vccz .LBB35_651
; %bb.648:
	s_cmp_eq_u32 s0, 11
	s_cbranch_scc0 .LBB35_650
; %bb.649:
	s_wait_loadcnt 0x0
	global_load_u8 v1, v[4:5], off
	s_mov_b32 s26, 0
	s_mov_b32 s27, -1
	s_wait_loadcnt 0x0
	v_cmp_ne_u16_e32 vcc_lo, 0, v1
	v_cndmask_b32_e64 v1, 0, 1.0, vcc_lo
	s_delay_alu instid0(VALU_DEP_1)
	v_lshrrev_b32_e32 v1, 16, v1
	s_branch .LBB35_651
.LBB35_650:
	s_mov_b32 s26, -1
                                        ; implicit-def: $vgpr1
.LBB35_651:
	s_mov_b32 s28, 0
.LBB35_652:
	s_delay_alu instid0(SALU_CYCLE_1)
	s_and_b32 vcc_lo, exec_lo, s28
	s_cbranch_vccz .LBB35_701
; %bb.653:
	s_cmp_lt_i32 s0, 5
	s_cbranch_scc1 .LBB35_658
; %bb.654:
	s_cmp_lt_i32 s0, 8
	s_cbranch_scc1 .LBB35_659
	;; [unrolled: 3-line block ×3, first 2 shown]
; %bb.656:
	s_cmp_gt_i32 s0, 9
	s_cbranch_scc0 .LBB35_661
; %bb.657:
	global_load_b64 v[6:7], v[4:5], off
	s_mov_b32 s27, 0
	s_wait_loadcnt 0x0
	v_cvt_f32_f64_e32 v1, v[6:7]
	s_delay_alu instid0(VALU_DEP_1) | instskip(SKIP_1) | instid1(VALU_DEP_2)
	v_bfe_u32 v3, v1, 16, 1
	v_cmp_o_f32_e32 vcc_lo, v1, v1
	v_add3_u32 v3, v1, v3, 0x7fff
	s_delay_alu instid0(VALU_DEP_1) | instskip(NEXT) | instid1(VALU_DEP_1)
	v_lshrrev_b32_e32 v3, 16, v3
	v_cndmask_b32_e32 v1, 0x7fc0, v3, vcc_lo
	s_branch .LBB35_662
.LBB35_658:
	s_mov_b32 s27, -1
                                        ; implicit-def: $vgpr1
	s_branch .LBB35_680
.LBB35_659:
	s_mov_b32 s27, -1
                                        ; implicit-def: $vgpr1
	s_branch .LBB35_668
.LBB35_660:
	s_mov_b32 s27, -1
                                        ; implicit-def: $vgpr1
	s_branch .LBB35_665
.LBB35_661:
	s_mov_b32 s27, -1
                                        ; implicit-def: $vgpr1
.LBB35_662:
	s_delay_alu instid0(SALU_CYCLE_1)
	s_and_not1_b32 vcc_lo, exec_lo, s27
	s_cbranch_vccnz .LBB35_664
; %bb.663:
	s_wait_loadcnt 0x0
	global_load_b32 v1, v[4:5], off
	s_wait_loadcnt 0x0
	v_bfe_u32 v3, v1, 16, 1
	v_cmp_o_f32_e32 vcc_lo, v1, v1
	s_delay_alu instid0(VALU_DEP_2) | instskip(NEXT) | instid1(VALU_DEP_1)
	v_add3_u32 v3, v1, v3, 0x7fff
	v_lshrrev_b32_e32 v3, 16, v3
	s_delay_alu instid0(VALU_DEP_1)
	v_cndmask_b32_e32 v1, 0x7fc0, v3, vcc_lo
.LBB35_664:
	s_mov_b32 s27, 0
.LBB35_665:
	s_delay_alu instid0(SALU_CYCLE_1)
	s_and_not1_b32 vcc_lo, exec_lo, s27
	s_cbranch_vccnz .LBB35_667
; %bb.666:
	s_wait_loadcnt 0x0
	global_load_b32 v1, v[4:5], off
	s_wait_loadcnt 0x0
	v_cvt_f32_f16_e32 v3, v1
	v_cmp_o_f16_e32 vcc_lo, v1, v1
	s_delay_alu instid0(VALU_DEP_2) | instskip(NEXT) | instid1(VALU_DEP_1)
	v_bfe_u32 v6, v3, 16, 1
	v_add3_u32 v3, v3, v6, 0x7fff
	s_delay_alu instid0(VALU_DEP_1) | instskip(NEXT) | instid1(VALU_DEP_1)
	v_lshrrev_b32_e32 v3, 16, v3
	v_cndmask_b32_e32 v1, 0x7fc0, v3, vcc_lo
.LBB35_667:
	s_mov_b32 s27, 0
.LBB35_668:
	s_delay_alu instid0(SALU_CYCLE_1)
	s_and_not1_b32 vcc_lo, exec_lo, s27
	s_cbranch_vccnz .LBB35_679
; %bb.669:
	s_cmp_lt_i32 s0, 6
	s_cbranch_scc1 .LBB35_672
; %bb.670:
	s_cmp_gt_i32 s0, 6
	s_cbranch_scc0 .LBB35_673
; %bb.671:
	global_load_b64 v[6:7], v[4:5], off
	s_mov_b32 s27, 0
	s_wait_loadcnt 0x0
	v_cvt_f32_f64_e32 v1, v[6:7]
	s_delay_alu instid0(VALU_DEP_1) | instskip(SKIP_1) | instid1(VALU_DEP_2)
	v_bfe_u32 v3, v1, 16, 1
	v_cmp_o_f32_e32 vcc_lo, v1, v1
	v_add3_u32 v3, v1, v3, 0x7fff
	s_delay_alu instid0(VALU_DEP_1) | instskip(NEXT) | instid1(VALU_DEP_1)
	v_lshrrev_b32_e32 v3, 16, v3
	v_cndmask_b32_e32 v1, 0x7fc0, v3, vcc_lo
	s_branch .LBB35_674
.LBB35_672:
	s_mov_b32 s27, -1
                                        ; implicit-def: $vgpr1
	s_branch .LBB35_677
.LBB35_673:
	s_mov_b32 s27, -1
                                        ; implicit-def: $vgpr1
.LBB35_674:
	s_delay_alu instid0(SALU_CYCLE_1)
	s_and_not1_b32 vcc_lo, exec_lo, s27
	s_cbranch_vccnz .LBB35_676
; %bb.675:
	s_wait_loadcnt 0x0
	global_load_b32 v1, v[4:5], off
	s_wait_loadcnt 0x0
	v_bfe_u32 v3, v1, 16, 1
	v_cmp_o_f32_e32 vcc_lo, v1, v1
	s_delay_alu instid0(VALU_DEP_2) | instskip(NEXT) | instid1(VALU_DEP_1)
	v_add3_u32 v3, v1, v3, 0x7fff
	v_lshrrev_b32_e32 v3, 16, v3
	s_delay_alu instid0(VALU_DEP_1)
	v_cndmask_b32_e32 v1, 0x7fc0, v3, vcc_lo
.LBB35_676:
	s_mov_b32 s27, 0
.LBB35_677:
	s_delay_alu instid0(SALU_CYCLE_1)
	s_and_not1_b32 vcc_lo, exec_lo, s27
	s_cbranch_vccnz .LBB35_679
; %bb.678:
	s_wait_loadcnt 0x0
	global_load_u16 v1, v[4:5], off
	s_wait_loadcnt 0x0
	v_cvt_f32_f16_e32 v3, v1
	v_cmp_o_f16_e32 vcc_lo, v1, v1
	s_delay_alu instid0(VALU_DEP_2) | instskip(NEXT) | instid1(VALU_DEP_1)
	v_bfe_u32 v6, v3, 16, 1
	v_add3_u32 v3, v3, v6, 0x7fff
	s_delay_alu instid0(VALU_DEP_1) | instskip(NEXT) | instid1(VALU_DEP_1)
	v_lshrrev_b32_e32 v3, 16, v3
	v_cndmask_b32_e32 v1, 0x7fc0, v3, vcc_lo
.LBB35_679:
	s_mov_b32 s27, 0
.LBB35_680:
	s_delay_alu instid0(SALU_CYCLE_1)
	s_and_not1_b32 vcc_lo, exec_lo, s27
	s_cbranch_vccnz .LBB35_700
; %bb.681:
	s_cmp_lt_i32 s0, 2
	s_cbranch_scc1 .LBB35_685
; %bb.682:
	s_cmp_lt_i32 s0, 3
	s_cbranch_scc1 .LBB35_686
; %bb.683:
	s_cmp_gt_i32 s0, 3
	s_cbranch_scc0 .LBB35_687
; %bb.684:
	global_load_b64 v[6:7], v[4:5], off
	s_mov_b32 s27, 0
	s_wait_loadcnt 0x0
	v_xor_b32_e32 v1, v6, v7
	v_cls_i32_e32 v3, v7
	s_delay_alu instid0(VALU_DEP_2) | instskip(NEXT) | instid1(VALU_DEP_1)
	v_ashrrev_i32_e32 v1, 31, v1
	v_add_nc_u32_e32 v1, 32, v1
	s_delay_alu instid0(VALU_DEP_1) | instskip(NEXT) | instid1(VALU_DEP_1)
	v_add_min_u32_e64 v1, v3, -1, v1
	v_lshlrev_b64_e32 v[6:7], v1, v[6:7]
	v_sub_nc_u32_e32 v1, 32, v1
	s_delay_alu instid0(VALU_DEP_2) | instskip(NEXT) | instid1(VALU_DEP_1)
	v_min_u32_e32 v3, 1, v6
	v_or_b32_e32 v3, v7, v3
	s_delay_alu instid0(VALU_DEP_1) | instskip(NEXT) | instid1(VALU_DEP_1)
	v_cvt_f32_i32_e32 v3, v3
	v_ldexp_f32 v1, v3, v1
	s_delay_alu instid0(VALU_DEP_1) | instskip(NEXT) | instid1(VALU_DEP_1)
	v_bfe_u32 v3, v1, 16, 1
	v_add3_u32 v1, v1, v3, 0x7fff
	s_delay_alu instid0(VALU_DEP_1)
	v_lshrrev_b32_e32 v1, 16, v1
	s_branch .LBB35_688
.LBB35_685:
	s_mov_b32 s27, -1
                                        ; implicit-def: $vgpr1
	s_branch .LBB35_694
.LBB35_686:
	s_mov_b32 s27, -1
                                        ; implicit-def: $vgpr1
	s_branch .LBB35_691
.LBB35_687:
	s_mov_b32 s27, -1
                                        ; implicit-def: $vgpr1
.LBB35_688:
	s_delay_alu instid0(SALU_CYCLE_1)
	s_and_not1_b32 vcc_lo, exec_lo, s27
	s_cbranch_vccnz .LBB35_690
; %bb.689:
	s_wait_loadcnt 0x0
	global_load_b32 v1, v[4:5], off
	s_wait_loadcnt 0x0
	v_cvt_f32_i32_e32 v1, v1
	s_delay_alu instid0(VALU_DEP_1) | instskip(NEXT) | instid1(VALU_DEP_1)
	v_bfe_u32 v3, v1, 16, 1
	v_add3_u32 v1, v1, v3, 0x7fff
	s_delay_alu instid0(VALU_DEP_1)
	v_lshrrev_b32_e32 v1, 16, v1
.LBB35_690:
	s_mov_b32 s27, 0
.LBB35_691:
	s_delay_alu instid0(SALU_CYCLE_1)
	s_and_not1_b32 vcc_lo, exec_lo, s27
	s_cbranch_vccnz .LBB35_693
; %bb.692:
	s_wait_loadcnt 0x0
	global_load_i16 v1, v[4:5], off
	s_wait_loadcnt 0x0
	v_cvt_f32_i32_e32 v1, v1
	s_delay_alu instid0(VALU_DEP_1) | instskip(NEXT) | instid1(VALU_DEP_1)
	v_bfe_u32 v3, v1, 16, 1
	v_add3_u32 v1, v1, v3, 0x7fff
	s_delay_alu instid0(VALU_DEP_1)
	v_lshrrev_b32_e32 v1, 16, v1
.LBB35_693:
	s_mov_b32 s27, 0
.LBB35_694:
	s_delay_alu instid0(SALU_CYCLE_1)
	s_and_not1_b32 vcc_lo, exec_lo, s27
	s_cbranch_vccnz .LBB35_700
; %bb.695:
	s_cmp_gt_i32 s0, 0
	s_mov_b32 s0, 0
	s_cbranch_scc0 .LBB35_697
; %bb.696:
	s_wait_loadcnt 0x0
	global_load_i8 v1, v[4:5], off
	s_wait_loadcnt 0x0
	v_cvt_f32_i32_e32 v1, v1
	s_delay_alu instid0(VALU_DEP_1) | instskip(NEXT) | instid1(VALU_DEP_1)
	v_bfe_u32 v3, v1, 16, 1
	v_add3_u32 v1, v1, v3, 0x7fff
	s_delay_alu instid0(VALU_DEP_1)
	v_lshrrev_b32_e32 v1, 16, v1
	s_branch .LBB35_698
.LBB35_697:
	s_mov_b32 s0, -1
                                        ; implicit-def: $vgpr1
.LBB35_698:
	s_delay_alu instid0(SALU_CYCLE_1)
	s_and_not1_b32 vcc_lo, exec_lo, s0
	s_cbranch_vccnz .LBB35_700
; %bb.699:
	s_wait_loadcnt 0x0
	global_load_u8 v1, v[4:5], off
	s_wait_loadcnt 0x0
	v_cvt_f32_ubyte0_e32 v1, v1
	s_delay_alu instid0(VALU_DEP_1) | instskip(NEXT) | instid1(VALU_DEP_1)
	v_bfe_u32 v3, v1, 16, 1
	v_add3_u32 v1, v1, v3, 0x7fff
	s_delay_alu instid0(VALU_DEP_1)
	v_lshrrev_b32_e32 v1, 16, v1
.LBB35_700:
	s_mov_b32 s27, -1
.LBB35_701:
	s_delay_alu instid0(SALU_CYCLE_1)
	s_and_not1_b32 vcc_lo, exec_lo, s27
	s_cbranch_vccnz .LBB35_711
; %bb.702:
	s_wait_loadcnt 0x0
	v_lshlrev_b32_e32 v1, 16, v1
	s_mov_b32 s0, exec_lo
	s_delay_alu instid0(VALU_DEP_1) | instskip(SKIP_1) | instid1(VALU_DEP_1)
	v_mul_f32_e32 v3, s16, v1
	s_wait_xcnt 0x0
	v_cmpx_nlt_f32_e32 s17, v3
	s_cbranch_execz .LBB35_704
; %bb.703:
	v_mul_f32_e32 v1, 0x3fb8aa3b, v3
	v_cmp_ngt_f32_e32 vcc_lo, 0xc2ce8ed0, v3
	s_mov_b32 s27, 0x3e9b6dac
	s_delay_alu instid0(VALU_DEP_2) | instskip(SKIP_1) | instid1(VALU_DEP_2)
	v_rndne_f32_e32 v4, v1
	v_fma_f32 v5, 0x3fb8aa3b, v3, -v1
	v_sub_f32_e32 v1, v1, v4
	s_delay_alu instid0(VALU_DEP_2) | instskip(SKIP_1) | instid1(VALU_DEP_2)
	v_fmamk_f32 v5, v3, 0x32a5705f, v5
	v_cvt_i32_f32_e32 v4, v4
	v_add_f32_e32 v1, v1, v5
	s_delay_alu instid0(VALU_DEP_1) | instskip(SKIP_1) | instid1(TRANS32_DEP_1)
	v_exp_f32_e32 v1, v1
	v_nop
	v_ldexp_f32 v1, v1, v4
	s_delay_alu instid0(VALU_DEP_1) | instskip(SKIP_1) | instid1(VALU_DEP_2)
	v_cndmask_b32_e32 v1, 0, v1, vcc_lo
	v_cmp_nlt_f32_e32 vcc_lo, 0x42b17218, v3
	v_cndmask_b32_e32 v3, 0x7f800000, v1, vcc_lo
	s_delay_alu instid0(VALU_DEP_1) | instskip(NEXT) | instid1(VALU_DEP_1)
	v_add_f32_e32 v1, 1.0, v3
	v_cvt_f64_f32_e32 v[4:5], v1
	s_delay_alu instid0(VALU_DEP_1) | instskip(SKIP_1) | instid1(VALU_DEP_1)
	v_frexp_exp_i32_f64_e32 v4, v[4:5]
	v_frexp_mant_f32_e32 v5, v1
	v_cmp_gt_f32_e32 vcc_lo, 0x3f2aaaab, v5
	s_delay_alu instid0(VALU_DEP_3) | instskip(NEXT) | instid1(VALU_DEP_1)
	v_subrev_co_ci_u32_e64 v10, null, 0, v4, vcc_lo
	v_dual_add_f32 v4, -1.0, v1 :: v_dual_sub_nc_u32 v5, 0, v10
	s_delay_alu instid0(VALU_DEP_1) | instskip(SKIP_1) | instid1(VALU_DEP_3)
	v_dual_sub_f32 v6, v4, v1 :: v_dual_sub_f32 v4, v3, v4
	v_cmp_neq_f32_e32 vcc_lo, 0x7f800000, v3
	v_ldexp_f32 v1, v1, v5
	s_delay_alu instid0(VALU_DEP_1) | instskip(NEXT) | instid1(VALU_DEP_1)
	v_dual_add_f32 v6, 1.0, v6 :: v_dual_add_f32 v7, 1.0, v1
	v_dual_add_f32 v9, -1.0, v1 :: v_dual_add_f32 v4, v4, v6
	s_delay_alu instid0(VALU_DEP_1) | instskip(NEXT) | instid1(VALU_DEP_3)
	v_ldexp_f32 v4, v4, v5
	v_add_f32_e32 v6, -1.0, v7
	s_delay_alu instid0(VALU_DEP_1) | instskip(NEXT) | instid1(VALU_DEP_1)
	v_dual_sub_f32 v5, v1, v6 :: v_dual_add_f32 v6, 1.0, v9
	v_dual_sub_f32 v1, v1, v6 :: v_dual_add_f32 v8, v4, v5
	s_delay_alu instid0(VALU_DEP_1) | instskip(NEXT) | instid1(VALU_DEP_1)
	v_dual_add_f32 v1, v4, v1 :: v_dual_add_f32 v11, v7, v8
	v_dual_add_f32 v5, v9, v1 :: v_dual_sub_f32 v4, v7, v11
	v_rcp_f32_e32 v12, v11
	s_delay_alu instid0(VALU_DEP_1) | instskip(NEXT) | instid1(TRANS32_DEP_1)
	v_dual_sub_f32 v15, v9, v5 :: v_dual_add_f32 v14, v8, v4
	v_mul_f32_e32 v13, v5, v12
	s_delay_alu instid0(VALU_DEP_1) | instskip(NEXT) | instid1(VALU_DEP_1)
	v_dual_add_f32 v1, v1, v15 :: v_dual_mul_f32 v6, v11, v13
	v_fma_f32 v8, v13, v11, -v6
	s_delay_alu instid0(VALU_DEP_1) | instskip(NEXT) | instid1(VALU_DEP_1)
	v_fmac_f32_e32 v8, v13, v14
	v_add_f32_e32 v4, v6, v8
	s_delay_alu instid0(VALU_DEP_1) | instskip(NEXT) | instid1(VALU_DEP_1)
	v_dual_sub_f32 v7, v5, v4 :: v_dual_mov_b32 v9, v4
	v_pk_add_f32 v[4:5], v[4:5], v[6:7] neg_lo:[0,1] neg_hi:[0,1]
	s_delay_alu instid0(VALU_DEP_1) | instskip(NEXT) | instid1(VALU_DEP_1)
	v_pk_add_f32 v[4:5], v[4:5], v[8:9] neg_lo:[0,1] neg_hi:[0,1]
	v_add_f32_e32 v1, v1, v5
	s_delay_alu instid0(VALU_DEP_1) | instskip(NEXT) | instid1(VALU_DEP_1)
	v_add_f32_e32 v1, v4, v1
	v_add_f32_e32 v5, v7, v1
	s_delay_alu instid0(VALU_DEP_1) | instskip(NEXT) | instid1(VALU_DEP_1)
	v_mul_f32_e32 v15, v12, v5
	v_mul_f32_e32 v8, v11, v15
	s_delay_alu instid0(VALU_DEP_1) | instskip(SKIP_1) | instid1(VALU_DEP_1)
	v_fma_f32 v6, v15, v11, -v8
	v_sub_f32_e32 v11, v7, v5
	v_dual_fmac_f32 v6, v15, v14 :: v_dual_add_f32 v1, v1, v11
	s_delay_alu instid0(VALU_DEP_1) | instskip(NEXT) | instid1(VALU_DEP_1)
	v_add_f32_e32 v4, v8, v6
	v_dual_sub_f32 v9, v5, v4 :: v_dual_mov_b32 v7, v4
	s_delay_alu instid0(VALU_DEP_1) | instskip(NEXT) | instid1(VALU_DEP_1)
	v_pk_add_f32 v[4:5], v[4:5], v[8:9] neg_lo:[0,1] neg_hi:[0,1]
	v_pk_add_f32 v[4:5], v[4:5], v[6:7] neg_lo:[0,1] neg_hi:[0,1]
	v_cvt_f32_i32_e32 v6, v10
	s_delay_alu instid0(VALU_DEP_2) | instskip(NEXT) | instid1(VALU_DEP_1)
	v_add_f32_e32 v1, v1, v5
	v_dual_add_f32 v8, v13, v15 :: v_dual_add_f32 v1, v4, v1
	s_delay_alu instid0(VALU_DEP_1) | instskip(NEXT) | instid1(VALU_DEP_1)
	v_sub_f32_e32 v4, v8, v13
	v_dual_add_f32 v1, v9, v1 :: v_dual_sub_f32 v4, v15, v4
	s_delay_alu instid0(VALU_DEP_1) | instskip(NEXT) | instid1(VALU_DEP_1)
	v_mul_f32_e32 v1, v12, v1
	v_dual_add_f32 v1, v4, v1 :: v_dual_mov_b32 v4, 0x3f317218
	s_delay_alu instid0(VALU_DEP_1) | instskip(NEXT) | instid1(VALU_DEP_1)
	v_add_f32_e32 v9, v8, v1
	v_mul_f32_e32 v5, v9, v9
	s_delay_alu instid0(VALU_DEP_1) | instskip(SKIP_1) | instid1(VALU_DEP_2)
	v_fmaak_f32 v11, s27, v5, 0x3ecc95a3
	v_mul_f32_e32 v7, v9, v5
	v_fmaak_f32 v5, v5, v11, 0x3f2aaada
	s_delay_alu instid0(VALU_DEP_1) | instskip(NEXT) | instid1(VALU_DEP_1)
	v_pk_mul_f32 v[4:5], v[6:7], v[4:5]
	v_fma_f32 v10, 0x3f317218, v6, -v4
	s_delay_alu instid0(VALU_DEP_1) | instskip(SKIP_1) | instid1(VALU_DEP_1)
	v_fmamk_f32 v6, v6, 0xb102e308, v10
	v_sub_f32_e32 v10, v9, v8
	v_sub_f32_e32 v1, v1, v10
	v_ldexp_f32 v7, v9, 1
	v_mov_b32_e32 v10, v4
	s_delay_alu instid0(VALU_DEP_3) | instskip(NEXT) | instid1(VALU_DEP_3)
	v_ldexp_f32 v1, v1, 1
	v_pk_add_f32 v[8:9], v[4:5], v[6:7]
	s_delay_alu instid0(VALU_DEP_1) | instskip(NEXT) | instid1(VALU_DEP_1)
	v_dual_sub_f32 v7, v9, v7 :: v_dual_mov_b32 v18, v9
	v_sub_f32_e32 v7, v5, v7
	s_delay_alu instid0(VALU_DEP_3) | instskip(NEXT) | instid1(VALU_DEP_2)
	v_pk_add_f32 v[4:5], v[8:9], v[4:5] neg_lo:[0,1] neg_hi:[0,1]
	v_dual_add_f32 v11, v1, v7 :: v_dual_mov_b32 v7, v8
	s_delay_alu instid0(VALU_DEP_1) | instskip(NEXT) | instid1(VALU_DEP_1)
	v_pk_add_f32 v[12:13], v[8:9], v[10:11]
	v_mov_b32_e32 v5, v13
	s_delay_alu instid0(VALU_DEP_1) | instskip(SKIP_2) | instid1(VALU_DEP_3)
	v_pk_add_f32 v[14:15], v[6:7], v[4:5]
	v_mov_b32_e32 v14, v13
	v_pk_add_f32 v[4:5], v[6:7], v[4:5] neg_lo:[0,1] neg_hi:[0,1]
	v_dual_mov_b32 v10, v15 :: v_dual_mov_b32 v5, v15
	s_delay_alu instid0(VALU_DEP_1) | instskip(SKIP_1) | instid1(VALU_DEP_2)
	v_pk_add_f32 v[16:17], v[10:11], v[8:9] neg_lo:[0,1] neg_hi:[0,1]
	v_dual_mov_b32 v9, v8 :: v_dual_mov_b32 v8, v11
	v_dual_mov_b32 v1, v16 :: v_dual_mov_b32 v19, v16
	s_delay_alu instid0(VALU_DEP_1) | instskip(NEXT) | instid1(VALU_DEP_2)
	v_pk_add_f32 v[12:13], v[12:13], v[0:1] neg_lo:[0,1] neg_hi:[0,1]
	v_pk_add_f32 v[6:7], v[14:15], v[18:19] neg_lo:[0,1] neg_hi:[0,1]
	v_mov_b32_e32 v12, v4
	s_delay_alu instid0(VALU_DEP_2) | instskip(NEXT) | instid1(VALU_DEP_1)
	v_pk_add_f32 v[6:7], v[8:9], v[6:7] neg_lo:[0,1] neg_hi:[0,1]
	v_pk_add_f32 v[8:9], v[12:13], v[6:7]
	s_delay_alu instid0(VALU_DEP_1) | instskip(NEXT) | instid1(VALU_DEP_1)
	v_mov_b32_e32 v12, v9
	v_pk_add_f32 v[12:13], v[8:9], v[12:13]
	s_delay_alu instid0(VALU_DEP_1) | instskip(NEXT) | instid1(VALU_DEP_1)
	v_pk_add_f32 v[10:11], v[10:11], v[12:13]
	v_mov_b32_e32 v9, v10
	s_delay_alu instid0(VALU_DEP_1) | instskip(NEXT) | instid1(VALU_DEP_1)
	v_pk_add_f32 v[14:15], v[8:9], v[4:5] neg_lo:[0,1] neg_hi:[0,1]
	v_sub_f32_e32 v1, v8, v14
	s_delay_alu instid0(VALU_DEP_1) | instskip(SKIP_1) | instid1(VALU_DEP_1)
	v_sub_f32_e32 v1, v4, v1
	v_mov_b32_e32 v7, v12
	v_pk_add_f32 v[6:7], v[6:7], v[14:15] neg_lo:[0,1] neg_hi:[0,1]
	s_delay_alu instid0(VALU_DEP_1) | instskip(NEXT) | instid1(VALU_DEP_1)
	v_add_f32_e32 v1, v6, v1
	v_add_f32_e32 v1, v1, v7
	s_delay_alu instid0(VALU_DEP_1) | instskip(NEXT) | instid1(VALU_DEP_1)
	v_add_f32_e32 v1, v10, v1
	v_cndmask_b32_e32 v1, 0x7f800000, v1, vcc_lo
	v_cmp_gt_f32_e64 vcc_lo, 0x33800000, |v3|
	s_delay_alu instid0(VALU_DEP_2) | instskip(NEXT) | instid1(VALU_DEP_1)
	v_cndmask_b32_e32 v1, v1, v3, vcc_lo
	v_div_scale_f32 v3, null, s16, s16, v1
	s_delay_alu instid0(VALU_DEP_1) | instskip(SKIP_1) | instid1(TRANS32_DEP_1)
	v_rcp_f32_e32 v4, v3
	v_nop
	v_fma_f32 v5, -v3, v4, 1.0
	s_delay_alu instid0(VALU_DEP_1) | instskip(SKIP_1) | instid1(VALU_DEP_1)
	v_fmac_f32_e32 v4, v5, v4
	v_div_scale_f32 v5, vcc_lo, v1, s16, v1
	v_mul_f32_e32 v6, v5, v4
	s_delay_alu instid0(VALU_DEP_1) | instskip(NEXT) | instid1(VALU_DEP_1)
	v_fma_f32 v7, -v3, v6, v5
	v_fmac_f32_e32 v6, v7, v4
	s_delay_alu instid0(VALU_DEP_1) | instskip(NEXT) | instid1(VALU_DEP_1)
	v_fma_f32 v3, -v3, v6, v5
	v_div_fmas_f32 v3, v3, v4, v6
	s_delay_alu instid0(VALU_DEP_1)
	v_div_fixup_f32 v1, v3, s16, v1
.LBB35_704:
	s_or_b32 exec_lo, exec_lo, s0
	s_delay_alu instid0(VALU_DEP_1) | instskip(SKIP_2) | instid1(SALU_CYCLE_1)
	v_bfe_u32 v3, v1, 16, 1
	v_cmp_o_f32_e32 vcc_lo, v1, v1
	s_and_b32 s27, s18, 0xff
	s_cmp_lt_i32 s27, 11
	s_delay_alu instid0(VALU_DEP_2) | instskip(NEXT) | instid1(VALU_DEP_1)
	v_add3_u32 v4, v1, v3, 0x7fff
	v_dual_mov_b32 v3, 0 :: v_dual_lshrrev_b32 v4, 16, v4
	s_delay_alu instid0(VALU_DEP_1) | instskip(NEXT) | instid1(VALU_DEP_2)
	v_add_nc_u64_e32 v[2:3], s[4:5], v[2:3]
	v_cndmask_b32_e32 v1, 0x7fc0, v4, vcc_lo
	s_cbranch_scc1 .LBB35_712
; %bb.705:
	s_and_b32 s28, 0xffff, s27
	s_delay_alu instid0(SALU_CYCLE_1)
	s_cmp_gt_i32 s28, 25
	s_cbranch_scc0 .LBB35_713
; %bb.706:
	s_cmp_gt_i32 s28, 28
	s_cbranch_scc0 .LBB35_714
; %bb.707:
	;; [unrolled: 3-line block ×4, first 2 shown]
	s_mov_b32 s30, 0
	s_mov_b32 s0, -1
	s_cmp_eq_u32 s28, 46
	s_mov_b32 s29, 0
	s_cbranch_scc0 .LBB35_717
; %bb.710:
	v_and_b32_e32 v4, 0xffff, v1
	s_mov_b32 s29, -1
	s_mov_b32 s0, 0
	global_store_b32 v[2:3], v4, off
	s_branch .LBB35_717
.LBB35_711:
	s_mov_b32 s27, 0
	s_mov_b32 s0, s45
	s_branch .LBB35_828
.LBB35_712:
	s_mov_b32 s28, -1
	s_mov_b32 s29, 0
	s_mov_b32 s0, s45
	s_branch .LBB35_786
.LBB35_713:
	s_mov_b32 s30, -1
	s_mov_b32 s29, 0
	s_mov_b32 s0, s45
	s_branch .LBB35_744
.LBB35_714:
	s_mov_b32 s30, -1
	s_mov_b32 s29, 0
	s_mov_b32 s0, s45
	s_branch .LBB35_727
.LBB35_715:
	s_mov_b32 s30, -1
	s_mov_b32 s29, 0
	s_mov_b32 s0, s45
	s_branch .LBB35_723
.LBB35_716:
	s_mov_b32 s30, -1
	s_mov_b32 s29, 0
	s_mov_b32 s0, s45
.LBB35_717:
	s_and_b32 vcc_lo, exec_lo, s30
	s_cbranch_vccz .LBB35_722
; %bb.718:
	s_cmp_eq_u32 s28, 44
	s_mov_b32 s0, -1
	s_cbranch_scc0 .LBB35_722
; %bb.719:
	s_wait_xcnt 0x0
	v_and_b32_e32 v4, 0xffff, v1
	v_mov_b32_e32 v5, 0xff
	s_mov_b32 s29, exec_lo
	s_delay_alu instid0(VALU_DEP_2) | instskip(NEXT) | instid1(VALU_DEP_1)
	v_bfe_u32 v6, v4, 7, 8
	v_cmpx_ne_u32_e32 0xff, v6
	s_cbranch_execz .LBB35_721
; %bb.720:
	v_dual_lshlrev_b32 v5, 16, v4 :: v_dual_bitop2_b32 v7, 64, v4 bitop3:0x40
	v_lshrrev_b32_e32 v4, 7, v4
	s_delay_alu instid0(VALU_DEP_2) | instskip(NEXT) | instid1(VALU_DEP_3)
	v_and_or_b32 v5, 0x3f0000, v5, v6
	v_cmp_ne_u32_e32 vcc_lo, 0, v7
	s_delay_alu instid0(VALU_DEP_2) | instskip(SKIP_1) | instid1(SALU_CYCLE_1)
	v_cmp_ne_u32_e64 s0, 0, v5
	s_and_b32 s0, vcc_lo, s0
	v_cndmask_b32_e64 v5, 0, 1, s0
	s_delay_alu instid0(VALU_DEP_1)
	v_add_nc_u32_e32 v5, v4, v5
.LBB35_721:
	s_or_b32 exec_lo, exec_lo, s29
	s_mov_b32 s29, -1
	s_mov_b32 s0, 0
	global_store_b8 v[2:3], v5, off
.LBB35_722:
	s_mov_b32 s30, 0
.LBB35_723:
	s_delay_alu instid0(SALU_CYCLE_1)
	s_and_b32 vcc_lo, exec_lo, s30
	s_cbranch_vccz .LBB35_726
; %bb.724:
	s_cmp_eq_u32 s28, 29
	s_mov_b32 s0, -1
	s_cbranch_scc0 .LBB35_726
; %bb.725:
	s_wait_xcnt 0x0
	v_lshlrev_b32_e32 v4, 16, v1
	s_mov_b32 s29, -1
	s_mov_b32 s0, 0
	s_mov_b32 s30, 0
	s_delay_alu instid0(VALU_DEP_1) | instskip(NEXT) | instid1(VALU_DEP_1)
	v_trunc_f32_e32 v4, v4
	v_mul_f32_e32 v5, 0x2f800000, v4
	s_delay_alu instid0(VALU_DEP_1) | instskip(NEXT) | instid1(VALU_DEP_1)
	v_floor_f32_e32 v5, v5
	v_fmamk_f32 v4, v5, 0xcf800000, v4
	v_cvt_u32_f32_e32 v5, v5
	s_delay_alu instid0(VALU_DEP_2)
	v_cvt_u32_f32_e32 v4, v4
	global_store_b64 v[2:3], v[4:5], off
	s_branch .LBB35_727
.LBB35_726:
	s_mov_b32 s30, 0
.LBB35_727:
	s_delay_alu instid0(SALU_CYCLE_1)
	s_and_b32 vcc_lo, exec_lo, s30
	s_cbranch_vccz .LBB35_743
; %bb.728:
	s_cmp_lt_i32 s28, 27
	s_mov_b32 s29, -1
	s_cbranch_scc1 .LBB35_734
; %bb.729:
	s_cmp_gt_i32 s28, 27
	s_cbranch_scc0 .LBB35_731
; %bb.730:
	s_wait_xcnt 0x0
	v_lshlrev_b32_e32 v4, 16, v1
	s_mov_b32 s29, 0
	s_delay_alu instid0(VALU_DEP_1)
	v_cvt_u32_f32_e32 v4, v4
	global_store_b32 v[2:3], v4, off
.LBB35_731:
	s_and_not1_b32 vcc_lo, exec_lo, s29
	s_cbranch_vccnz .LBB35_733
; %bb.732:
	s_wait_xcnt 0x0
	v_lshlrev_b32_e32 v4, 16, v1
	s_delay_alu instid0(VALU_DEP_1)
	v_cvt_u32_f32_e32 v4, v4
	global_store_b16 v[2:3], v4, off
.LBB35_733:
	s_mov_b32 s29, 0
.LBB35_734:
	s_delay_alu instid0(SALU_CYCLE_1)
	s_and_not1_b32 vcc_lo, exec_lo, s29
	s_cbranch_vccnz .LBB35_742
; %bb.735:
	v_dual_mov_b32 v7, 0x80 :: v_dual_lshlrev_b32 v6, 16, v1
	s_mov_b32 s29, exec_lo
	s_wait_xcnt 0x0
	s_delay_alu instid0(VALU_DEP_1) | instskip(NEXT) | instid1(VALU_DEP_1)
	v_and_b32_e32 v5, 0x7fffffff, v6
	v_cmpx_gt_u32_e32 0x43800000, v5
	s_cbranch_execz .LBB35_741
; %bb.736:
	v_and_b32_e32 v4, 0xffff, v1
	v_cmp_lt_u32_e32 vcc_lo, 0x3bffffff, v5
	s_mov_b32 s30, 0
                                        ; implicit-def: $vgpr5
	s_and_saveexec_b32 s31, vcc_lo
	s_delay_alu instid0(SALU_CYCLE_1)
	s_xor_b32 s31, exec_lo, s31
	s_cbranch_execz .LBB35_860
; %bb.737:
	v_bfe_u32 v5, v4, 4, 1
	s_mov_b32 s30, exec_lo
	s_delay_alu instid0(VALU_DEP_1) | instskip(NEXT) | instid1(VALU_DEP_1)
	v_add3_u32 v5, v6, v5, 0x487ffff
                                        ; implicit-def: $vgpr6
	v_lshrrev_b32_e32 v5, 20, v5
	s_and_not1_saveexec_b32 s31, s31
	s_cbranch_execnz .LBB35_861
.LBB35_738:
	s_or_b32 exec_lo, exec_lo, s31
	v_mov_b32_e32 v7, 0
	s_and_saveexec_b32 s31, s30
.LBB35_739:
	v_lshrrev_b32_e32 v4, 8, v4
	s_delay_alu instid0(VALU_DEP_1)
	v_and_or_b32 v7, 0x80, v4, v5
.LBB35_740:
	s_or_b32 exec_lo, exec_lo, s31
.LBB35_741:
	s_delay_alu instid0(SALU_CYCLE_1)
	s_or_b32 exec_lo, exec_lo, s29
	global_store_b8 v[2:3], v7, off
.LBB35_742:
	s_mov_b32 s29, -1
.LBB35_743:
	s_mov_b32 s30, 0
.LBB35_744:
	s_delay_alu instid0(SALU_CYCLE_1)
	s_and_b32 vcc_lo, exec_lo, s30
	s_cbranch_vccz .LBB35_785
; %bb.745:
	s_cmp_gt_i32 s28, 22
	s_mov_b32 s30, -1
	s_cbranch_scc0 .LBB35_777
; %bb.746:
	s_cmp_lt_i32 s28, 24
	s_mov_b32 s29, -1
	s_cbranch_scc1 .LBB35_766
; %bb.747:
	s_cmp_gt_i32 s28, 24
	s_cbranch_scc0 .LBB35_755
; %bb.748:
	s_wait_xcnt 0x0
	v_dual_mov_b32 v7, 0x80 :: v_dual_lshlrev_b32 v6, 16, v1
	s_mov_b32 s29, exec_lo
	s_delay_alu instid0(VALU_DEP_1) | instskip(NEXT) | instid1(VALU_DEP_1)
	v_and_b32_e32 v5, 0x7fffffff, v6
	v_cmpx_gt_u32_e32 0x47800000, v5
	s_cbranch_execz .LBB35_754
; %bb.749:
	v_and_b32_e32 v4, 0xffff, v1
	v_cmp_lt_u32_e32 vcc_lo, 0x37ffffff, v5
	s_mov_b32 s30, 0
                                        ; implicit-def: $vgpr5
	s_and_saveexec_b32 s31, vcc_lo
	s_delay_alu instid0(SALU_CYCLE_1)
	s_xor_b32 s31, exec_lo, s31
	s_cbranch_execz .LBB35_863
; %bb.750:
	v_bfe_u32 v5, v4, 5, 1
	s_mov_b32 s30, exec_lo
	s_delay_alu instid0(VALU_DEP_1) | instskip(NEXT) | instid1(VALU_DEP_1)
	v_add3_u32 v5, v6, v5, 0x88fffff
                                        ; implicit-def: $vgpr6
	v_lshrrev_b32_e32 v5, 21, v5
	s_and_not1_saveexec_b32 s31, s31
	s_cbranch_execnz .LBB35_864
.LBB35_751:
	s_or_b32 exec_lo, exec_lo, s31
	v_mov_b32_e32 v7, 0
	s_and_saveexec_b32 s31, s30
.LBB35_752:
	v_lshrrev_b32_e32 v4, 8, v4
	s_delay_alu instid0(VALU_DEP_1)
	v_and_or_b32 v7, 0x80, v4, v5
.LBB35_753:
	s_or_b32 exec_lo, exec_lo, s31
.LBB35_754:
	s_delay_alu instid0(SALU_CYCLE_1)
	s_or_b32 exec_lo, exec_lo, s29
	s_mov_b32 s29, 0
	global_store_b8 v[2:3], v7, off
.LBB35_755:
	s_and_b32 vcc_lo, exec_lo, s29
	s_cbranch_vccz .LBB35_765
; %bb.756:
	v_lshlrev_b32_e32 v6, 16, v1
	s_wait_xcnt 0x0
	v_and_b32_e32 v4, 0xffff, v1
	s_mov_b32 s29, exec_lo
                                        ; implicit-def: $vgpr5
	s_delay_alu instid0(VALU_DEP_2) | instskip(NEXT) | instid1(VALU_DEP_1)
	v_and_b32_e32 v7, 0x7fffffff, v6
	v_cmpx_gt_u32_e32 0x43f00000, v7
	s_xor_b32 s29, exec_lo, s29
	s_cbranch_execz .LBB35_762
; %bb.757:
	s_mov_b32 s30, exec_lo
                                        ; implicit-def: $vgpr5
	v_cmpx_lt_u32_e32 0x3c7fffff, v7
	s_xor_b32 s30, exec_lo, s30
; %bb.758:
	v_bfe_u32 v5, v4, 4, 1
	s_delay_alu instid0(VALU_DEP_1) | instskip(NEXT) | instid1(VALU_DEP_1)
	v_add3_u32 v5, v6, v5, 0x407ffff
	v_and_b32_e32 v6, 0xff00000, v5
	v_lshrrev_b32_e32 v5, 20, v5
	s_delay_alu instid0(VALU_DEP_2) | instskip(NEXT) | instid1(VALU_DEP_2)
	v_cmp_ne_u32_e32 vcc_lo, 0x7f00000, v6
                                        ; implicit-def: $vgpr6
	v_cndmask_b32_e32 v5, 0x7e, v5, vcc_lo
; %bb.759:
	s_and_not1_saveexec_b32 s30, s30
; %bb.760:
	v_add_f32_e64 v5, 0x46800000, |v6|
; %bb.761:
	s_or_b32 exec_lo, exec_lo, s30
                                        ; implicit-def: $vgpr7
.LBB35_762:
	s_and_not1_saveexec_b32 s29, s29
; %bb.763:
	v_mov_b32_e32 v5, 0x7f
	v_cmp_lt_u32_e32 vcc_lo, 0x7f800000, v7
	s_delay_alu instid0(VALU_DEP_2)
	v_cndmask_b32_e32 v5, 0x7e, v5, vcc_lo
; %bb.764:
	s_or_b32 exec_lo, exec_lo, s29
	v_lshrrev_b32_e32 v4, 8, v4
	s_delay_alu instid0(VALU_DEP_1)
	v_and_or_b32 v4, 0x80, v4, v5
	global_store_b8 v[2:3], v4, off
.LBB35_765:
	s_mov_b32 s29, 0
.LBB35_766:
	s_delay_alu instid0(SALU_CYCLE_1)
	s_and_not1_b32 vcc_lo, exec_lo, s29
	s_cbranch_vccnz .LBB35_776
; %bb.767:
	v_lshlrev_b32_e32 v6, 16, v1
	s_wait_xcnt 0x0
	v_and_b32_e32 v4, 0xffff, v1
	s_mov_b32 s29, exec_lo
                                        ; implicit-def: $vgpr5
	s_delay_alu instid0(VALU_DEP_2) | instskip(NEXT) | instid1(VALU_DEP_1)
	v_and_b32_e32 v7, 0x7fffffff, v6
	v_cmpx_gt_u32_e32 0x47800000, v7
	s_xor_b32 s29, exec_lo, s29
	s_cbranch_execz .LBB35_773
; %bb.768:
	s_mov_b32 s30, exec_lo
                                        ; implicit-def: $vgpr5
	v_cmpx_lt_u32_e32 0x387fffff, v7
	s_xor_b32 s30, exec_lo, s30
; %bb.769:
	v_bfe_u32 v5, v4, 5, 1
	s_delay_alu instid0(VALU_DEP_1) | instskip(NEXT) | instid1(VALU_DEP_1)
	v_add3_u32 v5, v6, v5, 0x80fffff
                                        ; implicit-def: $vgpr6
	v_lshrrev_b32_e32 v5, 21, v5
; %bb.770:
	s_and_not1_saveexec_b32 s30, s30
; %bb.771:
	v_add_f32_e64 v5, 0x43000000, |v6|
; %bb.772:
	s_or_b32 exec_lo, exec_lo, s30
                                        ; implicit-def: $vgpr7
.LBB35_773:
	s_and_not1_saveexec_b32 s29, s29
; %bb.774:
	v_mov_b32_e32 v5, 0x7f
	v_cmp_lt_u32_e32 vcc_lo, 0x7f800000, v7
	s_delay_alu instid0(VALU_DEP_2)
	v_cndmask_b32_e32 v5, 0x7c, v5, vcc_lo
; %bb.775:
	s_or_b32 exec_lo, exec_lo, s29
	v_lshrrev_b32_e32 v4, 8, v4
	s_delay_alu instid0(VALU_DEP_1)
	v_and_or_b32 v4, 0x80, v4, v5
	global_store_b8 v[2:3], v4, off
.LBB35_776:
	s_mov_b32 s30, 0
	s_mov_b32 s29, -1
.LBB35_777:
	s_and_not1_b32 vcc_lo, exec_lo, s30
	s_cbranch_vccnz .LBB35_785
; %bb.778:
	s_cmp_gt_i32 s28, 14
	s_mov_b32 s30, -1
	s_cbranch_scc0 .LBB35_782
; %bb.779:
	s_cmp_eq_u32 s28, 15
	s_mov_b32 s0, -1
	s_cbranch_scc0 .LBB35_781
; %bb.780:
	s_mov_b32 s29, -1
	s_mov_b32 s0, 0
	global_store_b16 v[2:3], v1, off
.LBB35_781:
	s_mov_b32 s30, 0
.LBB35_782:
	s_delay_alu instid0(SALU_CYCLE_1)
	s_and_b32 vcc_lo, exec_lo, s30
	s_cbranch_vccz .LBB35_785
; %bb.783:
	s_cmp_eq_u32 s28, 11
	s_mov_b32 s0, -1
	s_cbranch_scc0 .LBB35_785
; %bb.784:
	s_wait_xcnt 0x0
	v_and_b32_e32 v4, 0x7fff, v1
	s_mov_b32 s0, 0
	s_mov_b32 s29, -1
	s_delay_alu instid0(VALU_DEP_1)
	v_cmp_ne_u16_e32 vcc_lo, 0, v4
	v_cndmask_b32_e64 v4, 0, 1, vcc_lo
	global_store_b8 v[2:3], v4, off
.LBB35_785:
	s_mov_b32 s28, 0
.LBB35_786:
	s_delay_alu instid0(SALU_CYCLE_1)
	s_and_b32 vcc_lo, exec_lo, s28
	s_cbranch_vccz .LBB35_825
; %bb.787:
	s_and_b32 s27, 0xffff, s27
	s_mov_b32 s28, -1
	s_cmp_lt_i32 s27, 5
	s_cbranch_scc1 .LBB35_808
; %bb.788:
	s_cmp_lt_i32 s27, 8
	s_cbranch_scc1 .LBB35_798
; %bb.789:
	;; [unrolled: 3-line block ×3, first 2 shown]
	s_cmp_gt_i32 s27, 9
	s_cbranch_scc0 .LBB35_792
; %bb.791:
	s_wait_xcnt 0x0
	v_dual_lshlrev_b32 v4, 16, v1 :: v_dual_mov_b32 v6, 0
	s_mov_b32 s28, 0
	s_delay_alu instid0(VALU_DEP_1) | instskip(NEXT) | instid1(VALU_DEP_2)
	v_cvt_f64_f32_e32 v[4:5], v4
	v_mov_b32_e32 v7, v6
	global_store_b128 v[2:3], v[4:7], off
.LBB35_792:
	s_and_not1_b32 vcc_lo, exec_lo, s28
	s_cbranch_vccnz .LBB35_794
; %bb.793:
	s_wait_xcnt 0x0
	v_dual_mov_b32 v5, 0 :: v_dual_lshlrev_b32 v4, 16, v1
	global_store_b64 v[2:3], v[4:5], off
.LBB35_794:
	s_mov_b32 s28, 0
.LBB35_795:
	s_delay_alu instid0(SALU_CYCLE_1)
	s_and_not1_b32 vcc_lo, exec_lo, s28
	s_cbranch_vccnz .LBB35_797
; %bb.796:
	s_wait_xcnt 0x0
	v_lshlrev_b32_e32 v4, 16, v1
	s_delay_alu instid0(VALU_DEP_1) | instskip(NEXT) | instid1(VALU_DEP_1)
	v_cvt_f16_f32_e32 v4, v4
	v_and_b32_e32 v4, 0xffff, v4
	global_store_b32 v[2:3], v4, off
.LBB35_797:
	s_mov_b32 s28, 0
.LBB35_798:
	s_delay_alu instid0(SALU_CYCLE_1)
	s_and_not1_b32 vcc_lo, exec_lo, s28
	s_cbranch_vccnz .LBB35_807
; %bb.799:
	s_cmp_lt_i32 s27, 6
	s_mov_b32 s28, -1
	s_cbranch_scc1 .LBB35_805
; %bb.800:
	s_cmp_gt_i32 s27, 6
	s_cbranch_scc0 .LBB35_802
; %bb.801:
	s_wait_xcnt 0x0
	v_lshlrev_b32_e32 v4, 16, v1
	s_mov_b32 s28, 0
	s_delay_alu instid0(VALU_DEP_1)
	v_cvt_f64_f32_e32 v[4:5], v4
	global_store_b64 v[2:3], v[4:5], off
.LBB35_802:
	s_and_not1_b32 vcc_lo, exec_lo, s28
	s_cbranch_vccnz .LBB35_804
; %bb.803:
	s_wait_xcnt 0x0
	v_lshlrev_b32_e32 v4, 16, v1
	global_store_b32 v[2:3], v4, off
.LBB35_804:
	s_mov_b32 s28, 0
.LBB35_805:
	s_delay_alu instid0(SALU_CYCLE_1)
	s_and_not1_b32 vcc_lo, exec_lo, s28
	s_cbranch_vccnz .LBB35_807
; %bb.806:
	s_wait_xcnt 0x0
	v_lshlrev_b32_e32 v4, 16, v1
	s_delay_alu instid0(VALU_DEP_1)
	v_cvt_f16_f32_e32 v4, v4
	global_store_b16 v[2:3], v4, off
.LBB35_807:
	s_mov_b32 s28, 0
.LBB35_808:
	s_delay_alu instid0(SALU_CYCLE_1)
	s_and_not1_b32 vcc_lo, exec_lo, s28
	s_cbranch_vccnz .LBB35_824
; %bb.809:
	s_cmp_lt_i32 s27, 2
	s_mov_b32 s28, -1
	s_cbranch_scc1 .LBB35_819
; %bb.810:
	s_cmp_lt_i32 s27, 3
	s_cbranch_scc1 .LBB35_816
; %bb.811:
	s_cmp_gt_i32 s27, 3
	s_cbranch_scc0 .LBB35_813
; %bb.812:
	s_wait_xcnt 0x0
	v_lshlrev_b32_e32 v4, 16, v1
	s_mov_b32 s28, 0
	s_delay_alu instid0(VALU_DEP_1) | instskip(NEXT) | instid1(VALU_DEP_1)
	v_trunc_f32_e32 v4, v4
	v_mul_f32_e64 v5, 0x2f800000, |v4|
	s_delay_alu instid0(VALU_DEP_1) | instskip(NEXT) | instid1(VALU_DEP_1)
	v_floor_f32_e32 v5, v5
	v_fma_f32 v6, 0xcf800000, v5, |v4|
	v_ashrrev_i32_e32 v4, 31, v4
	v_cvt_u32_f32_e32 v7, v5
	s_delay_alu instid0(VALU_DEP_3) | instskip(NEXT) | instid1(VALU_DEP_2)
	v_cvt_u32_f32_e32 v6, v6
	v_dual_mov_b32 v5, v4 :: v_dual_bitop2_b32 v7, v7, v4 bitop3:0x14
	s_delay_alu instid0(VALU_DEP_2) | instskip(NEXT) | instid1(VALU_DEP_1)
	v_xor_b32_e32 v6, v6, v4
	v_sub_nc_u64_e32 v[4:5], v[6:7], v[4:5]
	global_store_b64 v[2:3], v[4:5], off
.LBB35_813:
	s_and_not1_b32 vcc_lo, exec_lo, s28
	s_cbranch_vccnz .LBB35_815
; %bb.814:
	s_wait_xcnt 0x0
	v_lshlrev_b32_e32 v4, 16, v1
	s_delay_alu instid0(VALU_DEP_1)
	v_cvt_i32_f32_e32 v4, v4
	global_store_b32 v[2:3], v4, off
.LBB35_815:
	s_mov_b32 s28, 0
.LBB35_816:
	s_delay_alu instid0(SALU_CYCLE_1)
	s_and_not1_b32 vcc_lo, exec_lo, s28
	s_cbranch_vccnz .LBB35_818
; %bb.817:
	s_wait_xcnt 0x0
	v_lshlrev_b32_e32 v4, 16, v1
	s_delay_alu instid0(VALU_DEP_1)
	v_cvt_i32_f32_e32 v4, v4
	global_store_b16 v[2:3], v4, off
.LBB35_818:
	s_mov_b32 s28, 0
.LBB35_819:
	s_delay_alu instid0(SALU_CYCLE_1)
	s_and_not1_b32 vcc_lo, exec_lo, s28
	s_cbranch_vccnz .LBB35_824
; %bb.820:
	s_wait_xcnt 0x0
	v_lshlrev_b32_e32 v1, 16, v1
	s_cmp_gt_i32 s27, 0
	s_mov_b32 s27, -1
	s_cbranch_scc0 .LBB35_822
; %bb.821:
	s_delay_alu instid0(VALU_DEP_1)
	v_cvt_i32_f32_e32 v4, v1
	s_mov_b32 s27, 0
	global_store_b8 v[2:3], v4, off
.LBB35_822:
	s_and_not1_b32 vcc_lo, exec_lo, s27
	s_cbranch_vccnz .LBB35_824
; %bb.823:
	v_trunc_f32_e32 v1, v1
	s_wait_xcnt 0x0
	s_delay_alu instid0(VALU_DEP_1) | instskip(NEXT) | instid1(VALU_DEP_1)
	v_mul_f32_e64 v4, 0x2f800000, |v1|
	v_floor_f32_e32 v4, v4
	s_delay_alu instid0(VALU_DEP_1) | instskip(SKIP_1) | instid1(VALU_DEP_2)
	v_fma_f32 v4, 0xcf800000, v4, |v1|
	v_ashrrev_i32_e32 v1, 31, v1
	v_cvt_u32_f32_e32 v4, v4
	s_delay_alu instid0(VALU_DEP_1) | instskip(NEXT) | instid1(VALU_DEP_1)
	v_xor_b32_e32 v4, v4, v1
	v_sub_nc_u32_e32 v1, v4, v1
	global_store_b8 v[2:3], v1, off
.LBB35_824:
	s_mov_b32 s29, -1
.LBB35_825:
	s_delay_alu instid0(SALU_CYCLE_1)
	s_and_not1_b32 vcc_lo, exec_lo, s29
	s_cbranch_vccnz .LBB35_827
; %bb.826:
	v_add_nc_u32_e32 v0, 0x80, v0
	s_mov_b32 s27, -1
	s_branch .LBB35_829
.LBB35_827:
	s_mov_b32 s27, 0
.LBB35_828:
                                        ; implicit-def: $vgpr0
.LBB35_829:
	s_and_not1_b32 s28, s45, exec_lo
	s_and_b32 s0, s0, exec_lo
	s_and_not1_b32 s29, s44, exec_lo
	s_and_b32 s26, s26, exec_lo
	s_or_b32 s30, s28, s0
	s_or_b32 s0, s29, s26
	s_or_not1_b32 s29, s27, exec_lo
.LBB35_830:
	s_wait_xcnt 0x0
	s_or_b32 exec_lo, exec_lo, s47
	s_mov_b32 s27, 0
	s_mov_b32 s26, 0
	;; [unrolled: 1-line block ×3, first 2 shown]
                                        ; implicit-def: $vgpr4_vgpr5
                                        ; implicit-def: $vgpr2
                                        ; implicit-def: $vgpr6
	s_and_saveexec_b32 s31, s29
	s_cbranch_execz .LBB35_932
; %bb.831:
	v_cmp_gt_i32_e32 vcc_lo, s38, v0
	s_mov_b32 s29, s0
                                        ; implicit-def: $vgpr4_vgpr5
                                        ; implicit-def: $vgpr2
                                        ; implicit-def: $vgpr6
	s_and_saveexec_b32 s38, vcc_lo
	s_cbranch_execz .LBB35_931
; %bb.832:
	s_and_not1_b32 vcc_lo, exec_lo, s35
	s_cbranch_vccnz .LBB35_838
; %bb.833:
	s_and_not1_b32 vcc_lo, exec_lo, s40
	s_cbranch_vccnz .LBB35_839
; %bb.834:
	s_add_co_i32 s39, s39, 1
	s_cmp_eq_u32 s33, 2
	s_cbranch_scc1 .LBB35_840
; %bb.835:
	v_dual_mov_b32 v2, 0 :: v_dual_mov_b32 v4, 0
	s_wait_loadcnt 0x0
	v_mov_b32_e32 v1, v0
	s_and_b32 s26, s39, 28
	s_mov_b64 s[28:29], s[2:3]
.LBB35_836:                             ; =>This Inner Loop Header: Depth=1
	s_clause 0x1
	s_load_b256 s[48:55], s[28:29], 0x4
	s_load_b128 s[64:67], s[28:29], 0x24
	s_load_b256 s[56:63], s[24:25], 0x0
	s_add_co_i32 s27, s27, 4
	s_wait_xcnt 0x0
	s_add_nc_u64 s[28:29], s[28:29], 48
	s_cmp_eq_u32 s26, s27
	s_add_nc_u64 s[24:25], s[24:25], 32
	s_wait_kmcnt 0x0
	v_mul_hi_u32 v3, s49, v1
	s_delay_alu instid0(VALU_DEP_1) | instskip(NEXT) | instid1(VALU_DEP_1)
	v_add_nc_u32_e32 v3, v1, v3
	v_lshrrev_b32_e32 v3, s50, v3
	s_delay_alu instid0(VALU_DEP_1) | instskip(NEXT) | instid1(VALU_DEP_1)
	v_mul_hi_u32 v5, s52, v3
	v_add_nc_u32_e32 v5, v3, v5
	s_delay_alu instid0(VALU_DEP_1) | instskip(NEXT) | instid1(VALU_DEP_1)
	v_lshrrev_b32_e32 v5, s53, v5
	v_mul_hi_u32 v6, s55, v5
	s_delay_alu instid0(VALU_DEP_1) | instskip(SKIP_1) | instid1(VALU_DEP_1)
	v_add_nc_u32_e32 v6, v5, v6
	v_mul_lo_u32 v7, v3, s48
	v_sub_nc_u32_e32 v1, v1, v7
	v_mul_lo_u32 v7, v5, s51
	s_delay_alu instid0(VALU_DEP_4) | instskip(NEXT) | instid1(VALU_DEP_3)
	v_lshrrev_b32_e32 v6, s64, v6
	v_mad_u32 v4, v1, s57, v4
	v_mad_u32 v1, v1, s56, v2
	s_delay_alu instid0(VALU_DEP_4) | instskip(NEXT) | instid1(VALU_DEP_4)
	v_sub_nc_u32_e32 v2, v3, v7
	v_mul_hi_u32 v8, s66, v6
	v_mul_lo_u32 v3, v6, s54
	s_delay_alu instid0(VALU_DEP_3) | instskip(SKIP_1) | instid1(VALU_DEP_3)
	v_mad_u32 v4, v2, s59, v4
	v_mad_u32 v2, v2, s58, v1
	v_dual_add_nc_u32 v7, v6, v8 :: v_dual_sub_nc_u32 v3, v5, v3
	s_delay_alu instid0(VALU_DEP_1) | instskip(NEXT) | instid1(VALU_DEP_2)
	v_lshrrev_b32_e32 v1, s67, v7
	v_mad_u32 v4, v3, s61, v4
	s_delay_alu instid0(VALU_DEP_4) | instskip(NEXT) | instid1(VALU_DEP_3)
	v_mad_u32 v2, v3, s60, v2
	v_mul_lo_u32 v5, v1, s65
	s_delay_alu instid0(VALU_DEP_1) | instskip(NEXT) | instid1(VALU_DEP_1)
	v_sub_nc_u32_e32 v3, v6, v5
	v_mad_u32 v4, v3, s63, v4
	s_delay_alu instid0(VALU_DEP_4)
	v_mad_u32 v2, v3, s62, v2
	s_cbranch_scc0 .LBB35_836
; %bb.837:
	s_delay_alu instid0(VALU_DEP_2)
	v_mov_b32_e32 v3, v4
	s_branch .LBB35_841
.LBB35_838:
	s_mov_b32 s24, -1
                                        ; implicit-def: $vgpr4
                                        ; implicit-def: $vgpr2
	s_branch .LBB35_846
.LBB35_839:
	v_dual_mov_b32 v4, 0 :: v_dual_mov_b32 v2, 0
	s_branch .LBB35_845
.LBB35_840:
	v_mov_b64_e32 v[2:3], 0
	s_wait_loadcnt 0x0
	v_mov_b32_e32 v1, v0
                                        ; implicit-def: $vgpr4
.LBB35_841:
	s_and_b32 s28, s39, 3
	s_mov_b32 s27, 0
	s_cmp_eq_u32 s28, 0
	s_cbranch_scc1 .LBB35_845
; %bb.842:
	s_lshl_b32 s24, s26, 3
	s_mov_b32 s25, s27
	s_mul_u64 s[26:27], s[26:27], 12
	s_add_nc_u64 s[24:25], s[2:3], s[24:25]
	s_add_nc_u64 s[26:27], s[2:3], s[26:27]
	s_add_nc_u64 s[24:25], s[24:25], 0xc4
.LBB35_843:                             ; =>This Inner Loop Header: Depth=1
	s_load_b96 s[48:50], s[26:27], 0x4
	s_add_co_i32 s28, s28, -1
	s_wait_xcnt 0x0
	s_add_nc_u64 s[26:27], s[26:27], 12
	s_cmp_lg_u32 s28, 0
	s_wait_kmcnt 0x0
	v_mul_hi_u32 v4, s49, v1
	s_delay_alu instid0(VALU_DEP_1) | instskip(NEXT) | instid1(VALU_DEP_1)
	v_add_nc_u32_e32 v4, v1, v4
	v_lshrrev_b32_e32 v4, s50, v4
	s_load_b64 s[50:51], s[24:25], 0x0
	s_wait_xcnt 0x0
	s_add_nc_u64 s[24:25], s[24:25], 8
	s_delay_alu instid0(VALU_DEP_1) | instskip(NEXT) | instid1(VALU_DEP_1)
	v_mul_lo_u32 v5, v4, s48
	v_sub_nc_u32_e32 v1, v1, v5
	s_wait_kmcnt 0x0
	s_delay_alu instid0(VALU_DEP_1)
	v_mad_u32 v3, v1, s51, v3
	v_mad_u32 v2, v1, s50, v2
	v_mov_b32_e32 v1, v4
	s_cbranch_scc1 .LBB35_843
; %bb.844:
	s_delay_alu instid0(VALU_DEP_3)
	v_mov_b32_e32 v4, v3
.LBB35_845:
	s_mov_b32 s24, 0
.LBB35_846:
	s_delay_alu instid0(SALU_CYCLE_1)
	s_and_not1_b32 vcc_lo, exec_lo, s24
	s_cbranch_vccnz .LBB35_849
; %bb.847:
	s_wait_loadcnt 0x0
	v_mov_b32_e32 v1, 0
	s_and_not1_b32 vcc_lo, exec_lo, s37
	s_delay_alu instid0(VALU_DEP_1) | instskip(NEXT) | instid1(VALU_DEP_1)
	v_mul_u64_e32 v[2:3], s[20:21], v[0:1]
	v_add_nc_u32_e32 v2, v0, v3
	s_delay_alu instid0(VALU_DEP_1) | instskip(NEXT) | instid1(VALU_DEP_1)
	v_lshrrev_b32_e32 v6, s10, v2
	v_mul_lo_u32 v2, v6, s8
	s_delay_alu instid0(VALU_DEP_1) | instskip(NEXT) | instid1(VALU_DEP_1)
	v_sub_nc_u32_e32 v0, v0, v2
	v_mul_lo_u32 v4, v0, s13
	v_mul_lo_u32 v2, v0, s12
	s_cbranch_vccnz .LBB35_849
; %bb.848:
	v_mov_b32_e32 v7, v1
	s_delay_alu instid0(VALU_DEP_1) | instskip(NEXT) | instid1(VALU_DEP_1)
	v_mul_u64_e32 v[0:1], s[22:23], v[6:7]
	v_add_nc_u32_e32 v0, v6, v1
	s_delay_alu instid0(VALU_DEP_1) | instskip(NEXT) | instid1(VALU_DEP_1)
	v_lshrrev_b32_e32 v0, s1, v0
	v_mul_lo_u32 v0, v0, s11
	s_delay_alu instid0(VALU_DEP_1) | instskip(NEXT) | instid1(VALU_DEP_1)
	v_sub_nc_u32_e32 v0, v6, v0
	v_mad_u32 v2, v0, s14, v2
	v_mad_u32 v4, v0, s15, v4
.LBB35_849:
	v_mov_b32_e32 v5, 0
	s_and_b32 s1, 0xffff, s9
	s_delay_alu instid0(SALU_CYCLE_1) | instskip(NEXT) | instid1(VALU_DEP_1)
	s_cmp_lt_i32 s1, 11
	v_add_nc_u64_e32 v[4:5], s[6:7], v[4:5]
	s_cbranch_scc1 .LBB35_856
; %bb.850:
	s_cmp_gt_i32 s1, 25
	s_mov_b32 s7, 0
	s_cbranch_scc0 .LBB35_857
; %bb.851:
	s_cmp_gt_i32 s1, 28
	s_cbranch_scc0 .LBB35_858
; %bb.852:
	s_cmp_gt_i32 s1, 43
	;; [unrolled: 3-line block ×3, first 2 shown]
	s_cbranch_scc0 .LBB35_862
; %bb.854:
	s_cmp_eq_u32 s1, 46
	s_mov_b32 s10, 0
	s_cbranch_scc0 .LBB35_865
; %bb.855:
	global_load_b32 v6, v[4:5], off
	s_mov_b32 s6, 0
	s_mov_b32 s8, -1
	s_branch .LBB35_867
.LBB35_856:
	s_mov_b32 s1, -1
	s_mov_b32 s8, 0
	s_mov_b32 s7, 0
	;; [unrolled: 1-line block ×3, first 2 shown]
                                        ; implicit-def: $vgpr6
	s_branch .LBB35_930
.LBB35_857:
	s_mov_b32 s10, -1
	s_mov_b32 s8, 0
	s_mov_b32 s6, s0
                                        ; implicit-def: $vgpr6
	s_branch .LBB35_896
.LBB35_858:
	s_mov_b32 s10, -1
	s_mov_b32 s8, 0
	s_mov_b32 s6, s0
                                        ; implicit-def: $vgpr6
	s_branch .LBB35_877
.LBB35_859:
	s_mov_b32 s10, -1
	s_mov_b32 s8, 0
	s_mov_b32 s6, s0
                                        ; implicit-def: $vgpr6
	s_branch .LBB35_872
.LBB35_860:
	s_and_not1_saveexec_b32 s31, s31
	s_cbranch_execz .LBB35_738
.LBB35_861:
	v_add_f32_e64 v5, 0x46000000, |v6|
	s_and_not1_b32 s30, s30, exec_lo
	s_delay_alu instid0(VALU_DEP_1) | instskip(NEXT) | instid1(VALU_DEP_1)
	v_and_b32_e32 v5, 0xff, v5
	v_cmp_ne_u32_e32 vcc_lo, 0, v5
	s_and_b32 s48, vcc_lo, exec_lo
	s_delay_alu instid0(SALU_CYCLE_1)
	s_or_b32 s30, s30, s48
	s_or_b32 exec_lo, exec_lo, s31
	v_mov_b32_e32 v7, 0
	s_and_saveexec_b32 s31, s30
	s_cbranch_execnz .LBB35_739
	s_branch .LBB35_740
.LBB35_862:
	s_mov_b32 s10, -1
	s_mov_b32 s8, 0
	s_mov_b32 s6, s0
	s_branch .LBB35_866
.LBB35_863:
	s_and_not1_saveexec_b32 s31, s31
	s_cbranch_execz .LBB35_751
.LBB35_864:
	v_add_f32_e64 v5, 0x42800000, |v6|
	s_and_not1_b32 s30, s30, exec_lo
	s_delay_alu instid0(VALU_DEP_1) | instskip(NEXT) | instid1(VALU_DEP_1)
	v_and_b32_e32 v5, 0xff, v5
	v_cmp_ne_u32_e32 vcc_lo, 0, v5
	s_and_b32 s48, vcc_lo, exec_lo
	s_delay_alu instid0(SALU_CYCLE_1)
	s_or_b32 s30, s30, s48
	s_or_b32 exec_lo, exec_lo, s31
	v_mov_b32_e32 v7, 0
	s_and_saveexec_b32 s31, s30
	s_cbranch_execnz .LBB35_752
	s_branch .LBB35_753
.LBB35_865:
	s_mov_b32 s6, -1
	s_mov_b32 s8, 0
.LBB35_866:
                                        ; implicit-def: $vgpr6
.LBB35_867:
	s_and_b32 vcc_lo, exec_lo, s10
	s_cbranch_vccz .LBB35_871
; %bb.868:
	s_cmp_eq_u32 s1, 44
	s_cbranch_scc0 .LBB35_870
; %bb.869:
	global_load_u8 v0, v[4:5], off
	s_mov_b32 s6, 0
	s_mov_b32 s8, -1
	s_wait_loadcnt 0x0
	v_lshlrev_b32_e32 v1, 23, v0
	v_cmp_ne_u32_e32 vcc_lo, 0xff, v0
	s_delay_alu instid0(VALU_DEP_2) | instskip(SKIP_1) | instid1(VALU_DEP_2)
	v_cndmask_b32_e32 v1, 0x7f800001, v1, vcc_lo
	v_cmp_ne_u32_e32 vcc_lo, 0, v0
	v_cndmask_b32_e32 v0, 0x400000, v1, vcc_lo
	s_delay_alu instid0(VALU_DEP_1) | instskip(NEXT) | instid1(VALU_DEP_1)
	v_add_nc_u32_e32 v1, 0x7fff, v0
	v_lshrrev_b32_e32 v1, 16, v1
	v_cmp_o_f32_e32 vcc_lo, v0, v0
	s_delay_alu instid0(VALU_DEP_2)
	v_cndmask_b32_e32 v6, 0x7fc0, v1, vcc_lo
	s_branch .LBB35_871
.LBB35_870:
	s_mov_b32 s6, -1
                                        ; implicit-def: $vgpr6
.LBB35_871:
	s_mov_b32 s10, 0
.LBB35_872:
	s_delay_alu instid0(SALU_CYCLE_1)
	s_and_b32 vcc_lo, exec_lo, s10
	s_cbranch_vccz .LBB35_876
; %bb.873:
	s_cmp_eq_u32 s1, 29
	s_cbranch_scc0 .LBB35_875
; %bb.874:
	s_wait_loadcnt 0x0
	global_load_b64 v[0:1], v[4:5], off
	s_mov_b32 s6, 0
	s_mov_b32 s8, -1
	s_mov_b32 s10, 0
	s_wait_loadcnt 0x0
	v_clz_i32_u32_e32 v3, v1
	s_delay_alu instid0(VALU_DEP_1) | instskip(NEXT) | instid1(VALU_DEP_1)
	v_min_u32_e32 v3, 32, v3
	v_lshlrev_b64_e32 v[0:1], v3, v[0:1]
	s_delay_alu instid0(VALU_DEP_1) | instskip(NEXT) | instid1(VALU_DEP_1)
	v_min_u32_e32 v0, 1, v0
	v_dual_sub_nc_u32 v1, 32, v3 :: v_dual_bitop2_b32 v0, v1, v0 bitop3:0x54
	s_delay_alu instid0(VALU_DEP_1) | instskip(NEXT) | instid1(VALU_DEP_1)
	v_cvt_f32_u32_e32 v0, v0
	v_ldexp_f32 v0, v0, v1
	s_delay_alu instid0(VALU_DEP_1) | instskip(NEXT) | instid1(VALU_DEP_1)
	v_bfe_u32 v1, v0, 16, 1
	v_add3_u32 v0, v0, v1, 0x7fff
	s_delay_alu instid0(VALU_DEP_1)
	v_lshrrev_b32_e32 v6, 16, v0
	s_branch .LBB35_877
.LBB35_875:
	s_mov_b32 s6, -1
                                        ; implicit-def: $vgpr6
.LBB35_876:
	s_mov_b32 s10, 0
.LBB35_877:
	s_delay_alu instid0(SALU_CYCLE_1)
	s_and_b32 vcc_lo, exec_lo, s10
	s_cbranch_vccz .LBB35_895
; %bb.878:
	s_cmp_lt_i32 s1, 27
	s_cbranch_scc1 .LBB35_881
; %bb.879:
	s_cmp_gt_i32 s1, 27
	s_cbranch_scc0 .LBB35_882
; %bb.880:
	global_load_b32 v0, v[4:5], off
	s_mov_b32 s8, 0
	s_wait_loadcnt 0x0
	v_cvt_f32_u32_e32 v0, v0
	s_delay_alu instid0(VALU_DEP_1) | instskip(NEXT) | instid1(VALU_DEP_1)
	v_bfe_u32 v1, v0, 16, 1
	v_add3_u32 v0, v0, v1, 0x7fff
	s_delay_alu instid0(VALU_DEP_1)
	v_lshrrev_b32_e32 v6, 16, v0
	s_branch .LBB35_883
.LBB35_881:
	s_mov_b32 s8, -1
                                        ; implicit-def: $vgpr6
	s_branch .LBB35_886
.LBB35_882:
	s_mov_b32 s8, -1
                                        ; implicit-def: $vgpr6
.LBB35_883:
	s_delay_alu instid0(SALU_CYCLE_1)
	s_and_not1_b32 vcc_lo, exec_lo, s8
	s_cbranch_vccnz .LBB35_885
; %bb.884:
	global_load_u16 v0, v[4:5], off
	s_wait_loadcnt 0x0
	v_cvt_f32_u32_e32 v0, v0
	s_delay_alu instid0(VALU_DEP_1) | instskip(NEXT) | instid1(VALU_DEP_1)
	v_bfe_u32 v1, v0, 16, 1
	v_add3_u32 v0, v0, v1, 0x7fff
	s_delay_alu instid0(VALU_DEP_1)
	v_lshrrev_b32_e32 v6, 16, v0
.LBB35_885:
	s_mov_b32 s8, 0
.LBB35_886:
	s_delay_alu instid0(SALU_CYCLE_1)
	s_and_not1_b32 vcc_lo, exec_lo, s8
	s_cbranch_vccnz .LBB35_894
; %bb.887:
	global_load_u8 v0, v[4:5], off
	s_mov_b32 s8, 0
	s_mov_b32 s10, exec_lo
	s_wait_loadcnt 0x0
	v_cmpx_lt_i16_e32 0x7f, v0
	s_xor_b32 s10, exec_lo, s10
	s_cbranch_execz .LBB35_908
; %bb.888:
	s_mov_b32 s8, -1
	s_mov_b32 s11, exec_lo
	v_cmpx_eq_u16_e32 0x80, v0
; %bb.889:
	s_xor_b32 s8, exec_lo, -1
; %bb.890:
	s_or_b32 exec_lo, exec_lo, s11
	s_delay_alu instid0(SALU_CYCLE_1)
	s_and_b32 s8, s8, exec_lo
	s_or_saveexec_b32 s10, s10
	v_mov_b32_e32 v1, 0x7f800001
	s_xor_b32 exec_lo, exec_lo, s10
	s_cbranch_execnz .LBB35_909
.LBB35_891:
	s_or_b32 exec_lo, exec_lo, s10
	s_and_saveexec_b32 s10, s8
	s_cbranch_execz .LBB35_893
.LBB35_892:
	v_and_b32_e32 v1, 0xffff, v0
	s_delay_alu instid0(VALU_DEP_1) | instskip(SKIP_1) | instid1(VALU_DEP_2)
	v_and_b32_e32 v3, 7, v1
	v_bfe_u32 v8, v1, 3, 4
	v_clz_i32_u32_e32 v6, v3
	s_delay_alu instid0(VALU_DEP_2) | instskip(NEXT) | instid1(VALU_DEP_2)
	v_cmp_eq_u32_e32 vcc_lo, 0, v8
	v_min_u32_e32 v6, 32, v6
	s_delay_alu instid0(VALU_DEP_1) | instskip(NEXT) | instid1(VALU_DEP_1)
	v_subrev_nc_u32_e32 v7, 28, v6
	v_dual_lshlrev_b32 v1, v7, v1 :: v_dual_sub_nc_u32 v6, 29, v6
	s_delay_alu instid0(VALU_DEP_1) | instskip(NEXT) | instid1(VALU_DEP_1)
	v_dual_lshlrev_b32 v0, 24, v0 :: v_dual_bitop2_b32 v1, 7, v1 bitop3:0x40
	v_dual_cndmask_b32 v6, v8, v6 :: v_dual_cndmask_b32 v1, v3, v1
	s_delay_alu instid0(VALU_DEP_2) | instskip(NEXT) | instid1(VALU_DEP_2)
	v_and_b32_e32 v0, 0x80000000, v0
	v_lshl_add_u32 v3, v6, 23, 0x3b800000
	s_delay_alu instid0(VALU_DEP_3) | instskip(NEXT) | instid1(VALU_DEP_1)
	v_lshlrev_b32_e32 v1, 20, v1
	v_or3_b32 v1, v0, v3, v1
.LBB35_893:
	s_or_b32 exec_lo, exec_lo, s10
	s_delay_alu instid0(VALU_DEP_1) | instskip(SKIP_1) | instid1(VALU_DEP_2)
	v_bfe_u32 v0, v1, 16, 1
	v_cmp_o_f32_e32 vcc_lo, v1, v1
	v_add3_u32 v0, v1, v0, 0x7fff
	s_delay_alu instid0(VALU_DEP_1) | instskip(NEXT) | instid1(VALU_DEP_1)
	v_lshrrev_b32_e32 v0, 16, v0
	v_cndmask_b32_e32 v6, 0x7fc0, v0, vcc_lo
.LBB35_894:
	s_mov_b32 s8, -1
.LBB35_895:
	s_mov_b32 s10, 0
.LBB35_896:
	s_delay_alu instid0(SALU_CYCLE_1)
	s_and_b32 vcc_lo, exec_lo, s10
	s_cbranch_vccz .LBB35_929
; %bb.897:
	s_cmp_gt_i32 s1, 22
	s_cbranch_scc0 .LBB35_907
; %bb.898:
	s_cmp_lt_i32 s1, 24
	s_cbranch_scc1 .LBB35_910
; %bb.899:
	s_cmp_gt_i32 s1, 24
	s_cbranch_scc0 .LBB35_911
; %bb.900:
	global_load_u8 v0, v[4:5], off
	s_mov_b32 s8, exec_lo
	s_wait_loadcnt 0x0
	v_cmpx_lt_i16_e32 0x7f, v0
	s_xor_b32 s8, exec_lo, s8
	s_cbranch_execz .LBB35_923
; %bb.901:
	s_mov_b32 s7, -1
	s_mov_b32 s10, exec_lo
	v_cmpx_eq_u16_e32 0x80, v0
; %bb.902:
	s_xor_b32 s7, exec_lo, -1
; %bb.903:
	s_or_b32 exec_lo, exec_lo, s10
	s_delay_alu instid0(SALU_CYCLE_1)
	s_and_b32 s7, s7, exec_lo
	s_or_saveexec_b32 s8, s8
	v_mov_b32_e32 v1, 0x7f800001
	s_xor_b32 exec_lo, exec_lo, s8
	s_cbranch_execnz .LBB35_924
.LBB35_904:
	s_or_b32 exec_lo, exec_lo, s8
	s_and_saveexec_b32 s8, s7
	s_cbranch_execz .LBB35_906
.LBB35_905:
	v_and_b32_e32 v1, 0xffff, v0
	s_delay_alu instid0(VALU_DEP_1) | instskip(SKIP_1) | instid1(VALU_DEP_2)
	v_and_b32_e32 v3, 3, v1
	v_bfe_u32 v8, v1, 2, 5
	v_clz_i32_u32_e32 v6, v3
	s_delay_alu instid0(VALU_DEP_2) | instskip(NEXT) | instid1(VALU_DEP_2)
	v_cmp_eq_u32_e32 vcc_lo, 0, v8
	v_min_u32_e32 v6, 32, v6
	s_delay_alu instid0(VALU_DEP_1) | instskip(NEXT) | instid1(VALU_DEP_1)
	v_subrev_nc_u32_e32 v7, 29, v6
	v_dual_lshlrev_b32 v1, v7, v1 :: v_dual_sub_nc_u32 v6, 30, v6
	s_delay_alu instid0(VALU_DEP_1) | instskip(NEXT) | instid1(VALU_DEP_1)
	v_dual_lshlrev_b32 v0, 24, v0 :: v_dual_bitop2_b32 v1, 3, v1 bitop3:0x40
	v_dual_cndmask_b32 v6, v8, v6 :: v_dual_cndmask_b32 v1, v3, v1
	s_delay_alu instid0(VALU_DEP_2) | instskip(NEXT) | instid1(VALU_DEP_2)
	v_and_b32_e32 v0, 0x80000000, v0
	v_lshl_add_u32 v3, v6, 23, 0x37800000
	s_delay_alu instid0(VALU_DEP_3) | instskip(NEXT) | instid1(VALU_DEP_1)
	v_lshlrev_b32_e32 v1, 21, v1
	v_or3_b32 v1, v0, v3, v1
.LBB35_906:
	s_or_b32 exec_lo, exec_lo, s8
	s_delay_alu instid0(VALU_DEP_1) | instskip(SKIP_2) | instid1(VALU_DEP_2)
	v_bfe_u32 v0, v1, 16, 1
	v_cmp_o_f32_e32 vcc_lo, v1, v1
	s_mov_b32 s7, 0
	v_add3_u32 v0, v1, v0, 0x7fff
	s_delay_alu instid0(VALU_DEP_1) | instskip(NEXT) | instid1(VALU_DEP_1)
	v_lshrrev_b32_e32 v0, 16, v0
	v_cndmask_b32_e32 v6, 0x7fc0, v0, vcc_lo
	s_branch .LBB35_912
.LBB35_907:
	s_mov_b32 s7, -1
                                        ; implicit-def: $vgpr6
	s_branch .LBB35_918
.LBB35_908:
	s_or_saveexec_b32 s10, s10
	v_mov_b32_e32 v1, 0x7f800001
	s_xor_b32 exec_lo, exec_lo, s10
	s_cbranch_execz .LBB35_891
.LBB35_909:
	v_cmp_ne_u16_e32 vcc_lo, 0, v0
	v_mov_b32_e32 v1, 0
	s_and_not1_b32 s8, s8, exec_lo
	s_and_b32 s11, vcc_lo, exec_lo
	s_delay_alu instid0(SALU_CYCLE_1)
	s_or_b32 s8, s8, s11
	s_or_b32 exec_lo, exec_lo, s10
	s_and_saveexec_b32 s10, s8
	s_cbranch_execnz .LBB35_892
	s_branch .LBB35_893
.LBB35_910:
	s_mov_b32 s7, -1
                                        ; implicit-def: $vgpr6
	s_branch .LBB35_915
.LBB35_911:
	s_mov_b32 s7, -1
                                        ; implicit-def: $vgpr6
.LBB35_912:
	s_delay_alu instid0(SALU_CYCLE_1)
	s_and_b32 vcc_lo, exec_lo, s7
	s_cbranch_vccz .LBB35_914
; %bb.913:
	global_load_u8 v0, v[4:5], off
	s_wait_loadcnt 0x0
	v_lshlrev_b32_e32 v0, 24, v0
	s_delay_alu instid0(VALU_DEP_1) | instskip(NEXT) | instid1(VALU_DEP_1)
	v_and_b32_e32 v1, 0x7f000000, v0
	v_clz_i32_u32_e32 v3, v1
	v_add_nc_u32_e32 v7, 0x1000000, v1
	v_cmp_ne_u32_e32 vcc_lo, 0, v1
	s_delay_alu instid0(VALU_DEP_3) | instskip(NEXT) | instid1(VALU_DEP_1)
	v_min_u32_e32 v3, 32, v3
	v_sub_nc_u32_e64 v3, v3, 4 clamp
	s_delay_alu instid0(VALU_DEP_1) | instskip(NEXT) | instid1(VALU_DEP_1)
	v_dual_lshlrev_b32 v6, v3, v1 :: v_dual_lshlrev_b32 v3, 23, v3
	v_lshrrev_b32_e32 v6, 4, v6
	s_delay_alu instid0(VALU_DEP_1) | instskip(SKIP_1) | instid1(VALU_DEP_2)
	v_sub_nc_u32_e32 v3, v6, v3
	v_ashrrev_i32_e32 v6, 8, v7
	v_add_nc_u32_e32 v3, 0x3c000000, v3
	s_delay_alu instid0(VALU_DEP_1) | instskip(NEXT) | instid1(VALU_DEP_1)
	v_and_or_b32 v3, 0x7f800000, v6, v3
	v_cndmask_b32_e32 v1, 0, v3, vcc_lo
	s_delay_alu instid0(VALU_DEP_1) | instskip(SKIP_1) | instid1(VALU_DEP_2)
	v_and_or_b32 v0, 0x80000000, v0, v1
	v_bfe_u32 v1, v1, 16, 1
	v_cmp_o_f32_e32 vcc_lo, v0, v0
	s_delay_alu instid0(VALU_DEP_2) | instskip(NEXT) | instid1(VALU_DEP_1)
	v_add3_u32 v1, v0, v1, 0x7fff
	v_lshrrev_b32_e32 v1, 16, v1
	s_delay_alu instid0(VALU_DEP_1)
	v_cndmask_b32_e32 v6, 0x7fc0, v1, vcc_lo
.LBB35_914:
	s_mov_b32 s7, 0
.LBB35_915:
	s_delay_alu instid0(SALU_CYCLE_1)
	s_and_not1_b32 vcc_lo, exec_lo, s7
	s_cbranch_vccnz .LBB35_917
; %bb.916:
	global_load_u8 v0, v[4:5], off
	s_wait_loadcnt 0x0
	v_lshlrev_b32_e32 v1, 25, v0
	v_lshlrev_b16 v0, 8, v0
	s_delay_alu instid0(VALU_DEP_1) | instskip(SKIP_1) | instid1(VALU_DEP_2)
	v_and_or_b32 v6, 0x7f00, v0, 0.5
	v_bfe_i32 v0, v0, 0, 16
	v_dual_add_f32 v6, -0.5, v6 :: v_dual_lshrrev_b32 v3, 4, v1
	v_cmp_gt_u32_e32 vcc_lo, 0x8000000, v1
	s_delay_alu instid0(VALU_DEP_2) | instskip(NEXT) | instid1(VALU_DEP_1)
	v_or_b32_e32 v3, 0x70000000, v3
	v_mul_f32_e32 v3, 0x7800000, v3
	s_delay_alu instid0(VALU_DEP_1) | instskip(NEXT) | instid1(VALU_DEP_1)
	v_cndmask_b32_e32 v1, v3, v6, vcc_lo
	v_and_or_b32 v0, 0x80000000, v0, v1
	v_bfe_u32 v1, v1, 16, 1
	s_delay_alu instid0(VALU_DEP_2) | instskip(NEXT) | instid1(VALU_DEP_2)
	v_cmp_o_f32_e32 vcc_lo, v0, v0
	v_add3_u32 v1, v0, v1, 0x7fff
	s_delay_alu instid0(VALU_DEP_1) | instskip(NEXT) | instid1(VALU_DEP_1)
	v_lshrrev_b32_e32 v1, 16, v1
	v_cndmask_b32_e32 v6, 0x7fc0, v1, vcc_lo
.LBB35_917:
	s_mov_b32 s7, 0
	s_mov_b32 s8, -1
.LBB35_918:
	s_and_not1_b32 vcc_lo, exec_lo, s7
	s_mov_b32 s7, 0
	s_cbranch_vccnz .LBB35_929
; %bb.919:
	s_cmp_gt_i32 s1, 14
	s_cbranch_scc0 .LBB35_922
; %bb.920:
	s_cmp_eq_u32 s1, 15
	s_cbranch_scc0 .LBB35_925
; %bb.921:
	s_wait_loadcnt 0x0
	global_load_u16 v6, v[4:5], off
	s_mov_b32 s6, 0
	s_mov_b32 s8, -1
	s_branch .LBB35_927
.LBB35_922:
	s_mov_b32 s7, -1
	s_branch .LBB35_926
.LBB35_923:
	s_or_saveexec_b32 s8, s8
	v_mov_b32_e32 v1, 0x7f800001
	s_xor_b32 exec_lo, exec_lo, s8
	s_cbranch_execz .LBB35_904
.LBB35_924:
	v_cmp_ne_u16_e32 vcc_lo, 0, v0
	v_mov_b32_e32 v1, 0
	s_and_not1_b32 s7, s7, exec_lo
	s_and_b32 s10, vcc_lo, exec_lo
	s_delay_alu instid0(SALU_CYCLE_1)
	s_or_b32 s7, s7, s10
	s_or_b32 exec_lo, exec_lo, s8
	s_and_saveexec_b32 s8, s7
	s_cbranch_execnz .LBB35_905
	s_branch .LBB35_906
.LBB35_925:
	s_mov_b32 s6, -1
.LBB35_926:
                                        ; implicit-def: $vgpr6
.LBB35_927:
	s_and_b32 vcc_lo, exec_lo, s7
	s_mov_b32 s7, 0
	s_cbranch_vccz .LBB35_929
; %bb.928:
	s_cmp_lg_u32 s1, 11
	s_mov_b32 s7, -1
	s_cselect_b32 s1, -1, 0
	s_and_not1_b32 s6, s6, exec_lo
	s_and_b32 s1, s1, exec_lo
	s_delay_alu instid0(SALU_CYCLE_1)
	s_or_b32 s6, s6, s1
.LBB35_929:
	s_mov_b32 s1, 0
.LBB35_930:
	s_delay_alu instid0(SALU_CYCLE_1)
	s_and_b32 s26, s1, exec_lo
	s_and_not1_b32 s1, s0, exec_lo
	s_and_b32 s6, s6, exec_lo
	s_and_b32 s28, s8, exec_lo
	;; [unrolled: 1-line block ×3, first 2 shown]
	s_or_b32 s29, s1, s6
.LBB35_931:
	s_wait_xcnt 0x0
	s_or_b32 exec_lo, exec_lo, s38
	s_delay_alu instid0(SALU_CYCLE_1)
	s_and_not1_b32 s0, s0, exec_lo
	s_and_b32 s1, s29, exec_lo
	s_and_b32 s28, s28, exec_lo
	;; [unrolled: 1-line block ×4, first 2 shown]
	s_or_b32 s0, s0, s1
.LBB35_932:
	s_or_b32 exec_lo, exec_lo, s31
	s_delay_alu instid0(SALU_CYCLE_1)
	s_and_not1_b32 s1, s45, exec_lo
	s_and_b32 s6, s30, exec_lo
	s_and_b32 s0, s0, exec_lo
	s_or_b32 s45, s1, s6
	s_and_not1_b32 s1, s44, exec_lo
	s_and_b32 s28, s28, exec_lo
	s_and_b32 s26, s26, exec_lo
	;; [unrolled: 1-line block ×3, first 2 shown]
	s_or_b32 s44, s1, s0
.LBB35_933:
	s_or_b32 exec_lo, exec_lo, s46
	s_delay_alu instid0(SALU_CYCLE_1)
	s_and_not1_b32 s0, s41, exec_lo
	s_and_b32 s1, s45, exec_lo
	s_and_b32 s6, s44, exec_lo
	s_or_b32 s41, s0, s1
	s_and_not1_b32 s1, s42, exec_lo
	s_and_b32 s0, s28, exec_lo
	s_and_b32 s26, s26, exec_lo
	;; [unrolled: 1-line block ×3, first 2 shown]
	s_or_b32 s42, s1, s6
	s_or_b32 exec_lo, exec_lo, s43
	s_mov_b32 s1, 0
	s_and_saveexec_b32 s6, s42
	s_cbranch_execz .LBB35_278
.LBB35_934:
	s_mov_b32 s1, exec_lo
	s_and_not1_b32 s21, s21, exec_lo
	s_trap 2
	s_or_b32 exec_lo, exec_lo, s6
	s_and_saveexec_b32 s6, s21
	s_delay_alu instid0(SALU_CYCLE_1)
	s_xor_b32 s6, exec_lo, s6
	s_cbranch_execnz .LBB35_279
.LBB35_935:
	s_or_b32 exec_lo, exec_lo, s6
	s_and_saveexec_b32 s6, s26
	s_cbranch_execz .LBB35_981
.LBB35_936:
	s_sext_i32_i16 s7, s9
	s_delay_alu instid0(SALU_CYCLE_1)
	s_cmp_lt_i32 s7, 5
	s_cbranch_scc1 .LBB35_941
; %bb.937:
	s_cmp_lt_i32 s7, 8
	s_cbranch_scc1 .LBB35_942
; %bb.938:
	;; [unrolled: 3-line block ×3, first 2 shown]
	s_cmp_gt_i32 s7, 9
	s_cbranch_scc0 .LBB35_944
; %bb.940:
	s_wait_loadcnt 0x0
	global_load_b64 v[0:1], v[4:5], off
	s_mov_b32 s7, 0
	s_wait_loadcnt 0x0
	v_cvt_f32_f64_e32 v0, v[0:1]
	s_delay_alu instid0(VALU_DEP_1) | instskip(SKIP_1) | instid1(VALU_DEP_2)
	v_bfe_u32 v1, v0, 16, 1
	v_cmp_o_f32_e32 vcc_lo, v0, v0
	v_add3_u32 v1, v0, v1, 0x7fff
	s_delay_alu instid0(VALU_DEP_1) | instskip(NEXT) | instid1(VALU_DEP_1)
	v_lshrrev_b32_e32 v1, 16, v1
	v_cndmask_b32_e32 v6, 0x7fc0, v1, vcc_lo
	s_branch .LBB35_945
.LBB35_941:
                                        ; implicit-def: $vgpr6
	s_branch .LBB35_962
.LBB35_942:
                                        ; implicit-def: $vgpr6
	s_branch .LBB35_951
.LBB35_943:
	s_mov_b32 s7, -1
                                        ; implicit-def: $vgpr6
	s_branch .LBB35_948
.LBB35_944:
	s_mov_b32 s7, -1
                                        ; implicit-def: $vgpr6
.LBB35_945:
	s_delay_alu instid0(SALU_CYCLE_1)
	s_and_not1_b32 vcc_lo, exec_lo, s7
	s_cbranch_vccnz .LBB35_947
; %bb.946:
	global_load_b32 v0, v[4:5], off
	s_wait_loadcnt 0x0
	v_bfe_u32 v1, v0, 16, 1
	v_cmp_o_f32_e32 vcc_lo, v0, v0
	s_delay_alu instid0(VALU_DEP_2) | instskip(NEXT) | instid1(VALU_DEP_1)
	v_add3_u32 v1, v0, v1, 0x7fff
	v_lshrrev_b32_e32 v1, 16, v1
	s_delay_alu instid0(VALU_DEP_1)
	v_cndmask_b32_e32 v6, 0x7fc0, v1, vcc_lo
.LBB35_947:
	s_mov_b32 s7, 0
.LBB35_948:
	s_delay_alu instid0(SALU_CYCLE_1)
	s_and_not1_b32 vcc_lo, exec_lo, s7
	s_cbranch_vccnz .LBB35_950
; %bb.949:
	global_load_b32 v0, v[4:5], off
	s_wait_loadcnt 0x0
	v_cvt_f32_f16_e32 v1, v0
	v_cmp_o_f16_e32 vcc_lo, v0, v0
	s_delay_alu instid0(VALU_DEP_2) | instskip(NEXT) | instid1(VALU_DEP_1)
	v_bfe_u32 v3, v1, 16, 1
	v_add3_u32 v1, v1, v3, 0x7fff
	s_delay_alu instid0(VALU_DEP_1) | instskip(NEXT) | instid1(VALU_DEP_1)
	v_lshrrev_b32_e32 v1, 16, v1
	v_cndmask_b32_e32 v6, 0x7fc0, v1, vcc_lo
.LBB35_950:
	s_cbranch_execnz .LBB35_961
.LBB35_951:
	s_sext_i32_i16 s7, s9
	s_delay_alu instid0(SALU_CYCLE_1)
	s_cmp_lt_i32 s7, 6
	s_cbranch_scc1 .LBB35_954
; %bb.952:
	s_cmp_gt_i32 s7, 6
	s_cbranch_scc0 .LBB35_955
; %bb.953:
	s_wait_loadcnt 0x0
	global_load_b64 v[0:1], v[4:5], off
	s_mov_b32 s7, 0
	s_wait_loadcnt 0x0
	v_cvt_f32_f64_e32 v0, v[0:1]
	s_delay_alu instid0(VALU_DEP_1) | instskip(SKIP_1) | instid1(VALU_DEP_2)
	v_bfe_u32 v1, v0, 16, 1
	v_cmp_o_f32_e32 vcc_lo, v0, v0
	v_add3_u32 v1, v0, v1, 0x7fff
	s_delay_alu instid0(VALU_DEP_1) | instskip(NEXT) | instid1(VALU_DEP_1)
	v_lshrrev_b32_e32 v1, 16, v1
	v_cndmask_b32_e32 v6, 0x7fc0, v1, vcc_lo
	s_branch .LBB35_956
.LBB35_954:
	s_mov_b32 s7, -1
                                        ; implicit-def: $vgpr6
	s_branch .LBB35_959
.LBB35_955:
	s_mov_b32 s7, -1
                                        ; implicit-def: $vgpr6
.LBB35_956:
	s_delay_alu instid0(SALU_CYCLE_1)
	s_and_not1_b32 vcc_lo, exec_lo, s7
	s_cbranch_vccnz .LBB35_958
; %bb.957:
	global_load_b32 v0, v[4:5], off
	s_wait_loadcnt 0x0
	v_bfe_u32 v1, v0, 16, 1
	v_cmp_o_f32_e32 vcc_lo, v0, v0
	s_delay_alu instid0(VALU_DEP_2) | instskip(NEXT) | instid1(VALU_DEP_1)
	v_add3_u32 v1, v0, v1, 0x7fff
	v_lshrrev_b32_e32 v1, 16, v1
	s_delay_alu instid0(VALU_DEP_1)
	v_cndmask_b32_e32 v6, 0x7fc0, v1, vcc_lo
.LBB35_958:
	s_mov_b32 s7, 0
.LBB35_959:
	s_delay_alu instid0(SALU_CYCLE_1)
	s_and_not1_b32 vcc_lo, exec_lo, s7
	s_cbranch_vccnz .LBB35_961
; %bb.960:
	global_load_u16 v0, v[4:5], off
	s_wait_loadcnt 0x0
	v_cvt_f32_f16_e32 v1, v0
	v_cmp_o_f16_e32 vcc_lo, v0, v0
	s_delay_alu instid0(VALU_DEP_2) | instskip(NEXT) | instid1(VALU_DEP_1)
	v_bfe_u32 v3, v1, 16, 1
	v_add3_u32 v1, v1, v3, 0x7fff
	s_delay_alu instid0(VALU_DEP_1) | instskip(NEXT) | instid1(VALU_DEP_1)
	v_lshrrev_b32_e32 v1, 16, v1
	v_cndmask_b32_e32 v6, 0x7fc0, v1, vcc_lo
.LBB35_961:
	s_cbranch_execnz .LBB35_980
.LBB35_962:
	s_sext_i32_i16 s7, s9
	s_delay_alu instid0(SALU_CYCLE_1)
	s_cmp_lt_i32 s7, 2
	s_cbranch_scc1 .LBB35_966
; %bb.963:
	s_cmp_lt_i32 s7, 3
	s_cbranch_scc1 .LBB35_967
; %bb.964:
	s_cmp_gt_i32 s7, 3
	s_cbranch_scc0 .LBB35_968
; %bb.965:
	s_wait_loadcnt 0x0
	global_load_b64 v[0:1], v[4:5], off
	s_mov_b32 s7, 0
	s_wait_loadcnt 0x0
	v_xor_b32_e32 v3, v0, v1
	v_cls_i32_e32 v6, v1
	s_delay_alu instid0(VALU_DEP_2) | instskip(NEXT) | instid1(VALU_DEP_1)
	v_ashrrev_i32_e32 v3, 31, v3
	v_add_nc_u32_e32 v3, 32, v3
	s_delay_alu instid0(VALU_DEP_1) | instskip(NEXT) | instid1(VALU_DEP_1)
	v_add_min_u32_e64 v3, v6, -1, v3
	v_lshlrev_b64_e32 v[0:1], v3, v[0:1]
	s_delay_alu instid0(VALU_DEP_1) | instskip(NEXT) | instid1(VALU_DEP_1)
	v_min_u32_e32 v0, 1, v0
	v_dual_sub_nc_u32 v1, 32, v3 :: v_dual_bitop2_b32 v0, v1, v0 bitop3:0x54
	s_delay_alu instid0(VALU_DEP_1) | instskip(NEXT) | instid1(VALU_DEP_1)
	v_cvt_f32_i32_e32 v0, v0
	v_ldexp_f32 v0, v0, v1
	s_delay_alu instid0(VALU_DEP_1) | instskip(NEXT) | instid1(VALU_DEP_1)
	v_bfe_u32 v1, v0, 16, 1
	v_add3_u32 v0, v0, v1, 0x7fff
	s_delay_alu instid0(VALU_DEP_1)
	v_lshrrev_b32_e32 v6, 16, v0
	s_branch .LBB35_969
.LBB35_966:
                                        ; implicit-def: $vgpr6
	s_branch .LBB35_975
.LBB35_967:
	s_mov_b32 s7, -1
                                        ; implicit-def: $vgpr6
	s_branch .LBB35_972
.LBB35_968:
	s_mov_b32 s7, -1
                                        ; implicit-def: $vgpr6
.LBB35_969:
	s_delay_alu instid0(SALU_CYCLE_1)
	s_and_not1_b32 vcc_lo, exec_lo, s7
	s_cbranch_vccnz .LBB35_971
; %bb.970:
	global_load_b32 v0, v[4:5], off
	s_wait_loadcnt 0x0
	v_cvt_f32_i32_e32 v0, v0
	s_delay_alu instid0(VALU_DEP_1) | instskip(NEXT) | instid1(VALU_DEP_1)
	v_bfe_u32 v1, v0, 16, 1
	v_add3_u32 v0, v0, v1, 0x7fff
	s_delay_alu instid0(VALU_DEP_1)
	v_lshrrev_b32_e32 v6, 16, v0
.LBB35_971:
	s_mov_b32 s7, 0
.LBB35_972:
	s_delay_alu instid0(SALU_CYCLE_1)
	s_and_not1_b32 vcc_lo, exec_lo, s7
	s_cbranch_vccnz .LBB35_974
; %bb.973:
	global_load_i16 v0, v[4:5], off
	s_wait_loadcnt 0x0
	v_cvt_f32_i32_e32 v0, v0
	s_delay_alu instid0(VALU_DEP_1) | instskip(NEXT) | instid1(VALU_DEP_1)
	v_bfe_u32 v1, v0, 16, 1
	v_add3_u32 v0, v0, v1, 0x7fff
	s_delay_alu instid0(VALU_DEP_1)
	v_lshrrev_b32_e32 v6, 16, v0
.LBB35_974:
	s_cbranch_execnz .LBB35_980
.LBB35_975:
	s_sext_i32_i16 s7, s9
	s_delay_alu instid0(SALU_CYCLE_1)
	s_cmp_gt_i32 s7, 0
	s_mov_b32 s7, 0
	s_cbranch_scc0 .LBB35_977
; %bb.976:
	global_load_i8 v0, v[4:5], off
	s_wait_loadcnt 0x0
	v_cvt_f32_i32_e32 v0, v0
	s_delay_alu instid0(VALU_DEP_1) | instskip(NEXT) | instid1(VALU_DEP_1)
	v_bfe_u32 v1, v0, 16, 1
	v_add3_u32 v0, v0, v1, 0x7fff
	s_delay_alu instid0(VALU_DEP_1)
	v_lshrrev_b32_e32 v6, 16, v0
	s_branch .LBB35_978
.LBB35_977:
	s_mov_b32 s7, -1
                                        ; implicit-def: $vgpr6
.LBB35_978:
	s_delay_alu instid0(SALU_CYCLE_1)
	s_and_not1_b32 vcc_lo, exec_lo, s7
	s_cbranch_vccnz .LBB35_980
; %bb.979:
	global_load_u8 v0, v[4:5], off
	s_wait_loadcnt 0x0
	v_cvt_f32_ubyte0_e32 v0, v0
	s_delay_alu instid0(VALU_DEP_1) | instskip(NEXT) | instid1(VALU_DEP_1)
	v_bfe_u32 v1, v0, 16, 1
	v_add3_u32 v0, v0, v1, 0x7fff
	s_delay_alu instid0(VALU_DEP_1)
	v_lshrrev_b32_e32 v6, 16, v0
.LBB35_980:
	s_or_b32 s0, s0, exec_lo
.LBB35_981:
	s_wait_xcnt 0x0
	s_or_b32 exec_lo, exec_lo, s6
	s_mov_b32 s9, 0
	s_mov_b32 s8, 0
                                        ; implicit-def: $sgpr6
                                        ; implicit-def: $vgpr0_vgpr1
                                        ; implicit-def: $vgpr3
	s_and_saveexec_b32 s7, s0
	s_cbranch_execz .LBB35_991
; %bb.982:
	s_wait_loadcnt 0x0
	v_lshlrev_b32_e32 v4, 16, v6
	s_mov_b32 s0, exec_lo
	s_delay_alu instid0(VALU_DEP_1) | instskip(NEXT) | instid1(VALU_DEP_1)
	v_mul_f32_e32 v0, s16, v4
	v_cmpx_nlt_f32_e32 s17, v0
	s_cbranch_execz .LBB35_984
; %bb.983:
	v_mul_f32_e32 v1, 0x3fb8aa3b, v0
	v_cmp_ngt_f32_e32 vcc_lo, 0xc2ce8ed0, v0
	s_mov_b32 s6, 0x3e9b6dac
	s_delay_alu instid0(VALU_DEP_2) | instskip(SKIP_1) | instid1(VALU_DEP_1)
	v_rndne_f32_e32 v3, v1
	v_fma_f32 v4, 0x3fb8aa3b, v0, -v1
	v_dual_sub_f32 v1, v1, v3 :: v_dual_fmamk_f32 v4, v0, 0x32a5705f, v4
	v_cvt_i32_f32_e32 v3, v3
	s_delay_alu instid0(VALU_DEP_2) | instskip(NEXT) | instid1(VALU_DEP_1)
	v_add_f32_e32 v1, v1, v4
	v_exp_f32_e32 v1, v1
	v_nop
	s_delay_alu instid0(TRANS32_DEP_1) | instskip(NEXT) | instid1(VALU_DEP_1)
	v_ldexp_f32 v1, v1, v3
	v_cndmask_b32_e32 v1, 0, v1, vcc_lo
	v_cmp_nlt_f32_e32 vcc_lo, 0x42b17218, v0
	s_delay_alu instid0(VALU_DEP_2) | instskip(NEXT) | instid1(VALU_DEP_1)
	v_cndmask_b32_e32 v18, 0x7f800000, v1, vcc_lo
	v_add_f32_e32 v3, 1.0, v18
	s_delay_alu instid0(VALU_DEP_1) | instskip(NEXT) | instid1(VALU_DEP_1)
	v_cvt_f64_f32_e32 v[0:1], v3
	v_frexp_exp_i32_f64_e32 v0, v[0:1]
	v_frexp_mant_f32_e32 v1, v3
	s_delay_alu instid0(VALU_DEP_1) | instskip(NEXT) | instid1(VALU_DEP_3)
	v_cmp_gt_f32_e32 vcc_lo, 0x3f2aaaab, v1
	v_subrev_co_ci_u32_e64 v8, null, 0, v0, vcc_lo
	s_delay_alu instid0(VALU_DEP_1) | instskip(SKIP_1) | instid1(VALU_DEP_2)
	v_dual_add_f32 v0, -1.0, v3 :: v_dual_sub_nc_u32 v1, 0, v8
	v_cmp_neq_f32_e32 vcc_lo, 0x7f800000, v18
	v_sub_f32_e32 v4, v0, v3
	s_delay_alu instid0(VALU_DEP_3) | instskip(SKIP_1) | instid1(VALU_DEP_2)
	v_ldexp_f32 v3, v3, v1
	v_sub_f32_e32 v0, v18, v0
	v_dual_add_f32 v4, 1.0, v4 :: v_dual_add_f32 v7, -1.0, v3
	s_delay_alu instid0(VALU_DEP_1) | instskip(NEXT) | instid1(VALU_DEP_1)
	v_dual_add_f32 v5, 1.0, v3 :: v_dual_add_f32 v0, v0, v4
	v_add_f32_e32 v4, -1.0, v5
	s_delay_alu instid0(VALU_DEP_2) | instskip(NEXT) | instid1(VALU_DEP_2)
	v_ldexp_f32 v0, v0, v1
	v_dual_sub_f32 v1, v3, v4 :: v_dual_add_f32 v4, 1.0, v7
	s_delay_alu instid0(VALU_DEP_1) | instskip(NEXT) | instid1(VALU_DEP_1)
	v_dual_add_f32 v6, v0, v1 :: v_dual_sub_f32 v1, v3, v4
	v_dual_add_f32 v3, v5, v6 :: v_dual_add_f32 v9, v0, v1
	s_delay_alu instid0(VALU_DEP_1) | instskip(NEXT) | instid1(VALU_DEP_1)
	v_rcp_f32_e32 v10, v3
	v_dual_add_f32 v1, v7, v9 :: v_dual_sub_f32 v0, v5, v3
	s_delay_alu instid0(TRANS32_DEP_1) | instid1(VALU_DEP_1)
	v_dual_sub_f32 v13, v7, v1 :: v_dual_mul_f32 v11, v1, v10
	s_delay_alu instid0(VALU_DEP_1) | instskip(NEXT) | instid1(VALU_DEP_1)
	v_dual_add_f32 v12, v6, v0 :: v_dual_mul_f32 v4, v3, v11
	v_fma_f32 v6, v11, v3, -v4
	s_delay_alu instid0(VALU_DEP_1) | instskip(NEXT) | instid1(VALU_DEP_1)
	v_fmac_f32_e32 v6, v11, v12
	v_add_f32_e32 v0, v4, v6
	s_delay_alu instid0(VALU_DEP_1) | instskip(NEXT) | instid1(VALU_DEP_1)
	v_dual_sub_f32 v5, v1, v0 :: v_dual_mov_b32 v7, v0
	v_pk_add_f32 v[0:1], v[0:1], v[4:5] neg_lo:[0,1] neg_hi:[0,1]
	v_add_f32_e32 v4, v9, v13
	s_delay_alu instid0(VALU_DEP_2) | instskip(NEXT) | instid1(VALU_DEP_1)
	v_pk_add_f32 v[0:1], v[0:1], v[6:7] neg_lo:[0,1] neg_hi:[0,1]
	v_add_f32_e32 v1, v4, v1
	s_delay_alu instid0(VALU_DEP_1) | instskip(NEXT) | instid1(VALU_DEP_1)
	v_add_f32_e32 v9, v0, v1
	v_add_f32_e32 v1, v5, v9
	s_delay_alu instid0(VALU_DEP_1) | instskip(NEXT) | instid1(VALU_DEP_1)
	v_mul_f32_e32 v13, v10, v1
	v_mul_f32_e32 v6, v3, v13
	s_delay_alu instid0(VALU_DEP_1) | instskip(NEXT) | instid1(VALU_DEP_1)
	v_fma_f32 v4, v13, v3, -v6
	v_fmac_f32_e32 v4, v13, v12
	s_delay_alu instid0(VALU_DEP_1) | instskip(NEXT) | instid1(VALU_DEP_1)
	v_dual_add_f32 v0, v6, v4 :: v_dual_sub_f32 v3, v5, v1
	v_dual_sub_f32 v7, v1, v0 :: v_dual_mov_b32 v5, v0
	s_delay_alu instid0(VALU_DEP_2) | instskip(NEXT) | instid1(VALU_DEP_2)
	v_add_f32_e32 v3, v9, v3
	v_pk_add_f32 v[0:1], v[0:1], v[6:7] neg_lo:[0,1] neg_hi:[0,1]
	s_delay_alu instid0(VALU_DEP_1) | instskip(SKIP_1) | instid1(VALU_DEP_2)
	v_pk_add_f32 v[0:1], v[0:1], v[4:5] neg_lo:[0,1] neg_hi:[0,1]
	v_cvt_f32_i32_e32 v4, v8
	v_add_f32_e32 v1, v3, v1
	s_delay_alu instid0(VALU_DEP_1) | instskip(NEXT) | instid1(VALU_DEP_1)
	v_add_f32_e32 v0, v0, v1
	v_add_f32_e32 v0, v7, v0
	s_delay_alu instid0(VALU_DEP_1) | instskip(NEXT) | instid1(VALU_DEP_1)
	v_dual_mul_f32 v0, v10, v0 :: v_dual_add_f32 v3, v11, v13
	v_sub_f32_e32 v1, v3, v11
	s_delay_alu instid0(VALU_DEP_1) | instskip(NEXT) | instid1(VALU_DEP_1)
	v_sub_f32_e32 v1, v13, v1
	v_dual_add_f32 v9, v1, v0 :: v_dual_mov_b32 v0, 0x3f317218
	s_delay_alu instid0(VALU_DEP_1) | instskip(NEXT) | instid1(VALU_DEP_1)
	v_add_f32_e32 v6, v3, v9
	v_dual_mul_f32 v1, v6, v6 :: v_dual_sub_f32 v3, v6, v3
	s_delay_alu instid0(VALU_DEP_1) | instskip(SKIP_1) | instid1(VALU_DEP_1)
	v_mul_f32_e32 v5, v6, v1
	v_fmaak_f32 v7, s6, v1, 0x3ecc95a3
	v_fmaak_f32 v1, v1, v7, 0x3f2aaada
	s_delay_alu instid0(VALU_DEP_1) | instskip(SKIP_1) | instid1(VALU_DEP_2)
	v_pk_mul_f32 v[0:1], v[4:5], v[0:1]
	v_ldexp_f32 v5, v6, 1
	v_fma_f32 v7, 0x3f317218, v4, -v0
	v_mov_b32_e32 v8, v0
	s_delay_alu instid0(VALU_DEP_2) | instskip(NEXT) | instid1(VALU_DEP_1)
	v_fmamk_f32 v4, v4, 0xb102e308, v7
	v_pk_add_f32 v[6:7], v[0:1], v[4:5]
	s_delay_alu instid0(VALU_DEP_1) | instskip(NEXT) | instid1(VALU_DEP_1)
	v_dual_sub_f32 v3, v9, v3 :: v_dual_sub_f32 v5, v7, v5
	v_ldexp_f32 v3, v3, 1
	s_delay_alu instid0(VALU_DEP_2) | instskip(NEXT) | instid1(VALU_DEP_4)
	v_dual_mov_b32 v16, v7 :: v_dual_sub_f32 v5, v1, v5
	v_pk_add_f32 v[0:1], v[6:7], v[0:1] neg_lo:[0,1] neg_hi:[0,1]
	s_delay_alu instid0(VALU_DEP_2) | instskip(NEXT) | instid1(VALU_DEP_1)
	v_dual_add_f32 v9, v3, v5 :: v_dual_mov_b32 v5, v6
	v_pk_add_f32 v[10:11], v[6:7], v[8:9]
	s_delay_alu instid0(VALU_DEP_1) | instskip(NEXT) | instid1(VALU_DEP_1)
	v_mov_b32_e32 v1, v11
	v_pk_add_f32 v[12:13], v[4:5], v[0:1]
	v_mov_b32_e32 v12, v11
	v_pk_add_f32 v[0:1], v[4:5], v[0:1] neg_lo:[0,1] neg_hi:[0,1]
	s_delay_alu instid0(VALU_DEP_3) | instskip(NEXT) | instid1(VALU_DEP_1)
	v_dual_mov_b32 v8, v13 :: v_dual_mov_b32 v1, v13
	v_pk_add_f32 v[14:15], v[8:9], v[6:7] neg_lo:[0,1] neg_hi:[0,1]
	v_dual_mov_b32 v7, v6 :: v_dual_mov_b32 v6, v9
	s_delay_alu instid0(VALU_DEP_2) | instskip(NEXT) | instid1(VALU_DEP_1)
	v_dual_mov_b32 v3, v14 :: v_dual_mov_b32 v17, v14
	v_pk_add_f32 v[10:11], v[10:11], v[2:3] neg_lo:[0,1] neg_hi:[0,1]
	s_delay_alu instid0(VALU_DEP_2) | instskip(SKIP_1) | instid1(VALU_DEP_2)
	v_pk_add_f32 v[4:5], v[12:13], v[16:17] neg_lo:[0,1] neg_hi:[0,1]
	v_mov_b32_e32 v10, v0
	v_pk_add_f32 v[4:5], v[6:7], v[4:5] neg_lo:[0,1] neg_hi:[0,1]
	s_delay_alu instid0(VALU_DEP_1) | instskip(NEXT) | instid1(VALU_DEP_1)
	v_pk_add_f32 v[6:7], v[10:11], v[4:5]
	v_mov_b32_e32 v10, v7
	s_delay_alu instid0(VALU_DEP_1) | instskip(NEXT) | instid1(VALU_DEP_1)
	v_pk_add_f32 v[10:11], v[6:7], v[10:11]
	v_pk_add_f32 v[8:9], v[8:9], v[10:11]
	s_delay_alu instid0(VALU_DEP_1) | instskip(NEXT) | instid1(VALU_DEP_1)
	v_mov_b32_e32 v7, v8
	v_pk_add_f32 v[12:13], v[6:7], v[0:1] neg_lo:[0,1] neg_hi:[0,1]
	s_delay_alu instid0(VALU_DEP_1) | instskip(NEXT) | instid1(VALU_DEP_1)
	v_sub_f32_e32 v1, v6, v12
	v_dual_mov_b32 v5, v10 :: v_dual_sub_f32 v0, v0, v1
	s_delay_alu instid0(VALU_DEP_1) | instskip(NEXT) | instid1(VALU_DEP_1)
	v_pk_add_f32 v[4:5], v[4:5], v[12:13] neg_lo:[0,1] neg_hi:[0,1]
	v_add_f32_e32 v0, v4, v0
	s_delay_alu instid0(VALU_DEP_1) | instskip(NEXT) | instid1(VALU_DEP_1)
	v_add_f32_e32 v0, v0, v5
	v_add_f32_e32 v0, v8, v0
	s_delay_alu instid0(VALU_DEP_1) | instskip(SKIP_1) | instid1(VALU_DEP_2)
	v_cndmask_b32_e32 v0, 0x7f800000, v0, vcc_lo
	v_cmp_gt_f32_e64 vcc_lo, 0x33800000, |v18|
	v_cndmask_b32_e32 v0, v0, v18, vcc_lo
	s_delay_alu instid0(VALU_DEP_1) | instskip(NEXT) | instid1(VALU_DEP_1)
	v_div_scale_f32 v1, null, s16, s16, v0
	v_rcp_f32_e32 v3, v1
	v_nop
	s_delay_alu instid0(TRANS32_DEP_1) | instskip(NEXT) | instid1(VALU_DEP_1)
	v_fma_f32 v4, -v1, v3, 1.0
	v_fmac_f32_e32 v3, v4, v3
	v_div_scale_f32 v4, vcc_lo, v0, s16, v0
	s_delay_alu instid0(VALU_DEP_1) | instskip(NEXT) | instid1(VALU_DEP_1)
	v_mul_f32_e32 v5, v4, v3
	v_fma_f32 v6, -v1, v5, v4
	s_delay_alu instid0(VALU_DEP_1) | instskip(NEXT) | instid1(VALU_DEP_1)
	v_fmac_f32_e32 v5, v6, v3
	v_fma_f32 v1, -v1, v5, v4
	s_delay_alu instid0(VALU_DEP_1) | instskip(NEXT) | instid1(VALU_DEP_1)
	v_div_fmas_f32 v1, v1, v3, v5
	v_div_fixup_f32 v4, v1, s16, v0
.LBB35_984:
	s_or_b32 exec_lo, exec_lo, s0
	s_delay_alu instid0(VALU_DEP_1) | instskip(SKIP_2) | instid1(SALU_CYCLE_1)
	v_bfe_u32 v0, v4, 16, 1
	v_cmp_o_f32_e32 vcc_lo, v4, v4
	s_and_b32 s6, s18, 0xff
	s_cmp_lt_i32 s6, 11
	s_delay_alu instid0(VALU_DEP_2) | instskip(NEXT) | instid1(VALU_DEP_1)
	v_add3_u32 v0, v4, v0, 0x7fff
	v_dual_mov_b32 v3, 0 :: v_dual_lshrrev_b32 v5, 16, v0
	s_delay_alu instid0(VALU_DEP_1) | instskip(NEXT) | instid1(VALU_DEP_2)
	v_add_nc_u64_e32 v[0:1], s[4:5], v[2:3]
	v_cndmask_b32_e32 v3, 0x7fc0, v5, vcc_lo
	s_cbranch_scc1 .LBB35_994
; %bb.985:
	s_and_b32 s4, 0xffff, s6
	s_mov_b32 s5, -1
	s_cmp_gt_i32 s4, 25
	s_mov_b32 s0, s41
	s_cbranch_scc0 .LBB35_1022
; %bb.986:
	s_cmp_gt_i32 s4, 28
	s_mov_b32 s0, s41
	s_cbranch_scc0 .LBB35_1006
; %bb.987:
	;; [unrolled: 4-line block ×4, first 2 shown]
	s_cmp_eq_u32 s4, 46
	s_mov_b32 s0, -1
	s_cbranch_scc0 .LBB35_995
; %bb.990:
	v_and_b32_e32 v2, 0xffff, v3
	s_mov_b32 s0, 0
	s_mov_b32 s5, 0
	global_store_b32 v[0:1], v2, off
	s_branch .LBB35_996
.LBB35_991:
	s_or_b32 exec_lo, exec_lo, s7
	s_and_saveexec_b32 s0, s41
	s_cbranch_execnz .LBB35_1064
.LBB35_992:
	s_or_b32 exec_lo, exec_lo, s0
	s_and_saveexec_b32 s0, s9
	s_delay_alu instid0(SALU_CYCLE_1)
	s_xor_b32 s0, exec_lo, s0
	s_cbranch_execz .LBB35_1065
.LBB35_993:
	v_and_b32_e32 v2, 0x7fff, v3
	s_delay_alu instid0(VALU_DEP_1)
	v_cmp_ne_u16_e32 vcc_lo, 0, v2
	v_cndmask_b32_e64 v2, 0, 1, vcc_lo
	s_wait_loadcnt 0x0
	global_store_b8 v[0:1], v2, off
	s_wait_xcnt 0x0
	s_or_b32 exec_lo, exec_lo, s0
	s_and_saveexec_b32 s0, s8
	s_delay_alu instid0(SALU_CYCLE_1)
	s_xor_b32 s0, exec_lo, s0
	s_cbranch_execz .LBB35_1103
	s_branch .LBB35_1066
.LBB35_994:
	s_mov_b32 s5, -1
	s_mov_b32 s0, s41
	s_branch .LBB35_1063
.LBB35_995:
	s_mov_b32 s5, 0
.LBB35_996:
	s_delay_alu instid0(SALU_CYCLE_1)
	s_and_b32 vcc_lo, exec_lo, s5
	s_cbranch_vccz .LBB35_1001
; %bb.997:
	s_cmp_eq_u32 s4, 44
	s_mov_b32 s0, -1
	s_cbranch_scc0 .LBB35_1001
; %bb.998:
	s_wait_xcnt 0x0
	v_and_b32_e32 v2, 0xffff, v3
	v_mov_b32_e32 v4, 0xff
	s_mov_b32 s5, exec_lo
	s_delay_alu instid0(VALU_DEP_2) | instskip(NEXT) | instid1(VALU_DEP_1)
	v_bfe_u32 v5, v2, 7, 8
	v_cmpx_ne_u32_e32 0xff, v5
	s_cbranch_execz .LBB35_1000
; %bb.999:
	v_dual_lshlrev_b32 v4, 16, v2 :: v_dual_bitop2_b32 v6, 64, v2 bitop3:0x40
	v_lshrrev_b32_e32 v2, 7, v2
	s_delay_alu instid0(VALU_DEP_2) | instskip(NEXT) | instid1(VALU_DEP_3)
	v_and_or_b32 v4, 0x3f0000, v4, v5
	v_cmp_ne_u32_e32 vcc_lo, 0, v6
	s_delay_alu instid0(VALU_DEP_2) | instskip(SKIP_1) | instid1(SALU_CYCLE_1)
	v_cmp_ne_u32_e64 s0, 0, v4
	s_and_b32 s0, vcc_lo, s0
	v_cndmask_b32_e64 v4, 0, 1, s0
	s_delay_alu instid0(VALU_DEP_1)
	v_add_nc_u32_e32 v4, v2, v4
.LBB35_1000:
	s_or_b32 exec_lo, exec_lo, s5
	s_mov_b32 s0, 0
	global_store_b8 v[0:1], v4, off
.LBB35_1001:
	s_mov_b32 s5, 0
.LBB35_1002:
	s_delay_alu instid0(SALU_CYCLE_1)
	s_and_b32 vcc_lo, exec_lo, s5
	s_cbranch_vccz .LBB35_1005
; %bb.1003:
	s_cmp_eq_u32 s4, 29
	s_mov_b32 s0, -1
	s_cbranch_scc0 .LBB35_1005
; %bb.1004:
	s_wait_xcnt 0x0
	v_lshlrev_b32_e32 v2, 16, v3
	s_mov_b32 s0, 0
	s_mov_b32 s5, 0
	s_delay_alu instid0(VALU_DEP_1) | instskip(NEXT) | instid1(VALU_DEP_1)
	v_trunc_f32_e32 v2, v2
	v_mul_f32_e32 v4, 0x2f800000, v2
	s_delay_alu instid0(VALU_DEP_1) | instskip(NEXT) | instid1(VALU_DEP_1)
	v_floor_f32_e32 v4, v4
	v_fmamk_f32 v2, v4, 0xcf800000, v2
	v_cvt_u32_f32_e32 v5, v4
	s_delay_alu instid0(VALU_DEP_2)
	v_cvt_u32_f32_e32 v4, v2
	global_store_b64 v[0:1], v[4:5], off
	s_branch .LBB35_1006
.LBB35_1005:
	s_mov_b32 s5, 0
.LBB35_1006:
	s_delay_alu instid0(SALU_CYCLE_1)
	s_and_b32 vcc_lo, exec_lo, s5
	s_cbranch_vccz .LBB35_1021
; %bb.1007:
	s_cmp_lt_i32 s4, 27
	s_mov_b32 s5, -1
	s_cbranch_scc1 .LBB35_1013
; %bb.1008:
	s_cmp_gt_i32 s4, 27
	s_cbranch_scc0 .LBB35_1010
; %bb.1009:
	s_wait_xcnt 0x0
	v_lshlrev_b32_e32 v2, 16, v3
	s_mov_b32 s5, 0
	s_delay_alu instid0(VALU_DEP_1)
	v_cvt_u32_f32_e32 v2, v2
	global_store_b32 v[0:1], v2, off
.LBB35_1010:
	s_and_not1_b32 vcc_lo, exec_lo, s5
	s_cbranch_vccnz .LBB35_1012
; %bb.1011:
	s_wait_xcnt 0x0
	v_lshlrev_b32_e32 v2, 16, v3
	s_delay_alu instid0(VALU_DEP_1)
	v_cvt_u32_f32_e32 v2, v2
	global_store_b16 v[0:1], v2, off
.LBB35_1012:
	s_mov_b32 s5, 0
.LBB35_1013:
	s_delay_alu instid0(SALU_CYCLE_1)
	s_and_not1_b32 vcc_lo, exec_lo, s5
	s_cbranch_vccnz .LBB35_1021
; %bb.1014:
	s_wait_xcnt 0x0
	v_dual_mov_b32 v6, 0x80 :: v_dual_lshlrev_b32 v5, 16, v3
	s_mov_b32 s5, exec_lo
	s_delay_alu instid0(VALU_DEP_1) | instskip(NEXT) | instid1(VALU_DEP_1)
	v_and_b32_e32 v4, 0x7fffffff, v5
	v_cmpx_gt_u32_e32 0x43800000, v4
	s_cbranch_execz .LBB35_1020
; %bb.1015:
	v_and_b32_e32 v2, 0xffff, v3
	v_cmp_lt_u32_e32 vcc_lo, 0x3bffffff, v4
                                        ; implicit-def: $vgpr4
	s_and_saveexec_b32 s9, vcc_lo
	s_delay_alu instid0(SALU_CYCLE_1)
	s_xor_b32 s9, exec_lo, s9
	s_cbranch_execz .LBB35_1178
; %bb.1016:
	v_bfe_u32 v4, v2, 4, 1
	s_mov_b32 s8, exec_lo
	s_delay_alu instid0(VALU_DEP_1) | instskip(NEXT) | instid1(VALU_DEP_1)
	v_add3_u32 v4, v5, v4, 0x487ffff
                                        ; implicit-def: $vgpr5
	v_lshrrev_b32_e32 v4, 20, v4
	s_and_not1_saveexec_b32 s9, s9
	s_cbranch_execnz .LBB35_1179
.LBB35_1017:
	s_or_b32 exec_lo, exec_lo, s9
	v_mov_b32_e32 v6, 0
	s_and_saveexec_b32 s9, s8
.LBB35_1018:
	v_lshrrev_b32_e32 v2, 8, v2
	s_delay_alu instid0(VALU_DEP_1)
	v_and_or_b32 v6, 0x80, v2, v4
.LBB35_1019:
	s_or_b32 exec_lo, exec_lo, s9
.LBB35_1020:
	s_delay_alu instid0(SALU_CYCLE_1)
	s_or_b32 exec_lo, exec_lo, s5
	global_store_b8 v[0:1], v6, off
.LBB35_1021:
	s_mov_b32 s5, 0
.LBB35_1022:
	s_delay_alu instid0(SALU_CYCLE_1)
	s_and_b32 vcc_lo, exec_lo, s5
	s_mov_b32 s5, 0
	s_cbranch_vccz .LBB35_1062
; %bb.1023:
	s_cmp_gt_i32 s4, 22
	s_mov_b32 s8, -1
	s_cbranch_scc0 .LBB35_1055
; %bb.1024:
	s_cmp_lt_i32 s4, 24
	s_cbranch_scc1 .LBB35_1044
; %bb.1025:
	s_cmp_gt_i32 s4, 24
	s_cbranch_scc0 .LBB35_1033
; %bb.1026:
	s_wait_xcnt 0x0
	v_dual_mov_b32 v6, 0x80 :: v_dual_lshlrev_b32 v5, 16, v3
	s_mov_b32 s8, exec_lo
	s_delay_alu instid0(VALU_DEP_1) | instskip(NEXT) | instid1(VALU_DEP_1)
	v_and_b32_e32 v4, 0x7fffffff, v5
	v_cmpx_gt_u32_e32 0x47800000, v4
	s_cbranch_execz .LBB35_1032
; %bb.1027:
	v_and_b32_e32 v2, 0xffff, v3
	v_cmp_lt_u32_e32 vcc_lo, 0x37ffffff, v4
	s_mov_b32 s9, 0
                                        ; implicit-def: $vgpr4
	s_and_saveexec_b32 s10, vcc_lo
	s_delay_alu instid0(SALU_CYCLE_1)
	s_xor_b32 s10, exec_lo, s10
	s_cbranch_execz .LBB35_1306
; %bb.1028:
	v_bfe_u32 v4, v2, 5, 1
	s_mov_b32 s9, exec_lo
	s_delay_alu instid0(VALU_DEP_1) | instskip(NEXT) | instid1(VALU_DEP_1)
	v_add3_u32 v4, v5, v4, 0x88fffff
                                        ; implicit-def: $vgpr5
	v_lshrrev_b32_e32 v4, 21, v4
	s_and_not1_saveexec_b32 s10, s10
	s_cbranch_execnz .LBB35_1307
.LBB35_1029:
	s_or_b32 exec_lo, exec_lo, s10
	v_mov_b32_e32 v6, 0
	s_and_saveexec_b32 s10, s9
.LBB35_1030:
	v_lshrrev_b32_e32 v2, 8, v2
	s_delay_alu instid0(VALU_DEP_1)
	v_and_or_b32 v6, 0x80, v2, v4
.LBB35_1031:
	s_or_b32 exec_lo, exec_lo, s10
.LBB35_1032:
	s_delay_alu instid0(SALU_CYCLE_1)
	s_or_b32 exec_lo, exec_lo, s8
	s_mov_b32 s8, 0
	global_store_b8 v[0:1], v6, off
.LBB35_1033:
	s_and_b32 vcc_lo, exec_lo, s8
	s_cbranch_vccz .LBB35_1043
; %bb.1034:
	s_wait_xcnt 0x0
	v_lshlrev_b32_e32 v5, 16, v3
	v_and_b32_e32 v2, 0xffff, v3
	s_mov_b32 s8, exec_lo
                                        ; implicit-def: $vgpr4
	s_delay_alu instid0(VALU_DEP_2) | instskip(NEXT) | instid1(VALU_DEP_1)
	v_and_b32_e32 v6, 0x7fffffff, v5
	v_cmpx_gt_u32_e32 0x43f00000, v6
	s_xor_b32 s8, exec_lo, s8
	s_cbranch_execz .LBB35_1040
; %bb.1035:
	s_mov_b32 s9, exec_lo
                                        ; implicit-def: $vgpr4
	v_cmpx_lt_u32_e32 0x3c7fffff, v6
	s_xor_b32 s9, exec_lo, s9
; %bb.1036:
	v_bfe_u32 v4, v2, 4, 1
	s_delay_alu instid0(VALU_DEP_1) | instskip(NEXT) | instid1(VALU_DEP_1)
	v_add3_u32 v4, v5, v4, 0x407ffff
	v_and_b32_e32 v5, 0xff00000, v4
	v_lshrrev_b32_e32 v4, 20, v4
	s_delay_alu instid0(VALU_DEP_2) | instskip(NEXT) | instid1(VALU_DEP_2)
	v_cmp_ne_u32_e32 vcc_lo, 0x7f00000, v5
                                        ; implicit-def: $vgpr5
	v_cndmask_b32_e32 v4, 0x7e, v4, vcc_lo
; %bb.1037:
	s_and_not1_saveexec_b32 s9, s9
; %bb.1038:
	v_add_f32_e64 v4, 0x46800000, |v5|
; %bb.1039:
	s_or_b32 exec_lo, exec_lo, s9
                                        ; implicit-def: $vgpr6
.LBB35_1040:
	s_and_not1_saveexec_b32 s8, s8
; %bb.1041:
	v_mov_b32_e32 v4, 0x7f
	v_cmp_lt_u32_e32 vcc_lo, 0x7f800000, v6
	s_delay_alu instid0(VALU_DEP_2)
	v_cndmask_b32_e32 v4, 0x7e, v4, vcc_lo
; %bb.1042:
	s_or_b32 exec_lo, exec_lo, s8
	v_lshrrev_b32_e32 v2, 8, v2
	s_delay_alu instid0(VALU_DEP_1)
	v_and_or_b32 v2, 0x80, v2, v4
	global_store_b8 v[0:1], v2, off
.LBB35_1043:
	s_mov_b32 s8, 0
.LBB35_1044:
	s_delay_alu instid0(SALU_CYCLE_1)
	s_and_not1_b32 vcc_lo, exec_lo, s8
	s_cbranch_vccnz .LBB35_1054
; %bb.1045:
	s_wait_xcnt 0x0
	v_lshlrev_b32_e32 v5, 16, v3
	v_and_b32_e32 v2, 0xffff, v3
	s_mov_b32 s8, exec_lo
                                        ; implicit-def: $vgpr4
	s_delay_alu instid0(VALU_DEP_2) | instskip(NEXT) | instid1(VALU_DEP_1)
	v_and_b32_e32 v6, 0x7fffffff, v5
	v_cmpx_gt_u32_e32 0x47800000, v6
	s_xor_b32 s8, exec_lo, s8
	s_cbranch_execz .LBB35_1051
; %bb.1046:
	s_mov_b32 s9, exec_lo
                                        ; implicit-def: $vgpr4
	v_cmpx_lt_u32_e32 0x387fffff, v6
	s_xor_b32 s9, exec_lo, s9
; %bb.1047:
	v_bfe_u32 v4, v2, 5, 1
	s_delay_alu instid0(VALU_DEP_1) | instskip(NEXT) | instid1(VALU_DEP_1)
	v_add3_u32 v4, v5, v4, 0x80fffff
                                        ; implicit-def: $vgpr5
	v_lshrrev_b32_e32 v4, 21, v4
; %bb.1048:
	s_and_not1_saveexec_b32 s9, s9
; %bb.1049:
	v_add_f32_e64 v4, 0x43000000, |v5|
; %bb.1050:
	s_or_b32 exec_lo, exec_lo, s9
                                        ; implicit-def: $vgpr6
.LBB35_1051:
	s_and_not1_saveexec_b32 s8, s8
; %bb.1052:
	v_mov_b32_e32 v4, 0x7f
	v_cmp_lt_u32_e32 vcc_lo, 0x7f800000, v6
	s_delay_alu instid0(VALU_DEP_2)
	v_cndmask_b32_e32 v4, 0x7c, v4, vcc_lo
; %bb.1053:
	s_or_b32 exec_lo, exec_lo, s8
	v_lshrrev_b32_e32 v2, 8, v2
	s_delay_alu instid0(VALU_DEP_1)
	v_and_or_b32 v2, 0x80, v2, v4
	global_store_b8 v[0:1], v2, off
.LBB35_1054:
	s_mov_b32 s8, 0
.LBB35_1055:
	s_delay_alu instid0(SALU_CYCLE_1)
	s_and_not1_b32 vcc_lo, exec_lo, s8
	s_mov_b32 s9, 0
	s_cbranch_vccnz .LBB35_1063
; %bb.1056:
	s_cmp_gt_i32 s4, 14
	s_mov_b32 s8, -1
	s_cbranch_scc0 .LBB35_1060
; %bb.1057:
	s_cmp_eq_u32 s4, 15
	s_mov_b32 s0, -1
	s_cbranch_scc0 .LBB35_1059
; %bb.1058:
	s_mov_b32 s0, 0
	global_store_b16 v[0:1], v3, off
.LBB35_1059:
	s_mov_b32 s8, 0
.LBB35_1060:
	s_delay_alu instid0(SALU_CYCLE_1)
	s_and_b32 vcc_lo, exec_lo, s8
	s_cbranch_vccz .LBB35_1063
; %bb.1061:
	s_cmp_lg_u32 s4, 11
	s_mov_b32 s9, -1
	s_cselect_b32 s4, -1, 0
	s_and_not1_b32 s0, s0, exec_lo
	s_and_b32 s4, s4, exec_lo
	s_delay_alu instid0(SALU_CYCLE_1)
	s_or_b32 s0, s0, s4
	s_branch .LBB35_1063
.LBB35_1062:
	s_mov_b32 s9, 0
.LBB35_1063:
	s_and_not1_b32 s4, s41, exec_lo
	s_and_b32 s0, s0, exec_lo
	s_and_b32 s8, s5, exec_lo
	;; [unrolled: 1-line block ×3, first 2 shown]
	s_or_b32 s41, s4, s0
	s_wait_xcnt 0x0
	s_or_b32 exec_lo, exec_lo, s7
	s_and_saveexec_b32 s0, s41
	s_cbranch_execz .LBB35_992
.LBB35_1064:
	s_or_b32 s1, s1, exec_lo
	s_and_not1_b32 s9, s9, exec_lo
	s_trap 2
	s_or_b32 exec_lo, exec_lo, s0
	s_and_saveexec_b32 s0, s9
	s_delay_alu instid0(SALU_CYCLE_1)
	s_xor_b32 s0, exec_lo, s0
	s_cbranch_execnz .LBB35_993
.LBB35_1065:
	s_or_b32 exec_lo, exec_lo, s0
	s_and_saveexec_b32 s0, s8
	s_delay_alu instid0(SALU_CYCLE_1)
	s_xor_b32 s0, exec_lo, s0
	s_cbranch_execz .LBB35_1103
.LBB35_1066:
	s_sext_i32_i16 s5, s6
	s_mov_b32 s4, -1
	s_cmp_lt_i32 s5, 5
	s_cbranch_scc1 .LBB35_1087
; %bb.1067:
	s_cmp_lt_i32 s5, 8
	s_cbranch_scc1 .LBB35_1077
; %bb.1068:
	;; [unrolled: 3-line block ×3, first 2 shown]
	s_cmp_gt_i32 s5, 9
	s_cbranch_scc0 .LBB35_1071
; %bb.1070:
	s_wait_loadcnt 0x0
	v_dual_lshlrev_b32 v2, 16, v3 :: v_dual_mov_b32 v6, 0
	s_mov_b32 s4, 0
	s_delay_alu instid0(VALU_DEP_1) | instskip(NEXT) | instid1(VALU_DEP_2)
	v_cvt_f64_f32_e32 v[4:5], v2
	v_mov_b32_e32 v7, v6
	global_store_b128 v[0:1], v[4:7], off
.LBB35_1071:
	s_and_not1_b32 vcc_lo, exec_lo, s4
	s_cbranch_vccnz .LBB35_1073
; %bb.1072:
	s_wait_xcnt 0x0
	v_dual_mov_b32 v5, 0 :: v_dual_lshlrev_b32 v4, 16, v3
	s_wait_loadcnt 0x0
	global_store_b64 v[0:1], v[4:5], off
.LBB35_1073:
	s_mov_b32 s4, 0
.LBB35_1074:
	s_delay_alu instid0(SALU_CYCLE_1)
	s_and_not1_b32 vcc_lo, exec_lo, s4
	s_cbranch_vccnz .LBB35_1076
; %bb.1075:
	v_lshlrev_b32_e32 v2, 16, v3
	s_delay_alu instid0(VALU_DEP_1) | instskip(NEXT) | instid1(VALU_DEP_1)
	v_cvt_f16_f32_e32 v2, v2
	v_and_b32_e32 v2, 0xffff, v2
	s_wait_loadcnt 0x0
	global_store_b32 v[0:1], v2, off
.LBB35_1076:
	s_mov_b32 s4, 0
.LBB35_1077:
	s_delay_alu instid0(SALU_CYCLE_1)
	s_and_not1_b32 vcc_lo, exec_lo, s4
	s_cbranch_vccnz .LBB35_1086
; %bb.1078:
	s_sext_i32_i16 s5, s6
	s_mov_b32 s4, -1
	s_cmp_lt_i32 s5, 6
	s_cbranch_scc1 .LBB35_1084
; %bb.1079:
	s_cmp_gt_i32 s5, 6
	s_cbranch_scc0 .LBB35_1081
; %bb.1080:
	s_wait_xcnt 0x0
	v_lshlrev_b32_e32 v2, 16, v3
	s_mov_b32 s4, 0
	s_delay_alu instid0(VALU_DEP_1)
	v_cvt_f64_f32_e32 v[4:5], v2
	s_wait_loadcnt 0x0
	global_store_b64 v[0:1], v[4:5], off
.LBB35_1081:
	s_and_not1_b32 vcc_lo, exec_lo, s4
	s_cbranch_vccnz .LBB35_1083
; %bb.1082:
	s_wait_xcnt 0x0
	v_lshlrev_b32_e32 v2, 16, v3
	s_wait_loadcnt 0x0
	global_store_b32 v[0:1], v2, off
.LBB35_1083:
	s_mov_b32 s4, 0
.LBB35_1084:
	s_delay_alu instid0(SALU_CYCLE_1)
	s_and_not1_b32 vcc_lo, exec_lo, s4
	s_cbranch_vccnz .LBB35_1086
; %bb.1085:
	s_wait_xcnt 0x0
	v_lshlrev_b32_e32 v2, 16, v3
	s_delay_alu instid0(VALU_DEP_1)
	v_cvt_f16_f32_e32 v2, v2
	s_wait_loadcnt 0x0
	global_store_b16 v[0:1], v2, off
.LBB35_1086:
	s_mov_b32 s4, 0
.LBB35_1087:
	s_delay_alu instid0(SALU_CYCLE_1)
	s_and_not1_b32 vcc_lo, exec_lo, s4
	s_cbranch_vccnz .LBB35_1103
; %bb.1088:
	s_sext_i32_i16 s5, s6
	s_mov_b32 s4, -1
	s_cmp_lt_i32 s5, 2
	s_cbranch_scc1 .LBB35_1098
; %bb.1089:
	s_cmp_lt_i32 s5, 3
	s_cbranch_scc1 .LBB35_1095
; %bb.1090:
	s_cmp_gt_i32 s5, 3
	s_cbranch_scc0 .LBB35_1092
; %bb.1091:
	s_wait_xcnt 0x0
	v_lshlrev_b32_e32 v2, 16, v3
	s_mov_b32 s4, 0
	s_delay_alu instid0(VALU_DEP_1) | instskip(NEXT) | instid1(VALU_DEP_1)
	v_trunc_f32_e32 v2, v2
	v_mul_f32_e64 v4, 0x2f800000, |v2|
	s_delay_alu instid0(VALU_DEP_1) | instskip(SKIP_2) | instid1(VALU_DEP_2)
	v_floor_f32_e32 v5, v4
	v_ashrrev_i32_e32 v4, 31, v2
	s_wait_loadcnt 0x0
	v_fma_f32 v6, 0xcf800000, v5, |v2|
	v_cvt_u32_f32_e32 v2, v5
	s_delay_alu instid0(VALU_DEP_3) | instskip(NEXT) | instid1(VALU_DEP_3)
	v_mov_b32_e32 v5, v4
	v_cvt_u32_f32_e32 v6, v6
	s_delay_alu instid0(VALU_DEP_3) | instskip(NEXT) | instid1(VALU_DEP_2)
	v_xor_b32_e32 v7, v2, v4
	v_xor_b32_e32 v6, v6, v4
	s_delay_alu instid0(VALU_DEP_1)
	v_sub_nc_u64_e32 v[4:5], v[6:7], v[4:5]
	global_store_b64 v[0:1], v[4:5], off
.LBB35_1092:
	s_and_not1_b32 vcc_lo, exec_lo, s4
	s_cbranch_vccnz .LBB35_1094
; %bb.1093:
	s_wait_xcnt 0x0
	v_lshlrev_b32_e32 v2, 16, v3
	s_delay_alu instid0(VALU_DEP_1)
	v_cvt_i32_f32_e32 v2, v2
	s_wait_loadcnt 0x0
	global_store_b32 v[0:1], v2, off
.LBB35_1094:
	s_mov_b32 s4, 0
.LBB35_1095:
	s_delay_alu instid0(SALU_CYCLE_1)
	s_and_not1_b32 vcc_lo, exec_lo, s4
	s_cbranch_vccnz .LBB35_1097
; %bb.1096:
	s_wait_xcnt 0x0
	v_lshlrev_b32_e32 v2, 16, v3
	s_delay_alu instid0(VALU_DEP_1)
	v_cvt_i32_f32_e32 v2, v2
	s_wait_loadcnt 0x0
	global_store_b16 v[0:1], v2, off
.LBB35_1097:
	s_mov_b32 s4, 0
.LBB35_1098:
	s_delay_alu instid0(SALU_CYCLE_1)
	s_and_not1_b32 vcc_lo, exec_lo, s4
	s_cbranch_vccnz .LBB35_1103
; %bb.1099:
	s_sext_i32_i16 s4, s6
	s_delay_alu instid0(SALU_CYCLE_1)
	s_cmp_gt_i32 s4, 0
	s_mov_b32 s4, -1
	s_cbranch_scc0 .LBB35_1101
; %bb.1100:
	s_wait_xcnt 0x0
	v_lshlrev_b32_e32 v2, 16, v3
	s_mov_b32 s4, 0
	s_delay_alu instid0(VALU_DEP_1)
	v_cvt_i32_f32_e32 v2, v2
	s_wait_loadcnt 0x0
	global_store_b8 v[0:1], v2, off
.LBB35_1101:
	s_and_not1_b32 vcc_lo, exec_lo, s4
	s_cbranch_vccnz .LBB35_1103
; %bb.1102:
	s_wait_xcnt 0x0
	v_lshlrev_b32_e32 v2, 16, v3
	s_delay_alu instid0(VALU_DEP_1) | instskip(NEXT) | instid1(VALU_DEP_1)
	v_trunc_f32_e32 v2, v2
	v_mul_f32_e64 v3, 0x2f800000, |v2|
	s_delay_alu instid0(VALU_DEP_1) | instskip(NEXT) | instid1(VALU_DEP_1)
	v_floor_f32_e32 v3, v3
	v_fma_f32 v3, 0xcf800000, v3, |v2|
	v_ashrrev_i32_e32 v2, 31, v2
	s_delay_alu instid0(VALU_DEP_2) | instskip(NEXT) | instid1(VALU_DEP_1)
	v_cvt_u32_f32_e32 v3, v3
	v_xor_b32_e32 v3, v3, v2
	s_delay_alu instid0(VALU_DEP_1)
	v_sub_nc_u32_e32 v2, v3, v2
	s_wait_loadcnt 0x0
	global_store_b8 v[0:1], v2, off
.LBB35_1103:
	s_wait_xcnt 0x0
	s_or_b32 exec_lo, exec_lo, s0
	s_delay_alu instid0(SALU_CYCLE_1)
	s_and_b32 s8, s1, exec_lo
                                        ; implicit-def: $vgpr9
                                        ; implicit-def: $vgpr0
.LBB35_1104:
	s_or_saveexec_b32 s9, s36
	s_mov_b32 s0, 0
                                        ; implicit-def: $vgpr2_vgpr3
                                        ; implicit-def: $sgpr1
                                        ; implicit-def: $vgpr1
	s_xor_b32 exec_lo, exec_lo, s9
	s_cbranch_execz .LBB35_2124
; %bb.1105:
	s_wait_loadcnt 0x0
	v_cndmask_b32_e64 v1, 0, 1, s35
	s_and_not1_b32 vcc_lo, exec_lo, s35
	s_cbranch_vccnz .LBB35_1111
; %bb.1106:
	s_cmp_lg_u32 s19, 0
	s_mov_b32 s10, 0
	s_cbranch_scc0 .LBB35_1112
; %bb.1107:
	s_min_u32 s1, s33, 15
	s_delay_alu instid0(SALU_CYCLE_1)
	s_add_co_i32 s1, s1, 1
	s_cmp_eq_u32 s33, 2
	s_cbranch_scc1 .LBB35_1113
; %bb.1108:
	v_dual_mov_b32 v6, 0 :: v_dual_mov_b32 v14, 0
	v_mov_b32_e32 v2, v0
	s_and_b32 s0, s1, 28
	s_add_nc_u64 s[4:5], s[2:3], 0xc4
	s_mov_b32 s11, 0
	s_mov_b64 s[6:7], s[2:3]
.LBB35_1109:                            ; =>This Inner Loop Header: Depth=1
	s_clause 0x1
	s_load_b256 s[20:27], s[6:7], 0x4
	s_load_b128 s[12:15], s[6:7], 0x24
	s_load_b256 s[36:43], s[4:5], 0x0
	s_add_co_i32 s11, s11, 4
	s_wait_xcnt 0x0
	s_add_nc_u64 s[6:7], s[6:7], 48
	s_cmp_lg_u32 s0, s11
	s_add_nc_u64 s[4:5], s[4:5], 32
	s_wait_kmcnt 0x0
	v_mul_hi_u32 v3, s21, v2
	s_delay_alu instid0(VALU_DEP_1) | instskip(NEXT) | instid1(VALU_DEP_1)
	v_add_nc_u32_e32 v3, v2, v3
	v_lshrrev_b32_e32 v3, s22, v3
	s_delay_alu instid0(VALU_DEP_1) | instskip(NEXT) | instid1(VALU_DEP_1)
	v_mul_hi_u32 v4, s24, v3
	v_add_nc_u32_e32 v4, v3, v4
	s_delay_alu instid0(VALU_DEP_1) | instskip(NEXT) | instid1(VALU_DEP_1)
	v_lshrrev_b32_e32 v4, s25, v4
	v_mul_hi_u32 v5, s27, v4
	s_delay_alu instid0(VALU_DEP_1) | instskip(SKIP_1) | instid1(VALU_DEP_1)
	v_add_nc_u32_e32 v5, v4, v5
	v_mul_lo_u32 v7, v3, s20
	v_sub_nc_u32_e32 v2, v2, v7
	v_mul_lo_u32 v7, v4, s23
	s_delay_alu instid0(VALU_DEP_4) | instskip(NEXT) | instid1(VALU_DEP_3)
	v_lshrrev_b32_e32 v5, s12, v5
	v_mad_u32 v10, v2, s37, v14
	v_mad_u32 v2, v2, s36, v6
	s_delay_alu instid0(VALU_DEP_4) | instskip(NEXT) | instid1(VALU_DEP_4)
	v_sub_nc_u32_e32 v3, v3, v7
	v_mul_hi_u32 v8, s14, v5
	v_mul_lo_u32 v6, v5, s26
	s_delay_alu instid0(VALU_DEP_1) | instskip(NEXT) | instid1(VALU_DEP_4)
	v_dual_add_nc_u32 v7, v5, v8 :: v_dual_sub_nc_u32 v4, v4, v6
	v_mad_u32 v8, v3, s39, v10
	v_mad_u32 v3, v3, s38, v2
	s_delay_alu instid0(VALU_DEP_3) | instskip(NEXT) | instid1(VALU_DEP_1)
	v_lshrrev_b32_e32 v2, s15, v7
	v_mul_lo_u32 v6, v2, s13
	s_delay_alu instid0(VALU_DEP_4) | instskip(NEXT) | instid1(VALU_DEP_4)
	v_mad_u32 v7, v4, s41, v8
	v_mad_u32 v3, v4, s40, v3
	s_delay_alu instid0(VALU_DEP_3) | instskip(NEXT) | instid1(VALU_DEP_1)
	v_sub_nc_u32_e32 v4, v5, v6
	v_mad_u32 v14, v4, s43, v7
	s_delay_alu instid0(VALU_DEP_3)
	v_mad_u32 v6, v4, s42, v3
	s_cbranch_scc1 .LBB35_1109
; %bb.1110:
	s_delay_alu instid0(VALU_DEP_2)
	v_mov_b32_e32 v7, v14
	s_and_b32 s6, s1, 3
	s_mov_b32 s1, 0
	s_cmp_eq_u32 s6, 0
	s_cbranch_scc0 .LBB35_1114
	s_branch .LBB35_1117
.LBB35_1111:
	s_mov_b32 s10, -1
                                        ; implicit-def: $vgpr14
                                        ; implicit-def: $vgpr6
	s_branch .LBB35_1117
.LBB35_1112:
	v_dual_mov_b32 v14, 0 :: v_dual_mov_b32 v6, 0
	s_branch .LBB35_1117
.LBB35_1113:
	v_mov_b64_e32 v[6:7], 0
	v_mov_b32_e32 v2, v0
                                        ; implicit-def: $vgpr14
	s_and_b32 s6, s1, 3
	s_mov_b32 s1, 0
	s_cmp_eq_u32 s6, 0
	s_cbranch_scc1 .LBB35_1117
.LBB35_1114:
	s_lshl_b32 s4, s0, 3
	s_mov_b32 s5, s1
	s_mul_u64 s[12:13], s[0:1], 12
	s_add_nc_u64 s[4:5], s[2:3], s[4:5]
	s_delay_alu instid0(SALU_CYCLE_1)
	s_add_nc_u64 s[0:1], s[4:5], 0xc4
	s_add_nc_u64 s[4:5], s[2:3], s[12:13]
.LBB35_1115:                            ; =>This Inner Loop Header: Depth=1
	s_load_b96 s[12:14], s[4:5], 0x4
	s_add_co_i32 s6, s6, -1
	s_wait_xcnt 0x0
	s_add_nc_u64 s[4:5], s[4:5], 12
	s_cmp_lg_u32 s6, 0
	s_wait_kmcnt 0x0
	v_mul_hi_u32 v3, s13, v2
	s_delay_alu instid0(VALU_DEP_1) | instskip(NEXT) | instid1(VALU_DEP_1)
	v_add_nc_u32_e32 v3, v2, v3
	v_lshrrev_b32_e32 v3, s14, v3
	s_load_b64 s[14:15], s[0:1], 0x0
	s_wait_xcnt 0x0
	s_add_nc_u64 s[0:1], s[0:1], 8
	s_delay_alu instid0(VALU_DEP_1) | instskip(NEXT) | instid1(VALU_DEP_1)
	v_mul_lo_u32 v4, v3, s12
	v_sub_nc_u32_e32 v2, v2, v4
	s_wait_kmcnt 0x0
	s_delay_alu instid0(VALU_DEP_1)
	v_mad_u32 v7, v2, s15, v7
	v_mad_u32 v6, v2, s14, v6
	v_mov_b32_e32 v2, v3
	s_cbranch_scc1 .LBB35_1115
; %bb.1116:
	s_delay_alu instid0(VALU_DEP_3)
	v_mov_b32_e32 v14, v7
.LBB35_1117:
	s_and_not1_b32 vcc_lo, exec_lo, s10
	s_cbranch_vccnz .LBB35_1120
; %bb.1118:
	s_clause 0x1
	s_load_b96 s[4:6], s[2:3], 0x4
	s_load_b64 s[0:1], s[2:3], 0xc4
	s_cmp_lt_u32 s19, 2
	s_wait_kmcnt 0x0
	v_mul_hi_u32 v2, s5, v0
	s_delay_alu instid0(VALU_DEP_1) | instskip(NEXT) | instid1(VALU_DEP_1)
	v_add_nc_u32_e32 v2, v0, v2
	v_lshrrev_b32_e32 v2, s6, v2
	s_delay_alu instid0(VALU_DEP_1) | instskip(NEXT) | instid1(VALU_DEP_1)
	v_mul_lo_u32 v3, v2, s4
	v_sub_nc_u32_e32 v3, v0, v3
	s_delay_alu instid0(VALU_DEP_1)
	v_mul_lo_u32 v14, v3, s1
	v_mul_lo_u32 v6, v3, s0
	s_cbranch_scc1 .LBB35_1120
; %bb.1119:
	s_clause 0x1
	s_load_b96 s[4:6], s[2:3], 0x10
	s_load_b64 s[0:1], s[2:3], 0xcc
	s_wait_kmcnt 0x0
	v_mul_hi_u32 v3, s5, v2
	s_delay_alu instid0(VALU_DEP_1) | instskip(NEXT) | instid1(VALU_DEP_1)
	v_add_nc_u32_e32 v3, v2, v3
	v_lshrrev_b32_e32 v3, s6, v3
	s_delay_alu instid0(VALU_DEP_1) | instskip(NEXT) | instid1(VALU_DEP_1)
	v_mul_lo_u32 v3, v3, s4
	v_sub_nc_u32_e32 v2, v2, v3
	s_delay_alu instid0(VALU_DEP_1)
	v_mad_u32 v6, v2, s0, v6
	v_mad_u32 v14, v2, s1, v14
.LBB35_1120:
	v_cmp_ne_u32_e32 vcc_lo, 1, v1
	v_add_nc_u32_e32 v2, 0x80, v0
	s_cbranch_vccnz .LBB35_1126
; %bb.1121:
	s_cmp_lg_u32 s19, 0
	s_mov_b32 s10, 0
	s_cbranch_scc0 .LBB35_1127
; %bb.1122:
	s_min_u32 s1, s33, 15
	s_delay_alu instid0(SALU_CYCLE_1)
	s_add_co_i32 s1, s1, 1
	s_cmp_eq_u32 s33, 2
	s_cbranch_scc1 .LBB35_1128
; %bb.1123:
	v_dual_mov_b32 v4, 0 :: v_dual_mov_b32 v12, 0
	v_mov_b32_e32 v3, v2
	s_and_b32 s0, s1, 28
	s_add_nc_u64 s[4:5], s[2:3], 0xc4
	s_mov_b32 s11, 0
	s_mov_b64 s[6:7], s[2:3]
.LBB35_1124:                            ; =>This Inner Loop Header: Depth=1
	s_clause 0x1
	s_load_b256 s[20:27], s[6:7], 0x4
	s_load_b128 s[12:15], s[6:7], 0x24
	s_load_b256 s[36:43], s[4:5], 0x0
	s_add_co_i32 s11, s11, 4
	s_wait_xcnt 0x0
	s_add_nc_u64 s[6:7], s[6:7], 48
	s_cmp_lg_u32 s0, s11
	s_add_nc_u64 s[4:5], s[4:5], 32
	s_wait_kmcnt 0x0
	v_mul_hi_u32 v5, s21, v3
	s_delay_alu instid0(VALU_DEP_1) | instskip(NEXT) | instid1(VALU_DEP_1)
	v_add_nc_u32_e32 v5, v3, v5
	v_lshrrev_b32_e32 v5, s22, v5
	s_delay_alu instid0(VALU_DEP_1) | instskip(NEXT) | instid1(VALU_DEP_1)
	v_mul_hi_u32 v7, s24, v5
	v_add_nc_u32_e32 v7, v5, v7
	s_delay_alu instid0(VALU_DEP_1) | instskip(NEXT) | instid1(VALU_DEP_1)
	v_lshrrev_b32_e32 v7, s25, v7
	v_mul_hi_u32 v8, s27, v7
	s_delay_alu instid0(VALU_DEP_1) | instskip(SKIP_1) | instid1(VALU_DEP_1)
	v_add_nc_u32_e32 v8, v7, v8
	v_mul_lo_u32 v10, v5, s20
	v_sub_nc_u32_e32 v3, v3, v10
	v_mul_lo_u32 v10, v7, s23
	s_delay_alu instid0(VALU_DEP_4) | instskip(NEXT) | instid1(VALU_DEP_3)
	v_lshrrev_b32_e32 v8, s12, v8
	v_mad_u32 v12, v3, s37, v12
	v_mad_u32 v3, v3, s36, v4
	s_delay_alu instid0(VALU_DEP_4) | instskip(NEXT) | instid1(VALU_DEP_4)
	v_sub_nc_u32_e32 v4, v5, v10
	v_mul_hi_u32 v11, s14, v8
	v_mul_lo_u32 v5, v8, s26
	s_delay_alu instid0(VALU_DEP_1) | instskip(NEXT) | instid1(VALU_DEP_4)
	v_dual_add_nc_u32 v10, v8, v11 :: v_dual_sub_nc_u32 v5, v7, v5
	v_mad_u32 v11, v4, s39, v12
	v_mad_u32 v4, v4, s38, v3
	s_delay_alu instid0(VALU_DEP_3) | instskip(NEXT) | instid1(VALU_DEP_1)
	v_lshrrev_b32_e32 v3, s15, v10
	v_mul_lo_u32 v7, v3, s13
	s_delay_alu instid0(VALU_DEP_4) | instskip(NEXT) | instid1(VALU_DEP_4)
	v_mad_u32 v10, v5, s41, v11
	v_mad_u32 v4, v5, s40, v4
	s_delay_alu instid0(VALU_DEP_3) | instskip(NEXT) | instid1(VALU_DEP_1)
	v_sub_nc_u32_e32 v5, v8, v7
	v_mad_u32 v12, v5, s43, v10
	s_delay_alu instid0(VALU_DEP_3)
	v_mad_u32 v4, v5, s42, v4
	s_cbranch_scc1 .LBB35_1124
; %bb.1125:
	s_delay_alu instid0(VALU_DEP_2)
	v_mov_b32_e32 v5, v12
	s_and_b32 s6, s1, 3
	s_mov_b32 s1, 0
	s_cmp_eq_u32 s6, 0
	s_cbranch_scc0 .LBB35_1129
	s_branch .LBB35_1132
.LBB35_1126:
	s_mov_b32 s10, -1
                                        ; implicit-def: $vgpr12
                                        ; implicit-def: $vgpr4
	s_branch .LBB35_1132
.LBB35_1127:
	v_dual_mov_b32 v12, 0 :: v_dual_mov_b32 v4, 0
	s_branch .LBB35_1132
.LBB35_1128:
	v_mov_b64_e32 v[4:5], 0
	v_mov_b32_e32 v3, v2
	s_mov_b32 s0, 0
                                        ; implicit-def: $vgpr12
	s_and_b32 s6, s1, 3
	s_mov_b32 s1, 0
	s_cmp_eq_u32 s6, 0
	s_cbranch_scc1 .LBB35_1132
.LBB35_1129:
	s_lshl_b32 s4, s0, 3
	s_mov_b32 s5, s1
	s_mul_u64 s[12:13], s[0:1], 12
	s_add_nc_u64 s[4:5], s[2:3], s[4:5]
	s_delay_alu instid0(SALU_CYCLE_1)
	s_add_nc_u64 s[0:1], s[4:5], 0xc4
	s_add_nc_u64 s[4:5], s[2:3], s[12:13]
.LBB35_1130:                            ; =>This Inner Loop Header: Depth=1
	s_load_b96 s[12:14], s[4:5], 0x4
	s_add_co_i32 s6, s6, -1
	s_wait_xcnt 0x0
	s_add_nc_u64 s[4:5], s[4:5], 12
	s_cmp_lg_u32 s6, 0
	s_wait_kmcnt 0x0
	v_mul_hi_u32 v7, s13, v3
	s_delay_alu instid0(VALU_DEP_1) | instskip(NEXT) | instid1(VALU_DEP_1)
	v_add_nc_u32_e32 v7, v3, v7
	v_lshrrev_b32_e32 v7, s14, v7
	s_load_b64 s[14:15], s[0:1], 0x0
	s_wait_xcnt 0x0
	s_add_nc_u64 s[0:1], s[0:1], 8
	s_delay_alu instid0(VALU_DEP_1) | instskip(NEXT) | instid1(VALU_DEP_1)
	v_mul_lo_u32 v8, v7, s12
	v_sub_nc_u32_e32 v3, v3, v8
	s_wait_kmcnt 0x0
	s_delay_alu instid0(VALU_DEP_1)
	v_mad_u32 v5, v3, s15, v5
	v_mad_u32 v4, v3, s14, v4
	v_mov_b32_e32 v3, v7
	s_cbranch_scc1 .LBB35_1130
; %bb.1131:
	s_delay_alu instid0(VALU_DEP_3)
	v_mov_b32_e32 v12, v5
.LBB35_1132:
	s_and_not1_b32 vcc_lo, exec_lo, s10
	s_cbranch_vccnz .LBB35_1135
; %bb.1133:
	s_clause 0x1
	s_load_b96 s[4:6], s[2:3], 0x4
	s_load_b64 s[0:1], s[2:3], 0xc4
	s_cmp_lt_u32 s19, 2
	s_wait_kmcnt 0x0
	v_mul_hi_u32 v3, s5, v2
	s_delay_alu instid0(VALU_DEP_1) | instskip(NEXT) | instid1(VALU_DEP_1)
	v_add_nc_u32_e32 v3, v2, v3
	v_lshrrev_b32_e32 v3, s6, v3
	s_delay_alu instid0(VALU_DEP_1) | instskip(NEXT) | instid1(VALU_DEP_1)
	v_mul_lo_u32 v4, v3, s4
	v_sub_nc_u32_e32 v2, v2, v4
	s_delay_alu instid0(VALU_DEP_1)
	v_mul_lo_u32 v12, v2, s1
	v_mul_lo_u32 v4, v2, s0
	s_cbranch_scc1 .LBB35_1135
; %bb.1134:
	s_clause 0x1
	s_load_b96 s[4:6], s[2:3], 0x10
	s_load_b64 s[0:1], s[2:3], 0xcc
	s_wait_kmcnt 0x0
	v_mul_hi_u32 v2, s5, v3
	s_delay_alu instid0(VALU_DEP_1) | instskip(NEXT) | instid1(VALU_DEP_1)
	v_add_nc_u32_e32 v2, v3, v2
	v_lshrrev_b32_e32 v2, s6, v2
	s_delay_alu instid0(VALU_DEP_1) | instskip(NEXT) | instid1(VALU_DEP_1)
	v_mul_lo_u32 v2, v2, s4
	v_sub_nc_u32_e32 v2, v3, v2
	s_delay_alu instid0(VALU_DEP_1)
	v_mad_u32 v4, v2, s0, v4
	v_mad_u32 v12, v2, s1, v12
.LBB35_1135:
	v_cmp_ne_u32_e32 vcc_lo, 1, v1
	v_add_nc_u32_e32 v0, 0x100, v0
	s_cbranch_vccnz .LBB35_1141
; %bb.1136:
	s_cmp_lg_u32 s19, 0
	s_mov_b32 s10, 0
	s_cbranch_scc0 .LBB35_1142
; %bb.1137:
	s_min_u32 s1, s33, 15
	s_delay_alu instid0(SALU_CYCLE_1)
	s_add_co_i32 s1, s1, 1
	s_cmp_eq_u32 s33, 2
	s_cbranch_scc1 .LBB35_1143
; %bb.1138:
	v_dual_mov_b32 v2, 0 :: v_dual_mov_b32 v10, 0
	v_mov_b32_e32 v5, v0
	s_and_b32 s0, s1, 28
	s_add_nc_u64 s[4:5], s[2:3], 0xc4
	s_mov_b32 s11, 0
	s_mov_b64 s[6:7], s[2:3]
.LBB35_1139:                            ; =>This Inner Loop Header: Depth=1
	s_clause 0x1
	s_load_b256 s[20:27], s[6:7], 0x4
	s_load_b128 s[12:15], s[6:7], 0x24
	s_load_b256 s[36:43], s[4:5], 0x0
	s_add_co_i32 s11, s11, 4
	s_wait_xcnt 0x0
	s_add_nc_u64 s[6:7], s[6:7], 48
	s_cmp_lg_u32 s0, s11
	s_add_nc_u64 s[4:5], s[4:5], 32
	s_wait_kmcnt 0x0
	v_mul_hi_u32 v3, s21, v5
	s_delay_alu instid0(VALU_DEP_1) | instskip(NEXT) | instid1(VALU_DEP_1)
	v_add_nc_u32_e32 v3, v5, v3
	v_lshrrev_b32_e32 v3, s22, v3
	s_delay_alu instid0(VALU_DEP_1) | instskip(NEXT) | instid1(VALU_DEP_1)
	v_mul_hi_u32 v7, s24, v3
	v_add_nc_u32_e32 v7, v3, v7
	s_delay_alu instid0(VALU_DEP_1) | instskip(NEXT) | instid1(VALU_DEP_1)
	v_lshrrev_b32_e32 v7, s25, v7
	v_mul_hi_u32 v8, s27, v7
	s_delay_alu instid0(VALU_DEP_1) | instskip(NEXT) | instid1(VALU_DEP_1)
	v_add_nc_u32_e32 v8, v7, v8
	v_lshrrev_b32_e32 v8, s12, v8
	v_mul_lo_u32 v11, v3, s20
	s_delay_alu instid0(VALU_DEP_2) | instskip(NEXT) | instid1(VALU_DEP_2)
	v_mul_hi_u32 v13, s14, v8
	v_sub_nc_u32_e32 v5, v5, v11
	s_delay_alu instid0(VALU_DEP_1) | instskip(SKIP_1) | instid1(VALU_DEP_4)
	v_mad_u32 v10, v5, s37, v10
	v_mad_u32 v2, v5, s36, v2
	v_add_nc_u32_e32 v5, v8, v13
	s_delay_alu instid0(VALU_DEP_1) | instskip(SKIP_1) | instid1(VALU_DEP_1)
	v_lshrrev_b32_e32 v5, s15, v5
	v_mul_lo_u32 v11, v7, s23
	v_sub_nc_u32_e32 v3, v3, v11
	v_mul_lo_u32 v11, v8, s26
	s_delay_alu instid0(VALU_DEP_2) | instskip(SKIP_1) | instid1(VALU_DEP_3)
	v_mad_u32 v10, v3, s39, v10
	v_mad_u32 v2, v3, s38, v2
	v_sub_nc_u32_e32 v3, v7, v11
	v_mul_lo_u32 v7, v5, s13
	s_delay_alu instid0(VALU_DEP_2) | instskip(NEXT) | instid1(VALU_DEP_4)
	v_mad_u32 v10, v3, s41, v10
	v_mad_u32 v2, v3, s40, v2
	s_delay_alu instid0(VALU_DEP_3) | instskip(NEXT) | instid1(VALU_DEP_1)
	v_sub_nc_u32_e32 v3, v8, v7
	v_mad_u32 v10, v3, s43, v10
	s_delay_alu instid0(VALU_DEP_3)
	v_mad_u32 v2, v3, s42, v2
	s_cbranch_scc1 .LBB35_1139
; %bb.1140:
	s_delay_alu instid0(VALU_DEP_2)
	v_mov_b32_e32 v3, v10
	s_and_b32 s6, s1, 3
	s_mov_b32 s1, 0
	s_cmp_eq_u32 s6, 0
	s_cbranch_scc0 .LBB35_1144
	s_branch .LBB35_1147
.LBB35_1141:
	s_mov_b32 s10, -1
                                        ; implicit-def: $vgpr10
                                        ; implicit-def: $vgpr2
	s_branch .LBB35_1147
.LBB35_1142:
	v_dual_mov_b32 v10, 0 :: v_dual_mov_b32 v2, 0
	s_branch .LBB35_1147
.LBB35_1143:
	v_mov_b64_e32 v[2:3], 0
	v_mov_b32_e32 v5, v0
	s_mov_b32 s0, 0
                                        ; implicit-def: $vgpr10
	s_and_b32 s6, s1, 3
	s_mov_b32 s1, 0
	s_cmp_eq_u32 s6, 0
	s_cbranch_scc1 .LBB35_1147
.LBB35_1144:
	s_lshl_b32 s4, s0, 3
	s_mov_b32 s5, s1
	s_mul_u64 s[12:13], s[0:1], 12
	s_add_nc_u64 s[4:5], s[2:3], s[4:5]
	s_delay_alu instid0(SALU_CYCLE_1)
	s_add_nc_u64 s[0:1], s[4:5], 0xc4
	s_add_nc_u64 s[4:5], s[2:3], s[12:13]
.LBB35_1145:                            ; =>This Inner Loop Header: Depth=1
	s_load_b96 s[12:14], s[4:5], 0x4
	s_add_co_i32 s6, s6, -1
	s_wait_xcnt 0x0
	s_add_nc_u64 s[4:5], s[4:5], 12
	s_cmp_lg_u32 s6, 0
	s_wait_kmcnt 0x0
	v_mul_hi_u32 v7, s13, v5
	s_delay_alu instid0(VALU_DEP_1) | instskip(NEXT) | instid1(VALU_DEP_1)
	v_add_nc_u32_e32 v7, v5, v7
	v_lshrrev_b32_e32 v7, s14, v7
	s_load_b64 s[14:15], s[0:1], 0x0
	s_wait_xcnt 0x0
	s_add_nc_u64 s[0:1], s[0:1], 8
	s_delay_alu instid0(VALU_DEP_1) | instskip(NEXT) | instid1(VALU_DEP_1)
	v_mul_lo_u32 v8, v7, s12
	v_sub_nc_u32_e32 v5, v5, v8
	s_wait_kmcnt 0x0
	s_delay_alu instid0(VALU_DEP_1)
	v_mad_u32 v3, v5, s15, v3
	v_mad_u32 v2, v5, s14, v2
	v_mov_b32_e32 v5, v7
	s_cbranch_scc1 .LBB35_1145
; %bb.1146:
	s_delay_alu instid0(VALU_DEP_3)
	v_mov_b32_e32 v10, v3
.LBB35_1147:
	s_and_not1_b32 vcc_lo, exec_lo, s10
	s_cbranch_vccnz .LBB35_1150
; %bb.1148:
	s_clause 0x1
	s_load_b96 s[4:6], s[2:3], 0x4
	s_load_b64 s[0:1], s[2:3], 0xc4
	s_cmp_lt_u32 s19, 2
	s_wait_kmcnt 0x0
	v_mul_hi_u32 v2, s5, v0
	s_delay_alu instid0(VALU_DEP_1) | instskip(NEXT) | instid1(VALU_DEP_1)
	v_add_nc_u32_e32 v2, v0, v2
	v_lshrrev_b32_e32 v3, s6, v2
	s_delay_alu instid0(VALU_DEP_1) | instskip(NEXT) | instid1(VALU_DEP_1)
	v_mul_lo_u32 v2, v3, s4
	v_sub_nc_u32_e32 v0, v0, v2
	s_delay_alu instid0(VALU_DEP_1)
	v_mul_lo_u32 v10, v0, s1
	v_mul_lo_u32 v2, v0, s0
	s_cbranch_scc1 .LBB35_1150
; %bb.1149:
	s_clause 0x1
	s_load_b96 s[4:6], s[2:3], 0x10
	s_load_b64 s[0:1], s[2:3], 0xcc
	s_wait_kmcnt 0x0
	v_mul_hi_u32 v0, s5, v3
	s_delay_alu instid0(VALU_DEP_1) | instskip(NEXT) | instid1(VALU_DEP_1)
	v_add_nc_u32_e32 v0, v3, v0
	v_lshrrev_b32_e32 v0, s6, v0
	s_delay_alu instid0(VALU_DEP_1) | instskip(NEXT) | instid1(VALU_DEP_1)
	v_mul_lo_u32 v0, v0, s4
	v_sub_nc_u32_e32 v0, v3, v0
	s_delay_alu instid0(VALU_DEP_1)
	v_mad_u32 v2, v0, s0, v2
	v_mad_u32 v10, v0, s1, v10
.LBB35_1150:
	v_cmp_ne_u32_e32 vcc_lo, 1, v1
	s_cbranch_vccnz .LBB35_1156
; %bb.1151:
	s_cmp_lg_u32 s19, 0
	s_mov_b32 s10, 0
	s_cbranch_scc0 .LBB35_1157
; %bb.1152:
	s_min_u32 s1, s33, 15
	s_delay_alu instid0(SALU_CYCLE_1)
	s_add_co_i32 s1, s1, 1
	s_cmp_eq_u32 s33, 2
	s_cbranch_scc1 .LBB35_1158
; %bb.1153:
	v_dual_mov_b32 v0, 0 :: v_dual_mov_b32 v8, 0
	v_mov_b32_e32 v3, v9
	s_and_b32 s0, s1, 28
	s_add_nc_u64 s[4:5], s[2:3], 0xc4
	s_mov_b32 s11, 0
	s_mov_b64 s[6:7], s[2:3]
.LBB35_1154:                            ; =>This Inner Loop Header: Depth=1
	s_clause 0x1
	s_load_b256 s[20:27], s[6:7], 0x4
	s_load_b128 s[12:15], s[6:7], 0x24
	s_load_b256 s[36:43], s[4:5], 0x0
	s_add_co_i32 s11, s11, 4
	s_wait_xcnt 0x0
	s_add_nc_u64 s[6:7], s[6:7], 48
	s_cmp_lg_u32 s0, s11
	s_add_nc_u64 s[4:5], s[4:5], 32
	s_wait_kmcnt 0x0
	v_mul_hi_u32 v1, s21, v3
	s_delay_alu instid0(VALU_DEP_1) | instskip(NEXT) | instid1(VALU_DEP_1)
	v_add_nc_u32_e32 v1, v3, v1
	v_lshrrev_b32_e32 v1, s22, v1
	s_delay_alu instid0(VALU_DEP_1) | instskip(NEXT) | instid1(VALU_DEP_1)
	v_mul_lo_u32 v11, v1, s20
	v_sub_nc_u32_e32 v3, v3, v11
	v_mul_hi_u32 v5, s24, v1
	s_delay_alu instid0(VALU_DEP_2) | instskip(SKIP_1) | instid1(VALU_DEP_3)
	v_mad_u32 v8, v3, s37, v8
	v_mad_u32 v0, v3, s36, v0
	v_add_nc_u32_e32 v5, v1, v5
	s_delay_alu instid0(VALU_DEP_1) | instskip(NEXT) | instid1(VALU_DEP_1)
	v_lshrrev_b32_e32 v5, s25, v5
	v_mul_lo_u32 v11, v5, s23
	s_delay_alu instid0(VALU_DEP_1) | instskip(SKIP_1) | instid1(VALU_DEP_2)
	v_sub_nc_u32_e32 v1, v1, v11
	v_mul_hi_u32 v7, s27, v5
	v_mad_u32 v8, v1, s39, v8
	v_mad_u32 v0, v1, s38, v0
	s_delay_alu instid0(VALU_DEP_3) | instskip(NEXT) | instid1(VALU_DEP_1)
	v_add_nc_u32_e32 v7, v5, v7
	v_lshrrev_b32_e32 v7, s12, v7
	s_delay_alu instid0(VALU_DEP_1) | instskip(SKIP_1) | instid1(VALU_DEP_1)
	v_mul_hi_u32 v13, s14, v7
	v_mul_lo_u32 v11, v7, s26
	v_dual_add_nc_u32 v3, v7, v13 :: v_dual_sub_nc_u32 v1, v5, v11
	s_delay_alu instid0(VALU_DEP_1) | instskip(NEXT) | instid1(VALU_DEP_2)
	v_lshrrev_b32_e32 v3, s15, v3
	v_mad_u32 v8, v1, s41, v8
	v_mad_u32 v0, v1, s40, v0
	s_delay_alu instid0(VALU_DEP_3) | instskip(NEXT) | instid1(VALU_DEP_1)
	v_mul_lo_u32 v5, v3, s13
	v_sub_nc_u32_e32 v1, v7, v5
	s_delay_alu instid0(VALU_DEP_1) | instskip(NEXT) | instid1(VALU_DEP_4)
	v_mad_u32 v8, v1, s43, v8
	v_mad_u32 v0, v1, s42, v0
	s_cbranch_scc1 .LBB35_1154
; %bb.1155:
	s_delay_alu instid0(VALU_DEP_2)
	v_mov_b32_e32 v1, v8
	s_and_b32 s6, s1, 3
	s_mov_b32 s1, 0
	s_cmp_eq_u32 s6, 0
	s_cbranch_scc0 .LBB35_1159
	s_branch .LBB35_1162
.LBB35_1156:
	s_mov_b32 s10, -1
                                        ; implicit-def: $vgpr8
                                        ; implicit-def: $vgpr0
	s_branch .LBB35_1162
.LBB35_1157:
	v_dual_mov_b32 v8, 0 :: v_dual_mov_b32 v0, 0
	s_branch .LBB35_1162
.LBB35_1158:
	v_mov_b64_e32 v[0:1], 0
	v_mov_b32_e32 v3, v9
	s_mov_b32 s0, 0
                                        ; implicit-def: $vgpr8
	s_and_b32 s6, s1, 3
	s_mov_b32 s1, 0
	s_cmp_eq_u32 s6, 0
	s_cbranch_scc1 .LBB35_1162
.LBB35_1159:
	s_lshl_b32 s4, s0, 3
	s_mov_b32 s5, s1
	s_mul_u64 s[12:13], s[0:1], 12
	s_add_nc_u64 s[4:5], s[2:3], s[4:5]
	s_delay_alu instid0(SALU_CYCLE_1)
	s_add_nc_u64 s[0:1], s[4:5], 0xc4
	s_add_nc_u64 s[4:5], s[2:3], s[12:13]
.LBB35_1160:                            ; =>This Inner Loop Header: Depth=1
	s_load_b96 s[12:14], s[4:5], 0x4
	s_add_co_i32 s6, s6, -1
	s_wait_xcnt 0x0
	s_add_nc_u64 s[4:5], s[4:5], 12
	s_cmp_lg_u32 s6, 0
	s_wait_kmcnt 0x0
	v_mul_hi_u32 v5, s13, v3
	s_delay_alu instid0(VALU_DEP_1) | instskip(NEXT) | instid1(VALU_DEP_1)
	v_add_nc_u32_e32 v5, v3, v5
	v_lshrrev_b32_e32 v5, s14, v5
	s_load_b64 s[14:15], s[0:1], 0x0
	s_wait_xcnt 0x0
	s_add_nc_u64 s[0:1], s[0:1], 8
	s_delay_alu instid0(VALU_DEP_1) | instskip(NEXT) | instid1(VALU_DEP_1)
	v_mul_lo_u32 v7, v5, s12
	v_sub_nc_u32_e32 v3, v3, v7
	s_wait_kmcnt 0x0
	s_delay_alu instid0(VALU_DEP_1)
	v_mad_u32 v1, v3, s15, v1
	v_mad_u32 v0, v3, s14, v0
	v_mov_b32_e32 v3, v5
	s_cbranch_scc1 .LBB35_1160
; %bb.1161:
	s_delay_alu instid0(VALU_DEP_3)
	v_mov_b32_e32 v8, v1
.LBB35_1162:
	s_and_not1_b32 vcc_lo, exec_lo, s10
	s_cbranch_vccnz .LBB35_1165
; %bb.1163:
	s_clause 0x1
	s_load_b96 s[4:6], s[2:3], 0x4
	s_load_b64 s[0:1], s[2:3], 0xc4
	s_cmp_lt_u32 s19, 2
	s_wait_kmcnt 0x0
	v_mul_hi_u32 v0, s5, v9
	s_delay_alu instid0(VALU_DEP_1) | instskip(NEXT) | instid1(VALU_DEP_1)
	v_add_nc_u32_e32 v0, v9, v0
	v_lshrrev_b32_e32 v1, s6, v0
	s_delay_alu instid0(VALU_DEP_1) | instskip(NEXT) | instid1(VALU_DEP_1)
	v_mul_lo_u32 v0, v1, s4
	v_sub_nc_u32_e32 v0, v9, v0
	s_delay_alu instid0(VALU_DEP_1)
	v_mul_lo_u32 v8, v0, s1
	v_mul_lo_u32 v0, v0, s0
	s_cbranch_scc1 .LBB35_1165
; %bb.1164:
	s_clause 0x1
	s_load_b96 s[4:6], s[2:3], 0x10
	s_load_b64 s[0:1], s[2:3], 0xcc
	s_wait_kmcnt 0x0
	v_mul_hi_u32 v3, s5, v1
	s_delay_alu instid0(VALU_DEP_1) | instskip(NEXT) | instid1(VALU_DEP_1)
	v_add_nc_u32_e32 v3, v1, v3
	v_lshrrev_b32_e32 v3, s6, v3
	s_delay_alu instid0(VALU_DEP_1) | instskip(NEXT) | instid1(VALU_DEP_1)
	v_mul_lo_u32 v3, v3, s4
	v_sub_nc_u32_e32 v1, v1, v3
	s_delay_alu instid0(VALU_DEP_1)
	v_mad_u32 v0, v1, s0, v0
	v_mad_u32 v8, v1, s1, v8
.LBB35_1165:
	v_mov_b32_e32 v15, 0
	s_load_b128 s[4:7], s[2:3], 0x148
	global_load_u8 v1, v15, s[2:3] offset:353
	s_wait_kmcnt 0x0
	v_add_nc_u64_e32 v[14:15], s[6:7], v[14:15]
	s_wait_loadcnt 0x0
	v_and_b32_e32 v3, 0xffff, v1
	v_readfirstlane_b32 s11, v1
	s_delay_alu instid0(VALU_DEP_2)
	v_cmp_gt_i32_e32 vcc_lo, 11, v3
	s_cbranch_vccnz .LBB35_1172
; %bb.1166:
	s_and_b32 s0, 0xffff, s11
	s_mov_b32 s12, 0
	s_cmp_gt_i32 s0, 25
	s_cbranch_scc0 .LBB35_1174
; %bb.1167:
	s_cmp_gt_i32 s0, 28
	s_cbranch_scc0 .LBB35_1175
; %bb.1168:
	;; [unrolled: 3-line block ×4, first 2 shown]
	s_cmp_eq_u32 s0, 46
	s_mov_b32 s10, 0
	s_cbranch_scc0 .LBB35_1180
; %bb.1171:
	global_load_b32 v1, v[14:15], off
	s_mov_b32 s1, 0
	s_mov_b32 s13, -1
	s_branch .LBB35_1182
.LBB35_1172:
	s_mov_b32 s13, 0
	s_mov_b32 s10, s8
                                        ; implicit-def: $vgpr1
	s_cbranch_execnz .LBB35_1245
.LBB35_1173:
	s_and_not1_b32 vcc_lo, exec_lo, s13
	s_cbranch_vccz .LBB35_1290
	s_branch .LBB35_2122
.LBB35_1174:
	s_mov_b32 s13, 0
	s_mov_b32 s1, 0
                                        ; implicit-def: $vgpr1
	s_cbranch_execnz .LBB35_1210
	s_branch .LBB35_1241
.LBB35_1175:
	s_mov_b32 s10, -1
	s_mov_b32 s13, 0
	s_mov_b32 s1, 0
                                        ; implicit-def: $vgpr1
	s_branch .LBB35_1191
.LBB35_1176:
	s_mov_b32 s13, 0
	s_mov_b32 s1, 0
                                        ; implicit-def: $vgpr1
	s_cbranch_execnz .LBB35_1187
	s_branch .LBB35_1190
.LBB35_1177:
	s_mov_b32 s10, -1
	s_mov_b32 s13, 0
	s_mov_b32 s1, 0
	s_branch .LBB35_1181
.LBB35_1178:
	s_and_not1_saveexec_b32 s9, s9
	s_cbranch_execz .LBB35_1017
.LBB35_1179:
	v_add_f32_e64 v4, 0x46000000, |v5|
	s_and_not1_b32 s8, s8, exec_lo
	s_delay_alu instid0(VALU_DEP_1) | instskip(NEXT) | instid1(VALU_DEP_1)
	v_and_b32_e32 v4, 0xff, v4
	v_cmp_ne_u32_e32 vcc_lo, 0, v4
	s_and_b32 s10, vcc_lo, exec_lo
	s_delay_alu instid0(SALU_CYCLE_1)
	s_or_b32 s8, s8, s10
	s_or_b32 exec_lo, exec_lo, s9
	v_mov_b32_e32 v6, 0
	s_and_saveexec_b32 s9, s8
	s_cbranch_execnz .LBB35_1018
	s_branch .LBB35_1019
.LBB35_1180:
	s_mov_b32 s1, -1
	s_mov_b32 s13, 0
.LBB35_1181:
                                        ; implicit-def: $vgpr1
.LBB35_1182:
	s_and_b32 vcc_lo, exec_lo, s10
	s_cbranch_vccz .LBB35_1185
; %bb.1183:
	s_cmp_eq_u32 s0, 44
	s_cbranch_scc0 .LBB35_1186
; %bb.1184:
	s_wait_loadcnt 0x0
	global_load_u8 v1, v[14:15], off
	s_mov_b32 s1, 0
	s_mov_b32 s13, -1
	s_wait_loadcnt 0x0
	v_lshlrev_b32_e32 v3, 23, v1
	v_cmp_ne_u32_e32 vcc_lo, 0xff, v1
	s_delay_alu instid0(VALU_DEP_2) | instskip(SKIP_1) | instid1(VALU_DEP_2)
	v_cndmask_b32_e32 v3, 0x7f800001, v3, vcc_lo
	v_cmp_ne_u32_e32 vcc_lo, 0, v1
	v_cndmask_b32_e32 v1, 0x400000, v3, vcc_lo
	s_delay_alu instid0(VALU_DEP_1) | instskip(SKIP_1) | instid1(VALU_DEP_2)
	v_add_nc_u32_e32 v3, 0x7fff, v1
	v_cmp_o_f32_e32 vcc_lo, v1, v1
	v_lshrrev_b32_e32 v3, 16, v3
	s_delay_alu instid0(VALU_DEP_1)
	v_cndmask_b32_e32 v1, 0x7fc0, v3, vcc_lo
.LBB35_1185:
	s_branch .LBB35_1190
.LBB35_1186:
	s_mov_b32 s1, -1
                                        ; implicit-def: $vgpr1
	s_branch .LBB35_1190
.LBB35_1187:
	s_cmp_eq_u32 s0, 29
	s_cbranch_scc0 .LBB35_1189
; %bb.1188:
	global_load_b64 v[16:17], v[14:15], off
	s_mov_b32 s1, 0
	s_mov_b32 s13, -1
	s_mov_b32 s10, 0
	s_wait_loadcnt 0x0
	v_clz_i32_u32_e32 v1, v17
	s_delay_alu instid0(VALU_DEP_1) | instskip(NEXT) | instid1(VALU_DEP_1)
	v_min_u32_e32 v1, 32, v1
	v_lshlrev_b64_e32 v[16:17], v1, v[16:17]
	v_sub_nc_u32_e32 v1, 32, v1
	s_delay_alu instid0(VALU_DEP_2) | instskip(NEXT) | instid1(VALU_DEP_1)
	v_min_u32_e32 v3, 1, v16
	v_or_b32_e32 v3, v17, v3
	s_delay_alu instid0(VALU_DEP_1) | instskip(NEXT) | instid1(VALU_DEP_1)
	v_cvt_f32_u32_e32 v3, v3
	v_ldexp_f32 v1, v3, v1
	s_delay_alu instid0(VALU_DEP_1) | instskip(NEXT) | instid1(VALU_DEP_1)
	v_bfe_u32 v3, v1, 16, 1
	v_add3_u32 v1, v1, v3, 0x7fff
	s_delay_alu instid0(VALU_DEP_1)
	v_lshrrev_b32_e32 v1, 16, v1
	s_branch .LBB35_1191
.LBB35_1189:
	s_mov_b32 s1, -1
                                        ; implicit-def: $vgpr1
.LBB35_1190:
	s_mov_b32 s10, 0
.LBB35_1191:
	s_delay_alu instid0(SALU_CYCLE_1)
	s_and_b32 vcc_lo, exec_lo, s10
	s_cbranch_vccz .LBB35_1209
; %bb.1192:
	s_cmp_lt_i32 s0, 27
	s_cbranch_scc1 .LBB35_1195
; %bb.1193:
	s_cmp_gt_i32 s0, 27
	s_cbranch_scc0 .LBB35_1196
; %bb.1194:
	s_wait_loadcnt 0x0
	global_load_b32 v1, v[14:15], off
	s_mov_b32 s10, 0
	s_wait_loadcnt 0x0
	v_cvt_f32_u32_e32 v1, v1
	s_delay_alu instid0(VALU_DEP_1) | instskip(NEXT) | instid1(VALU_DEP_1)
	v_bfe_u32 v3, v1, 16, 1
	v_add3_u32 v1, v1, v3, 0x7fff
	s_delay_alu instid0(VALU_DEP_1)
	v_lshrrev_b32_e32 v1, 16, v1
	s_branch .LBB35_1197
.LBB35_1195:
	s_mov_b32 s10, -1
                                        ; implicit-def: $vgpr1
	s_branch .LBB35_1200
.LBB35_1196:
	s_mov_b32 s10, -1
                                        ; implicit-def: $vgpr1
.LBB35_1197:
	s_delay_alu instid0(SALU_CYCLE_1)
	s_and_not1_b32 vcc_lo, exec_lo, s10
	s_cbranch_vccnz .LBB35_1199
; %bb.1198:
	s_wait_loadcnt 0x0
	global_load_u16 v1, v[14:15], off
	s_wait_loadcnt 0x0
	v_cvt_f32_u32_e32 v1, v1
	s_delay_alu instid0(VALU_DEP_1) | instskip(NEXT) | instid1(VALU_DEP_1)
	v_bfe_u32 v3, v1, 16, 1
	v_add3_u32 v1, v1, v3, 0x7fff
	s_delay_alu instid0(VALU_DEP_1)
	v_lshrrev_b32_e32 v1, 16, v1
.LBB35_1199:
	s_mov_b32 s10, 0
.LBB35_1200:
	s_delay_alu instid0(SALU_CYCLE_1)
	s_and_not1_b32 vcc_lo, exec_lo, s10
	s_cbranch_vccnz .LBB35_1208
; %bb.1201:
	s_wait_loadcnt 0x0
	global_load_u8 v1, v[14:15], off
	s_mov_b32 s10, 0
	s_mov_b32 s13, exec_lo
	s_wait_loadcnt 0x0
	v_cmpx_lt_i16_e32 0x7f, v1
	s_xor_b32 s13, exec_lo, s13
	s_cbranch_execz .LBB35_1221
; %bb.1202:
	s_mov_b32 s10, -1
	s_mov_b32 s14, exec_lo
	v_cmpx_eq_u16_e32 0x80, v1
; %bb.1203:
	s_xor_b32 s10, exec_lo, -1
; %bb.1204:
	s_or_b32 exec_lo, exec_lo, s14
	s_delay_alu instid0(SALU_CYCLE_1)
	s_and_b32 s10, s10, exec_lo
	s_or_saveexec_b32 s13, s13
	v_mov_b32_e32 v3, 0x7f800001
	s_xor_b32 exec_lo, exec_lo, s13
	s_cbranch_execnz .LBB35_1222
.LBB35_1205:
	s_or_b32 exec_lo, exec_lo, s13
	s_and_saveexec_b32 s13, s10
	s_cbranch_execz .LBB35_1207
.LBB35_1206:
	v_and_b32_e32 v3, 0xffff, v1
	s_delay_alu instid0(VALU_DEP_1) | instskip(SKIP_1) | instid1(VALU_DEP_2)
	v_dual_lshlrev_b32 v1, 24, v1 :: v_dual_bitop2_b32 v5, 7, v3 bitop3:0x40
	v_bfe_u32 v11, v3, 3, 4
	v_and_b32_e32 v1, 0x80000000, v1
	s_delay_alu instid0(VALU_DEP_3) | instskip(NEXT) | instid1(VALU_DEP_3)
	v_clz_i32_u32_e32 v7, v5
	v_cmp_eq_u32_e32 vcc_lo, 0, v11
	s_delay_alu instid0(VALU_DEP_2) | instskip(NEXT) | instid1(VALU_DEP_1)
	v_min_u32_e32 v7, 32, v7
	v_subrev_nc_u32_e32 v9, 28, v7
	v_sub_nc_u32_e32 v7, 29, v7
	s_delay_alu instid0(VALU_DEP_2) | instskip(NEXT) | instid1(VALU_DEP_2)
	v_lshlrev_b32_e32 v3, v9, v3
	v_cndmask_b32_e32 v7, v11, v7, vcc_lo
	s_delay_alu instid0(VALU_DEP_2) | instskip(NEXT) | instid1(VALU_DEP_1)
	v_and_b32_e32 v3, 7, v3
	v_cndmask_b32_e32 v3, v5, v3, vcc_lo
	s_delay_alu instid0(VALU_DEP_3) | instskip(NEXT) | instid1(VALU_DEP_2)
	v_lshl_add_u32 v5, v7, 23, 0x3b800000
	v_lshlrev_b32_e32 v3, 20, v3
	s_delay_alu instid0(VALU_DEP_1)
	v_or3_b32 v3, v1, v5, v3
.LBB35_1207:
	s_or_b32 exec_lo, exec_lo, s13
	s_delay_alu instid0(VALU_DEP_1) | instskip(SKIP_1) | instid1(VALU_DEP_2)
	v_bfe_u32 v1, v3, 16, 1
	v_cmp_o_f32_e32 vcc_lo, v3, v3
	v_add3_u32 v1, v3, v1, 0x7fff
	s_delay_alu instid0(VALU_DEP_1) | instskip(NEXT) | instid1(VALU_DEP_1)
	v_lshrrev_b32_e32 v1, 16, v1
	v_cndmask_b32_e32 v1, 0x7fc0, v1, vcc_lo
.LBB35_1208:
	s_mov_b32 s13, -1
.LBB35_1209:
	s_branch .LBB35_1241
.LBB35_1210:
	s_cmp_gt_i32 s0, 22
	s_cbranch_scc0 .LBB35_1220
; %bb.1211:
	s_cmp_lt_i32 s0, 24
	s_cbranch_scc1 .LBB35_1223
; %bb.1212:
	s_cmp_gt_i32 s0, 24
	s_cbranch_scc0 .LBB35_1224
; %bb.1213:
	s_wait_loadcnt 0x0
	global_load_u8 v1, v[14:15], off
	s_mov_b32 s10, 0
	s_mov_b32 s12, exec_lo
	s_wait_loadcnt 0x0
	v_cmpx_lt_i16_e32 0x7f, v1
	s_xor_b32 s12, exec_lo, s12
	s_cbranch_execz .LBB35_1235
; %bb.1214:
	s_mov_b32 s10, -1
	s_mov_b32 s13, exec_lo
	v_cmpx_eq_u16_e32 0x80, v1
; %bb.1215:
	s_xor_b32 s10, exec_lo, -1
; %bb.1216:
	s_or_b32 exec_lo, exec_lo, s13
	s_delay_alu instid0(SALU_CYCLE_1)
	s_and_b32 s10, s10, exec_lo
	s_or_saveexec_b32 s12, s12
	v_mov_b32_e32 v3, 0x7f800001
	s_xor_b32 exec_lo, exec_lo, s12
	s_cbranch_execnz .LBB35_1236
.LBB35_1217:
	s_or_b32 exec_lo, exec_lo, s12
	s_and_saveexec_b32 s12, s10
	s_cbranch_execz .LBB35_1219
.LBB35_1218:
	v_and_b32_e32 v3, 0xffff, v1
	s_delay_alu instid0(VALU_DEP_1) | instskip(SKIP_1) | instid1(VALU_DEP_2)
	v_dual_lshlrev_b32 v1, 24, v1 :: v_dual_bitop2_b32 v5, 3, v3 bitop3:0x40
	v_bfe_u32 v11, v3, 2, 5
	v_and_b32_e32 v1, 0x80000000, v1
	s_delay_alu instid0(VALU_DEP_3) | instskip(NEXT) | instid1(VALU_DEP_3)
	v_clz_i32_u32_e32 v7, v5
	v_cmp_eq_u32_e32 vcc_lo, 0, v11
	s_delay_alu instid0(VALU_DEP_2) | instskip(NEXT) | instid1(VALU_DEP_1)
	v_min_u32_e32 v7, 32, v7
	v_subrev_nc_u32_e32 v9, 29, v7
	v_sub_nc_u32_e32 v7, 30, v7
	s_delay_alu instid0(VALU_DEP_2) | instskip(NEXT) | instid1(VALU_DEP_2)
	v_lshlrev_b32_e32 v3, v9, v3
	v_cndmask_b32_e32 v7, v11, v7, vcc_lo
	s_delay_alu instid0(VALU_DEP_2) | instskip(NEXT) | instid1(VALU_DEP_1)
	v_and_b32_e32 v3, 3, v3
	v_cndmask_b32_e32 v3, v5, v3, vcc_lo
	s_delay_alu instid0(VALU_DEP_3) | instskip(NEXT) | instid1(VALU_DEP_2)
	v_lshl_add_u32 v5, v7, 23, 0x37800000
	v_lshlrev_b32_e32 v3, 21, v3
	s_delay_alu instid0(VALU_DEP_1)
	v_or3_b32 v3, v1, v5, v3
.LBB35_1219:
	s_or_b32 exec_lo, exec_lo, s12
	s_delay_alu instid0(VALU_DEP_1) | instskip(SKIP_2) | instid1(VALU_DEP_2)
	v_bfe_u32 v1, v3, 16, 1
	v_cmp_o_f32_e32 vcc_lo, v3, v3
	s_mov_b32 s10, 0
	v_add3_u32 v1, v3, v1, 0x7fff
	s_delay_alu instid0(VALU_DEP_1) | instskip(NEXT) | instid1(VALU_DEP_1)
	v_lshrrev_b32_e32 v1, 16, v1
	v_cndmask_b32_e32 v1, 0x7fc0, v1, vcc_lo
	s_branch .LBB35_1225
.LBB35_1220:
                                        ; implicit-def: $vgpr1
	s_mov_b32 s12, 0
	s_branch .LBB35_1231
.LBB35_1221:
	s_or_saveexec_b32 s13, s13
	v_mov_b32_e32 v3, 0x7f800001
	s_xor_b32 exec_lo, exec_lo, s13
	s_cbranch_execz .LBB35_1205
.LBB35_1222:
	v_cmp_ne_u16_e32 vcc_lo, 0, v1
	v_mov_b32_e32 v3, 0
	s_and_not1_b32 s10, s10, exec_lo
	s_and_b32 s14, vcc_lo, exec_lo
	s_delay_alu instid0(SALU_CYCLE_1)
	s_or_b32 s10, s10, s14
	s_or_b32 exec_lo, exec_lo, s13
	s_and_saveexec_b32 s13, s10
	s_cbranch_execnz .LBB35_1206
	s_branch .LBB35_1207
.LBB35_1223:
	s_mov_b32 s10, -1
                                        ; implicit-def: $vgpr1
	s_branch .LBB35_1228
.LBB35_1224:
	s_mov_b32 s10, -1
                                        ; implicit-def: $vgpr1
.LBB35_1225:
	s_delay_alu instid0(SALU_CYCLE_1)
	s_and_b32 vcc_lo, exec_lo, s10
	s_cbranch_vccz .LBB35_1227
; %bb.1226:
	s_wait_loadcnt 0x0
	global_load_u8 v1, v[14:15], off
	s_wait_loadcnt 0x0
	v_lshlrev_b32_e32 v1, 24, v1
	s_delay_alu instid0(VALU_DEP_1) | instskip(NEXT) | instid1(VALU_DEP_1)
	v_and_b32_e32 v3, 0x7f000000, v1
	v_clz_i32_u32_e32 v5, v3
	v_add_nc_u32_e32 v9, 0x1000000, v3
	v_cmp_ne_u32_e32 vcc_lo, 0, v3
	s_delay_alu instid0(VALU_DEP_3) | instskip(NEXT) | instid1(VALU_DEP_1)
	v_min_u32_e32 v5, 32, v5
	v_sub_nc_u32_e64 v5, v5, 4 clamp
	s_delay_alu instid0(VALU_DEP_1) | instskip(NEXT) | instid1(VALU_DEP_1)
	v_dual_lshlrev_b32 v7, v5, v3 :: v_dual_lshlrev_b32 v5, 23, v5
	v_lshrrev_b32_e32 v7, 4, v7
	s_delay_alu instid0(VALU_DEP_1) | instskip(SKIP_1) | instid1(VALU_DEP_2)
	v_sub_nc_u32_e32 v5, v7, v5
	v_ashrrev_i32_e32 v7, 8, v9
	v_add_nc_u32_e32 v5, 0x3c000000, v5
	s_delay_alu instid0(VALU_DEP_1) | instskip(NEXT) | instid1(VALU_DEP_1)
	v_and_or_b32 v5, 0x7f800000, v7, v5
	v_cndmask_b32_e32 v3, 0, v5, vcc_lo
	s_delay_alu instid0(VALU_DEP_1) | instskip(SKIP_1) | instid1(VALU_DEP_2)
	v_and_or_b32 v1, 0x80000000, v1, v3
	v_bfe_u32 v3, v3, 16, 1
	v_cmp_o_f32_e32 vcc_lo, v1, v1
	s_delay_alu instid0(VALU_DEP_2) | instskip(NEXT) | instid1(VALU_DEP_1)
	v_add3_u32 v3, v1, v3, 0x7fff
	v_lshrrev_b32_e32 v3, 16, v3
	s_delay_alu instid0(VALU_DEP_1)
	v_cndmask_b32_e32 v1, 0x7fc0, v3, vcc_lo
.LBB35_1227:
	s_mov_b32 s10, 0
.LBB35_1228:
	s_delay_alu instid0(SALU_CYCLE_1)
	s_and_not1_b32 vcc_lo, exec_lo, s10
	s_cbranch_vccnz .LBB35_1230
; %bb.1229:
	s_wait_loadcnt 0x0
	global_load_u8 v1, v[14:15], off
	s_wait_loadcnt 0x0
	v_lshlrev_b32_e32 v3, 25, v1
	v_lshlrev_b16 v1, 8, v1
	s_delay_alu instid0(VALU_DEP_1) | instskip(SKIP_1) | instid1(VALU_DEP_2)
	v_and_or_b32 v7, 0x7f00, v1, 0.5
	v_bfe_i32 v1, v1, 0, 16
	v_add_f32_e32 v7, -0.5, v7
	v_lshrrev_b32_e32 v5, 4, v3
	v_cmp_gt_u32_e32 vcc_lo, 0x8000000, v3
	s_delay_alu instid0(VALU_DEP_2) | instskip(NEXT) | instid1(VALU_DEP_1)
	v_or_b32_e32 v5, 0x70000000, v5
	v_mul_f32_e32 v5, 0x7800000, v5
	s_delay_alu instid0(VALU_DEP_1) | instskip(NEXT) | instid1(VALU_DEP_1)
	v_cndmask_b32_e32 v3, v5, v7, vcc_lo
	v_and_or_b32 v1, 0x80000000, v1, v3
	v_bfe_u32 v3, v3, 16, 1
	s_delay_alu instid0(VALU_DEP_2) | instskip(NEXT) | instid1(VALU_DEP_2)
	v_cmp_o_f32_e32 vcc_lo, v1, v1
	v_add3_u32 v3, v1, v3, 0x7fff
	s_delay_alu instid0(VALU_DEP_1) | instskip(NEXT) | instid1(VALU_DEP_1)
	v_lshrrev_b32_e32 v3, 16, v3
	v_cndmask_b32_e32 v1, 0x7fc0, v3, vcc_lo
.LBB35_1230:
	s_mov_b32 s13, -1
	s_mov_b32 s12, 0
	s_cbranch_execnz .LBB35_1241
.LBB35_1231:
	s_cmp_gt_i32 s0, 14
	s_cbranch_scc0 .LBB35_1234
; %bb.1232:
	s_cmp_eq_u32 s0, 15
	s_cbranch_scc0 .LBB35_1237
; %bb.1233:
	s_wait_loadcnt 0x0
	global_load_u16 v1, v[14:15], off
	s_mov_b32 s1, 0
	s_mov_b32 s13, -1
	s_branch .LBB35_1238
.LBB35_1234:
	s_mov_b32 s10, -1
                                        ; implicit-def: $vgpr1
	s_branch .LBB35_1239
.LBB35_1235:
	s_or_saveexec_b32 s12, s12
	v_mov_b32_e32 v3, 0x7f800001
	s_xor_b32 exec_lo, exec_lo, s12
	s_cbranch_execz .LBB35_1217
.LBB35_1236:
	v_cmp_ne_u16_e32 vcc_lo, 0, v1
	v_mov_b32_e32 v3, 0
	s_and_not1_b32 s10, s10, exec_lo
	s_and_b32 s13, vcc_lo, exec_lo
	s_delay_alu instid0(SALU_CYCLE_1)
	s_or_b32 s10, s10, s13
	s_or_b32 exec_lo, exec_lo, s12
	s_and_saveexec_b32 s12, s10
	s_cbranch_execnz .LBB35_1218
	s_branch .LBB35_1219
.LBB35_1237:
	s_mov_b32 s1, -1
                                        ; implicit-def: $vgpr1
.LBB35_1238:
	s_mov_b32 s10, 0
.LBB35_1239:
	s_delay_alu instid0(SALU_CYCLE_1)
	s_and_b32 vcc_lo, exec_lo, s10
	s_cbranch_vccz .LBB35_1241
; %bb.1240:
	s_cmp_lg_u32 s0, 11
	s_mov_b32 s12, -1
	s_cselect_b32 s1, -1, 0
.LBB35_1241:
	s_delay_alu instid0(SALU_CYCLE_1)
	s_and_b32 vcc_lo, exec_lo, s1
	s_mov_b32 s10, s8
	s_cbranch_vccnz .LBB35_1304
; %bb.1242:
	s_and_not1_b32 vcc_lo, exec_lo, s12
	s_cbranch_vccnz .LBB35_1244
.LBB35_1243:
	s_wait_loadcnt 0x0
	global_load_u8 v1, v[14:15], off
	s_mov_b32 s13, -1
	s_wait_loadcnt 0x0
	v_cmp_ne_u16_e32 vcc_lo, 0, v1
	v_cndmask_b32_e64 v1, 0, 1.0, vcc_lo
	s_delay_alu instid0(VALU_DEP_1)
	v_lshrrev_b32_e32 v1, 16, v1
.LBB35_1244:
	s_branch .LBB35_1173
.LBB35_1245:
	s_and_b32 s0, 0xffff, s11
	s_delay_alu instid0(SALU_CYCLE_1)
	s_cmp_lt_i32 s0, 5
	s_cbranch_scc1 .LBB35_1250
; %bb.1246:
	s_cmp_lt_i32 s0, 8
	s_cbranch_scc1 .LBB35_1251
; %bb.1247:
	;; [unrolled: 3-line block ×3, first 2 shown]
	s_cmp_gt_i32 s0, 9
	s_cbranch_scc0 .LBB35_1253
; %bb.1249:
	global_load_b64 v[16:17], v[14:15], off
	s_mov_b32 s1, 0
	s_wait_loadcnt 0x0
	v_cvt_f32_f64_e32 v1, v[16:17]
	s_delay_alu instid0(VALU_DEP_1) | instskip(SKIP_1) | instid1(VALU_DEP_2)
	v_bfe_u32 v3, v1, 16, 1
	v_cmp_o_f32_e32 vcc_lo, v1, v1
	v_add3_u32 v3, v1, v3, 0x7fff
	s_delay_alu instid0(VALU_DEP_1) | instskip(NEXT) | instid1(VALU_DEP_1)
	v_lshrrev_b32_e32 v3, 16, v3
	v_cndmask_b32_e32 v1, 0x7fc0, v3, vcc_lo
	s_branch .LBB35_1254
.LBB35_1250:
                                        ; implicit-def: $vgpr1
	s_branch .LBB35_1271
.LBB35_1251:
                                        ; implicit-def: $vgpr1
	s_branch .LBB35_1260
.LBB35_1252:
	s_mov_b32 s1, -1
                                        ; implicit-def: $vgpr1
	s_branch .LBB35_1257
.LBB35_1253:
	s_mov_b32 s1, -1
                                        ; implicit-def: $vgpr1
.LBB35_1254:
	s_delay_alu instid0(SALU_CYCLE_1)
	s_and_not1_b32 vcc_lo, exec_lo, s1
	s_cbranch_vccnz .LBB35_1256
; %bb.1255:
	s_wait_loadcnt 0x0
	global_load_b32 v1, v[14:15], off
	s_wait_loadcnt 0x0
	v_bfe_u32 v3, v1, 16, 1
	v_cmp_o_f32_e32 vcc_lo, v1, v1
	s_delay_alu instid0(VALU_DEP_2) | instskip(NEXT) | instid1(VALU_DEP_1)
	v_add3_u32 v3, v1, v3, 0x7fff
	v_lshrrev_b32_e32 v3, 16, v3
	s_delay_alu instid0(VALU_DEP_1)
	v_cndmask_b32_e32 v1, 0x7fc0, v3, vcc_lo
.LBB35_1256:
	s_mov_b32 s1, 0
.LBB35_1257:
	s_delay_alu instid0(SALU_CYCLE_1)
	s_and_not1_b32 vcc_lo, exec_lo, s1
	s_cbranch_vccnz .LBB35_1259
; %bb.1258:
	s_wait_loadcnt 0x0
	global_load_b32 v1, v[14:15], off
	s_wait_loadcnt 0x0
	v_cvt_f32_f16_e32 v3, v1
	v_cmp_o_f16_e32 vcc_lo, v1, v1
	s_delay_alu instid0(VALU_DEP_2) | instskip(NEXT) | instid1(VALU_DEP_1)
	v_bfe_u32 v5, v3, 16, 1
	v_add3_u32 v3, v3, v5, 0x7fff
	s_delay_alu instid0(VALU_DEP_1) | instskip(NEXT) | instid1(VALU_DEP_1)
	v_lshrrev_b32_e32 v3, 16, v3
	v_cndmask_b32_e32 v1, 0x7fc0, v3, vcc_lo
.LBB35_1259:
	s_cbranch_execnz .LBB35_1270
.LBB35_1260:
	s_cmp_lt_i32 s0, 6
	s_cbranch_scc1 .LBB35_1263
; %bb.1261:
	s_cmp_gt_i32 s0, 6
	s_cbranch_scc0 .LBB35_1264
; %bb.1262:
	global_load_b64 v[16:17], v[14:15], off
	s_mov_b32 s1, 0
	s_wait_loadcnt 0x0
	v_cvt_f32_f64_e32 v1, v[16:17]
	s_delay_alu instid0(VALU_DEP_1) | instskip(SKIP_1) | instid1(VALU_DEP_2)
	v_bfe_u32 v3, v1, 16, 1
	v_cmp_o_f32_e32 vcc_lo, v1, v1
	v_add3_u32 v3, v1, v3, 0x7fff
	s_delay_alu instid0(VALU_DEP_1) | instskip(NEXT) | instid1(VALU_DEP_1)
	v_lshrrev_b32_e32 v3, 16, v3
	v_cndmask_b32_e32 v1, 0x7fc0, v3, vcc_lo
	s_branch .LBB35_1265
.LBB35_1263:
	s_mov_b32 s1, -1
                                        ; implicit-def: $vgpr1
	s_branch .LBB35_1268
.LBB35_1264:
	s_mov_b32 s1, -1
                                        ; implicit-def: $vgpr1
.LBB35_1265:
	s_delay_alu instid0(SALU_CYCLE_1)
	s_and_not1_b32 vcc_lo, exec_lo, s1
	s_cbranch_vccnz .LBB35_1267
; %bb.1266:
	s_wait_loadcnt 0x0
	global_load_b32 v1, v[14:15], off
	s_wait_loadcnt 0x0
	v_bfe_u32 v3, v1, 16, 1
	v_cmp_o_f32_e32 vcc_lo, v1, v1
	s_delay_alu instid0(VALU_DEP_2) | instskip(NEXT) | instid1(VALU_DEP_1)
	v_add3_u32 v3, v1, v3, 0x7fff
	v_lshrrev_b32_e32 v3, 16, v3
	s_delay_alu instid0(VALU_DEP_1)
	v_cndmask_b32_e32 v1, 0x7fc0, v3, vcc_lo
.LBB35_1267:
	s_mov_b32 s1, 0
.LBB35_1268:
	s_delay_alu instid0(SALU_CYCLE_1)
	s_and_not1_b32 vcc_lo, exec_lo, s1
	s_cbranch_vccnz .LBB35_1270
; %bb.1269:
	s_wait_loadcnt 0x0
	global_load_u16 v1, v[14:15], off
	s_wait_loadcnt 0x0
	v_cvt_f32_f16_e32 v3, v1
	v_cmp_o_f16_e32 vcc_lo, v1, v1
	s_delay_alu instid0(VALU_DEP_2) | instskip(NEXT) | instid1(VALU_DEP_1)
	v_bfe_u32 v5, v3, 16, 1
	v_add3_u32 v3, v3, v5, 0x7fff
	s_delay_alu instid0(VALU_DEP_1) | instskip(NEXT) | instid1(VALU_DEP_1)
	v_lshrrev_b32_e32 v3, 16, v3
	v_cndmask_b32_e32 v1, 0x7fc0, v3, vcc_lo
.LBB35_1270:
	s_cbranch_execnz .LBB35_1289
.LBB35_1271:
	s_cmp_lt_i32 s0, 2
	s_cbranch_scc1 .LBB35_1275
; %bb.1272:
	s_cmp_lt_i32 s0, 3
	s_cbranch_scc1 .LBB35_1276
; %bb.1273:
	s_cmp_gt_i32 s0, 3
	s_cbranch_scc0 .LBB35_1277
; %bb.1274:
	global_load_b64 v[16:17], v[14:15], off
	s_mov_b32 s1, 0
	s_wait_loadcnt 0x0
	v_xor_b32_e32 v1, v16, v17
	v_cls_i32_e32 v3, v17
	s_delay_alu instid0(VALU_DEP_2) | instskip(NEXT) | instid1(VALU_DEP_1)
	v_ashrrev_i32_e32 v1, 31, v1
	v_add_nc_u32_e32 v1, 32, v1
	s_delay_alu instid0(VALU_DEP_1) | instskip(NEXT) | instid1(VALU_DEP_1)
	v_add_min_u32_e64 v1, v3, -1, v1
	v_lshlrev_b64_e32 v[16:17], v1, v[16:17]
	v_sub_nc_u32_e32 v1, 32, v1
	s_delay_alu instid0(VALU_DEP_2) | instskip(NEXT) | instid1(VALU_DEP_1)
	v_min_u32_e32 v3, 1, v16
	v_or_b32_e32 v3, v17, v3
	s_delay_alu instid0(VALU_DEP_1) | instskip(NEXT) | instid1(VALU_DEP_1)
	v_cvt_f32_i32_e32 v3, v3
	v_ldexp_f32 v1, v3, v1
	s_delay_alu instid0(VALU_DEP_1) | instskip(NEXT) | instid1(VALU_DEP_1)
	v_bfe_u32 v3, v1, 16, 1
	v_add3_u32 v1, v1, v3, 0x7fff
	s_delay_alu instid0(VALU_DEP_1)
	v_lshrrev_b32_e32 v1, 16, v1
	s_branch .LBB35_1278
.LBB35_1275:
                                        ; implicit-def: $vgpr1
	s_branch .LBB35_1284
.LBB35_1276:
	s_mov_b32 s1, -1
                                        ; implicit-def: $vgpr1
	s_branch .LBB35_1281
.LBB35_1277:
	s_mov_b32 s1, -1
                                        ; implicit-def: $vgpr1
.LBB35_1278:
	s_delay_alu instid0(SALU_CYCLE_1)
	s_and_not1_b32 vcc_lo, exec_lo, s1
	s_cbranch_vccnz .LBB35_1280
; %bb.1279:
	s_wait_loadcnt 0x0
	global_load_b32 v1, v[14:15], off
	s_wait_loadcnt 0x0
	v_cvt_f32_i32_e32 v1, v1
	s_delay_alu instid0(VALU_DEP_1) | instskip(NEXT) | instid1(VALU_DEP_1)
	v_bfe_u32 v3, v1, 16, 1
	v_add3_u32 v1, v1, v3, 0x7fff
	s_delay_alu instid0(VALU_DEP_1)
	v_lshrrev_b32_e32 v1, 16, v1
.LBB35_1280:
	s_mov_b32 s1, 0
.LBB35_1281:
	s_delay_alu instid0(SALU_CYCLE_1)
	s_and_not1_b32 vcc_lo, exec_lo, s1
	s_cbranch_vccnz .LBB35_1283
; %bb.1282:
	s_wait_loadcnt 0x0
	global_load_i16 v1, v[14:15], off
	s_wait_loadcnt 0x0
	v_cvt_f32_i32_e32 v1, v1
	s_delay_alu instid0(VALU_DEP_1) | instskip(NEXT) | instid1(VALU_DEP_1)
	v_bfe_u32 v3, v1, 16, 1
	v_add3_u32 v1, v1, v3, 0x7fff
	s_delay_alu instid0(VALU_DEP_1)
	v_lshrrev_b32_e32 v1, 16, v1
.LBB35_1283:
	s_cbranch_execnz .LBB35_1289
.LBB35_1284:
	s_cmp_gt_i32 s0, 0
	s_mov_b32 s0, 0
	s_cbranch_scc0 .LBB35_1286
; %bb.1285:
	s_wait_loadcnt 0x0
	global_load_i8 v1, v[14:15], off
	s_wait_loadcnt 0x0
	v_cvt_f32_i32_e32 v1, v1
	s_delay_alu instid0(VALU_DEP_1) | instskip(NEXT) | instid1(VALU_DEP_1)
	v_bfe_u32 v3, v1, 16, 1
	v_add3_u32 v1, v1, v3, 0x7fff
	s_delay_alu instid0(VALU_DEP_1)
	v_lshrrev_b32_e32 v1, 16, v1
	s_branch .LBB35_1287
.LBB35_1286:
	s_mov_b32 s0, -1
                                        ; implicit-def: $vgpr1
.LBB35_1287:
	s_delay_alu instid0(SALU_CYCLE_1)
	s_and_not1_b32 vcc_lo, exec_lo, s0
	s_cbranch_vccnz .LBB35_1289
; %bb.1288:
	s_wait_loadcnt 0x0
	global_load_u8 v1, v[14:15], off
	s_wait_loadcnt 0x0
	v_cvt_f32_ubyte0_e32 v1, v1
	s_delay_alu instid0(VALU_DEP_1) | instskip(NEXT) | instid1(VALU_DEP_1)
	v_bfe_u32 v3, v1, 16, 1
	v_add3_u32 v1, v1, v3, 0x7fff
	s_delay_alu instid0(VALU_DEP_1)
	v_lshrrev_b32_e32 v1, 16, v1
.LBB35_1289:
.LBB35_1290:
	s_load_b64 s[0:1], s[2:3], 0x158
	s_wait_loadcnt 0x0
	s_delay_alu instid0(VALU_DEP_1) | instskip(SKIP_2) | instid1(VALU_DEP_1)
	v_lshlrev_b32_e32 v1, 16, v1
	s_mov_b32 s12, exec_lo
	s_wait_kmcnt 0x0
	v_mul_f32_e32 v3, s0, v1
	s_delay_alu instid0(VALU_DEP_1)
	v_cmpx_nlt_f32_e32 s1, v3
	s_cbranch_execz .LBB35_1292
; %bb.1291:
	v_mul_f32_e32 v1, 0x3fb8aa3b, v3
	v_cmp_ngt_f32_e32 vcc_lo, 0xc2ce8ed0, v3
	s_mov_b32 s13, 0x3e9b6dac
	s_delay_alu instid0(VALU_DEP_2) | instskip(SKIP_1) | instid1(VALU_DEP_2)
	v_rndne_f32_e32 v5, v1
	v_fma_f32 v7, 0x3fb8aa3b, v3, -v1
	v_sub_f32_e32 v1, v1, v5
	s_delay_alu instid0(VALU_DEP_2) | instskip(SKIP_1) | instid1(VALU_DEP_2)
	v_fmamk_f32 v7, v3, 0x32a5705f, v7
	v_cvt_i32_f32_e32 v5, v5
	v_add_f32_e32 v1, v1, v7
	s_delay_alu instid0(VALU_DEP_1) | instskip(SKIP_1) | instid1(TRANS32_DEP_1)
	v_exp_f32_e32 v1, v1
	v_nop
	v_ldexp_f32 v1, v1, v5
	s_delay_alu instid0(VALU_DEP_1) | instskip(SKIP_1) | instid1(VALU_DEP_2)
	v_cndmask_b32_e32 v1, 0, v1, vcc_lo
	v_cmp_nlt_f32_e32 vcc_lo, 0x42b17218, v3
	v_cndmask_b32_e32 v3, 0x7f800000, v1, vcc_lo
	s_delay_alu instid0(VALU_DEP_1) | instskip(NEXT) | instid1(VALU_DEP_1)
	v_add_f32_e32 v1, 1.0, v3
	v_cvt_f64_f32_e32 v[14:15], v1
	v_frexp_mant_f32_e32 v7, v1
	s_delay_alu instid0(VALU_DEP_1) | instskip(SKIP_1) | instid1(VALU_DEP_1)
	v_cmp_gt_f32_e32 vcc_lo, 0x3f2aaaab, v7
	v_add_f32_e32 v7, -1.0, v1
	v_sub_f32_e32 v11, v7, v1
	v_frexp_exp_i32_f64_e32 v5, v[14:15]
	s_delay_alu instid0(VALU_DEP_1) | instskip(NEXT) | instid1(VALU_DEP_1)
	v_subrev_co_ci_u32_e64 v5, null, 0, v5, vcc_lo
	v_sub_nc_u32_e32 v9, 0, v5
	s_delay_alu instid0(VALU_DEP_1) | instskip(NEXT) | instid1(VALU_DEP_1)
	v_ldexp_f32 v1, v1, v9
	v_dual_add_f32 v13, 1.0, v1 :: v_dual_sub_f32 v7, v3, v7
	v_dual_add_f32 v19, -1.0, v1 :: v_dual_add_f32 v11, 1.0, v11
	s_delay_alu instid0(VALU_DEP_1) | instskip(NEXT) | instid1(VALU_DEP_1)
	v_dual_add_f32 v7, v7, v11 :: v_dual_add_f32 v11, -1.0, v13
	v_ldexp_f32 v7, v7, v9
	s_delay_alu instid0(VALU_DEP_2) | instskip(NEXT) | instid1(VALU_DEP_1)
	v_sub_f32_e32 v9, v1, v11
	v_dual_add_f32 v11, 1.0, v19 :: v_dual_add_f32 v9, v7, v9
	s_delay_alu instid0(VALU_DEP_1) | instskip(NEXT) | instid1(VALU_DEP_2)
	v_sub_f32_e32 v1, v1, v11
	v_add_f32_e32 v11, v13, v9
	s_delay_alu instid0(VALU_DEP_1) | instskip(SKIP_1) | instid1(VALU_DEP_1)
	v_dual_add_f32 v1, v7, v1 :: v_dual_sub_f32 v13, v13, v11
	v_rcp_f32_e32 v7, v11
	v_add_f32_e32 v15, v19, v1
	s_delay_alu instid0(VALU_DEP_1) | instskip(NEXT) | instid1(TRANS32_DEP_1)
	v_dual_add_f32 v9, v9, v13 :: v_dual_sub_f32 v13, v19, v15
	v_mul_f32_e32 v20, v15, v7
	v_cmp_neq_f32_e32 vcc_lo, 0x7f800000, v3
	s_delay_alu instid0(VALU_DEP_2) | instskip(NEXT) | instid1(VALU_DEP_1)
	v_dual_add_f32 v1, v1, v13 :: v_dual_mul_f32 v16, v11, v20
	v_fma_f32 v18, v20, v11, -v16
	s_delay_alu instid0(VALU_DEP_1) | instskip(NEXT) | instid1(VALU_DEP_1)
	v_fmac_f32_e32 v18, v20, v9
	v_add_f32_e32 v14, v16, v18
	s_delay_alu instid0(VALU_DEP_1) | instskip(NEXT) | instid1(VALU_DEP_1)
	v_dual_mov_b32 v19, v14 :: v_dual_sub_f32 v17, v15, v14
	v_pk_add_f32 v[14:15], v[14:15], v[16:17] neg_lo:[0,1] neg_hi:[0,1]
	s_delay_alu instid0(VALU_DEP_1) | instskip(NEXT) | instid1(VALU_DEP_1)
	v_pk_add_f32 v[14:15], v[14:15], v[18:19] neg_lo:[0,1] neg_hi:[0,1]
	v_add_f32_e32 v1, v1, v15
	s_delay_alu instid0(VALU_DEP_1) | instskip(NEXT) | instid1(VALU_DEP_1)
	v_add_f32_e32 v1, v14, v1
	v_add_f32_e32 v15, v17, v1
	s_delay_alu instid0(VALU_DEP_1) | instskip(NEXT) | instid1(VALU_DEP_1)
	v_mul_f32_e32 v13, v7, v15
	v_mul_f32_e32 v18, v11, v13
	s_delay_alu instid0(VALU_DEP_1) | instskip(NEXT) | instid1(VALU_DEP_1)
	v_fma_f32 v16, v13, v11, -v18
	v_fmac_f32_e32 v16, v13, v9
	s_delay_alu instid0(VALU_DEP_1) | instskip(NEXT) | instid1(VALU_DEP_1)
	v_dual_add_f32 v14, v18, v16 :: v_dual_sub_f32 v9, v17, v15
	v_dual_sub_f32 v19, v15, v14 :: v_dual_mov_b32 v17, v14
	s_delay_alu instid0(VALU_DEP_2) | instskip(SKIP_1) | instid1(VALU_DEP_3)
	v_add_f32_e32 v1, v1, v9
	v_add_f32_e32 v9, v20, v13
	v_pk_add_f32 v[14:15], v[14:15], v[18:19] neg_lo:[0,1] neg_hi:[0,1]
	s_delay_alu instid0(VALU_DEP_2) | instskip(NEXT) | instid1(VALU_DEP_2)
	v_sub_f32_e32 v11, v9, v20
	v_pk_add_f32 v[14:15], v[14:15], v[16:17] neg_lo:[0,1] neg_hi:[0,1]
	v_cvt_f32_i32_e32 v16, v5
	s_delay_alu instid0(VALU_DEP_3) | instskip(NEXT) | instid1(VALU_DEP_3)
	v_sub_f32_e32 v11, v13, v11
	v_add_f32_e32 v1, v1, v15
	s_delay_alu instid0(VALU_DEP_1) | instskip(NEXT) | instid1(VALU_DEP_1)
	v_dual_add_f32 v1, v14, v1 :: v_dual_mov_b32 v14, 0x3f317218
	v_add_f32_e32 v1, v19, v1
	s_delay_alu instid0(VALU_DEP_1) | instskip(NEXT) | instid1(VALU_DEP_1)
	v_mul_f32_e32 v1, v7, v1
	v_add_f32_e32 v1, v11, v1
	s_delay_alu instid0(VALU_DEP_1) | instskip(NEXT) | instid1(VALU_DEP_1)
	v_add_f32_e32 v7, v9, v1
	v_mul_f32_e32 v11, v7, v7
	s_delay_alu instid0(VALU_DEP_1) | instskip(SKIP_1) | instid1(VALU_DEP_2)
	v_fmaak_f32 v13, s13, v11, 0x3ecc95a3
	v_mul_f32_e32 v17, v7, v11
	v_fmaak_f32 v15, v11, v13, 0x3f2aaada
	s_delay_alu instid0(VALU_DEP_1) | instskip(NEXT) | instid1(VALU_DEP_1)
	v_pk_mul_f32 v[14:15], v[16:17], v[14:15]
	v_fma_f32 v5, 0x3f317218, v16, -v14
	v_mov_b32_e32 v20, v14
	s_delay_alu instid0(VALU_DEP_2) | instskip(SKIP_2) | instid1(VALU_DEP_2)
	v_fmamk_f32 v16, v16, 0xb102e308, v5
	v_ldexp_f32 v17, v7, 1
	v_sub_f32_e32 v5, v7, v9
	v_pk_add_f32 v[18:19], v[14:15], v[16:17]
	s_delay_alu instid0(VALU_DEP_2) | instskip(NEXT) | instid1(VALU_DEP_2)
	v_sub_f32_e32 v1, v1, v5
	v_dual_sub_f32 v5, v19, v17 :: v_dual_mov_b32 v17, v18
	s_delay_alu instid0(VALU_DEP_1) | instskip(NEXT) | instid1(VALU_DEP_3)
	v_sub_f32_e32 v5, v15, v5
	v_ldexp_f32 v1, v1, 1
	v_pk_add_f32 v[14:15], v[18:19], v[14:15] neg_lo:[0,1] neg_hi:[0,1]
	s_delay_alu instid0(VALU_DEP_2) | instskip(NEXT) | instid1(VALU_DEP_1)
	v_add_f32_e32 v21, v1, v5
	v_pk_add_f32 v[22:23], v[18:19], v[20:21]
	s_delay_alu instid0(VALU_DEP_1) | instskip(NEXT) | instid1(VALU_DEP_1)
	v_dual_mov_b32 v28, v19 :: v_dual_mov_b32 v15, v23
	v_pk_add_f32 v[24:25], v[16:17], v[14:15]
	v_mov_b32_e32 v24, v23
	v_pk_add_f32 v[14:15], v[16:17], v[14:15] neg_lo:[0,1] neg_hi:[0,1]
	s_delay_alu instid0(VALU_DEP_3) | instskip(NEXT) | instid1(VALU_DEP_1)
	v_dual_mov_b32 v20, v25 :: v_dual_mov_b32 v15, v25
	v_pk_add_f32 v[26:27], v[20:21], v[18:19] neg_lo:[0,1] neg_hi:[0,1]
	v_dual_mov_b32 v19, v18 :: v_dual_mov_b32 v18, v21
	s_delay_alu instid0(VALU_DEP_2) | instskip(NEXT) | instid1(VALU_DEP_1)
	v_dual_mov_b32 v1, v26 :: v_dual_mov_b32 v29, v26
	v_pk_add_f32 v[22:23], v[22:23], v[0:1] neg_lo:[0,1] neg_hi:[0,1]
	s_delay_alu instid0(VALU_DEP_2) | instskip(SKIP_1) | instid1(VALU_DEP_2)
	v_pk_add_f32 v[16:17], v[24:25], v[28:29] neg_lo:[0,1] neg_hi:[0,1]
	v_mov_b32_e32 v22, v14
	v_pk_add_f32 v[16:17], v[18:19], v[16:17] neg_lo:[0,1] neg_hi:[0,1]
	s_delay_alu instid0(VALU_DEP_1) | instskip(NEXT) | instid1(VALU_DEP_1)
	v_pk_add_f32 v[18:19], v[22:23], v[16:17]
	v_mov_b32_e32 v22, v19
	s_delay_alu instid0(VALU_DEP_1) | instskip(NEXT) | instid1(VALU_DEP_1)
	v_pk_add_f32 v[22:23], v[18:19], v[22:23]
	v_pk_add_f32 v[20:21], v[20:21], v[22:23]
	s_delay_alu instid0(VALU_DEP_1) | instskip(NEXT) | instid1(VALU_DEP_1)
	v_mov_b32_e32 v19, v20
	v_pk_add_f32 v[24:25], v[18:19], v[14:15] neg_lo:[0,1] neg_hi:[0,1]
	s_delay_alu instid0(VALU_DEP_1) | instskip(NEXT) | instid1(VALU_DEP_1)
	v_sub_f32_e32 v1, v18, v24
	v_sub_f32_e32 v1, v14, v1
	v_mov_b32_e32 v17, v22
	s_delay_alu instid0(VALU_DEP_1) | instskip(NEXT) | instid1(VALU_DEP_1)
	v_pk_add_f32 v[16:17], v[16:17], v[24:25] neg_lo:[0,1] neg_hi:[0,1]
	v_add_f32_e32 v1, v16, v1
	s_delay_alu instid0(VALU_DEP_1) | instskip(NEXT) | instid1(VALU_DEP_1)
	v_add_f32_e32 v1, v1, v17
	v_add_f32_e32 v1, v20, v1
	s_delay_alu instid0(VALU_DEP_1) | instskip(SKIP_1) | instid1(VALU_DEP_2)
	v_cndmask_b32_e32 v1, 0x7f800000, v1, vcc_lo
	v_cmp_gt_f32_e64 vcc_lo, 0x33800000, |v3|
	v_cndmask_b32_e32 v1, v1, v3, vcc_lo
	s_delay_alu instid0(VALU_DEP_1) | instskip(NEXT) | instid1(VALU_DEP_1)
	v_div_scale_f32 v3, null, s0, s0, v1
	v_rcp_f32_e32 v5, v3
	v_nop
	s_delay_alu instid0(TRANS32_DEP_1) | instskip(NEXT) | instid1(VALU_DEP_1)
	v_fma_f32 v7, -v3, v5, 1.0
	v_fmac_f32_e32 v5, v7, v5
	v_div_scale_f32 v7, vcc_lo, v1, s0, v1
	s_delay_alu instid0(VALU_DEP_1) | instskip(NEXT) | instid1(VALU_DEP_1)
	v_mul_f32_e32 v9, v7, v5
	v_fma_f32 v11, -v3, v9, v7
	s_delay_alu instid0(VALU_DEP_1) | instskip(NEXT) | instid1(VALU_DEP_1)
	v_fmac_f32_e32 v9, v11, v5
	v_fma_f32 v3, -v3, v9, v7
	s_delay_alu instid0(VALU_DEP_1) | instskip(NEXT) | instid1(VALU_DEP_1)
	v_div_fmas_f32 v3, v3, v5, v9
	v_div_fixup_f32 v1, v3, s0, v1
.LBB35_1292:
	s_or_b32 exec_lo, exec_lo, s12
	v_mov_b32_e32 v13, 0
	s_and_b32 s11, 0xffff, s11
	s_delay_alu instid0(SALU_CYCLE_1) | instskip(NEXT) | instid1(VALU_DEP_1)
	s_cmp_lt_i32 s11, 11
	v_add_nc_u64_e32 v[12:13], s[6:7], v[12:13]
	s_cbranch_scc1 .LBB35_1299
; %bb.1293:
	s_cmp_gt_i32 s11, 25
	s_mov_b32 s13, 0
	s_cbranch_scc0 .LBB35_1301
; %bb.1294:
	s_cmp_gt_i32 s11, 28
	s_cbranch_scc0 .LBB35_1302
; %bb.1295:
	s_cmp_gt_i32 s11, 43
	;; [unrolled: 3-line block ×3, first 2 shown]
	s_cbranch_scc0 .LBB35_1305
; %bb.1297:
	s_cmp_eq_u32 s11, 46
	s_mov_b32 s15, 0
	s_cbranch_scc0 .LBB35_1308
; %bb.1298:
	global_load_b32 v3, v[12:13], off
	s_mov_b32 s12, 0
	s_mov_b32 s14, -1
	s_branch .LBB35_1310
.LBB35_1299:
	s_mov_b32 s14, 0
                                        ; implicit-def: $vgpr3
	s_cbranch_execnz .LBB35_1375
.LBB35_1300:
	s_and_not1_b32 vcc_lo, exec_lo, s14
	s_cbranch_vccnz .LBB35_2122
	s_branch .LBB35_1422
.LBB35_1301:
	s_mov_b32 s14, 0
	s_mov_b32 s12, 0
                                        ; implicit-def: $vgpr3
	s_cbranch_execnz .LBB35_1339
	s_branch .LBB35_1371
.LBB35_1302:
	s_mov_b32 s15, -1
	s_mov_b32 s14, 0
	s_mov_b32 s12, 0
                                        ; implicit-def: $vgpr3
	s_branch .LBB35_1320
.LBB35_1303:
	s_mov_b32 s15, -1
	s_mov_b32 s14, 0
	s_mov_b32 s12, 0
                                        ; implicit-def: $vgpr3
	s_branch .LBB35_1315
.LBB35_1304:
	s_or_b32 s10, s8, exec_lo
	s_trap 2
	s_cbranch_execz .LBB35_1243
	s_branch .LBB35_1244
.LBB35_1305:
	s_mov_b32 s15, -1
	s_mov_b32 s14, 0
	s_mov_b32 s12, 0
	s_branch .LBB35_1309
.LBB35_1306:
	s_and_not1_saveexec_b32 s10, s10
	s_cbranch_execz .LBB35_1029
.LBB35_1307:
	v_add_f32_e64 v4, 0x42800000, |v5|
	s_and_not1_b32 s9, s9, exec_lo
	s_delay_alu instid0(VALU_DEP_1) | instskip(NEXT) | instid1(VALU_DEP_1)
	v_and_b32_e32 v4, 0xff, v4
	v_cmp_ne_u32_e32 vcc_lo, 0, v4
	s_and_b32 s11, vcc_lo, exec_lo
	s_delay_alu instid0(SALU_CYCLE_1)
	s_or_b32 s9, s9, s11
	s_or_b32 exec_lo, exec_lo, s10
	v_mov_b32_e32 v6, 0
	s_and_saveexec_b32 s10, s9
	s_cbranch_execnz .LBB35_1030
	s_branch .LBB35_1031
.LBB35_1308:
	s_mov_b32 s12, -1
	s_mov_b32 s14, 0
.LBB35_1309:
                                        ; implicit-def: $vgpr3
.LBB35_1310:
	s_and_b32 vcc_lo, exec_lo, s15
	s_cbranch_vccz .LBB35_1314
; %bb.1311:
	s_cmp_eq_u32 s11, 44
	s_cbranch_scc0 .LBB35_1313
; %bb.1312:
	s_wait_loadcnt 0x0
	global_load_u8 v3, v[12:13], off
	s_mov_b32 s12, 0
	s_mov_b32 s14, -1
	s_wait_loadcnt 0x0
	v_lshlrev_b32_e32 v5, 23, v3
	v_cmp_ne_u32_e32 vcc_lo, 0xff, v3
	s_delay_alu instid0(VALU_DEP_2) | instskip(SKIP_1) | instid1(VALU_DEP_2)
	v_cndmask_b32_e32 v5, 0x7f800001, v5, vcc_lo
	v_cmp_ne_u32_e32 vcc_lo, 0, v3
	v_cndmask_b32_e32 v3, 0x400000, v5, vcc_lo
	s_delay_alu instid0(VALU_DEP_1) | instskip(SKIP_1) | instid1(VALU_DEP_2)
	v_add_nc_u32_e32 v5, 0x7fff, v3
	v_cmp_o_f32_e32 vcc_lo, v3, v3
	v_lshrrev_b32_e32 v5, 16, v5
	s_delay_alu instid0(VALU_DEP_1)
	v_cndmask_b32_e32 v3, 0x7fc0, v5, vcc_lo
	s_branch .LBB35_1314
.LBB35_1313:
	s_mov_b32 s12, -1
                                        ; implicit-def: $vgpr3
.LBB35_1314:
	s_mov_b32 s15, 0
.LBB35_1315:
	s_delay_alu instid0(SALU_CYCLE_1)
	s_and_b32 vcc_lo, exec_lo, s15
	s_cbranch_vccz .LBB35_1319
; %bb.1316:
	s_cmp_eq_u32 s11, 29
	s_cbranch_scc0 .LBB35_1318
; %bb.1317:
	global_load_b64 v[14:15], v[12:13], off
	s_mov_b32 s12, 0
	s_mov_b32 s14, -1
	s_mov_b32 s15, 0
	s_wait_loadcnt 0x0
	v_clz_i32_u32_e32 v3, v15
	s_delay_alu instid0(VALU_DEP_1) | instskip(NEXT) | instid1(VALU_DEP_1)
	v_min_u32_e32 v3, 32, v3
	v_lshlrev_b64_e32 v[14:15], v3, v[14:15]
	v_sub_nc_u32_e32 v3, 32, v3
	s_delay_alu instid0(VALU_DEP_2) | instskip(NEXT) | instid1(VALU_DEP_1)
	v_min_u32_e32 v5, 1, v14
	v_or_b32_e32 v5, v15, v5
	s_delay_alu instid0(VALU_DEP_1) | instskip(NEXT) | instid1(VALU_DEP_1)
	v_cvt_f32_u32_e32 v5, v5
	v_ldexp_f32 v3, v5, v3
	s_delay_alu instid0(VALU_DEP_1) | instskip(NEXT) | instid1(VALU_DEP_1)
	v_bfe_u32 v5, v3, 16, 1
	v_add3_u32 v3, v3, v5, 0x7fff
	s_delay_alu instid0(VALU_DEP_1)
	v_lshrrev_b32_e32 v3, 16, v3
	s_branch .LBB35_1320
.LBB35_1318:
	s_mov_b32 s12, -1
                                        ; implicit-def: $vgpr3
.LBB35_1319:
	s_mov_b32 s15, 0
.LBB35_1320:
	s_delay_alu instid0(SALU_CYCLE_1)
	s_and_b32 vcc_lo, exec_lo, s15
	s_cbranch_vccz .LBB35_1338
; %bb.1321:
	s_cmp_lt_i32 s11, 27
	s_cbranch_scc1 .LBB35_1324
; %bb.1322:
	s_cmp_gt_i32 s11, 27
	s_cbranch_scc0 .LBB35_1325
; %bb.1323:
	s_wait_loadcnt 0x0
	global_load_b32 v3, v[12:13], off
	s_mov_b32 s14, 0
	s_wait_loadcnt 0x0
	v_cvt_f32_u32_e32 v3, v3
	s_delay_alu instid0(VALU_DEP_1) | instskip(NEXT) | instid1(VALU_DEP_1)
	v_bfe_u32 v5, v3, 16, 1
	v_add3_u32 v3, v3, v5, 0x7fff
	s_delay_alu instid0(VALU_DEP_1)
	v_lshrrev_b32_e32 v3, 16, v3
	s_branch .LBB35_1326
.LBB35_1324:
	s_mov_b32 s14, -1
                                        ; implicit-def: $vgpr3
	s_branch .LBB35_1329
.LBB35_1325:
	s_mov_b32 s14, -1
                                        ; implicit-def: $vgpr3
.LBB35_1326:
	s_delay_alu instid0(SALU_CYCLE_1)
	s_and_not1_b32 vcc_lo, exec_lo, s14
	s_cbranch_vccnz .LBB35_1328
; %bb.1327:
	s_wait_loadcnt 0x0
	global_load_u16 v3, v[12:13], off
	s_wait_loadcnt 0x0
	v_cvt_f32_u32_e32 v3, v3
	s_delay_alu instid0(VALU_DEP_1) | instskip(NEXT) | instid1(VALU_DEP_1)
	v_bfe_u32 v5, v3, 16, 1
	v_add3_u32 v3, v3, v5, 0x7fff
	s_delay_alu instid0(VALU_DEP_1)
	v_lshrrev_b32_e32 v3, 16, v3
.LBB35_1328:
	s_mov_b32 s14, 0
.LBB35_1329:
	s_delay_alu instid0(SALU_CYCLE_1)
	s_and_not1_b32 vcc_lo, exec_lo, s14
	s_cbranch_vccnz .LBB35_1337
; %bb.1330:
	s_wait_loadcnt 0x0
	global_load_u8 v3, v[12:13], off
	s_mov_b32 s14, 0
	s_mov_b32 s15, exec_lo
	s_wait_loadcnt 0x0
	v_cmpx_lt_i16_e32 0x7f, v3
	s_xor_b32 s15, exec_lo, s15
	s_cbranch_execz .LBB35_1350
; %bb.1331:
	s_mov_b32 s14, -1
	s_mov_b32 s16, exec_lo
	v_cmpx_eq_u16_e32 0x80, v3
; %bb.1332:
	s_xor_b32 s14, exec_lo, -1
; %bb.1333:
	s_or_b32 exec_lo, exec_lo, s16
	s_delay_alu instid0(SALU_CYCLE_1)
	s_and_b32 s14, s14, exec_lo
	s_or_saveexec_b32 s15, s15
	v_mov_b32_e32 v5, 0x7f800001
	s_xor_b32 exec_lo, exec_lo, s15
	s_cbranch_execnz .LBB35_1351
.LBB35_1334:
	s_or_b32 exec_lo, exec_lo, s15
	s_and_saveexec_b32 s15, s14
	s_cbranch_execz .LBB35_1336
.LBB35_1335:
	v_and_b32_e32 v5, 0xffff, v3
	s_delay_alu instid0(VALU_DEP_1) | instskip(SKIP_1) | instid1(VALU_DEP_2)
	v_dual_lshlrev_b32 v3, 24, v3 :: v_dual_bitop2_b32 v7, 7, v5 bitop3:0x40
	v_bfe_u32 v14, v5, 3, 4
	v_and_b32_e32 v3, 0x80000000, v3
	s_delay_alu instid0(VALU_DEP_3) | instskip(NEXT) | instid1(VALU_DEP_3)
	v_clz_i32_u32_e32 v9, v7
	v_cmp_eq_u32_e32 vcc_lo, 0, v14
	s_delay_alu instid0(VALU_DEP_2) | instskip(NEXT) | instid1(VALU_DEP_1)
	v_min_u32_e32 v9, 32, v9
	v_subrev_nc_u32_e32 v11, 28, v9
	v_sub_nc_u32_e32 v9, 29, v9
	s_delay_alu instid0(VALU_DEP_2) | instskip(NEXT) | instid1(VALU_DEP_2)
	v_lshlrev_b32_e32 v5, v11, v5
	v_cndmask_b32_e32 v9, v14, v9, vcc_lo
	s_delay_alu instid0(VALU_DEP_2) | instskip(NEXT) | instid1(VALU_DEP_1)
	v_and_b32_e32 v5, 7, v5
	v_cndmask_b32_e32 v5, v7, v5, vcc_lo
	s_delay_alu instid0(VALU_DEP_3) | instskip(NEXT) | instid1(VALU_DEP_2)
	v_lshl_add_u32 v7, v9, 23, 0x3b800000
	v_lshlrev_b32_e32 v5, 20, v5
	s_delay_alu instid0(VALU_DEP_1)
	v_or3_b32 v5, v3, v7, v5
.LBB35_1336:
	s_or_b32 exec_lo, exec_lo, s15
	s_delay_alu instid0(VALU_DEP_1) | instskip(SKIP_1) | instid1(VALU_DEP_2)
	v_bfe_u32 v3, v5, 16, 1
	v_cmp_o_f32_e32 vcc_lo, v5, v5
	v_add3_u32 v3, v5, v3, 0x7fff
	s_delay_alu instid0(VALU_DEP_1) | instskip(NEXT) | instid1(VALU_DEP_1)
	v_lshrrev_b32_e32 v3, 16, v3
	v_cndmask_b32_e32 v3, 0x7fc0, v3, vcc_lo
.LBB35_1337:
	s_mov_b32 s14, -1
.LBB35_1338:
	s_branch .LBB35_1371
.LBB35_1339:
	s_cmp_gt_i32 s11, 22
	s_cbranch_scc0 .LBB35_1349
; %bb.1340:
	s_cmp_lt_i32 s11, 24
	s_cbranch_scc1 .LBB35_1352
; %bb.1341:
	s_cmp_gt_i32 s11, 24
	s_cbranch_scc0 .LBB35_1353
; %bb.1342:
	s_wait_loadcnt 0x0
	global_load_u8 v3, v[12:13], off
	s_mov_b32 s14, exec_lo
	s_wait_loadcnt 0x0
	v_cmpx_lt_i16_e32 0x7f, v3
	s_xor_b32 s14, exec_lo, s14
	s_cbranch_execz .LBB35_1365
; %bb.1343:
	s_mov_b32 s13, -1
	s_mov_b32 s15, exec_lo
	v_cmpx_eq_u16_e32 0x80, v3
; %bb.1344:
	s_xor_b32 s13, exec_lo, -1
; %bb.1345:
	s_or_b32 exec_lo, exec_lo, s15
	s_delay_alu instid0(SALU_CYCLE_1)
	s_and_b32 s13, s13, exec_lo
	s_or_saveexec_b32 s14, s14
	v_mov_b32_e32 v5, 0x7f800001
	s_xor_b32 exec_lo, exec_lo, s14
	s_cbranch_execnz .LBB35_1366
.LBB35_1346:
	s_or_b32 exec_lo, exec_lo, s14
	s_and_saveexec_b32 s14, s13
	s_cbranch_execz .LBB35_1348
.LBB35_1347:
	v_and_b32_e32 v5, 0xffff, v3
	s_delay_alu instid0(VALU_DEP_1) | instskip(SKIP_1) | instid1(VALU_DEP_2)
	v_dual_lshlrev_b32 v3, 24, v3 :: v_dual_bitop2_b32 v7, 3, v5 bitop3:0x40
	v_bfe_u32 v14, v5, 2, 5
	v_and_b32_e32 v3, 0x80000000, v3
	s_delay_alu instid0(VALU_DEP_3) | instskip(NEXT) | instid1(VALU_DEP_3)
	v_clz_i32_u32_e32 v9, v7
	v_cmp_eq_u32_e32 vcc_lo, 0, v14
	s_delay_alu instid0(VALU_DEP_2) | instskip(NEXT) | instid1(VALU_DEP_1)
	v_min_u32_e32 v9, 32, v9
	v_subrev_nc_u32_e32 v11, 29, v9
	v_sub_nc_u32_e32 v9, 30, v9
	s_delay_alu instid0(VALU_DEP_2) | instskip(NEXT) | instid1(VALU_DEP_2)
	v_lshlrev_b32_e32 v5, v11, v5
	v_cndmask_b32_e32 v9, v14, v9, vcc_lo
	s_delay_alu instid0(VALU_DEP_2) | instskip(NEXT) | instid1(VALU_DEP_1)
	v_and_b32_e32 v5, 3, v5
	v_cndmask_b32_e32 v5, v7, v5, vcc_lo
	s_delay_alu instid0(VALU_DEP_3) | instskip(NEXT) | instid1(VALU_DEP_2)
	v_lshl_add_u32 v7, v9, 23, 0x37800000
	v_lshlrev_b32_e32 v5, 21, v5
	s_delay_alu instid0(VALU_DEP_1)
	v_or3_b32 v5, v3, v7, v5
.LBB35_1348:
	s_or_b32 exec_lo, exec_lo, s14
	s_delay_alu instid0(VALU_DEP_1) | instskip(SKIP_2) | instid1(VALU_DEP_2)
	v_bfe_u32 v3, v5, 16, 1
	v_cmp_o_f32_e32 vcc_lo, v5, v5
	s_mov_b32 s13, 0
	v_add3_u32 v3, v5, v3, 0x7fff
	s_delay_alu instid0(VALU_DEP_1) | instskip(NEXT) | instid1(VALU_DEP_1)
	v_lshrrev_b32_e32 v3, 16, v3
	v_cndmask_b32_e32 v3, 0x7fc0, v3, vcc_lo
	s_branch .LBB35_1354
.LBB35_1349:
	s_mov_b32 s13, -1
                                        ; implicit-def: $vgpr3
	s_branch .LBB35_1360
.LBB35_1350:
	s_or_saveexec_b32 s15, s15
	v_mov_b32_e32 v5, 0x7f800001
	s_xor_b32 exec_lo, exec_lo, s15
	s_cbranch_execz .LBB35_1334
.LBB35_1351:
	v_cmp_ne_u16_e32 vcc_lo, 0, v3
	v_mov_b32_e32 v5, 0
	s_and_not1_b32 s14, s14, exec_lo
	s_and_b32 s16, vcc_lo, exec_lo
	s_delay_alu instid0(SALU_CYCLE_1)
	s_or_b32 s14, s14, s16
	s_or_b32 exec_lo, exec_lo, s15
	s_and_saveexec_b32 s15, s14
	s_cbranch_execnz .LBB35_1335
	s_branch .LBB35_1336
.LBB35_1352:
	s_mov_b32 s13, -1
                                        ; implicit-def: $vgpr3
	s_branch .LBB35_1357
.LBB35_1353:
	s_mov_b32 s13, -1
                                        ; implicit-def: $vgpr3
.LBB35_1354:
	s_delay_alu instid0(SALU_CYCLE_1)
	s_and_b32 vcc_lo, exec_lo, s13
	s_cbranch_vccz .LBB35_1356
; %bb.1355:
	s_wait_loadcnt 0x0
	global_load_u8 v3, v[12:13], off
	s_wait_loadcnt 0x0
	v_lshlrev_b32_e32 v3, 24, v3
	s_delay_alu instid0(VALU_DEP_1) | instskip(NEXT) | instid1(VALU_DEP_1)
	v_and_b32_e32 v5, 0x7f000000, v3
	v_clz_i32_u32_e32 v7, v5
	v_add_nc_u32_e32 v11, 0x1000000, v5
	v_cmp_ne_u32_e32 vcc_lo, 0, v5
	s_delay_alu instid0(VALU_DEP_3) | instskip(NEXT) | instid1(VALU_DEP_1)
	v_min_u32_e32 v7, 32, v7
	v_sub_nc_u32_e64 v7, v7, 4 clamp
	s_delay_alu instid0(VALU_DEP_1) | instskip(NEXT) | instid1(VALU_DEP_1)
	v_dual_lshlrev_b32 v9, v7, v5 :: v_dual_lshlrev_b32 v7, 23, v7
	v_lshrrev_b32_e32 v9, 4, v9
	s_delay_alu instid0(VALU_DEP_1) | instskip(SKIP_1) | instid1(VALU_DEP_2)
	v_sub_nc_u32_e32 v7, v9, v7
	v_ashrrev_i32_e32 v9, 8, v11
	v_add_nc_u32_e32 v7, 0x3c000000, v7
	s_delay_alu instid0(VALU_DEP_1) | instskip(NEXT) | instid1(VALU_DEP_1)
	v_and_or_b32 v7, 0x7f800000, v9, v7
	v_cndmask_b32_e32 v5, 0, v7, vcc_lo
	s_delay_alu instid0(VALU_DEP_1) | instskip(SKIP_1) | instid1(VALU_DEP_2)
	v_and_or_b32 v3, 0x80000000, v3, v5
	v_bfe_u32 v5, v5, 16, 1
	v_cmp_o_f32_e32 vcc_lo, v3, v3
	s_delay_alu instid0(VALU_DEP_2) | instskip(NEXT) | instid1(VALU_DEP_1)
	v_add3_u32 v5, v3, v5, 0x7fff
	v_lshrrev_b32_e32 v5, 16, v5
	s_delay_alu instid0(VALU_DEP_1)
	v_cndmask_b32_e32 v3, 0x7fc0, v5, vcc_lo
.LBB35_1356:
	s_mov_b32 s13, 0
.LBB35_1357:
	s_delay_alu instid0(SALU_CYCLE_1)
	s_and_not1_b32 vcc_lo, exec_lo, s13
	s_cbranch_vccnz .LBB35_1359
; %bb.1358:
	s_wait_loadcnt 0x0
	global_load_u8 v3, v[12:13], off
	s_wait_loadcnt 0x0
	v_lshlrev_b32_e32 v5, 25, v3
	v_lshlrev_b16 v3, 8, v3
	s_delay_alu instid0(VALU_DEP_1) | instskip(SKIP_1) | instid1(VALU_DEP_2)
	v_and_or_b32 v9, 0x7f00, v3, 0.5
	v_bfe_i32 v3, v3, 0, 16
	v_add_f32_e32 v9, -0.5, v9
	v_lshrrev_b32_e32 v7, 4, v5
	v_cmp_gt_u32_e32 vcc_lo, 0x8000000, v5
	s_delay_alu instid0(VALU_DEP_2) | instskip(NEXT) | instid1(VALU_DEP_1)
	v_or_b32_e32 v7, 0x70000000, v7
	v_mul_f32_e32 v7, 0x7800000, v7
	s_delay_alu instid0(VALU_DEP_1) | instskip(NEXT) | instid1(VALU_DEP_1)
	v_cndmask_b32_e32 v5, v7, v9, vcc_lo
	v_and_or_b32 v3, 0x80000000, v3, v5
	v_bfe_u32 v5, v5, 16, 1
	s_delay_alu instid0(VALU_DEP_2) | instskip(NEXT) | instid1(VALU_DEP_2)
	v_cmp_o_f32_e32 vcc_lo, v3, v3
	v_add3_u32 v5, v3, v5, 0x7fff
	s_delay_alu instid0(VALU_DEP_1) | instskip(NEXT) | instid1(VALU_DEP_1)
	v_lshrrev_b32_e32 v5, 16, v5
	v_cndmask_b32_e32 v3, 0x7fc0, v5, vcc_lo
.LBB35_1359:
	s_mov_b32 s13, 0
	s_mov_b32 s14, -1
.LBB35_1360:
	s_and_not1_b32 vcc_lo, exec_lo, s13
	s_mov_b32 s13, 0
	s_cbranch_vccnz .LBB35_1371
; %bb.1361:
	s_cmp_gt_i32 s11, 14
	s_cbranch_scc0 .LBB35_1364
; %bb.1362:
	s_cmp_eq_u32 s11, 15
	s_cbranch_scc0 .LBB35_1367
; %bb.1363:
	s_wait_loadcnt 0x0
	global_load_u16 v3, v[12:13], off
	s_mov_b32 s12, 0
	s_mov_b32 s14, -1
	s_branch .LBB35_1369
.LBB35_1364:
	s_mov_b32 s13, -1
	s_branch .LBB35_1368
.LBB35_1365:
	s_or_saveexec_b32 s14, s14
	v_mov_b32_e32 v5, 0x7f800001
	s_xor_b32 exec_lo, exec_lo, s14
	s_cbranch_execz .LBB35_1346
.LBB35_1366:
	v_cmp_ne_u16_e32 vcc_lo, 0, v3
	v_mov_b32_e32 v5, 0
	s_and_not1_b32 s13, s13, exec_lo
	s_and_b32 s15, vcc_lo, exec_lo
	s_delay_alu instid0(SALU_CYCLE_1)
	s_or_b32 s13, s13, s15
	s_or_b32 exec_lo, exec_lo, s14
	s_and_saveexec_b32 s14, s13
	s_cbranch_execnz .LBB35_1347
	s_branch .LBB35_1348
.LBB35_1367:
	s_mov_b32 s12, -1
.LBB35_1368:
                                        ; implicit-def: $vgpr3
.LBB35_1369:
	s_and_b32 vcc_lo, exec_lo, s13
	s_mov_b32 s13, 0
	s_cbranch_vccz .LBB35_1371
; %bb.1370:
	s_cmp_lg_u32 s11, 11
	s_mov_b32 s13, -1
	s_cselect_b32 s12, -1, 0
.LBB35_1371:
	s_delay_alu instid0(SALU_CYCLE_1)
	s_and_b32 vcc_lo, exec_lo, s12
	s_cbranch_vccnz .LBB35_1436
; %bb.1372:
	s_and_not1_b32 vcc_lo, exec_lo, s13
	s_cbranch_vccnz .LBB35_1374
.LBB35_1373:
	s_wait_loadcnt 0x0
	global_load_u8 v3, v[12:13], off
	s_mov_b32 s14, -1
	s_wait_loadcnt 0x0
	v_cmp_ne_u16_e32 vcc_lo, 0, v3
	v_cndmask_b32_e64 v3, 0, 1.0, vcc_lo
	s_delay_alu instid0(VALU_DEP_1)
	v_lshrrev_b32_e32 v3, 16, v3
.LBB35_1374:
	s_branch .LBB35_1300
.LBB35_1375:
	s_cmp_lt_i32 s11, 5
	s_cbranch_scc1 .LBB35_1380
; %bb.1376:
	s_cmp_lt_i32 s11, 8
	s_cbranch_scc1 .LBB35_1381
; %bb.1377:
	;; [unrolled: 3-line block ×3, first 2 shown]
	s_cmp_gt_i32 s11, 9
	s_cbranch_scc0 .LBB35_1383
; %bb.1379:
	global_load_b64 v[14:15], v[12:13], off
	s_mov_b32 s12, 0
	s_wait_loadcnt 0x0
	v_cvt_f32_f64_e32 v3, v[14:15]
	s_delay_alu instid0(VALU_DEP_1) | instskip(SKIP_1) | instid1(VALU_DEP_2)
	v_bfe_u32 v5, v3, 16, 1
	v_cmp_o_f32_e32 vcc_lo, v3, v3
	v_add3_u32 v5, v3, v5, 0x7fff
	s_delay_alu instid0(VALU_DEP_1) | instskip(NEXT) | instid1(VALU_DEP_1)
	v_lshrrev_b32_e32 v5, 16, v5
	v_cndmask_b32_e32 v3, 0x7fc0, v5, vcc_lo
	s_branch .LBB35_1384
.LBB35_1380:
                                        ; implicit-def: $vgpr3
	s_branch .LBB35_1402
.LBB35_1381:
	s_mov_b32 s12, -1
                                        ; implicit-def: $vgpr3
	s_branch .LBB35_1390
.LBB35_1382:
	s_mov_b32 s12, -1
                                        ; implicit-def: $vgpr3
	s_branch .LBB35_1387
.LBB35_1383:
	s_mov_b32 s12, -1
                                        ; implicit-def: $vgpr3
.LBB35_1384:
	s_delay_alu instid0(SALU_CYCLE_1)
	s_and_not1_b32 vcc_lo, exec_lo, s12
	s_cbranch_vccnz .LBB35_1386
; %bb.1385:
	s_wait_loadcnt 0x0
	global_load_b32 v3, v[12:13], off
	s_wait_loadcnt 0x0
	v_bfe_u32 v5, v3, 16, 1
	v_cmp_o_f32_e32 vcc_lo, v3, v3
	s_delay_alu instid0(VALU_DEP_2) | instskip(NEXT) | instid1(VALU_DEP_1)
	v_add3_u32 v5, v3, v5, 0x7fff
	v_lshrrev_b32_e32 v5, 16, v5
	s_delay_alu instid0(VALU_DEP_1)
	v_cndmask_b32_e32 v3, 0x7fc0, v5, vcc_lo
.LBB35_1386:
	s_mov_b32 s12, 0
.LBB35_1387:
	s_delay_alu instid0(SALU_CYCLE_1)
	s_and_not1_b32 vcc_lo, exec_lo, s12
	s_cbranch_vccnz .LBB35_1389
; %bb.1388:
	s_wait_loadcnt 0x0
	global_load_b32 v3, v[12:13], off
	s_wait_loadcnt 0x0
	v_cvt_f32_f16_e32 v5, v3
	v_cmp_o_f16_e32 vcc_lo, v3, v3
	s_delay_alu instid0(VALU_DEP_2) | instskip(NEXT) | instid1(VALU_DEP_1)
	v_bfe_u32 v7, v5, 16, 1
	v_add3_u32 v5, v5, v7, 0x7fff
	s_delay_alu instid0(VALU_DEP_1) | instskip(NEXT) | instid1(VALU_DEP_1)
	v_lshrrev_b32_e32 v5, 16, v5
	v_cndmask_b32_e32 v3, 0x7fc0, v5, vcc_lo
.LBB35_1389:
	s_mov_b32 s12, 0
.LBB35_1390:
	s_delay_alu instid0(SALU_CYCLE_1)
	s_and_not1_b32 vcc_lo, exec_lo, s12
	s_cbranch_vccnz .LBB35_1401
; %bb.1391:
	s_cmp_lt_i32 s11, 6
	s_cbranch_scc1 .LBB35_1394
; %bb.1392:
	s_cmp_gt_i32 s11, 6
	s_cbranch_scc0 .LBB35_1395
; %bb.1393:
	global_load_b64 v[14:15], v[12:13], off
	s_mov_b32 s12, 0
	s_wait_loadcnt 0x0
	v_cvt_f32_f64_e32 v3, v[14:15]
	s_delay_alu instid0(VALU_DEP_1) | instskip(SKIP_1) | instid1(VALU_DEP_2)
	v_bfe_u32 v5, v3, 16, 1
	v_cmp_o_f32_e32 vcc_lo, v3, v3
	v_add3_u32 v5, v3, v5, 0x7fff
	s_delay_alu instid0(VALU_DEP_1) | instskip(NEXT) | instid1(VALU_DEP_1)
	v_lshrrev_b32_e32 v5, 16, v5
	v_cndmask_b32_e32 v3, 0x7fc0, v5, vcc_lo
	s_branch .LBB35_1396
.LBB35_1394:
	s_mov_b32 s12, -1
                                        ; implicit-def: $vgpr3
	s_branch .LBB35_1399
.LBB35_1395:
	s_mov_b32 s12, -1
                                        ; implicit-def: $vgpr3
.LBB35_1396:
	s_delay_alu instid0(SALU_CYCLE_1)
	s_and_not1_b32 vcc_lo, exec_lo, s12
	s_cbranch_vccnz .LBB35_1398
; %bb.1397:
	s_wait_loadcnt 0x0
	global_load_b32 v3, v[12:13], off
	s_wait_loadcnt 0x0
	v_bfe_u32 v5, v3, 16, 1
	v_cmp_o_f32_e32 vcc_lo, v3, v3
	s_delay_alu instid0(VALU_DEP_2) | instskip(NEXT) | instid1(VALU_DEP_1)
	v_add3_u32 v5, v3, v5, 0x7fff
	v_lshrrev_b32_e32 v5, 16, v5
	s_delay_alu instid0(VALU_DEP_1)
	v_cndmask_b32_e32 v3, 0x7fc0, v5, vcc_lo
.LBB35_1398:
	s_mov_b32 s12, 0
.LBB35_1399:
	s_delay_alu instid0(SALU_CYCLE_1)
	s_and_not1_b32 vcc_lo, exec_lo, s12
	s_cbranch_vccnz .LBB35_1401
; %bb.1400:
	s_wait_loadcnt 0x0
	global_load_u16 v3, v[12:13], off
	s_wait_loadcnt 0x0
	v_cvt_f32_f16_e32 v5, v3
	v_cmp_o_f16_e32 vcc_lo, v3, v3
	s_delay_alu instid0(VALU_DEP_2) | instskip(NEXT) | instid1(VALU_DEP_1)
	v_bfe_u32 v7, v5, 16, 1
	v_add3_u32 v5, v5, v7, 0x7fff
	s_delay_alu instid0(VALU_DEP_1) | instskip(NEXT) | instid1(VALU_DEP_1)
	v_lshrrev_b32_e32 v5, 16, v5
	v_cndmask_b32_e32 v3, 0x7fc0, v5, vcc_lo
.LBB35_1401:
	s_cbranch_execnz .LBB35_1421
.LBB35_1402:
	s_cmp_lt_i32 s11, 2
	s_cbranch_scc1 .LBB35_1406
; %bb.1403:
	s_cmp_lt_i32 s11, 3
	s_cbranch_scc1 .LBB35_1407
; %bb.1404:
	s_cmp_gt_i32 s11, 3
	s_cbranch_scc0 .LBB35_1408
; %bb.1405:
	global_load_b64 v[14:15], v[12:13], off
	s_mov_b32 s12, 0
	s_wait_loadcnt 0x0
	v_xor_b32_e32 v3, v14, v15
	v_cls_i32_e32 v5, v15
	s_delay_alu instid0(VALU_DEP_2) | instskip(NEXT) | instid1(VALU_DEP_1)
	v_ashrrev_i32_e32 v3, 31, v3
	v_add_nc_u32_e32 v3, 32, v3
	s_delay_alu instid0(VALU_DEP_1) | instskip(NEXT) | instid1(VALU_DEP_1)
	v_add_min_u32_e64 v3, v5, -1, v3
	v_lshlrev_b64_e32 v[14:15], v3, v[14:15]
	v_sub_nc_u32_e32 v3, 32, v3
	s_delay_alu instid0(VALU_DEP_2) | instskip(NEXT) | instid1(VALU_DEP_1)
	v_min_u32_e32 v5, 1, v14
	v_or_b32_e32 v5, v15, v5
	s_delay_alu instid0(VALU_DEP_1) | instskip(NEXT) | instid1(VALU_DEP_1)
	v_cvt_f32_i32_e32 v5, v5
	v_ldexp_f32 v3, v5, v3
	s_delay_alu instid0(VALU_DEP_1) | instskip(NEXT) | instid1(VALU_DEP_1)
	v_bfe_u32 v5, v3, 16, 1
	v_add3_u32 v3, v3, v5, 0x7fff
	s_delay_alu instid0(VALU_DEP_1)
	v_lshrrev_b32_e32 v3, 16, v3
	s_branch .LBB35_1409
.LBB35_1406:
	s_mov_b32 s12, -1
                                        ; implicit-def: $vgpr3
	s_branch .LBB35_1415
.LBB35_1407:
	s_mov_b32 s12, -1
                                        ; implicit-def: $vgpr3
	s_branch .LBB35_1412
.LBB35_1408:
	s_mov_b32 s12, -1
                                        ; implicit-def: $vgpr3
.LBB35_1409:
	s_delay_alu instid0(SALU_CYCLE_1)
	s_and_not1_b32 vcc_lo, exec_lo, s12
	s_cbranch_vccnz .LBB35_1411
; %bb.1410:
	s_wait_loadcnt 0x0
	global_load_b32 v3, v[12:13], off
	s_wait_loadcnt 0x0
	v_cvt_f32_i32_e32 v3, v3
	s_delay_alu instid0(VALU_DEP_1) | instskip(NEXT) | instid1(VALU_DEP_1)
	v_bfe_u32 v5, v3, 16, 1
	v_add3_u32 v3, v3, v5, 0x7fff
	s_delay_alu instid0(VALU_DEP_1)
	v_lshrrev_b32_e32 v3, 16, v3
.LBB35_1411:
	s_mov_b32 s12, 0
.LBB35_1412:
	s_delay_alu instid0(SALU_CYCLE_1)
	s_and_not1_b32 vcc_lo, exec_lo, s12
	s_cbranch_vccnz .LBB35_1414
; %bb.1413:
	s_wait_loadcnt 0x0
	global_load_i16 v3, v[12:13], off
	s_wait_loadcnt 0x0
	v_cvt_f32_i32_e32 v3, v3
	s_delay_alu instid0(VALU_DEP_1) | instskip(NEXT) | instid1(VALU_DEP_1)
	v_bfe_u32 v5, v3, 16, 1
	v_add3_u32 v3, v3, v5, 0x7fff
	s_delay_alu instid0(VALU_DEP_1)
	v_lshrrev_b32_e32 v3, 16, v3
.LBB35_1414:
	s_mov_b32 s12, 0
.LBB35_1415:
	s_delay_alu instid0(SALU_CYCLE_1)
	s_and_not1_b32 vcc_lo, exec_lo, s12
	s_cbranch_vccnz .LBB35_1421
; %bb.1416:
	s_cmp_gt_i32 s11, 0
	s_mov_b32 s12, 0
	s_cbranch_scc0 .LBB35_1418
; %bb.1417:
	s_wait_loadcnt 0x0
	global_load_i8 v3, v[12:13], off
	s_wait_loadcnt 0x0
	v_cvt_f32_i32_e32 v3, v3
	s_delay_alu instid0(VALU_DEP_1) | instskip(NEXT) | instid1(VALU_DEP_1)
	v_bfe_u32 v5, v3, 16, 1
	v_add3_u32 v3, v3, v5, 0x7fff
	s_delay_alu instid0(VALU_DEP_1)
	v_lshrrev_b32_e32 v3, 16, v3
	s_branch .LBB35_1419
.LBB35_1418:
	s_mov_b32 s12, -1
                                        ; implicit-def: $vgpr3
.LBB35_1419:
	s_delay_alu instid0(SALU_CYCLE_1)
	s_and_not1_b32 vcc_lo, exec_lo, s12
	s_cbranch_vccnz .LBB35_1421
; %bb.1420:
	s_wait_loadcnt 0x0
	global_load_u8 v3, v[12:13], off
	s_wait_loadcnt 0x0
	v_cvt_f32_ubyte0_e32 v3, v3
	s_delay_alu instid0(VALU_DEP_1) | instskip(NEXT) | instid1(VALU_DEP_1)
	v_bfe_u32 v5, v3, 16, 1
	v_add3_u32 v3, v3, v5, 0x7fff
	s_delay_alu instid0(VALU_DEP_1)
	v_lshrrev_b32_e32 v3, 16, v3
.LBB35_1421:
.LBB35_1422:
	s_wait_loadcnt 0x0
	s_delay_alu instid0(VALU_DEP_1) | instskip(SKIP_1) | instid1(VALU_DEP_1)
	v_lshlrev_b32_e32 v3, 16, v3
	s_mov_b32 s12, exec_lo
	v_mul_f32_e32 v5, s0, v3
	s_wait_xcnt 0x0
	s_delay_alu instid0(VALU_DEP_1)
	v_cmpx_nlt_f32_e32 s1, v5
	s_cbranch_execz .LBB35_1424
; %bb.1423:
	v_mul_f32_e32 v3, 0x3fb8aa3b, v5
	v_cmp_ngt_f32_e32 vcc_lo, 0xc2ce8ed0, v5
	s_mov_b32 s13, 0x3e9b6dac
	s_delay_alu instid0(VALU_DEP_2) | instskip(SKIP_1) | instid1(VALU_DEP_2)
	v_rndne_f32_e32 v7, v3
	v_fma_f32 v9, 0x3fb8aa3b, v5, -v3
	v_sub_f32_e32 v3, v3, v7
	s_delay_alu instid0(VALU_DEP_2) | instskip(SKIP_1) | instid1(VALU_DEP_2)
	v_fmamk_f32 v9, v5, 0x32a5705f, v9
	v_cvt_i32_f32_e32 v7, v7
	v_add_f32_e32 v3, v3, v9
	s_delay_alu instid0(VALU_DEP_1) | instskip(SKIP_1) | instid1(TRANS32_DEP_1)
	v_exp_f32_e32 v3, v3
	v_nop
	v_ldexp_f32 v3, v3, v7
	s_delay_alu instid0(VALU_DEP_1) | instskip(SKIP_1) | instid1(VALU_DEP_2)
	v_cndmask_b32_e32 v3, 0, v3, vcc_lo
	v_cmp_nlt_f32_e32 vcc_lo, 0x42b17218, v5
	v_cndmask_b32_e32 v5, 0x7f800000, v3, vcc_lo
	s_delay_alu instid0(VALU_DEP_1) | instskip(NEXT) | instid1(VALU_DEP_1)
	v_add_f32_e32 v3, 1.0, v5
	v_cvt_f64_f32_e32 v[12:13], v3
	v_frexp_mant_f32_e32 v9, v3
	s_delay_alu instid0(VALU_DEP_1) | instskip(SKIP_1) | instid1(VALU_DEP_4)
	v_cmp_gt_f32_e32 vcc_lo, 0x3f2aaaab, v9
	v_add_f32_e32 v9, -1.0, v3
	v_frexp_exp_i32_f64_e32 v7, v[12:13]
	s_delay_alu instid0(VALU_DEP_2) | instskip(NEXT) | instid1(VALU_DEP_1)
	v_sub_f32_e32 v12, v9, v3
	v_add_f32_e32 v12, 1.0, v12
	s_delay_alu instid0(VALU_DEP_3) | instskip(SKIP_1) | instid1(VALU_DEP_2)
	v_subrev_co_ci_u32_e64 v7, null, 0, v7, vcc_lo
	v_cmp_neq_f32_e32 vcc_lo, 0x7f800000, v5
	v_sub_nc_u32_e32 v11, 0, v7
	s_delay_alu instid0(VALU_DEP_1) | instskip(NEXT) | instid1(VALU_DEP_1)
	v_ldexp_f32 v3, v3, v11
	v_dual_add_f32 v14, 1.0, v3 :: v_dual_add_f32 v17, -1.0, v3
	v_sub_f32_e32 v9, v5, v9
	s_delay_alu instid0(VALU_DEP_1) | instskip(NEXT) | instid1(VALU_DEP_1)
	v_dual_add_f32 v9, v9, v12 :: v_dual_add_f32 v12, -1.0, v14
	v_ldexp_f32 v9, v9, v11
	s_delay_alu instid0(VALU_DEP_2) | instskip(NEXT) | instid1(VALU_DEP_1)
	v_dual_sub_f32 v11, v3, v12 :: v_dual_add_f32 v12, 1.0, v17
	v_dual_add_f32 v11, v9, v11 :: v_dual_sub_f32 v3, v3, v12
	s_delay_alu instid0(VALU_DEP_1) | instskip(NEXT) | instid1(VALU_DEP_1)
	v_add_f32_e32 v3, v9, v3
	v_add_f32_e32 v13, v17, v3
	s_delay_alu instid0(VALU_DEP_3) | instskip(NEXT) | instid1(VALU_DEP_1)
	v_add_f32_e32 v18, v14, v11
	v_rcp_f32_e32 v9, v18
	v_nop
	s_delay_alu instid0(TRANS32_DEP_1) | instskip(NEXT) | instid1(VALU_DEP_1)
	v_dual_mul_f32 v19, v13, v9 :: v_dual_sub_f32 v12, v14, v18
	v_dual_add_f32 v11, v11, v12 :: v_dual_mul_f32 v14, v18, v19
	s_delay_alu instid0(VALU_DEP_1) | instskip(NEXT) | instid1(VALU_DEP_1)
	v_dual_sub_f32 v20, v17, v13 :: v_dual_fma_f32 v16, v19, v18, -v14
	v_add_f32_e32 v3, v3, v20
	s_delay_alu instid0(VALU_DEP_2) | instskip(NEXT) | instid1(VALU_DEP_1)
	v_fmac_f32_e32 v16, v19, v11
	v_add_f32_e32 v12, v14, v16
	s_delay_alu instid0(VALU_DEP_1) | instskip(NEXT) | instid1(VALU_DEP_1)
	v_dual_sub_f32 v15, v13, v12 :: v_dual_mov_b32 v17, v12
	v_pk_add_f32 v[12:13], v[12:13], v[14:15] neg_lo:[0,1] neg_hi:[0,1]
	s_delay_alu instid0(VALU_DEP_1) | instskip(NEXT) | instid1(VALU_DEP_1)
	v_pk_add_f32 v[12:13], v[12:13], v[16:17] neg_lo:[0,1] neg_hi:[0,1]
	v_add_f32_e32 v3, v3, v13
	s_delay_alu instid0(VALU_DEP_1) | instskip(NEXT) | instid1(VALU_DEP_1)
	v_add_f32_e32 v3, v12, v3
	v_add_f32_e32 v13, v15, v3
	s_delay_alu instid0(VALU_DEP_1) | instskip(NEXT) | instid1(VALU_DEP_1)
	v_mul_f32_e32 v20, v9, v13
	v_mul_f32_e32 v16, v18, v20
	s_delay_alu instid0(VALU_DEP_1) | instskip(NEXT) | instid1(VALU_DEP_1)
	v_fma_f32 v14, v20, v18, -v16
	v_dual_fmac_f32 v14, v20, v11 :: v_dual_sub_f32 v11, v15, v13
	s_delay_alu instid0(VALU_DEP_1) | instskip(NEXT) | instid1(VALU_DEP_1)
	v_dual_add_f32 v12, v16, v14 :: v_dual_add_f32 v3, v3, v11
	v_dual_mov_b32 v15, v12 :: v_dual_sub_f32 v17, v13, v12
	s_delay_alu instid0(VALU_DEP_1) | instskip(NEXT) | instid1(VALU_DEP_1)
	v_pk_add_f32 v[12:13], v[12:13], v[16:17] neg_lo:[0,1] neg_hi:[0,1]
	v_pk_add_f32 v[12:13], v[12:13], v[14:15] neg_lo:[0,1] neg_hi:[0,1]
	v_cvt_f32_i32_e32 v14, v7
	s_delay_alu instid0(VALU_DEP_2) | instskip(NEXT) | instid1(VALU_DEP_1)
	v_add_f32_e32 v3, v3, v13
	v_dual_add_f32 v11, v19, v20 :: v_dual_add_f32 v3, v12, v3
	s_delay_alu instid0(VALU_DEP_1) | instskip(NEXT) | instid1(VALU_DEP_1)
	v_sub_f32_e32 v12, v11, v19
	v_dual_add_f32 v3, v17, v3 :: v_dual_sub_f32 v12, v20, v12
	s_delay_alu instid0(VALU_DEP_1) | instskip(NEXT) | instid1(VALU_DEP_1)
	v_mul_f32_e32 v3, v9, v3
	v_dual_add_f32 v3, v12, v3 :: v_dual_mov_b32 v12, 0x3f317218
	s_delay_alu instid0(VALU_DEP_1) | instskip(NEXT) | instid1(VALU_DEP_1)
	v_add_f32_e32 v9, v11, v3
	v_mul_f32_e32 v13, v9, v9
	s_delay_alu instid0(VALU_DEP_1) | instskip(NEXT) | instid1(VALU_DEP_1)
	v_dual_fmaak_f32 v16, s13, v13, 0x3ecc95a3 :: v_dual_mul_f32 v15, v9, v13
	v_fmaak_f32 v13, v13, v16, 0x3f2aaada
	s_delay_alu instid0(VALU_DEP_1) | instskip(NEXT) | instid1(VALU_DEP_1)
	v_pk_mul_f32 v[12:13], v[14:15], v[12:13]
	v_fma_f32 v7, 0x3f317218, v14, -v12
	v_mov_b32_e32 v18, v12
	s_delay_alu instid0(VALU_DEP_2) | instskip(SKIP_1) | instid1(VALU_DEP_1)
	v_fmamk_f32 v14, v14, 0xb102e308, v7
	v_ldexp_f32 v15, v9, 1
	v_pk_add_f32 v[16:17], v[12:13], v[14:15]
	v_sub_f32_e32 v7, v9, v11
	s_delay_alu instid0(VALU_DEP_1) | instskip(NEXT) | instid1(VALU_DEP_3)
	v_sub_f32_e32 v3, v3, v7
	v_dual_sub_f32 v7, v17, v15 :: v_dual_mov_b32 v15, v16
	s_delay_alu instid0(VALU_DEP_1) | instskip(NEXT) | instid1(VALU_DEP_3)
	v_sub_f32_e32 v7, v13, v7
	v_ldexp_f32 v3, v3, 1
	v_pk_add_f32 v[12:13], v[16:17], v[12:13] neg_lo:[0,1] neg_hi:[0,1]
	s_delay_alu instid0(VALU_DEP_2) | instskip(NEXT) | instid1(VALU_DEP_1)
	v_add_f32_e32 v19, v3, v7
	v_pk_add_f32 v[20:21], v[16:17], v[18:19]
	s_delay_alu instid0(VALU_DEP_1) | instskip(NEXT) | instid1(VALU_DEP_1)
	v_dual_mov_b32 v26, v17 :: v_dual_mov_b32 v13, v21
	v_pk_add_f32 v[22:23], v[14:15], v[12:13]
	v_mov_b32_e32 v22, v21
	v_pk_add_f32 v[12:13], v[14:15], v[12:13] neg_lo:[0,1] neg_hi:[0,1]
	s_delay_alu instid0(VALU_DEP_3) | instskip(NEXT) | instid1(VALU_DEP_1)
	v_dual_mov_b32 v18, v23 :: v_dual_mov_b32 v13, v23
	v_pk_add_f32 v[24:25], v[18:19], v[16:17] neg_lo:[0,1] neg_hi:[0,1]
	v_dual_mov_b32 v17, v16 :: v_dual_mov_b32 v16, v19
	s_delay_alu instid0(VALU_DEP_2) | instskip(NEXT) | instid1(VALU_DEP_1)
	v_dual_mov_b32 v3, v24 :: v_dual_mov_b32 v27, v24
	v_pk_add_f32 v[20:21], v[20:21], v[2:3] neg_lo:[0,1] neg_hi:[0,1]
	s_delay_alu instid0(VALU_DEP_2) | instskip(SKIP_1) | instid1(VALU_DEP_2)
	v_pk_add_f32 v[14:15], v[22:23], v[26:27] neg_lo:[0,1] neg_hi:[0,1]
	v_mov_b32_e32 v20, v12
	v_pk_add_f32 v[14:15], v[16:17], v[14:15] neg_lo:[0,1] neg_hi:[0,1]
	s_delay_alu instid0(VALU_DEP_1) | instskip(NEXT) | instid1(VALU_DEP_1)
	v_pk_add_f32 v[16:17], v[20:21], v[14:15]
	v_mov_b32_e32 v20, v17
	s_delay_alu instid0(VALU_DEP_1) | instskip(NEXT) | instid1(VALU_DEP_1)
	v_pk_add_f32 v[20:21], v[16:17], v[20:21]
	v_pk_add_f32 v[18:19], v[18:19], v[20:21]
	s_delay_alu instid0(VALU_DEP_1) | instskip(NEXT) | instid1(VALU_DEP_1)
	v_mov_b32_e32 v17, v18
	v_pk_add_f32 v[22:23], v[16:17], v[12:13] neg_lo:[0,1] neg_hi:[0,1]
	s_delay_alu instid0(VALU_DEP_1) | instskip(NEXT) | instid1(VALU_DEP_1)
	v_sub_f32_e32 v3, v16, v22
	v_sub_f32_e32 v3, v12, v3
	v_mov_b32_e32 v15, v20
	s_delay_alu instid0(VALU_DEP_1) | instskip(NEXT) | instid1(VALU_DEP_1)
	v_pk_add_f32 v[14:15], v[14:15], v[22:23] neg_lo:[0,1] neg_hi:[0,1]
	v_add_f32_e32 v3, v14, v3
	s_delay_alu instid0(VALU_DEP_1) | instskip(NEXT) | instid1(VALU_DEP_1)
	v_add_f32_e32 v3, v3, v15
	v_add_f32_e32 v3, v18, v3
	s_delay_alu instid0(VALU_DEP_1) | instskip(SKIP_1) | instid1(VALU_DEP_2)
	v_cndmask_b32_e32 v3, 0x7f800000, v3, vcc_lo
	v_cmp_gt_f32_e64 vcc_lo, 0x33800000, |v5|
	v_cndmask_b32_e32 v3, v3, v5, vcc_lo
	s_delay_alu instid0(VALU_DEP_1) | instskip(NEXT) | instid1(VALU_DEP_1)
	v_div_scale_f32 v5, null, s0, s0, v3
	v_rcp_f32_e32 v7, v5
	v_nop
	s_delay_alu instid0(TRANS32_DEP_1) | instskip(NEXT) | instid1(VALU_DEP_1)
	v_fma_f32 v9, -v5, v7, 1.0
	v_fmac_f32_e32 v7, v9, v7
	v_div_scale_f32 v9, vcc_lo, v3, s0, v3
	s_delay_alu instid0(VALU_DEP_1) | instskip(NEXT) | instid1(VALU_DEP_1)
	v_mul_f32_e32 v11, v9, v7
	v_fma_f32 v12, -v5, v11, v9
	s_delay_alu instid0(VALU_DEP_1) | instskip(NEXT) | instid1(VALU_DEP_1)
	v_fmac_f32_e32 v11, v12, v7
	v_fma_f32 v5, -v5, v11, v9
	s_delay_alu instid0(VALU_DEP_1) | instskip(NEXT) | instid1(VALU_DEP_1)
	v_div_fmas_f32 v5, v5, v7, v11
	v_div_fixup_f32 v3, v5, s0, v3
.LBB35_1424:
	s_or_b32 exec_lo, exec_lo, s12
	v_mov_b32_e32 v11, 0
	s_cmp_lt_i32 s11, 11
	s_delay_alu instid0(VALU_DEP_1)
	v_add_nc_u64_e32 v[10:11], s[6:7], v[10:11]
	s_cbranch_scc1 .LBB35_1431
; %bb.1425:
	s_cmp_gt_i32 s11, 25
	s_mov_b32 s13, 0
	s_cbranch_scc0 .LBB35_1433
; %bb.1426:
	s_cmp_gt_i32 s11, 28
	s_cbranch_scc0 .LBB35_1434
; %bb.1427:
	s_cmp_gt_i32 s11, 43
	;; [unrolled: 3-line block ×3, first 2 shown]
	s_cbranch_scc0 .LBB35_1437
; %bb.1429:
	s_cmp_eq_u32 s11, 46
	s_mov_b32 s15, 0
	s_cbranch_scc0 .LBB35_1438
; %bb.1430:
	global_load_b32 v5, v[10:11], off
	s_mov_b32 s12, 0
	s_mov_b32 s14, -1
	s_branch .LBB35_1440
.LBB35_1431:
	s_mov_b32 s14, 0
                                        ; implicit-def: $vgpr5
	s_cbranch_execnz .LBB35_1506
.LBB35_1432:
	s_and_not1_b32 vcc_lo, exec_lo, s14
	s_cbranch_vccnz .LBB35_2122
	s_branch .LBB35_1554
.LBB35_1433:
	s_mov_b32 s15, -1
	s_mov_b32 s14, 0
	s_mov_b32 s12, 0
                                        ; implicit-def: $vgpr5
	s_branch .LBB35_1469
.LBB35_1434:
	s_mov_b32 s15, -1
	s_mov_b32 s14, 0
	s_mov_b32 s12, 0
                                        ; implicit-def: $vgpr5
	s_branch .LBB35_1450
.LBB35_1435:
	s_mov_b32 s15, -1
	s_mov_b32 s14, 0
	s_mov_b32 s12, 0
                                        ; implicit-def: $vgpr5
	s_branch .LBB35_1445
.LBB35_1436:
	s_or_b32 s10, s10, exec_lo
	s_trap 2
	s_cbranch_execz .LBB35_1373
	s_branch .LBB35_1374
.LBB35_1437:
	s_mov_b32 s15, -1
	s_mov_b32 s14, 0
	s_mov_b32 s12, 0
	s_branch .LBB35_1439
.LBB35_1438:
	s_mov_b32 s12, -1
	s_mov_b32 s14, 0
.LBB35_1439:
                                        ; implicit-def: $vgpr5
.LBB35_1440:
	s_and_b32 vcc_lo, exec_lo, s15
	s_cbranch_vccz .LBB35_1444
; %bb.1441:
	s_cmp_eq_u32 s11, 44
	s_cbranch_scc0 .LBB35_1443
; %bb.1442:
	s_wait_loadcnt 0x0
	global_load_u8 v5, v[10:11], off
	s_mov_b32 s12, 0
	s_mov_b32 s14, -1
	s_wait_loadcnt 0x0
	v_lshlrev_b32_e32 v7, 23, v5
	v_cmp_ne_u32_e32 vcc_lo, 0xff, v5
	s_delay_alu instid0(VALU_DEP_2) | instskip(SKIP_1) | instid1(VALU_DEP_2)
	v_cndmask_b32_e32 v7, 0x7f800001, v7, vcc_lo
	v_cmp_ne_u32_e32 vcc_lo, 0, v5
	v_cndmask_b32_e32 v5, 0x400000, v7, vcc_lo
	s_delay_alu instid0(VALU_DEP_1) | instskip(SKIP_1) | instid1(VALU_DEP_2)
	v_add_nc_u32_e32 v7, 0x7fff, v5
	v_cmp_o_f32_e32 vcc_lo, v5, v5
	v_lshrrev_b32_e32 v7, 16, v7
	s_delay_alu instid0(VALU_DEP_1)
	v_cndmask_b32_e32 v5, 0x7fc0, v7, vcc_lo
	s_branch .LBB35_1444
.LBB35_1443:
	s_mov_b32 s12, -1
                                        ; implicit-def: $vgpr5
.LBB35_1444:
	s_mov_b32 s15, 0
.LBB35_1445:
	s_delay_alu instid0(SALU_CYCLE_1)
	s_and_b32 vcc_lo, exec_lo, s15
	s_cbranch_vccz .LBB35_1449
; %bb.1446:
	s_cmp_eq_u32 s11, 29
	s_cbranch_scc0 .LBB35_1448
; %bb.1447:
	global_load_b64 v[12:13], v[10:11], off
	s_mov_b32 s12, 0
	s_mov_b32 s14, -1
	s_mov_b32 s15, 0
	s_wait_loadcnt 0x0
	v_clz_i32_u32_e32 v5, v13
	s_delay_alu instid0(VALU_DEP_1) | instskip(NEXT) | instid1(VALU_DEP_1)
	v_min_u32_e32 v5, 32, v5
	v_lshlrev_b64_e32 v[12:13], v5, v[12:13]
	v_sub_nc_u32_e32 v5, 32, v5
	s_delay_alu instid0(VALU_DEP_2) | instskip(NEXT) | instid1(VALU_DEP_1)
	v_min_u32_e32 v7, 1, v12
	v_or_b32_e32 v7, v13, v7
	s_delay_alu instid0(VALU_DEP_1) | instskip(NEXT) | instid1(VALU_DEP_1)
	v_cvt_f32_u32_e32 v7, v7
	v_ldexp_f32 v5, v7, v5
	s_delay_alu instid0(VALU_DEP_1) | instskip(NEXT) | instid1(VALU_DEP_1)
	v_bfe_u32 v7, v5, 16, 1
	v_add3_u32 v5, v5, v7, 0x7fff
	s_delay_alu instid0(VALU_DEP_1)
	v_lshrrev_b32_e32 v5, 16, v5
	s_branch .LBB35_1450
.LBB35_1448:
	s_mov_b32 s12, -1
                                        ; implicit-def: $vgpr5
.LBB35_1449:
	s_mov_b32 s15, 0
.LBB35_1450:
	s_delay_alu instid0(SALU_CYCLE_1)
	s_and_b32 vcc_lo, exec_lo, s15
	s_cbranch_vccz .LBB35_1468
; %bb.1451:
	s_cmp_lt_i32 s11, 27
	s_cbranch_scc1 .LBB35_1454
; %bb.1452:
	s_cmp_gt_i32 s11, 27
	s_cbranch_scc0 .LBB35_1455
; %bb.1453:
	s_wait_loadcnt 0x0
	global_load_b32 v5, v[10:11], off
	s_mov_b32 s14, 0
	s_wait_loadcnt 0x0
	v_cvt_f32_u32_e32 v5, v5
	s_delay_alu instid0(VALU_DEP_1) | instskip(NEXT) | instid1(VALU_DEP_1)
	v_bfe_u32 v7, v5, 16, 1
	v_add3_u32 v5, v5, v7, 0x7fff
	s_delay_alu instid0(VALU_DEP_1)
	v_lshrrev_b32_e32 v5, 16, v5
	s_branch .LBB35_1456
.LBB35_1454:
	s_mov_b32 s14, -1
                                        ; implicit-def: $vgpr5
	s_branch .LBB35_1459
.LBB35_1455:
	s_mov_b32 s14, -1
                                        ; implicit-def: $vgpr5
.LBB35_1456:
	s_delay_alu instid0(SALU_CYCLE_1)
	s_and_not1_b32 vcc_lo, exec_lo, s14
	s_cbranch_vccnz .LBB35_1458
; %bb.1457:
	s_wait_loadcnt 0x0
	global_load_u16 v5, v[10:11], off
	s_wait_loadcnt 0x0
	v_cvt_f32_u32_e32 v5, v5
	s_delay_alu instid0(VALU_DEP_1) | instskip(NEXT) | instid1(VALU_DEP_1)
	v_bfe_u32 v7, v5, 16, 1
	v_add3_u32 v5, v5, v7, 0x7fff
	s_delay_alu instid0(VALU_DEP_1)
	v_lshrrev_b32_e32 v5, 16, v5
.LBB35_1458:
	s_mov_b32 s14, 0
.LBB35_1459:
	s_delay_alu instid0(SALU_CYCLE_1)
	s_and_not1_b32 vcc_lo, exec_lo, s14
	s_cbranch_vccnz .LBB35_1467
; %bb.1460:
	s_wait_loadcnt 0x0
	global_load_u8 v5, v[10:11], off
	s_mov_b32 s14, 0
	s_mov_b32 s15, exec_lo
	s_wait_loadcnt 0x0
	v_cmpx_lt_i16_e32 0x7f, v5
	s_xor_b32 s15, exec_lo, s15
	s_cbranch_execz .LBB35_1481
; %bb.1461:
	s_mov_b32 s14, -1
	s_mov_b32 s16, exec_lo
	v_cmpx_eq_u16_e32 0x80, v5
; %bb.1462:
	s_xor_b32 s14, exec_lo, -1
; %bb.1463:
	s_or_b32 exec_lo, exec_lo, s16
	s_delay_alu instid0(SALU_CYCLE_1)
	s_and_b32 s14, s14, exec_lo
	s_or_saveexec_b32 s15, s15
	v_mov_b32_e32 v7, 0x7f800001
	s_xor_b32 exec_lo, exec_lo, s15
	s_cbranch_execnz .LBB35_1482
.LBB35_1464:
	s_or_b32 exec_lo, exec_lo, s15
	s_and_saveexec_b32 s15, s14
	s_cbranch_execz .LBB35_1466
.LBB35_1465:
	v_and_b32_e32 v7, 0xffff, v5
	s_delay_alu instid0(VALU_DEP_1) | instskip(SKIP_1) | instid1(VALU_DEP_2)
	v_and_b32_e32 v9, 7, v7
	v_bfe_u32 v14, v7, 3, 4
	v_clz_i32_u32_e32 v12, v9
	s_delay_alu instid0(VALU_DEP_2) | instskip(NEXT) | instid1(VALU_DEP_2)
	v_cmp_eq_u32_e32 vcc_lo, 0, v14
	v_min_u32_e32 v12, 32, v12
	s_delay_alu instid0(VALU_DEP_1) | instskip(NEXT) | instid1(VALU_DEP_1)
	v_subrev_nc_u32_e32 v13, 28, v12
	v_dual_lshlrev_b32 v7, v13, v7 :: v_dual_sub_nc_u32 v12, 29, v12
	s_delay_alu instid0(VALU_DEP_1) | instskip(NEXT) | instid1(VALU_DEP_1)
	v_dual_lshlrev_b32 v5, 24, v5 :: v_dual_bitop2_b32 v7, 7, v7 bitop3:0x40
	v_dual_cndmask_b32 v12, v14, v12 :: v_dual_cndmask_b32 v7, v9, v7
	s_delay_alu instid0(VALU_DEP_2) | instskip(NEXT) | instid1(VALU_DEP_2)
	v_and_b32_e32 v5, 0x80000000, v5
	v_lshl_add_u32 v9, v12, 23, 0x3b800000
	s_delay_alu instid0(VALU_DEP_3) | instskip(NEXT) | instid1(VALU_DEP_1)
	v_lshlrev_b32_e32 v7, 20, v7
	v_or3_b32 v7, v5, v9, v7
.LBB35_1466:
	s_or_b32 exec_lo, exec_lo, s15
	s_delay_alu instid0(VALU_DEP_1) | instskip(SKIP_1) | instid1(VALU_DEP_2)
	v_bfe_u32 v5, v7, 16, 1
	v_cmp_o_f32_e32 vcc_lo, v7, v7
	v_add3_u32 v5, v7, v5, 0x7fff
	s_delay_alu instid0(VALU_DEP_1) | instskip(NEXT) | instid1(VALU_DEP_1)
	v_lshrrev_b32_e32 v5, 16, v5
	v_cndmask_b32_e32 v5, 0x7fc0, v5, vcc_lo
.LBB35_1467:
	s_mov_b32 s14, -1
.LBB35_1468:
	s_mov_b32 s15, 0
.LBB35_1469:
	s_delay_alu instid0(SALU_CYCLE_1)
	s_and_b32 vcc_lo, exec_lo, s15
	s_cbranch_vccz .LBB35_1502
; %bb.1470:
	s_cmp_gt_i32 s11, 22
	s_cbranch_scc0 .LBB35_1480
; %bb.1471:
	s_cmp_lt_i32 s11, 24
	s_cbranch_scc1 .LBB35_1483
; %bb.1472:
	s_cmp_gt_i32 s11, 24
	s_cbranch_scc0 .LBB35_1484
; %bb.1473:
	s_wait_loadcnt 0x0
	global_load_u8 v5, v[10:11], off
	s_mov_b32 s14, exec_lo
	s_wait_loadcnt 0x0
	v_cmpx_lt_i16_e32 0x7f, v5
	s_xor_b32 s14, exec_lo, s14
	s_cbranch_execz .LBB35_1496
; %bb.1474:
	s_mov_b32 s13, -1
	s_mov_b32 s15, exec_lo
	v_cmpx_eq_u16_e32 0x80, v5
; %bb.1475:
	s_xor_b32 s13, exec_lo, -1
; %bb.1476:
	s_or_b32 exec_lo, exec_lo, s15
	s_delay_alu instid0(SALU_CYCLE_1)
	s_and_b32 s13, s13, exec_lo
	s_or_saveexec_b32 s14, s14
	v_mov_b32_e32 v7, 0x7f800001
	s_xor_b32 exec_lo, exec_lo, s14
	s_cbranch_execnz .LBB35_1497
.LBB35_1477:
	s_or_b32 exec_lo, exec_lo, s14
	s_and_saveexec_b32 s14, s13
	s_cbranch_execz .LBB35_1479
.LBB35_1478:
	v_and_b32_e32 v7, 0xffff, v5
	s_delay_alu instid0(VALU_DEP_1) | instskip(SKIP_1) | instid1(VALU_DEP_2)
	v_and_b32_e32 v9, 3, v7
	v_bfe_u32 v14, v7, 2, 5
	v_clz_i32_u32_e32 v12, v9
	s_delay_alu instid0(VALU_DEP_2) | instskip(NEXT) | instid1(VALU_DEP_2)
	v_cmp_eq_u32_e32 vcc_lo, 0, v14
	v_min_u32_e32 v12, 32, v12
	s_delay_alu instid0(VALU_DEP_1) | instskip(NEXT) | instid1(VALU_DEP_1)
	v_subrev_nc_u32_e32 v13, 29, v12
	v_dual_lshlrev_b32 v7, v13, v7 :: v_dual_sub_nc_u32 v12, 30, v12
	s_delay_alu instid0(VALU_DEP_1) | instskip(NEXT) | instid1(VALU_DEP_1)
	v_dual_lshlrev_b32 v5, 24, v5 :: v_dual_bitop2_b32 v7, 3, v7 bitop3:0x40
	v_dual_cndmask_b32 v12, v14, v12 :: v_dual_cndmask_b32 v7, v9, v7
	s_delay_alu instid0(VALU_DEP_2) | instskip(NEXT) | instid1(VALU_DEP_2)
	v_and_b32_e32 v5, 0x80000000, v5
	v_lshl_add_u32 v9, v12, 23, 0x37800000
	s_delay_alu instid0(VALU_DEP_3) | instskip(NEXT) | instid1(VALU_DEP_1)
	v_lshlrev_b32_e32 v7, 21, v7
	v_or3_b32 v7, v5, v9, v7
.LBB35_1479:
	s_or_b32 exec_lo, exec_lo, s14
	s_delay_alu instid0(VALU_DEP_1) | instskip(SKIP_2) | instid1(VALU_DEP_2)
	v_bfe_u32 v5, v7, 16, 1
	v_cmp_o_f32_e32 vcc_lo, v7, v7
	s_mov_b32 s13, 0
	v_add3_u32 v5, v7, v5, 0x7fff
	s_delay_alu instid0(VALU_DEP_1) | instskip(NEXT) | instid1(VALU_DEP_1)
	v_lshrrev_b32_e32 v5, 16, v5
	v_cndmask_b32_e32 v5, 0x7fc0, v5, vcc_lo
	s_branch .LBB35_1485
.LBB35_1480:
	s_mov_b32 s13, -1
                                        ; implicit-def: $vgpr5
	s_branch .LBB35_1491
.LBB35_1481:
	s_or_saveexec_b32 s15, s15
	v_mov_b32_e32 v7, 0x7f800001
	s_xor_b32 exec_lo, exec_lo, s15
	s_cbranch_execz .LBB35_1464
.LBB35_1482:
	v_cmp_ne_u16_e32 vcc_lo, 0, v5
	v_mov_b32_e32 v7, 0
	s_and_not1_b32 s14, s14, exec_lo
	s_and_b32 s16, vcc_lo, exec_lo
	s_delay_alu instid0(SALU_CYCLE_1)
	s_or_b32 s14, s14, s16
	s_or_b32 exec_lo, exec_lo, s15
	s_and_saveexec_b32 s15, s14
	s_cbranch_execnz .LBB35_1465
	s_branch .LBB35_1466
.LBB35_1483:
	s_mov_b32 s13, -1
                                        ; implicit-def: $vgpr5
	s_branch .LBB35_1488
.LBB35_1484:
	s_mov_b32 s13, -1
                                        ; implicit-def: $vgpr5
.LBB35_1485:
	s_delay_alu instid0(SALU_CYCLE_1)
	s_and_b32 vcc_lo, exec_lo, s13
	s_cbranch_vccz .LBB35_1487
; %bb.1486:
	s_wait_loadcnt 0x0
	global_load_u8 v5, v[10:11], off
	s_wait_loadcnt 0x0
	v_lshlrev_b32_e32 v5, 24, v5
	s_delay_alu instid0(VALU_DEP_1) | instskip(NEXT) | instid1(VALU_DEP_1)
	v_and_b32_e32 v7, 0x7f000000, v5
	v_clz_i32_u32_e32 v9, v7
	v_add_nc_u32_e32 v13, 0x1000000, v7
	v_cmp_ne_u32_e32 vcc_lo, 0, v7
	s_delay_alu instid0(VALU_DEP_3) | instskip(NEXT) | instid1(VALU_DEP_1)
	v_min_u32_e32 v9, 32, v9
	v_sub_nc_u32_e64 v9, v9, 4 clamp
	s_delay_alu instid0(VALU_DEP_1) | instskip(NEXT) | instid1(VALU_DEP_1)
	v_dual_lshlrev_b32 v12, v9, v7 :: v_dual_lshlrev_b32 v9, 23, v9
	v_lshrrev_b32_e32 v12, 4, v12
	s_delay_alu instid0(VALU_DEP_1) | instskip(SKIP_1) | instid1(VALU_DEP_2)
	v_sub_nc_u32_e32 v9, v12, v9
	v_ashrrev_i32_e32 v12, 8, v13
	v_add_nc_u32_e32 v9, 0x3c000000, v9
	s_delay_alu instid0(VALU_DEP_1) | instskip(NEXT) | instid1(VALU_DEP_1)
	v_and_or_b32 v9, 0x7f800000, v12, v9
	v_cndmask_b32_e32 v7, 0, v9, vcc_lo
	s_delay_alu instid0(VALU_DEP_1) | instskip(SKIP_1) | instid1(VALU_DEP_2)
	v_and_or_b32 v5, 0x80000000, v5, v7
	v_bfe_u32 v7, v7, 16, 1
	v_cmp_o_f32_e32 vcc_lo, v5, v5
	s_delay_alu instid0(VALU_DEP_2) | instskip(NEXT) | instid1(VALU_DEP_1)
	v_add3_u32 v7, v5, v7, 0x7fff
	v_lshrrev_b32_e32 v7, 16, v7
	s_delay_alu instid0(VALU_DEP_1)
	v_cndmask_b32_e32 v5, 0x7fc0, v7, vcc_lo
.LBB35_1487:
	s_mov_b32 s13, 0
.LBB35_1488:
	s_delay_alu instid0(SALU_CYCLE_1)
	s_and_not1_b32 vcc_lo, exec_lo, s13
	s_cbranch_vccnz .LBB35_1490
; %bb.1489:
	s_wait_loadcnt 0x0
	global_load_u8 v5, v[10:11], off
	s_wait_loadcnt 0x0
	v_lshlrev_b32_e32 v7, 25, v5
	v_lshlrev_b16 v5, 8, v5
	s_delay_alu instid0(VALU_DEP_1) | instskip(SKIP_1) | instid1(VALU_DEP_2)
	v_and_or_b32 v12, 0x7f00, v5, 0.5
	v_bfe_i32 v5, v5, 0, 16
	v_dual_add_f32 v12, -0.5, v12 :: v_dual_lshrrev_b32 v9, 4, v7
	v_cmp_gt_u32_e32 vcc_lo, 0x8000000, v7
	s_delay_alu instid0(VALU_DEP_2) | instskip(NEXT) | instid1(VALU_DEP_1)
	v_or_b32_e32 v9, 0x70000000, v9
	v_mul_f32_e32 v9, 0x7800000, v9
	s_delay_alu instid0(VALU_DEP_1) | instskip(NEXT) | instid1(VALU_DEP_1)
	v_cndmask_b32_e32 v7, v9, v12, vcc_lo
	v_and_or_b32 v5, 0x80000000, v5, v7
	v_bfe_u32 v7, v7, 16, 1
	s_delay_alu instid0(VALU_DEP_2) | instskip(NEXT) | instid1(VALU_DEP_2)
	v_cmp_o_f32_e32 vcc_lo, v5, v5
	v_add3_u32 v7, v5, v7, 0x7fff
	s_delay_alu instid0(VALU_DEP_1) | instskip(NEXT) | instid1(VALU_DEP_1)
	v_lshrrev_b32_e32 v7, 16, v7
	v_cndmask_b32_e32 v5, 0x7fc0, v7, vcc_lo
.LBB35_1490:
	s_mov_b32 s13, 0
	s_mov_b32 s14, -1
.LBB35_1491:
	s_and_not1_b32 vcc_lo, exec_lo, s13
	s_mov_b32 s13, 0
	s_cbranch_vccnz .LBB35_1502
; %bb.1492:
	s_cmp_gt_i32 s11, 14
	s_cbranch_scc0 .LBB35_1495
; %bb.1493:
	s_cmp_eq_u32 s11, 15
	s_cbranch_scc0 .LBB35_1498
; %bb.1494:
	s_wait_loadcnt 0x0
	global_load_u16 v5, v[10:11], off
	s_mov_b32 s12, 0
	s_mov_b32 s14, -1
	s_branch .LBB35_1500
.LBB35_1495:
	s_mov_b32 s13, -1
	s_branch .LBB35_1499
.LBB35_1496:
	s_or_saveexec_b32 s14, s14
	v_mov_b32_e32 v7, 0x7f800001
	s_xor_b32 exec_lo, exec_lo, s14
	s_cbranch_execz .LBB35_1477
.LBB35_1497:
	v_cmp_ne_u16_e32 vcc_lo, 0, v5
	v_mov_b32_e32 v7, 0
	s_and_not1_b32 s13, s13, exec_lo
	s_and_b32 s15, vcc_lo, exec_lo
	s_delay_alu instid0(SALU_CYCLE_1)
	s_or_b32 s13, s13, s15
	s_or_b32 exec_lo, exec_lo, s14
	s_and_saveexec_b32 s14, s13
	s_cbranch_execnz .LBB35_1478
	s_branch .LBB35_1479
.LBB35_1498:
	s_mov_b32 s12, -1
.LBB35_1499:
                                        ; implicit-def: $vgpr5
.LBB35_1500:
	s_and_b32 vcc_lo, exec_lo, s13
	s_mov_b32 s13, 0
	s_cbranch_vccz .LBB35_1502
; %bb.1501:
	s_cmp_lg_u32 s11, 11
	s_mov_b32 s13, -1
	s_cselect_b32 s12, -1, 0
.LBB35_1502:
	s_delay_alu instid0(SALU_CYCLE_1)
	s_and_b32 vcc_lo, exec_lo, s12
	s_cbranch_vccnz .LBB35_1567
; %bb.1503:
	s_and_not1_b32 vcc_lo, exec_lo, s13
	s_cbranch_vccnz .LBB35_1505
.LBB35_1504:
	s_wait_loadcnt 0x0
	global_load_u8 v5, v[10:11], off
	s_mov_b32 s14, -1
	s_wait_loadcnt 0x0
	v_cmp_ne_u16_e32 vcc_lo, 0, v5
	v_cndmask_b32_e64 v5, 0, 1.0, vcc_lo
	s_delay_alu instid0(VALU_DEP_1)
	v_lshrrev_b32_e32 v5, 16, v5
.LBB35_1505:
	s_branch .LBB35_1432
.LBB35_1506:
	s_cmp_lt_i32 s11, 5
	s_cbranch_scc1 .LBB35_1511
; %bb.1507:
	s_cmp_lt_i32 s11, 8
	s_cbranch_scc1 .LBB35_1512
; %bb.1508:
	;; [unrolled: 3-line block ×3, first 2 shown]
	s_cmp_gt_i32 s11, 9
	s_cbranch_scc0 .LBB35_1514
; %bb.1510:
	global_load_b64 v[12:13], v[10:11], off
	s_mov_b32 s12, 0
	s_wait_loadcnt 0x0
	v_cvt_f32_f64_e32 v5, v[12:13]
	s_delay_alu instid0(VALU_DEP_1) | instskip(SKIP_1) | instid1(VALU_DEP_2)
	v_bfe_u32 v7, v5, 16, 1
	v_cmp_o_f32_e32 vcc_lo, v5, v5
	v_add3_u32 v7, v5, v7, 0x7fff
	s_delay_alu instid0(VALU_DEP_1) | instskip(NEXT) | instid1(VALU_DEP_1)
	v_lshrrev_b32_e32 v7, 16, v7
	v_cndmask_b32_e32 v5, 0x7fc0, v7, vcc_lo
	s_branch .LBB35_1515
.LBB35_1511:
	s_mov_b32 s12, -1
                                        ; implicit-def: $vgpr5
	s_branch .LBB35_1533
.LBB35_1512:
	s_mov_b32 s12, -1
                                        ; implicit-def: $vgpr5
	s_branch .LBB35_1521
.LBB35_1513:
	s_mov_b32 s12, -1
                                        ; implicit-def: $vgpr5
	s_branch .LBB35_1518
.LBB35_1514:
	s_mov_b32 s12, -1
                                        ; implicit-def: $vgpr5
.LBB35_1515:
	s_delay_alu instid0(SALU_CYCLE_1)
	s_and_not1_b32 vcc_lo, exec_lo, s12
	s_cbranch_vccnz .LBB35_1517
; %bb.1516:
	s_wait_loadcnt 0x0
	global_load_b32 v5, v[10:11], off
	s_wait_loadcnt 0x0
	v_bfe_u32 v7, v5, 16, 1
	v_cmp_o_f32_e32 vcc_lo, v5, v5
	s_delay_alu instid0(VALU_DEP_2) | instskip(NEXT) | instid1(VALU_DEP_1)
	v_add3_u32 v7, v5, v7, 0x7fff
	v_lshrrev_b32_e32 v7, 16, v7
	s_delay_alu instid0(VALU_DEP_1)
	v_cndmask_b32_e32 v5, 0x7fc0, v7, vcc_lo
.LBB35_1517:
	s_mov_b32 s12, 0
.LBB35_1518:
	s_delay_alu instid0(SALU_CYCLE_1)
	s_and_not1_b32 vcc_lo, exec_lo, s12
	s_cbranch_vccnz .LBB35_1520
; %bb.1519:
	s_wait_loadcnt 0x0
	global_load_b32 v5, v[10:11], off
	s_wait_loadcnt 0x0
	v_cvt_f32_f16_e32 v7, v5
	v_cmp_o_f16_e32 vcc_lo, v5, v5
	s_delay_alu instid0(VALU_DEP_2) | instskip(NEXT) | instid1(VALU_DEP_1)
	v_bfe_u32 v9, v7, 16, 1
	v_add3_u32 v7, v7, v9, 0x7fff
	s_delay_alu instid0(VALU_DEP_1) | instskip(NEXT) | instid1(VALU_DEP_1)
	v_lshrrev_b32_e32 v7, 16, v7
	v_cndmask_b32_e32 v5, 0x7fc0, v7, vcc_lo
.LBB35_1520:
	s_mov_b32 s12, 0
.LBB35_1521:
	s_delay_alu instid0(SALU_CYCLE_1)
	s_and_not1_b32 vcc_lo, exec_lo, s12
	s_cbranch_vccnz .LBB35_1532
; %bb.1522:
	s_cmp_lt_i32 s11, 6
	s_cbranch_scc1 .LBB35_1525
; %bb.1523:
	s_cmp_gt_i32 s11, 6
	s_cbranch_scc0 .LBB35_1526
; %bb.1524:
	global_load_b64 v[12:13], v[10:11], off
	s_mov_b32 s12, 0
	s_wait_loadcnt 0x0
	v_cvt_f32_f64_e32 v5, v[12:13]
	s_delay_alu instid0(VALU_DEP_1) | instskip(SKIP_1) | instid1(VALU_DEP_2)
	v_bfe_u32 v7, v5, 16, 1
	v_cmp_o_f32_e32 vcc_lo, v5, v5
	v_add3_u32 v7, v5, v7, 0x7fff
	s_delay_alu instid0(VALU_DEP_1) | instskip(NEXT) | instid1(VALU_DEP_1)
	v_lshrrev_b32_e32 v7, 16, v7
	v_cndmask_b32_e32 v5, 0x7fc0, v7, vcc_lo
	s_branch .LBB35_1527
.LBB35_1525:
	s_mov_b32 s12, -1
                                        ; implicit-def: $vgpr5
	s_branch .LBB35_1530
.LBB35_1526:
	s_mov_b32 s12, -1
                                        ; implicit-def: $vgpr5
.LBB35_1527:
	s_delay_alu instid0(SALU_CYCLE_1)
	s_and_not1_b32 vcc_lo, exec_lo, s12
	s_cbranch_vccnz .LBB35_1529
; %bb.1528:
	s_wait_loadcnt 0x0
	global_load_b32 v5, v[10:11], off
	s_wait_loadcnt 0x0
	v_bfe_u32 v7, v5, 16, 1
	v_cmp_o_f32_e32 vcc_lo, v5, v5
	s_delay_alu instid0(VALU_DEP_2) | instskip(NEXT) | instid1(VALU_DEP_1)
	v_add3_u32 v7, v5, v7, 0x7fff
	v_lshrrev_b32_e32 v7, 16, v7
	s_delay_alu instid0(VALU_DEP_1)
	v_cndmask_b32_e32 v5, 0x7fc0, v7, vcc_lo
.LBB35_1529:
	s_mov_b32 s12, 0
.LBB35_1530:
	s_delay_alu instid0(SALU_CYCLE_1)
	s_and_not1_b32 vcc_lo, exec_lo, s12
	s_cbranch_vccnz .LBB35_1532
; %bb.1531:
	s_wait_loadcnt 0x0
	global_load_u16 v5, v[10:11], off
	s_wait_loadcnt 0x0
	v_cvt_f32_f16_e32 v7, v5
	v_cmp_o_f16_e32 vcc_lo, v5, v5
	s_delay_alu instid0(VALU_DEP_2) | instskip(NEXT) | instid1(VALU_DEP_1)
	v_bfe_u32 v9, v7, 16, 1
	v_add3_u32 v7, v7, v9, 0x7fff
	s_delay_alu instid0(VALU_DEP_1) | instskip(NEXT) | instid1(VALU_DEP_1)
	v_lshrrev_b32_e32 v7, 16, v7
	v_cndmask_b32_e32 v5, 0x7fc0, v7, vcc_lo
.LBB35_1532:
	s_mov_b32 s12, 0
.LBB35_1533:
	s_delay_alu instid0(SALU_CYCLE_1)
	s_and_not1_b32 vcc_lo, exec_lo, s12
	s_cbranch_vccnz .LBB35_1553
; %bb.1534:
	s_cmp_lt_i32 s11, 2
	s_cbranch_scc1 .LBB35_1538
; %bb.1535:
	s_cmp_lt_i32 s11, 3
	s_cbranch_scc1 .LBB35_1539
; %bb.1536:
	s_cmp_gt_i32 s11, 3
	s_cbranch_scc0 .LBB35_1540
; %bb.1537:
	global_load_b64 v[12:13], v[10:11], off
	s_mov_b32 s12, 0
	s_wait_loadcnt 0x0
	v_xor_b32_e32 v5, v12, v13
	v_cls_i32_e32 v7, v13
	s_delay_alu instid0(VALU_DEP_2) | instskip(NEXT) | instid1(VALU_DEP_1)
	v_ashrrev_i32_e32 v5, 31, v5
	v_add_nc_u32_e32 v5, 32, v5
	s_delay_alu instid0(VALU_DEP_1) | instskip(NEXT) | instid1(VALU_DEP_1)
	v_add_min_u32_e64 v5, v7, -1, v5
	v_lshlrev_b64_e32 v[12:13], v5, v[12:13]
	v_sub_nc_u32_e32 v5, 32, v5
	s_delay_alu instid0(VALU_DEP_2) | instskip(NEXT) | instid1(VALU_DEP_1)
	v_min_u32_e32 v7, 1, v12
	v_or_b32_e32 v7, v13, v7
	s_delay_alu instid0(VALU_DEP_1) | instskip(NEXT) | instid1(VALU_DEP_1)
	v_cvt_f32_i32_e32 v7, v7
	v_ldexp_f32 v5, v7, v5
	s_delay_alu instid0(VALU_DEP_1) | instskip(NEXT) | instid1(VALU_DEP_1)
	v_bfe_u32 v7, v5, 16, 1
	v_add3_u32 v5, v5, v7, 0x7fff
	s_delay_alu instid0(VALU_DEP_1)
	v_lshrrev_b32_e32 v5, 16, v5
	s_branch .LBB35_1541
.LBB35_1538:
	s_mov_b32 s12, -1
                                        ; implicit-def: $vgpr5
	s_branch .LBB35_1547
.LBB35_1539:
	s_mov_b32 s12, -1
                                        ; implicit-def: $vgpr5
	s_branch .LBB35_1544
.LBB35_1540:
	s_mov_b32 s12, -1
                                        ; implicit-def: $vgpr5
.LBB35_1541:
	s_delay_alu instid0(SALU_CYCLE_1)
	s_and_not1_b32 vcc_lo, exec_lo, s12
	s_cbranch_vccnz .LBB35_1543
; %bb.1542:
	s_wait_loadcnt 0x0
	global_load_b32 v5, v[10:11], off
	s_wait_loadcnt 0x0
	v_cvt_f32_i32_e32 v5, v5
	s_delay_alu instid0(VALU_DEP_1) | instskip(NEXT) | instid1(VALU_DEP_1)
	v_bfe_u32 v7, v5, 16, 1
	v_add3_u32 v5, v5, v7, 0x7fff
	s_delay_alu instid0(VALU_DEP_1)
	v_lshrrev_b32_e32 v5, 16, v5
.LBB35_1543:
	s_mov_b32 s12, 0
.LBB35_1544:
	s_delay_alu instid0(SALU_CYCLE_1)
	s_and_not1_b32 vcc_lo, exec_lo, s12
	s_cbranch_vccnz .LBB35_1546
; %bb.1545:
	s_wait_loadcnt 0x0
	global_load_i16 v5, v[10:11], off
	s_wait_loadcnt 0x0
	v_cvt_f32_i32_e32 v5, v5
	s_delay_alu instid0(VALU_DEP_1) | instskip(NEXT) | instid1(VALU_DEP_1)
	v_bfe_u32 v7, v5, 16, 1
	v_add3_u32 v5, v5, v7, 0x7fff
	s_delay_alu instid0(VALU_DEP_1)
	v_lshrrev_b32_e32 v5, 16, v5
.LBB35_1546:
	s_mov_b32 s12, 0
.LBB35_1547:
	s_delay_alu instid0(SALU_CYCLE_1)
	s_and_not1_b32 vcc_lo, exec_lo, s12
	s_cbranch_vccnz .LBB35_1553
; %bb.1548:
	s_cmp_gt_i32 s11, 0
	s_mov_b32 s12, 0
	s_cbranch_scc0 .LBB35_1550
; %bb.1549:
	s_wait_loadcnt 0x0
	global_load_i8 v5, v[10:11], off
	s_wait_loadcnt 0x0
	v_cvt_f32_i32_e32 v5, v5
	s_delay_alu instid0(VALU_DEP_1) | instskip(NEXT) | instid1(VALU_DEP_1)
	v_bfe_u32 v7, v5, 16, 1
	v_add3_u32 v5, v5, v7, 0x7fff
	s_delay_alu instid0(VALU_DEP_1)
	v_lshrrev_b32_e32 v5, 16, v5
	s_branch .LBB35_1551
.LBB35_1550:
	s_mov_b32 s12, -1
                                        ; implicit-def: $vgpr5
.LBB35_1551:
	s_delay_alu instid0(SALU_CYCLE_1)
	s_and_not1_b32 vcc_lo, exec_lo, s12
	s_cbranch_vccnz .LBB35_1553
; %bb.1552:
	s_wait_loadcnt 0x0
	global_load_u8 v5, v[10:11], off
	s_wait_loadcnt 0x0
	v_cvt_f32_ubyte0_e32 v5, v5
	s_delay_alu instid0(VALU_DEP_1) | instskip(NEXT) | instid1(VALU_DEP_1)
	v_bfe_u32 v7, v5, 16, 1
	v_add3_u32 v5, v5, v7, 0x7fff
	s_delay_alu instid0(VALU_DEP_1)
	v_lshrrev_b32_e32 v5, 16, v5
.LBB35_1553:
.LBB35_1554:
	s_wait_loadcnt 0x0
	s_delay_alu instid0(VALU_DEP_1) | instskip(SKIP_1) | instid1(VALU_DEP_1)
	v_lshlrev_b32_e32 v10, 16, v5
	s_mov_b32 s12, exec_lo
	v_mul_f32_e32 v5, s0, v10
	s_delay_alu instid0(VALU_DEP_1)
	v_cmpx_nlt_f32_e32 s1, v5
	s_cbranch_execz .LBB35_1556
; %bb.1555:
	v_mul_f32_e32 v7, 0x3fb8aa3b, v5
	v_cmp_ngt_f32_e32 vcc_lo, 0xc2ce8ed0, v5
	s_mov_b32 s13, 0x3e9b6dac
	s_delay_alu instid0(VALU_DEP_2) | instskip(SKIP_1) | instid1(VALU_DEP_1)
	v_rndne_f32_e32 v9, v7
	v_fma_f32 v10, 0x3fb8aa3b, v5, -v7
	v_dual_sub_f32 v7, v7, v9 :: v_dual_fmamk_f32 v10, v5, 0x32a5705f, v10
	v_cvt_i32_f32_e32 v9, v9
	s_delay_alu instid0(VALU_DEP_2) | instskip(NEXT) | instid1(VALU_DEP_1)
	v_add_f32_e32 v7, v7, v10
	v_exp_f32_e32 v7, v7
	v_nop
	s_delay_alu instid0(TRANS32_DEP_1) | instskip(NEXT) | instid1(VALU_DEP_1)
	v_ldexp_f32 v7, v7, v9
	v_cndmask_b32_e32 v7, 0, v7, vcc_lo
	v_cmp_nlt_f32_e32 vcc_lo, 0x42b17218, v5
	s_delay_alu instid0(VALU_DEP_2) | instskip(NEXT) | instid1(VALU_DEP_1)
	v_cndmask_b32_e32 v7, 0x7f800000, v7, vcc_lo
	v_add_f32_e32 v5, 1.0, v7
	s_delay_alu instid0(VALU_DEP_1) | instskip(NEXT) | instid1(VALU_DEP_1)
	v_cvt_f64_f32_e32 v[10:11], v5
	v_frexp_exp_i32_f64_e32 v9, v[10:11]
	v_frexp_mant_f32_e32 v10, v5
	s_delay_alu instid0(VALU_DEP_1) | instskip(SKIP_1) | instid1(VALU_DEP_1)
	v_cmp_gt_f32_e32 vcc_lo, 0x3f2aaaab, v10
	v_add_f32_e32 v10, -1.0, v5
	v_sub_f32_e32 v12, v10, v5
	s_delay_alu instid0(VALU_DEP_1) | instskip(NEXT) | instid1(VALU_DEP_1)
	v_dual_add_f32 v12, 1.0, v12 :: v_dual_sub_f32 v10, v7, v10
	v_add_f32_e32 v10, v10, v12
	v_subrev_co_ci_u32_e64 v9, null, 0, v9, vcc_lo
	v_cmp_neq_f32_e32 vcc_lo, 0x7f800000, v7
	s_delay_alu instid0(VALU_DEP_2) | instskip(NEXT) | instid1(VALU_DEP_1)
	v_sub_nc_u32_e32 v11, 0, v9
	v_ldexp_f32 v5, v5, v11
	v_ldexp_f32 v10, v10, v11
	s_delay_alu instid0(VALU_DEP_2) | instskip(NEXT) | instid1(VALU_DEP_1)
	v_add_f32_e32 v13, 1.0, v5
	v_add_f32_e32 v12, -1.0, v13
	s_delay_alu instid0(VALU_DEP_1) | instskip(NEXT) | instid1(VALU_DEP_1)
	v_dual_add_f32 v15, -1.0, v5 :: v_dual_sub_f32 v11, v5, v12
	v_add_f32_e32 v14, v10, v11
	s_delay_alu instid0(VALU_DEP_1) | instskip(NEXT) | instid1(VALU_DEP_1)
	v_dual_add_f32 v12, 1.0, v15 :: v_dual_add_f32 v16, v13, v14
	v_rcp_f32_e32 v17, v16
	s_delay_alu instid0(VALU_DEP_1) | instskip(NEXT) | instid1(VALU_DEP_1)
	v_sub_f32_e32 v5, v5, v12
	v_dual_add_f32 v5, v10, v5 :: v_dual_sub_f32 v10, v13, v16
	s_delay_alu instid0(VALU_DEP_1)
	v_add_f32_e32 v11, v15, v5
	s_delay_alu instid0(TRANS32_DEP_1) | instid1(VALU_DEP_1)
	v_mul_f32_e32 v18, v11, v17
	s_delay_alu instid0(VALU_DEP_1) | instskip(NEXT) | instid1(VALU_DEP_4)
	v_mul_f32_e32 v12, v16, v18
	v_dual_add_f32 v19, v14, v10 :: v_dual_sub_f32 v20, v15, v11
	s_delay_alu instid0(VALU_DEP_2) | instskip(NEXT) | instid1(VALU_DEP_1)
	v_fma_f32 v14, v18, v16, -v12
	v_dual_add_f32 v5, v5, v20 :: v_dual_fmac_f32 v14, v18, v19
	s_delay_alu instid0(VALU_DEP_1) | instskip(NEXT) | instid1(VALU_DEP_1)
	v_add_f32_e32 v10, v12, v14
	v_dual_sub_f32 v13, v11, v10 :: v_dual_mov_b32 v15, v10
	s_delay_alu instid0(VALU_DEP_1) | instskip(NEXT) | instid1(VALU_DEP_1)
	v_pk_add_f32 v[10:11], v[10:11], v[12:13] neg_lo:[0,1] neg_hi:[0,1]
	v_pk_add_f32 v[10:11], v[10:11], v[14:15] neg_lo:[0,1] neg_hi:[0,1]
	s_delay_alu instid0(VALU_DEP_1) | instskip(NEXT) | instid1(VALU_DEP_1)
	v_add_f32_e32 v5, v5, v11
	v_add_f32_e32 v5, v10, v5
	s_delay_alu instid0(VALU_DEP_1) | instskip(NEXT) | instid1(VALU_DEP_1)
	v_add_f32_e32 v11, v13, v5
	v_mul_f32_e32 v20, v17, v11
	s_delay_alu instid0(VALU_DEP_1) | instskip(NEXT) | instid1(VALU_DEP_1)
	v_mul_f32_e32 v14, v16, v20
	v_dual_fma_f32 v12, v20, v16, -v14 :: v_dual_sub_f32 v16, v13, v11
	s_delay_alu instid0(VALU_DEP_1) | instskip(NEXT) | instid1(VALU_DEP_1)
	v_fmac_f32_e32 v12, v20, v19
	v_add_f32_e32 v10, v14, v12
	s_delay_alu instid0(VALU_DEP_1) | instskip(NEXT) | instid1(VALU_DEP_1)
	v_dual_sub_f32 v15, v11, v10 :: v_dual_mov_b32 v13, v10
	v_pk_add_f32 v[10:11], v[10:11], v[14:15] neg_lo:[0,1] neg_hi:[0,1]
	v_add_f32_e32 v14, v18, v20
	v_add_f32_e32 v5, v5, v16
	s_delay_alu instid0(VALU_DEP_3) | instskip(SKIP_1) | instid1(VALU_DEP_2)
	v_pk_add_f32 v[10:11], v[10:11], v[12:13] neg_lo:[0,1] neg_hi:[0,1]
	v_cvt_f32_i32_e32 v12, v9
	v_add_f32_e32 v5, v5, v11
	s_delay_alu instid0(VALU_DEP_1) | instskip(NEXT) | instid1(VALU_DEP_1)
	v_add_f32_e32 v5, v10, v5
	v_dual_sub_f32 v10, v14, v18 :: v_dual_add_f32 v5, v15, v5
	s_delay_alu instid0(VALU_DEP_1) | instskip(NEXT) | instid1(VALU_DEP_1)
	v_dual_sub_f32 v10, v20, v10 :: v_dual_mul_f32 v5, v17, v5
	v_dual_add_f32 v5, v10, v5 :: v_dual_mov_b32 v10, 0x3f317218
	s_delay_alu instid0(VALU_DEP_1) | instskip(NEXT) | instid1(VALU_DEP_1)
	v_add_f32_e32 v15, v14, v5
	v_mul_f32_e32 v11, v15, v15
	s_delay_alu instid0(VALU_DEP_1) | instskip(NEXT) | instid1(VALU_DEP_1)
	v_dual_fmaak_f32 v16, s13, v11, 0x3ecc95a3 :: v_dual_mul_f32 v13, v15, v11
	v_fmaak_f32 v11, v11, v16, 0x3f2aaada
	s_delay_alu instid0(VALU_DEP_1) | instskip(NEXT) | instid1(VALU_DEP_1)
	v_pk_mul_f32 v[10:11], v[12:13], v[10:11]
	v_fma_f32 v9, 0x3f317218, v12, -v10
	v_mov_b32_e32 v16, v10
	s_delay_alu instid0(VALU_DEP_2) | instskip(SKIP_2) | instid1(VALU_DEP_2)
	v_fmamk_f32 v12, v12, 0xb102e308, v9
	v_ldexp_f32 v13, v15, 1
	v_sub_f32_e32 v9, v15, v14
	v_pk_add_f32 v[14:15], v[10:11], v[12:13]
	s_delay_alu instid0(VALU_DEP_2) | instskip(NEXT) | instid1(VALU_DEP_2)
	v_sub_f32_e32 v5, v5, v9
	v_dual_sub_f32 v9, v15, v13 :: v_dual_mov_b32 v13, v14
	s_delay_alu instid0(VALU_DEP_1) | instskip(NEXT) | instid1(VALU_DEP_3)
	v_sub_f32_e32 v9, v11, v9
	v_ldexp_f32 v5, v5, 1
	v_pk_add_f32 v[10:11], v[14:15], v[10:11] neg_lo:[0,1] neg_hi:[0,1]
	s_delay_alu instid0(VALU_DEP_2) | instskip(NEXT) | instid1(VALU_DEP_1)
	v_add_f32_e32 v17, v5, v9
	v_pk_add_f32 v[18:19], v[14:15], v[16:17]
	s_delay_alu instid0(VALU_DEP_1) | instskip(NEXT) | instid1(VALU_DEP_1)
	v_dual_mov_b32 v24, v15 :: v_dual_mov_b32 v11, v19
	v_pk_add_f32 v[20:21], v[12:13], v[10:11]
	v_mov_b32_e32 v20, v19
	v_pk_add_f32 v[10:11], v[12:13], v[10:11] neg_lo:[0,1] neg_hi:[0,1]
	s_delay_alu instid0(VALU_DEP_3) | instskip(NEXT) | instid1(VALU_DEP_1)
	v_dual_mov_b32 v16, v21 :: v_dual_mov_b32 v11, v21
	v_pk_add_f32 v[22:23], v[16:17], v[14:15] neg_lo:[0,1] neg_hi:[0,1]
	v_dual_mov_b32 v15, v14 :: v_dual_mov_b32 v14, v17
	s_delay_alu instid0(VALU_DEP_2) | instskip(NEXT) | instid1(VALU_DEP_1)
	v_dual_mov_b32 v5, v22 :: v_dual_mov_b32 v25, v22
	v_pk_add_f32 v[18:19], v[18:19], v[4:5] neg_lo:[0,1] neg_hi:[0,1]
	s_delay_alu instid0(VALU_DEP_2) | instskip(SKIP_1) | instid1(VALU_DEP_2)
	v_pk_add_f32 v[12:13], v[20:21], v[24:25] neg_lo:[0,1] neg_hi:[0,1]
	v_mov_b32_e32 v18, v10
	v_pk_add_f32 v[12:13], v[14:15], v[12:13] neg_lo:[0,1] neg_hi:[0,1]
	s_delay_alu instid0(VALU_DEP_1) | instskip(NEXT) | instid1(VALU_DEP_1)
	v_pk_add_f32 v[14:15], v[18:19], v[12:13]
	v_mov_b32_e32 v18, v15
	s_delay_alu instid0(VALU_DEP_1) | instskip(NEXT) | instid1(VALU_DEP_1)
	v_pk_add_f32 v[18:19], v[14:15], v[18:19]
	v_pk_add_f32 v[16:17], v[16:17], v[18:19]
	s_delay_alu instid0(VALU_DEP_1) | instskip(NEXT) | instid1(VALU_DEP_1)
	v_mov_b32_e32 v15, v16
	v_pk_add_f32 v[20:21], v[14:15], v[10:11] neg_lo:[0,1] neg_hi:[0,1]
	s_delay_alu instid0(VALU_DEP_1) | instskip(NEXT) | instid1(VALU_DEP_1)
	v_sub_f32_e32 v5, v14, v20
	v_sub_f32_e32 v5, v10, v5
	v_mov_b32_e32 v13, v18
	s_delay_alu instid0(VALU_DEP_1) | instskip(NEXT) | instid1(VALU_DEP_1)
	v_pk_add_f32 v[12:13], v[12:13], v[20:21] neg_lo:[0,1] neg_hi:[0,1]
	v_add_f32_e32 v5, v12, v5
	s_delay_alu instid0(VALU_DEP_1) | instskip(NEXT) | instid1(VALU_DEP_1)
	v_add_f32_e32 v5, v5, v13
	v_add_f32_e32 v5, v16, v5
	s_delay_alu instid0(VALU_DEP_1) | instskip(SKIP_1) | instid1(VALU_DEP_2)
	v_cndmask_b32_e32 v5, 0x7f800000, v5, vcc_lo
	v_cmp_gt_f32_e64 vcc_lo, 0x33800000, |v7|
	v_cndmask_b32_e32 v5, v5, v7, vcc_lo
	s_delay_alu instid0(VALU_DEP_1) | instskip(NEXT) | instid1(VALU_DEP_1)
	v_div_scale_f32 v7, null, s0, s0, v5
	v_rcp_f32_e32 v9, v7
	v_nop
	s_delay_alu instid0(TRANS32_DEP_1) | instskip(NEXT) | instid1(VALU_DEP_1)
	v_fma_f32 v10, -v7, v9, 1.0
	v_fmac_f32_e32 v9, v10, v9
	v_div_scale_f32 v10, vcc_lo, v5, s0, v5
	s_delay_alu instid0(VALU_DEP_1) | instskip(NEXT) | instid1(VALU_DEP_1)
	v_mul_f32_e32 v11, v10, v9
	v_fma_f32 v12, -v7, v11, v10
	s_delay_alu instid0(VALU_DEP_1) | instskip(NEXT) | instid1(VALU_DEP_1)
	v_fmac_f32_e32 v11, v12, v9
	v_fma_f32 v7, -v7, v11, v10
	s_delay_alu instid0(VALU_DEP_1) | instskip(NEXT) | instid1(VALU_DEP_1)
	v_div_fmas_f32 v7, v7, v9, v11
	v_div_fixup_f32 v10, v7, s0, v5
.LBB35_1556:
	s_or_b32 exec_lo, exec_lo, s12
	v_mov_b32_e32 v9, 0
	s_cmp_lt_i32 s11, 11
	s_delay_alu instid0(VALU_DEP_1)
	v_add_nc_u64_e32 v[8:9], s[6:7], v[8:9]
	s_cbranch_scc1 .LBB35_1563
; %bb.1557:
	s_cmp_gt_i32 s11, 25
	s_mov_b32 s7, 0
	s_cbranch_scc0 .LBB35_1564
; %bb.1558:
	s_cmp_gt_i32 s11, 28
	s_cbranch_scc0 .LBB35_1565
; %bb.1559:
	s_cmp_gt_i32 s11, 43
	;; [unrolled: 3-line block ×3, first 2 shown]
	s_cbranch_scc0 .LBB35_1568
; %bb.1561:
	s_cmp_eq_u32 s11, 46
	s_mov_b32 s13, 0
	s_cbranch_scc0 .LBB35_1569
; %bb.1562:
	global_load_b32 v5, v[8:9], off
	s_mov_b32 s6, 0
	s_mov_b32 s12, -1
	s_branch .LBB35_1571
.LBB35_1563:
	s_mov_b32 s6, -1
	s_mov_b32 s12, 0
                                        ; implicit-def: $vgpr5
	s_branch .LBB35_1637
.LBB35_1564:
	s_mov_b32 s13, -1
	s_mov_b32 s12, 0
	s_mov_b32 s6, 0
                                        ; implicit-def: $vgpr5
	s_branch .LBB35_1600
.LBB35_1565:
	s_mov_b32 s13, -1
	s_mov_b32 s12, 0
	s_mov_b32 s6, 0
                                        ; implicit-def: $vgpr5
	s_branch .LBB35_1581
.LBB35_1566:
	s_mov_b32 s13, -1
	s_mov_b32 s12, 0
	s_mov_b32 s6, 0
                                        ; implicit-def: $vgpr5
	s_branch .LBB35_1576
.LBB35_1567:
	s_or_b32 s10, s10, exec_lo
	s_trap 2
	s_cbranch_execz .LBB35_1504
	s_branch .LBB35_1505
.LBB35_1568:
	s_mov_b32 s13, -1
	s_mov_b32 s12, 0
	s_mov_b32 s6, 0
	s_branch .LBB35_1570
.LBB35_1569:
	s_mov_b32 s6, -1
	s_mov_b32 s12, 0
.LBB35_1570:
                                        ; implicit-def: $vgpr5
.LBB35_1571:
	s_and_b32 vcc_lo, exec_lo, s13
	s_cbranch_vccz .LBB35_1575
; %bb.1572:
	s_cmp_eq_u32 s11, 44
	s_cbranch_scc0 .LBB35_1574
; %bb.1573:
	s_wait_loadcnt 0x0
	global_load_u8 v5, v[8:9], off
	s_mov_b32 s6, 0
	s_mov_b32 s12, -1
	s_wait_loadcnt 0x0
	v_lshlrev_b32_e32 v7, 23, v5
	v_cmp_ne_u32_e32 vcc_lo, 0xff, v5
	s_delay_alu instid0(VALU_DEP_2) | instskip(SKIP_1) | instid1(VALU_DEP_2)
	v_cndmask_b32_e32 v7, 0x7f800001, v7, vcc_lo
	v_cmp_ne_u32_e32 vcc_lo, 0, v5
	v_cndmask_b32_e32 v5, 0x400000, v7, vcc_lo
	s_delay_alu instid0(VALU_DEP_1) | instskip(SKIP_1) | instid1(VALU_DEP_2)
	v_add_nc_u32_e32 v7, 0x7fff, v5
	v_cmp_o_f32_e32 vcc_lo, v5, v5
	v_lshrrev_b32_e32 v7, 16, v7
	s_delay_alu instid0(VALU_DEP_1)
	v_cndmask_b32_e32 v5, 0x7fc0, v7, vcc_lo
	s_branch .LBB35_1575
.LBB35_1574:
	s_mov_b32 s6, -1
                                        ; implicit-def: $vgpr5
.LBB35_1575:
	s_mov_b32 s13, 0
.LBB35_1576:
	s_delay_alu instid0(SALU_CYCLE_1)
	s_and_b32 vcc_lo, exec_lo, s13
	s_cbranch_vccz .LBB35_1580
; %bb.1577:
	s_cmp_eq_u32 s11, 29
	s_cbranch_scc0 .LBB35_1579
; %bb.1578:
	global_load_b64 v[12:13], v[8:9], off
	s_mov_b32 s6, 0
	s_mov_b32 s12, -1
	s_mov_b32 s13, 0
	s_wait_loadcnt 0x0
	v_clz_i32_u32_e32 v5, v13
	s_delay_alu instid0(VALU_DEP_1) | instskip(NEXT) | instid1(VALU_DEP_1)
	v_min_u32_e32 v5, 32, v5
	v_lshlrev_b64_e32 v[12:13], v5, v[12:13]
	v_sub_nc_u32_e32 v5, 32, v5
	s_delay_alu instid0(VALU_DEP_2) | instskip(NEXT) | instid1(VALU_DEP_1)
	v_min_u32_e32 v7, 1, v12
	v_or_b32_e32 v7, v13, v7
	s_delay_alu instid0(VALU_DEP_1) | instskip(NEXT) | instid1(VALU_DEP_1)
	v_cvt_f32_u32_e32 v7, v7
	v_ldexp_f32 v5, v7, v5
	s_delay_alu instid0(VALU_DEP_1) | instskip(NEXT) | instid1(VALU_DEP_1)
	v_bfe_u32 v7, v5, 16, 1
	v_add3_u32 v5, v5, v7, 0x7fff
	s_delay_alu instid0(VALU_DEP_1)
	v_lshrrev_b32_e32 v5, 16, v5
	s_branch .LBB35_1581
.LBB35_1579:
	s_mov_b32 s6, -1
                                        ; implicit-def: $vgpr5
.LBB35_1580:
	s_mov_b32 s13, 0
.LBB35_1581:
	s_delay_alu instid0(SALU_CYCLE_1)
	s_and_b32 vcc_lo, exec_lo, s13
	s_cbranch_vccz .LBB35_1599
; %bb.1582:
	s_cmp_lt_i32 s11, 27
	s_cbranch_scc1 .LBB35_1585
; %bb.1583:
	s_cmp_gt_i32 s11, 27
	s_cbranch_scc0 .LBB35_1586
; %bb.1584:
	s_wait_loadcnt 0x0
	global_load_b32 v5, v[8:9], off
	s_mov_b32 s12, 0
	s_wait_loadcnt 0x0
	v_cvt_f32_u32_e32 v5, v5
	s_delay_alu instid0(VALU_DEP_1) | instskip(NEXT) | instid1(VALU_DEP_1)
	v_bfe_u32 v7, v5, 16, 1
	v_add3_u32 v5, v5, v7, 0x7fff
	s_delay_alu instid0(VALU_DEP_1)
	v_lshrrev_b32_e32 v5, 16, v5
	s_branch .LBB35_1587
.LBB35_1585:
	s_mov_b32 s12, -1
                                        ; implicit-def: $vgpr5
	s_branch .LBB35_1590
.LBB35_1586:
	s_mov_b32 s12, -1
                                        ; implicit-def: $vgpr5
.LBB35_1587:
	s_delay_alu instid0(SALU_CYCLE_1)
	s_and_not1_b32 vcc_lo, exec_lo, s12
	s_cbranch_vccnz .LBB35_1589
; %bb.1588:
	s_wait_loadcnt 0x0
	global_load_u16 v5, v[8:9], off
	s_wait_loadcnt 0x0
	v_cvt_f32_u32_e32 v5, v5
	s_delay_alu instid0(VALU_DEP_1) | instskip(NEXT) | instid1(VALU_DEP_1)
	v_bfe_u32 v7, v5, 16, 1
	v_add3_u32 v5, v5, v7, 0x7fff
	s_delay_alu instid0(VALU_DEP_1)
	v_lshrrev_b32_e32 v5, 16, v5
.LBB35_1589:
	s_mov_b32 s12, 0
.LBB35_1590:
	s_delay_alu instid0(SALU_CYCLE_1)
	s_and_not1_b32 vcc_lo, exec_lo, s12
	s_cbranch_vccnz .LBB35_1598
; %bb.1591:
	s_wait_loadcnt 0x0
	global_load_u8 v5, v[8:9], off
	s_mov_b32 s12, 0
	s_mov_b32 s13, exec_lo
	s_wait_loadcnt 0x0
	v_cmpx_lt_i16_e32 0x7f, v5
	s_xor_b32 s13, exec_lo, s13
	s_cbranch_execz .LBB35_1612
; %bb.1592:
	s_mov_b32 s12, -1
	s_mov_b32 s14, exec_lo
	v_cmpx_eq_u16_e32 0x80, v5
; %bb.1593:
	s_xor_b32 s12, exec_lo, -1
; %bb.1594:
	s_or_b32 exec_lo, exec_lo, s14
	s_delay_alu instid0(SALU_CYCLE_1)
	s_and_b32 s12, s12, exec_lo
	s_or_saveexec_b32 s13, s13
	v_mov_b32_e32 v7, 0x7f800001
	s_xor_b32 exec_lo, exec_lo, s13
	s_cbranch_execnz .LBB35_1613
.LBB35_1595:
	s_or_b32 exec_lo, exec_lo, s13
	s_and_saveexec_b32 s13, s12
	s_cbranch_execz .LBB35_1597
.LBB35_1596:
	v_and_b32_e32 v7, 0xffff, v5
	s_delay_alu instid0(VALU_DEP_1) | instskip(SKIP_1) | instid1(VALU_DEP_2)
	v_and_b32_e32 v11, 7, v7
	v_bfe_u32 v14, v7, 3, 4
	v_clz_i32_u32_e32 v12, v11
	s_delay_alu instid0(VALU_DEP_2) | instskip(NEXT) | instid1(VALU_DEP_2)
	v_cmp_eq_u32_e32 vcc_lo, 0, v14
	v_min_u32_e32 v12, 32, v12
	s_delay_alu instid0(VALU_DEP_1) | instskip(NEXT) | instid1(VALU_DEP_1)
	v_subrev_nc_u32_e32 v13, 28, v12
	v_dual_lshlrev_b32 v7, v13, v7 :: v_dual_sub_nc_u32 v12, 29, v12
	s_delay_alu instid0(VALU_DEP_1) | instskip(NEXT) | instid1(VALU_DEP_1)
	v_dual_lshlrev_b32 v5, 24, v5 :: v_dual_bitop2_b32 v7, 7, v7 bitop3:0x40
	v_dual_cndmask_b32 v12, v14, v12 :: v_dual_cndmask_b32 v7, v11, v7
	s_delay_alu instid0(VALU_DEP_2) | instskip(NEXT) | instid1(VALU_DEP_2)
	v_and_b32_e32 v5, 0x80000000, v5
	v_lshl_add_u32 v11, v12, 23, 0x3b800000
	s_delay_alu instid0(VALU_DEP_3) | instskip(NEXT) | instid1(VALU_DEP_1)
	v_lshlrev_b32_e32 v7, 20, v7
	v_or3_b32 v7, v5, v11, v7
.LBB35_1597:
	s_or_b32 exec_lo, exec_lo, s13
	s_delay_alu instid0(VALU_DEP_1) | instskip(SKIP_1) | instid1(VALU_DEP_2)
	v_bfe_u32 v5, v7, 16, 1
	v_cmp_o_f32_e32 vcc_lo, v7, v7
	v_add3_u32 v5, v7, v5, 0x7fff
	s_delay_alu instid0(VALU_DEP_1) | instskip(NEXT) | instid1(VALU_DEP_1)
	v_lshrrev_b32_e32 v5, 16, v5
	v_cndmask_b32_e32 v5, 0x7fc0, v5, vcc_lo
.LBB35_1598:
	s_mov_b32 s12, -1
.LBB35_1599:
	s_mov_b32 s13, 0
.LBB35_1600:
	s_delay_alu instid0(SALU_CYCLE_1)
	s_and_b32 vcc_lo, exec_lo, s13
	s_cbranch_vccz .LBB35_1633
; %bb.1601:
	s_cmp_gt_i32 s11, 22
	s_cbranch_scc0 .LBB35_1611
; %bb.1602:
	s_cmp_lt_i32 s11, 24
	s_cbranch_scc1 .LBB35_1614
; %bb.1603:
	s_cmp_gt_i32 s11, 24
	s_cbranch_scc0 .LBB35_1615
; %bb.1604:
	s_wait_loadcnt 0x0
	global_load_u8 v5, v[8:9], off
	s_mov_b32 s12, exec_lo
	s_wait_loadcnt 0x0
	v_cmpx_lt_i16_e32 0x7f, v5
	s_xor_b32 s12, exec_lo, s12
	s_cbranch_execz .LBB35_1627
; %bb.1605:
	s_mov_b32 s7, -1
	s_mov_b32 s13, exec_lo
	v_cmpx_eq_u16_e32 0x80, v5
; %bb.1606:
	s_xor_b32 s7, exec_lo, -1
; %bb.1607:
	s_or_b32 exec_lo, exec_lo, s13
	s_delay_alu instid0(SALU_CYCLE_1)
	s_and_b32 s7, s7, exec_lo
	s_or_saveexec_b32 s12, s12
	v_mov_b32_e32 v7, 0x7f800001
	s_xor_b32 exec_lo, exec_lo, s12
	s_cbranch_execnz .LBB35_1628
.LBB35_1608:
	s_or_b32 exec_lo, exec_lo, s12
	s_and_saveexec_b32 s12, s7
	s_cbranch_execz .LBB35_1610
.LBB35_1609:
	v_and_b32_e32 v7, 0xffff, v5
	s_delay_alu instid0(VALU_DEP_1) | instskip(SKIP_1) | instid1(VALU_DEP_2)
	v_and_b32_e32 v11, 3, v7
	v_bfe_u32 v14, v7, 2, 5
	v_clz_i32_u32_e32 v12, v11
	s_delay_alu instid0(VALU_DEP_2) | instskip(NEXT) | instid1(VALU_DEP_2)
	v_cmp_eq_u32_e32 vcc_lo, 0, v14
	v_min_u32_e32 v12, 32, v12
	s_delay_alu instid0(VALU_DEP_1) | instskip(NEXT) | instid1(VALU_DEP_1)
	v_subrev_nc_u32_e32 v13, 29, v12
	v_dual_lshlrev_b32 v7, v13, v7 :: v_dual_sub_nc_u32 v12, 30, v12
	s_delay_alu instid0(VALU_DEP_1) | instskip(NEXT) | instid1(VALU_DEP_1)
	v_dual_lshlrev_b32 v5, 24, v5 :: v_dual_bitop2_b32 v7, 3, v7 bitop3:0x40
	v_dual_cndmask_b32 v12, v14, v12 :: v_dual_cndmask_b32 v7, v11, v7
	s_delay_alu instid0(VALU_DEP_2) | instskip(NEXT) | instid1(VALU_DEP_2)
	v_and_b32_e32 v5, 0x80000000, v5
	v_lshl_add_u32 v11, v12, 23, 0x37800000
	s_delay_alu instid0(VALU_DEP_3) | instskip(NEXT) | instid1(VALU_DEP_1)
	v_lshlrev_b32_e32 v7, 21, v7
	v_or3_b32 v7, v5, v11, v7
.LBB35_1610:
	s_or_b32 exec_lo, exec_lo, s12
	s_delay_alu instid0(VALU_DEP_1) | instskip(SKIP_2) | instid1(VALU_DEP_2)
	v_bfe_u32 v5, v7, 16, 1
	v_cmp_o_f32_e32 vcc_lo, v7, v7
	s_mov_b32 s7, 0
	v_add3_u32 v5, v7, v5, 0x7fff
	s_delay_alu instid0(VALU_DEP_1) | instskip(NEXT) | instid1(VALU_DEP_1)
	v_lshrrev_b32_e32 v5, 16, v5
	v_cndmask_b32_e32 v5, 0x7fc0, v5, vcc_lo
	s_branch .LBB35_1616
.LBB35_1611:
	s_mov_b32 s7, -1
                                        ; implicit-def: $vgpr5
	s_branch .LBB35_1622
.LBB35_1612:
	s_or_saveexec_b32 s13, s13
	v_mov_b32_e32 v7, 0x7f800001
	s_xor_b32 exec_lo, exec_lo, s13
	s_cbranch_execz .LBB35_1595
.LBB35_1613:
	v_cmp_ne_u16_e32 vcc_lo, 0, v5
	v_mov_b32_e32 v7, 0
	s_and_not1_b32 s12, s12, exec_lo
	s_and_b32 s14, vcc_lo, exec_lo
	s_delay_alu instid0(SALU_CYCLE_1)
	s_or_b32 s12, s12, s14
	s_or_b32 exec_lo, exec_lo, s13
	s_and_saveexec_b32 s13, s12
	s_cbranch_execnz .LBB35_1596
	s_branch .LBB35_1597
.LBB35_1614:
	s_mov_b32 s7, -1
                                        ; implicit-def: $vgpr5
	s_branch .LBB35_1619
.LBB35_1615:
	s_mov_b32 s7, -1
                                        ; implicit-def: $vgpr5
.LBB35_1616:
	s_delay_alu instid0(SALU_CYCLE_1)
	s_and_b32 vcc_lo, exec_lo, s7
	s_cbranch_vccz .LBB35_1618
; %bb.1617:
	s_wait_loadcnt 0x0
	global_load_u8 v5, v[8:9], off
	s_wait_loadcnt 0x0
	v_lshlrev_b32_e32 v5, 24, v5
	s_delay_alu instid0(VALU_DEP_1) | instskip(NEXT) | instid1(VALU_DEP_1)
	v_and_b32_e32 v7, 0x7f000000, v5
	v_clz_i32_u32_e32 v11, v7
	v_add_nc_u32_e32 v13, 0x1000000, v7
	v_cmp_ne_u32_e32 vcc_lo, 0, v7
	s_delay_alu instid0(VALU_DEP_3) | instskip(NEXT) | instid1(VALU_DEP_1)
	v_min_u32_e32 v11, 32, v11
	v_sub_nc_u32_e64 v11, v11, 4 clamp
	s_delay_alu instid0(VALU_DEP_1) | instskip(NEXT) | instid1(VALU_DEP_1)
	v_lshlrev_b32_e32 v12, v11, v7
	v_dual_lshlrev_b32 v11, 23, v11 :: v_dual_lshrrev_b32 v12, 4, v12
	s_delay_alu instid0(VALU_DEP_1) | instskip(NEXT) | instid1(VALU_DEP_1)
	v_dual_sub_nc_u32 v11, v12, v11 :: v_dual_ashrrev_i32 v12, 8, v13
	v_add_nc_u32_e32 v11, 0x3c000000, v11
	s_delay_alu instid0(VALU_DEP_1) | instskip(NEXT) | instid1(VALU_DEP_1)
	v_and_or_b32 v11, 0x7f800000, v12, v11
	v_cndmask_b32_e32 v7, 0, v11, vcc_lo
	s_delay_alu instid0(VALU_DEP_1) | instskip(SKIP_1) | instid1(VALU_DEP_2)
	v_and_or_b32 v5, 0x80000000, v5, v7
	v_bfe_u32 v7, v7, 16, 1
	v_cmp_o_f32_e32 vcc_lo, v5, v5
	s_delay_alu instid0(VALU_DEP_2) | instskip(NEXT) | instid1(VALU_DEP_1)
	v_add3_u32 v7, v5, v7, 0x7fff
	v_lshrrev_b32_e32 v7, 16, v7
	s_delay_alu instid0(VALU_DEP_1)
	v_cndmask_b32_e32 v5, 0x7fc0, v7, vcc_lo
.LBB35_1618:
	s_mov_b32 s7, 0
.LBB35_1619:
	s_delay_alu instid0(SALU_CYCLE_1)
	s_and_not1_b32 vcc_lo, exec_lo, s7
	s_cbranch_vccnz .LBB35_1621
; %bb.1620:
	s_wait_loadcnt 0x0
	global_load_u8 v5, v[8:9], off
	s_wait_loadcnt 0x0
	v_lshlrev_b32_e32 v7, 25, v5
	v_lshlrev_b16 v5, 8, v5
	s_delay_alu instid0(VALU_DEP_1) | instskip(SKIP_1) | instid1(VALU_DEP_2)
	v_and_or_b32 v12, 0x7f00, v5, 0.5
	v_bfe_i32 v5, v5, 0, 16
	v_dual_add_f32 v12, -0.5, v12 :: v_dual_lshrrev_b32 v11, 4, v7
	v_cmp_gt_u32_e32 vcc_lo, 0x8000000, v7
	s_delay_alu instid0(VALU_DEP_2) | instskip(NEXT) | instid1(VALU_DEP_1)
	v_or_b32_e32 v11, 0x70000000, v11
	v_mul_f32_e32 v11, 0x7800000, v11
	s_delay_alu instid0(VALU_DEP_1) | instskip(NEXT) | instid1(VALU_DEP_1)
	v_cndmask_b32_e32 v7, v11, v12, vcc_lo
	v_and_or_b32 v5, 0x80000000, v5, v7
	v_bfe_u32 v7, v7, 16, 1
	s_delay_alu instid0(VALU_DEP_2) | instskip(NEXT) | instid1(VALU_DEP_2)
	v_cmp_o_f32_e32 vcc_lo, v5, v5
	v_add3_u32 v7, v5, v7, 0x7fff
	s_delay_alu instid0(VALU_DEP_1) | instskip(NEXT) | instid1(VALU_DEP_1)
	v_lshrrev_b32_e32 v7, 16, v7
	v_cndmask_b32_e32 v5, 0x7fc0, v7, vcc_lo
.LBB35_1621:
	s_mov_b32 s7, 0
	s_mov_b32 s12, -1
.LBB35_1622:
	s_and_not1_b32 vcc_lo, exec_lo, s7
	s_mov_b32 s7, 0
	s_cbranch_vccnz .LBB35_1633
; %bb.1623:
	s_cmp_gt_i32 s11, 14
	s_cbranch_scc0 .LBB35_1626
; %bb.1624:
	s_cmp_eq_u32 s11, 15
	s_cbranch_scc0 .LBB35_1629
; %bb.1625:
	s_wait_loadcnt 0x0
	global_load_u16 v5, v[8:9], off
	s_mov_b32 s6, 0
	s_mov_b32 s12, -1
	s_branch .LBB35_1631
.LBB35_1626:
	s_mov_b32 s7, -1
	s_branch .LBB35_1630
.LBB35_1627:
	s_or_saveexec_b32 s12, s12
	v_mov_b32_e32 v7, 0x7f800001
	s_xor_b32 exec_lo, exec_lo, s12
	s_cbranch_execz .LBB35_1608
.LBB35_1628:
	v_cmp_ne_u16_e32 vcc_lo, 0, v5
	v_mov_b32_e32 v7, 0
	s_and_not1_b32 s7, s7, exec_lo
	s_and_b32 s13, vcc_lo, exec_lo
	s_delay_alu instid0(SALU_CYCLE_1)
	s_or_b32 s7, s7, s13
	s_or_b32 exec_lo, exec_lo, s12
	s_and_saveexec_b32 s12, s7
	s_cbranch_execnz .LBB35_1609
	s_branch .LBB35_1610
.LBB35_1629:
	s_mov_b32 s6, -1
.LBB35_1630:
                                        ; implicit-def: $vgpr5
.LBB35_1631:
	s_and_b32 vcc_lo, exec_lo, s7
	s_mov_b32 s7, 0
	s_cbranch_vccz .LBB35_1633
; %bb.1632:
	s_cmp_lg_u32 s11, 11
	s_mov_b32 s7, -1
	s_cselect_b32 s6, -1, 0
.LBB35_1633:
	s_delay_alu instid0(SALU_CYCLE_1)
	s_and_b32 vcc_lo, exec_lo, s6
	s_cbranch_vccnz .LBB35_2168
; %bb.1634:
	s_and_not1_b32 vcc_lo, exec_lo, s7
	s_cbranch_vccnz .LBB35_1636
.LBB35_1635:
	s_wait_loadcnt 0x0
	global_load_u8 v5, v[8:9], off
	s_mov_b32 s12, -1
	s_wait_loadcnt 0x0
	v_cmp_ne_u16_e32 vcc_lo, 0, v5
	v_cndmask_b32_e64 v5, 0, 1.0, vcc_lo
	s_delay_alu instid0(VALU_DEP_1)
	v_lshrrev_b32_e32 v5, 16, v5
.LBB35_1636:
	s_mov_b32 s6, 0
.LBB35_1637:
	s_delay_alu instid0(SALU_CYCLE_1)
	s_and_b32 vcc_lo, exec_lo, s6
	s_cbranch_vccz .LBB35_1686
; %bb.1638:
	s_cmp_lt_i32 s11, 5
	s_cbranch_scc1 .LBB35_1643
; %bb.1639:
	s_cmp_lt_i32 s11, 8
	s_cbranch_scc1 .LBB35_1644
; %bb.1640:
	s_cmp_lt_i32 s11, 9
	s_cbranch_scc1 .LBB35_1645
; %bb.1641:
	s_cmp_gt_i32 s11, 9
	s_cbranch_scc0 .LBB35_1646
; %bb.1642:
	global_load_b64 v[12:13], v[8:9], off
	s_mov_b32 s6, 0
	s_wait_loadcnt 0x0
	v_cvt_f32_f64_e32 v5, v[12:13]
	s_delay_alu instid0(VALU_DEP_1) | instskip(SKIP_1) | instid1(VALU_DEP_2)
	v_bfe_u32 v7, v5, 16, 1
	v_cmp_o_f32_e32 vcc_lo, v5, v5
	v_add3_u32 v7, v5, v7, 0x7fff
	s_delay_alu instid0(VALU_DEP_1) | instskip(NEXT) | instid1(VALU_DEP_1)
	v_lshrrev_b32_e32 v7, 16, v7
	v_cndmask_b32_e32 v5, 0x7fc0, v7, vcc_lo
	s_branch .LBB35_1647
.LBB35_1643:
	s_mov_b32 s6, -1
                                        ; implicit-def: $vgpr5
	s_branch .LBB35_1665
.LBB35_1644:
	s_mov_b32 s6, -1
                                        ; implicit-def: $vgpr5
	s_branch .LBB35_1653
.LBB35_1645:
	s_mov_b32 s6, -1
                                        ; implicit-def: $vgpr5
	s_branch .LBB35_1650
.LBB35_1646:
	s_mov_b32 s6, -1
                                        ; implicit-def: $vgpr5
.LBB35_1647:
	s_delay_alu instid0(SALU_CYCLE_1)
	s_and_not1_b32 vcc_lo, exec_lo, s6
	s_cbranch_vccnz .LBB35_1649
; %bb.1648:
	s_wait_loadcnt 0x0
	global_load_b32 v5, v[8:9], off
	s_wait_loadcnt 0x0
	v_bfe_u32 v7, v5, 16, 1
	v_cmp_o_f32_e32 vcc_lo, v5, v5
	s_delay_alu instid0(VALU_DEP_2) | instskip(NEXT) | instid1(VALU_DEP_1)
	v_add3_u32 v7, v5, v7, 0x7fff
	v_lshrrev_b32_e32 v7, 16, v7
	s_delay_alu instid0(VALU_DEP_1)
	v_cndmask_b32_e32 v5, 0x7fc0, v7, vcc_lo
.LBB35_1649:
	s_mov_b32 s6, 0
.LBB35_1650:
	s_delay_alu instid0(SALU_CYCLE_1)
	s_and_not1_b32 vcc_lo, exec_lo, s6
	s_cbranch_vccnz .LBB35_1652
; %bb.1651:
	s_wait_loadcnt 0x0
	global_load_b32 v5, v[8:9], off
	s_wait_loadcnt 0x0
	v_cvt_f32_f16_e32 v7, v5
	v_cmp_o_f16_e32 vcc_lo, v5, v5
	s_delay_alu instid0(VALU_DEP_2) | instskip(NEXT) | instid1(VALU_DEP_1)
	v_bfe_u32 v11, v7, 16, 1
	v_add3_u32 v7, v7, v11, 0x7fff
	s_delay_alu instid0(VALU_DEP_1) | instskip(NEXT) | instid1(VALU_DEP_1)
	v_lshrrev_b32_e32 v7, 16, v7
	v_cndmask_b32_e32 v5, 0x7fc0, v7, vcc_lo
.LBB35_1652:
	s_mov_b32 s6, 0
.LBB35_1653:
	s_delay_alu instid0(SALU_CYCLE_1)
	s_and_not1_b32 vcc_lo, exec_lo, s6
	s_cbranch_vccnz .LBB35_1664
; %bb.1654:
	s_cmp_lt_i32 s11, 6
	s_cbranch_scc1 .LBB35_1657
; %bb.1655:
	s_cmp_gt_i32 s11, 6
	s_cbranch_scc0 .LBB35_1658
; %bb.1656:
	global_load_b64 v[12:13], v[8:9], off
	s_mov_b32 s6, 0
	s_wait_loadcnt 0x0
	v_cvt_f32_f64_e32 v5, v[12:13]
	s_delay_alu instid0(VALU_DEP_1) | instskip(SKIP_1) | instid1(VALU_DEP_2)
	v_bfe_u32 v7, v5, 16, 1
	v_cmp_o_f32_e32 vcc_lo, v5, v5
	v_add3_u32 v7, v5, v7, 0x7fff
	s_delay_alu instid0(VALU_DEP_1) | instskip(NEXT) | instid1(VALU_DEP_1)
	v_lshrrev_b32_e32 v7, 16, v7
	v_cndmask_b32_e32 v5, 0x7fc0, v7, vcc_lo
	s_branch .LBB35_1659
.LBB35_1657:
	s_mov_b32 s6, -1
                                        ; implicit-def: $vgpr5
	s_branch .LBB35_1662
.LBB35_1658:
	s_mov_b32 s6, -1
                                        ; implicit-def: $vgpr5
.LBB35_1659:
	s_delay_alu instid0(SALU_CYCLE_1)
	s_and_not1_b32 vcc_lo, exec_lo, s6
	s_cbranch_vccnz .LBB35_1661
; %bb.1660:
	s_wait_loadcnt 0x0
	global_load_b32 v5, v[8:9], off
	s_wait_loadcnt 0x0
	v_bfe_u32 v7, v5, 16, 1
	v_cmp_o_f32_e32 vcc_lo, v5, v5
	s_delay_alu instid0(VALU_DEP_2) | instskip(NEXT) | instid1(VALU_DEP_1)
	v_add3_u32 v7, v5, v7, 0x7fff
	v_lshrrev_b32_e32 v7, 16, v7
	s_delay_alu instid0(VALU_DEP_1)
	v_cndmask_b32_e32 v5, 0x7fc0, v7, vcc_lo
.LBB35_1661:
	s_mov_b32 s6, 0
.LBB35_1662:
	s_delay_alu instid0(SALU_CYCLE_1)
	s_and_not1_b32 vcc_lo, exec_lo, s6
	s_cbranch_vccnz .LBB35_1664
; %bb.1663:
	s_wait_loadcnt 0x0
	global_load_u16 v5, v[8:9], off
	s_wait_loadcnt 0x0
	v_cvt_f32_f16_e32 v7, v5
	v_cmp_o_f16_e32 vcc_lo, v5, v5
	s_delay_alu instid0(VALU_DEP_2) | instskip(NEXT) | instid1(VALU_DEP_1)
	v_bfe_u32 v11, v7, 16, 1
	v_add3_u32 v7, v7, v11, 0x7fff
	s_delay_alu instid0(VALU_DEP_1) | instskip(NEXT) | instid1(VALU_DEP_1)
	v_lshrrev_b32_e32 v7, 16, v7
	v_cndmask_b32_e32 v5, 0x7fc0, v7, vcc_lo
.LBB35_1664:
	s_mov_b32 s6, 0
.LBB35_1665:
	s_delay_alu instid0(SALU_CYCLE_1)
	s_and_not1_b32 vcc_lo, exec_lo, s6
	s_cbranch_vccnz .LBB35_1685
; %bb.1666:
	s_cmp_lt_i32 s11, 2
	s_cbranch_scc1 .LBB35_1670
; %bb.1667:
	s_cmp_lt_i32 s11, 3
	s_cbranch_scc1 .LBB35_1671
; %bb.1668:
	s_cmp_gt_i32 s11, 3
	s_cbranch_scc0 .LBB35_1672
; %bb.1669:
	global_load_b64 v[12:13], v[8:9], off
	s_mov_b32 s6, 0
	s_wait_loadcnt 0x0
	v_xor_b32_e32 v5, v12, v13
	v_cls_i32_e32 v7, v13
	s_delay_alu instid0(VALU_DEP_2) | instskip(NEXT) | instid1(VALU_DEP_1)
	v_ashrrev_i32_e32 v5, 31, v5
	v_add_nc_u32_e32 v5, 32, v5
	s_delay_alu instid0(VALU_DEP_1) | instskip(NEXT) | instid1(VALU_DEP_1)
	v_add_min_u32_e64 v5, v7, -1, v5
	v_lshlrev_b64_e32 v[12:13], v5, v[12:13]
	v_sub_nc_u32_e32 v5, 32, v5
	s_delay_alu instid0(VALU_DEP_2) | instskip(NEXT) | instid1(VALU_DEP_1)
	v_min_u32_e32 v7, 1, v12
	v_or_b32_e32 v7, v13, v7
	s_delay_alu instid0(VALU_DEP_1) | instskip(NEXT) | instid1(VALU_DEP_1)
	v_cvt_f32_i32_e32 v7, v7
	v_ldexp_f32 v5, v7, v5
	s_delay_alu instid0(VALU_DEP_1) | instskip(NEXT) | instid1(VALU_DEP_1)
	v_bfe_u32 v7, v5, 16, 1
	v_add3_u32 v5, v5, v7, 0x7fff
	s_delay_alu instid0(VALU_DEP_1)
	v_lshrrev_b32_e32 v5, 16, v5
	s_branch .LBB35_1673
.LBB35_1670:
	s_mov_b32 s6, -1
                                        ; implicit-def: $vgpr5
	s_branch .LBB35_1679
.LBB35_1671:
	s_mov_b32 s6, -1
                                        ; implicit-def: $vgpr5
	s_branch .LBB35_1676
.LBB35_1672:
	s_mov_b32 s6, -1
                                        ; implicit-def: $vgpr5
.LBB35_1673:
	s_delay_alu instid0(SALU_CYCLE_1)
	s_and_not1_b32 vcc_lo, exec_lo, s6
	s_cbranch_vccnz .LBB35_1675
; %bb.1674:
	s_wait_loadcnt 0x0
	global_load_b32 v5, v[8:9], off
	s_wait_loadcnt 0x0
	v_cvt_f32_i32_e32 v5, v5
	s_delay_alu instid0(VALU_DEP_1) | instskip(NEXT) | instid1(VALU_DEP_1)
	v_bfe_u32 v7, v5, 16, 1
	v_add3_u32 v5, v5, v7, 0x7fff
	s_delay_alu instid0(VALU_DEP_1)
	v_lshrrev_b32_e32 v5, 16, v5
.LBB35_1675:
	s_mov_b32 s6, 0
.LBB35_1676:
	s_delay_alu instid0(SALU_CYCLE_1)
	s_and_not1_b32 vcc_lo, exec_lo, s6
	s_cbranch_vccnz .LBB35_1678
; %bb.1677:
	s_wait_loadcnt 0x0
	global_load_i16 v5, v[8:9], off
	s_wait_loadcnt 0x0
	v_cvt_f32_i32_e32 v5, v5
	s_delay_alu instid0(VALU_DEP_1) | instskip(NEXT) | instid1(VALU_DEP_1)
	v_bfe_u32 v7, v5, 16, 1
	v_add3_u32 v5, v5, v7, 0x7fff
	s_delay_alu instid0(VALU_DEP_1)
	v_lshrrev_b32_e32 v5, 16, v5
.LBB35_1678:
	s_mov_b32 s6, 0
.LBB35_1679:
	s_delay_alu instid0(SALU_CYCLE_1)
	s_and_not1_b32 vcc_lo, exec_lo, s6
	s_cbranch_vccnz .LBB35_1685
; %bb.1680:
	s_cmp_gt_i32 s11, 0
	s_mov_b32 s6, 0
	s_cbranch_scc0 .LBB35_1682
; %bb.1681:
	s_wait_loadcnt 0x0
	global_load_i8 v5, v[8:9], off
	s_wait_loadcnt 0x0
	v_cvt_f32_i32_e32 v5, v5
	s_delay_alu instid0(VALU_DEP_1) | instskip(NEXT) | instid1(VALU_DEP_1)
	v_bfe_u32 v7, v5, 16, 1
	v_add3_u32 v5, v5, v7, 0x7fff
	s_delay_alu instid0(VALU_DEP_1)
	v_lshrrev_b32_e32 v5, 16, v5
	s_branch .LBB35_1683
.LBB35_1682:
	s_mov_b32 s6, -1
                                        ; implicit-def: $vgpr5
.LBB35_1683:
	s_delay_alu instid0(SALU_CYCLE_1)
	s_and_not1_b32 vcc_lo, exec_lo, s6
	s_cbranch_vccnz .LBB35_1685
; %bb.1684:
	s_wait_loadcnt 0x0
	global_load_u8 v5, v[8:9], off
	s_wait_loadcnt 0x0
	v_cvt_f32_ubyte0_e32 v5, v5
	s_delay_alu instid0(VALU_DEP_1) | instskip(NEXT) | instid1(VALU_DEP_1)
	v_bfe_u32 v7, v5, 16, 1
	v_add3_u32 v5, v5, v7, 0x7fff
	s_delay_alu instid0(VALU_DEP_1)
	v_lshrrev_b32_e32 v5, 16, v5
.LBB35_1685:
	s_mov_b32 s12, -1
.LBB35_1686:
	s_delay_alu instid0(SALU_CYCLE_1)
	s_and_not1_b32 vcc_lo, exec_lo, s12
	s_cbranch_vccnz .LBB35_2122
; %bb.1687:
	s_wait_loadcnt 0x0
	v_lshlrev_b32_e32 v8, 16, v5
	s_delay_alu instid0(VALU_DEP_1) | instskip(NEXT) | instid1(VALU_DEP_1)
	v_mul_f32_e32 v5, s0, v8
	v_cmp_nlt_f32_e32 vcc_lo, s1, v5
	s_and_saveexec_b32 s1, vcc_lo
	s_cbranch_execz .LBB35_1689
; %bb.1688:
	v_mul_f32_e32 v7, 0x3fb8aa3b, v5
	v_cmp_ngt_f32_e32 vcc_lo, 0xc2ce8ed0, v5
	s_mov_b32 s6, 0x3e9b6dac
	s_delay_alu instid0(VALU_DEP_2) | instskip(SKIP_1) | instid1(VALU_DEP_2)
	v_rndne_f32_e32 v8, v7
	v_fma_f32 v9, 0x3fb8aa3b, v5, -v7
	v_sub_f32_e32 v7, v7, v8
	s_delay_alu instid0(VALU_DEP_2) | instskip(SKIP_1) | instid1(VALU_DEP_2)
	v_fmamk_f32 v9, v5, 0x32a5705f, v9
	v_cvt_i32_f32_e32 v8, v8
	v_add_f32_e32 v7, v7, v9
	s_delay_alu instid0(VALU_DEP_1) | instskip(SKIP_1) | instid1(TRANS32_DEP_1)
	v_exp_f32_e32 v7, v7
	v_nop
	v_ldexp_f32 v7, v7, v8
	s_delay_alu instid0(VALU_DEP_1) | instskip(SKIP_1) | instid1(VALU_DEP_2)
	v_cndmask_b32_e32 v7, 0, v7, vcc_lo
	v_cmp_nlt_f32_e32 vcc_lo, 0x42b17218, v5
	v_cndmask_b32_e32 v7, 0x7f800000, v7, vcc_lo
	s_delay_alu instid0(VALU_DEP_1) | instskip(NEXT) | instid1(VALU_DEP_1)
	v_add_f32_e32 v5, 1.0, v7
	v_cvt_f64_f32_e32 v[8:9], v5
	s_delay_alu instid0(VALU_DEP_1) | instskip(SKIP_1) | instid1(VALU_DEP_1)
	v_frexp_exp_i32_f64_e32 v8, v[8:9]
	v_frexp_mant_f32_e32 v9, v5
	v_cmp_gt_f32_e32 vcc_lo, 0x3f2aaaab, v9
	s_delay_alu instid0(VALU_DEP_3) | instskip(NEXT) | instid1(VALU_DEP_1)
	v_subrev_co_ci_u32_e64 v11, null, 0, v8, vcc_lo
	v_dual_add_f32 v8, -1.0, v5 :: v_dual_sub_nc_u32 v9, 0, v11
	s_delay_alu instid0(VALU_DEP_1) | instskip(NEXT) | instid1(VALU_DEP_2)
	v_dual_sub_f32 v12, v8, v5 :: v_dual_sub_f32 v8, v7, v8
	v_ldexp_f32 v5, v5, v9
	s_delay_alu instid0(VALU_DEP_1) | instskip(NEXT) | instid1(VALU_DEP_1)
	v_dual_add_f32 v12, 1.0, v12 :: v_dual_add_f32 v13, 1.0, v5
	v_add_f32_e32 v8, v8, v12
	v_cmp_neq_f32_e32 vcc_lo, 0x7f800000, v7
	s_delay_alu instid0(VALU_DEP_3) | instskip(SKIP_1) | instid1(VALU_DEP_4)
	v_add_f32_e32 v12, -1.0, v13
	v_add_f32_e32 v15, -1.0, v5
	v_ldexp_f32 v8, v8, v9
	s_delay_alu instid0(VALU_DEP_2) | instskip(NEXT) | instid1(VALU_DEP_1)
	v_dual_sub_f32 v9, v5, v12 :: v_dual_add_f32 v12, 1.0, v15
	v_add_f32_e32 v14, v8, v9
	s_delay_alu instid0(VALU_DEP_1) | instskip(NEXT) | instid1(VALU_DEP_3)
	v_add_f32_e32 v16, v13, v14
	v_sub_f32_e32 v5, v5, v12
	s_delay_alu instid0(VALU_DEP_2) | instskip(NEXT) | instid1(VALU_DEP_1)
	v_rcp_f32_e32 v17, v16
	v_dual_add_f32 v5, v8, v5 :: v_dual_sub_f32 v8, v13, v16
	s_delay_alu instid0(VALU_DEP_1)
	v_dual_add_f32 v9, v15, v5 :: v_dual_add_f32 v19, v14, v8
	s_delay_alu instid0(TRANS32_DEP_1) | instid1(VALU_DEP_1)
	v_mul_f32_e32 v18, v9, v17
	s_delay_alu instid0(VALU_DEP_1) | instskip(NEXT) | instid1(VALU_DEP_1)
	v_dual_sub_f32 v20, v15, v9 :: v_dual_mul_f32 v12, v16, v18
	v_add_f32_e32 v5, v5, v20
	s_delay_alu instid0(VALU_DEP_2) | instskip(NEXT) | instid1(VALU_DEP_1)
	v_fma_f32 v14, v18, v16, -v12
	v_fmac_f32_e32 v14, v18, v19
	s_delay_alu instid0(VALU_DEP_1) | instskip(NEXT) | instid1(VALU_DEP_1)
	v_add_f32_e32 v8, v12, v14
	v_dual_sub_f32 v13, v9, v8 :: v_dual_mov_b32 v15, v8
	s_delay_alu instid0(VALU_DEP_1) | instskip(NEXT) | instid1(VALU_DEP_1)
	v_pk_add_f32 v[8:9], v[8:9], v[12:13] neg_lo:[0,1] neg_hi:[0,1]
	v_pk_add_f32 v[8:9], v[8:9], v[14:15] neg_lo:[0,1] neg_hi:[0,1]
	s_delay_alu instid0(VALU_DEP_1) | instskip(NEXT) | instid1(VALU_DEP_1)
	v_add_f32_e32 v5, v5, v9
	v_add_f32_e32 v5, v8, v5
	s_delay_alu instid0(VALU_DEP_1) | instskip(NEXT) | instid1(VALU_DEP_1)
	v_add_f32_e32 v9, v13, v5
	v_mul_f32_e32 v20, v17, v9
	s_delay_alu instid0(VALU_DEP_1) | instskip(NEXT) | instid1(VALU_DEP_1)
	v_mul_f32_e32 v14, v16, v20
	v_dual_fma_f32 v12, v20, v16, -v14 :: v_dual_sub_f32 v16, v13, v9
	s_delay_alu instid0(VALU_DEP_1) | instskip(NEXT) | instid1(VALU_DEP_1)
	v_fmac_f32_e32 v12, v20, v19
	v_add_f32_e32 v8, v14, v12
	s_delay_alu instid0(VALU_DEP_1) | instskip(NEXT) | instid1(VALU_DEP_1)
	v_dual_sub_f32 v15, v9, v8 :: v_dual_mov_b32 v13, v8
	v_pk_add_f32 v[8:9], v[8:9], v[14:15] neg_lo:[0,1] neg_hi:[0,1]
	v_add_f32_e32 v14, v18, v20
	v_add_f32_e32 v5, v5, v16
	s_delay_alu instid0(VALU_DEP_3) | instskip(SKIP_1) | instid1(VALU_DEP_2)
	v_pk_add_f32 v[8:9], v[8:9], v[12:13] neg_lo:[0,1] neg_hi:[0,1]
	v_cvt_f32_i32_e32 v12, v11
	v_add_f32_e32 v5, v5, v9
	s_delay_alu instid0(VALU_DEP_1) | instskip(NEXT) | instid1(VALU_DEP_1)
	v_dual_add_f32 v5, v8, v5 :: v_dual_sub_f32 v8, v14, v18
	v_dual_add_f32 v5, v15, v5 :: v_dual_sub_f32 v8, v20, v8
	s_delay_alu instid0(VALU_DEP_1) | instskip(NEXT) | instid1(VALU_DEP_1)
	v_mul_f32_e32 v5, v17, v5
	v_dual_add_f32 v5, v8, v5 :: v_dual_mov_b32 v8, 0x3f317218
	s_delay_alu instid0(VALU_DEP_1) | instskip(NEXT) | instid1(VALU_DEP_1)
	v_add_f32_e32 v15, v14, v5
	v_mul_f32_e32 v9, v15, v15
	s_delay_alu instid0(VALU_DEP_1) | instskip(NEXT) | instid1(VALU_DEP_1)
	v_dual_fmaak_f32 v16, s6, v9, 0x3ecc95a3 :: v_dual_mul_f32 v13, v15, v9
	v_fmaak_f32 v9, v9, v16, 0x3f2aaada
	s_delay_alu instid0(VALU_DEP_1) | instskip(NEXT) | instid1(VALU_DEP_1)
	v_pk_mul_f32 v[8:9], v[12:13], v[8:9]
	v_fma_f32 v11, 0x3f317218, v12, -v8
	v_mov_b32_e32 v16, v8
	s_delay_alu instid0(VALU_DEP_2) | instskip(NEXT) | instid1(VALU_DEP_1)
	v_dual_fmamk_f32 v12, v12, 0xb102e308, v11 :: v_dual_sub_f32 v11, v15, v14
	v_sub_f32_e32 v5, v5, v11
	v_ldexp_f32 v13, v15, 1
	s_delay_alu instid0(VALU_DEP_2) | instskip(NEXT) | instid1(VALU_DEP_2)
	v_ldexp_f32 v5, v5, 1
	v_pk_add_f32 v[14:15], v[8:9], v[12:13]
	s_delay_alu instid0(VALU_DEP_1) | instskip(NEXT) | instid1(VALU_DEP_1)
	v_dual_sub_f32 v11, v15, v13 :: v_dual_mov_b32 v13, v14
	v_dual_mov_b32 v24, v15 :: v_dual_sub_f32 v11, v9, v11
	v_pk_add_f32 v[8:9], v[14:15], v[8:9] neg_lo:[0,1] neg_hi:[0,1]
	s_delay_alu instid0(VALU_DEP_2) | instskip(NEXT) | instid1(VALU_DEP_1)
	v_add_f32_e32 v17, v5, v11
	v_pk_add_f32 v[18:19], v[14:15], v[16:17]
	s_delay_alu instid0(VALU_DEP_1) | instskip(NEXT) | instid1(VALU_DEP_1)
	v_mov_b32_e32 v9, v19
	v_pk_add_f32 v[20:21], v[12:13], v[8:9]
	v_mov_b32_e32 v20, v19
	v_pk_add_f32 v[8:9], v[12:13], v[8:9] neg_lo:[0,1] neg_hi:[0,1]
	s_delay_alu instid0(VALU_DEP_3) | instskip(NEXT) | instid1(VALU_DEP_1)
	v_dual_mov_b32 v16, v21 :: v_dual_mov_b32 v9, v21
	v_pk_add_f32 v[22:23], v[16:17], v[14:15] neg_lo:[0,1] neg_hi:[0,1]
	v_dual_mov_b32 v15, v14 :: v_dual_mov_b32 v14, v17
	s_delay_alu instid0(VALU_DEP_2) | instskip(NEXT) | instid1(VALU_DEP_1)
	v_dual_mov_b32 v5, v22 :: v_dual_mov_b32 v25, v22
	v_pk_add_f32 v[18:19], v[18:19], v[4:5] neg_lo:[0,1] neg_hi:[0,1]
	s_delay_alu instid0(VALU_DEP_2) | instskip(SKIP_1) | instid1(VALU_DEP_2)
	v_pk_add_f32 v[12:13], v[20:21], v[24:25] neg_lo:[0,1] neg_hi:[0,1]
	v_mov_b32_e32 v18, v8
	v_pk_add_f32 v[12:13], v[14:15], v[12:13] neg_lo:[0,1] neg_hi:[0,1]
	s_delay_alu instid0(VALU_DEP_1) | instskip(NEXT) | instid1(VALU_DEP_1)
	v_pk_add_f32 v[14:15], v[18:19], v[12:13]
	v_mov_b32_e32 v18, v15
	s_delay_alu instid0(VALU_DEP_1) | instskip(NEXT) | instid1(VALU_DEP_1)
	v_pk_add_f32 v[18:19], v[14:15], v[18:19]
	v_pk_add_f32 v[16:17], v[16:17], v[18:19]
	s_delay_alu instid0(VALU_DEP_1) | instskip(NEXT) | instid1(VALU_DEP_1)
	v_mov_b32_e32 v15, v16
	v_pk_add_f32 v[20:21], v[14:15], v[8:9] neg_lo:[0,1] neg_hi:[0,1]
	s_delay_alu instid0(VALU_DEP_1) | instskip(NEXT) | instid1(VALU_DEP_1)
	v_sub_f32_e32 v5, v14, v20
	v_dual_mov_b32 v13, v18 :: v_dual_sub_f32 v5, v8, v5
	s_delay_alu instid0(VALU_DEP_1) | instskip(NEXT) | instid1(VALU_DEP_1)
	v_pk_add_f32 v[12:13], v[12:13], v[20:21] neg_lo:[0,1] neg_hi:[0,1]
	v_add_f32_e32 v5, v12, v5
	s_delay_alu instid0(VALU_DEP_1) | instskip(NEXT) | instid1(VALU_DEP_1)
	v_add_f32_e32 v5, v5, v13
	v_add_f32_e32 v5, v16, v5
	s_delay_alu instid0(VALU_DEP_1) | instskip(SKIP_1) | instid1(VALU_DEP_2)
	v_cndmask_b32_e32 v5, 0x7f800000, v5, vcc_lo
	v_cmp_gt_f32_e64 vcc_lo, 0x33800000, |v7|
	v_cndmask_b32_e32 v5, v5, v7, vcc_lo
	s_delay_alu instid0(VALU_DEP_1) | instskip(NEXT) | instid1(VALU_DEP_1)
	v_div_scale_f32 v7, null, s0, s0, v5
	v_rcp_f32_e32 v8, v7
	v_nop
	s_delay_alu instid0(TRANS32_DEP_1) | instskip(NEXT) | instid1(VALU_DEP_1)
	v_fma_f32 v9, -v7, v8, 1.0
	v_fmac_f32_e32 v8, v9, v8
	v_div_scale_f32 v9, vcc_lo, v5, s0, v5
	s_delay_alu instid0(VALU_DEP_1) | instskip(NEXT) | instid1(VALU_DEP_1)
	v_mul_f32_e32 v11, v9, v8
	v_fma_f32 v12, -v7, v11, v9
	s_delay_alu instid0(VALU_DEP_1) | instskip(NEXT) | instid1(VALU_DEP_1)
	v_fmac_f32_e32 v11, v12, v8
	v_fma_f32 v7, -v7, v11, v9
	s_delay_alu instid0(VALU_DEP_1) | instskip(NEXT) | instid1(VALU_DEP_1)
	v_div_fmas_f32 v7, v7, v8, v11
	v_div_fixup_f32 v8, v7, s0, v5
.LBB35_1689:
	s_or_b32 exec_lo, exec_lo, s1
	s_load_b32 s0, s[2:3], 0x160
	v_bfe_u32 v5, v1, 16, 1
	v_cmp_o_f32_e32 vcc_lo, v1, v1
	s_delay_alu instid0(VALU_DEP_2) | instskip(NEXT) | instid1(VALU_DEP_1)
	v_add3_u32 v5, v1, v5, 0x7fff
	v_dual_mov_b32 v7, 0 :: v_dual_lshrrev_b32 v5, 16, v5
	s_delay_alu instid0(VALU_DEP_1) | instskip(NEXT) | instid1(VALU_DEP_2)
	v_add_nc_u64_e32 v[6:7], s[4:5], v[6:7]
	v_cndmask_b32_e32 v1, 0x7fc0, v5, vcc_lo
	s_wait_kmcnt 0x0
	s_and_b32 s1, s0, 0xff
	s_delay_alu instid0(SALU_CYCLE_1)
	s_cmp_lt_i32 s1, 11
	s_cbranch_scc1 .LBB35_1767
; %bb.1690:
	s_and_b32 s2, 0xffff, s1
	s_mov_b32 s7, -1
	s_mov_b32 s3, 0
	s_cmp_gt_i32 s2, 25
	s_mov_b32 s6, 0
	s_mov_b32 s0, 0
	s_cbranch_scc0 .LBB35_1723
; %bb.1691:
	s_cmp_gt_i32 s2, 28
	s_cbranch_scc0 .LBB35_1706
; %bb.1692:
	s_cmp_gt_i32 s2, 43
	;; [unrolled: 3-line block ×3, first 2 shown]
	s_cbranch_scc0 .LBB35_1696
; %bb.1694:
	s_mov_b32 s0, -1
	s_mov_b32 s7, 0
	s_cmp_eq_u32 s2, 46
	s_cbranch_scc0 .LBB35_1696
; %bb.1695:
	v_and_b32_e32 v5, 0xffff, v1
	s_mov_b32 s0, 0
	s_mov_b32 s6, -1
	global_store_b32 v[6:7], v5, off
.LBB35_1696:
	s_and_b32 vcc_lo, exec_lo, s7
	s_cbranch_vccz .LBB35_1701
; %bb.1697:
	s_cmp_eq_u32 s2, 44
	s_mov_b32 s0, -1
	s_cbranch_scc0 .LBB35_1701
; %bb.1698:
	s_wait_xcnt 0x0
	v_and_b32_e32 v5, 0xffff, v1
	v_mov_b32_e32 v9, 0xff
	s_mov_b32 s6, exec_lo
	s_delay_alu instid0(VALU_DEP_2) | instskip(NEXT) | instid1(VALU_DEP_1)
	v_bfe_u32 v11, v5, 7, 8
	v_cmpx_ne_u32_e32 0xff, v11
	s_cbranch_execz .LBB35_1700
; %bb.1699:
	v_dual_lshlrev_b32 v9, 16, v5 :: v_dual_bitop2_b32 v12, 64, v5 bitop3:0x40
	v_lshrrev_b32_e32 v5, 7, v5
	s_delay_alu instid0(VALU_DEP_2) | instskip(NEXT) | instid1(VALU_DEP_3)
	v_and_or_b32 v9, 0x3f0000, v9, v11
	v_cmp_ne_u32_e32 vcc_lo, 0, v12
	s_delay_alu instid0(VALU_DEP_2) | instskip(SKIP_1) | instid1(SALU_CYCLE_1)
	v_cmp_ne_u32_e64 s0, 0, v9
	s_and_b32 s0, vcc_lo, s0
	v_cndmask_b32_e64 v9, 0, 1, s0
	s_delay_alu instid0(VALU_DEP_1)
	v_add_nc_u32_e32 v9, v5, v9
.LBB35_1700:
	s_or_b32 exec_lo, exec_lo, s6
	s_mov_b32 s0, 0
	s_mov_b32 s6, -1
	global_store_b8 v[6:7], v9, off
.LBB35_1701:
	s_mov_b32 s7, 0
.LBB35_1702:
	s_delay_alu instid0(SALU_CYCLE_1)
	s_and_b32 vcc_lo, exec_lo, s7
	s_cbranch_vccz .LBB35_1705
; %bb.1703:
	s_cmp_eq_u32 s2, 29
	s_mov_b32 s0, -1
	s_cbranch_scc0 .LBB35_1705
; %bb.1704:
	s_wait_xcnt 0x0
	v_lshlrev_b32_e32 v5, 16, v1
	s_mov_b32 s0, 0
	s_mov_b32 s6, -1
	s_delay_alu instid0(VALU_DEP_1) | instskip(NEXT) | instid1(VALU_DEP_1)
	v_trunc_f32_e32 v5, v5
	v_mul_f32_e32 v9, 0x2f800000, v5
	s_delay_alu instid0(VALU_DEP_1) | instskip(NEXT) | instid1(VALU_DEP_1)
	v_floor_f32_e32 v9, v9
	v_fmamk_f32 v5, v9, 0xcf800000, v5
	v_cvt_u32_f32_e32 v13, v9
	s_delay_alu instid0(VALU_DEP_2)
	v_cvt_u32_f32_e32 v12, v5
	global_store_b64 v[6:7], v[12:13], off
.LBB35_1705:
	s_mov_b32 s7, 0
.LBB35_1706:
	s_delay_alu instid0(SALU_CYCLE_1)
	s_and_b32 vcc_lo, exec_lo, s7
	s_cbranch_vccz .LBB35_1722
; %bb.1707:
	s_cmp_lt_i32 s2, 27
	s_mov_b32 s6, -1
	s_cbranch_scc1 .LBB35_1713
; %bb.1708:
	s_cmp_gt_i32 s2, 27
	s_cbranch_scc0 .LBB35_1710
; %bb.1709:
	s_wait_xcnt 0x0
	v_lshlrev_b32_e32 v5, 16, v1
	s_mov_b32 s6, 0
	s_delay_alu instid0(VALU_DEP_1)
	v_cvt_u32_f32_e32 v5, v5
	global_store_b32 v[6:7], v5, off
.LBB35_1710:
	s_and_not1_b32 vcc_lo, exec_lo, s6
	s_cbranch_vccnz .LBB35_1712
; %bb.1711:
	s_wait_xcnt 0x0
	v_lshlrev_b32_e32 v5, 16, v1
	s_delay_alu instid0(VALU_DEP_1)
	v_cvt_u32_f32_e32 v5, v5
	global_store_b16 v[6:7], v5, off
.LBB35_1712:
	s_mov_b32 s6, 0
.LBB35_1713:
	s_delay_alu instid0(SALU_CYCLE_1)
	s_and_not1_b32 vcc_lo, exec_lo, s6
	s_cbranch_vccnz .LBB35_1721
; %bb.1714:
	s_wait_xcnt 0x0
	v_dual_mov_b32 v12, 0x80 :: v_dual_lshlrev_b32 v11, 16, v1
	s_mov_b32 s6, exec_lo
	s_delay_alu instid0(VALU_DEP_1) | instskip(NEXT) | instid1(VALU_DEP_1)
	v_and_b32_e32 v9, 0x7fffffff, v11
	v_cmpx_gt_u32_e32 0x43800000, v9
	s_cbranch_execz .LBB35_1720
; %bb.1715:
	v_and_b32_e32 v5, 0xffff, v1
	v_cmp_lt_u32_e32 vcc_lo, 0x3bffffff, v9
	s_mov_b32 s7, 0
                                        ; implicit-def: $vgpr9
	s_and_saveexec_b32 s11, vcc_lo
	s_delay_alu instid0(SALU_CYCLE_1)
	s_xor_b32 s11, exec_lo, s11
	s_cbranch_execz .LBB35_2169
; %bb.1716:
	v_bfe_u32 v9, v5, 4, 1
	s_mov_b32 s7, exec_lo
	s_delay_alu instid0(VALU_DEP_1) | instskip(NEXT) | instid1(VALU_DEP_1)
	v_add3_u32 v9, v11, v9, 0x487ffff
                                        ; implicit-def: $vgpr11
	v_lshrrev_b32_e32 v9, 20, v9
	s_and_not1_saveexec_b32 s11, s11
	s_cbranch_execnz .LBB35_2170
.LBB35_1717:
	s_or_b32 exec_lo, exec_lo, s11
	v_mov_b32_e32 v12, 0
	s_and_saveexec_b32 s11, s7
.LBB35_1718:
	v_lshrrev_b32_e32 v5, 8, v5
	s_delay_alu instid0(VALU_DEP_1)
	v_and_or_b32 v12, 0x80, v5, v9
.LBB35_1719:
	s_or_b32 exec_lo, exec_lo, s11
.LBB35_1720:
	s_delay_alu instid0(SALU_CYCLE_1)
	s_or_b32 exec_lo, exec_lo, s6
	global_store_b8 v[6:7], v12, off
.LBB35_1721:
	s_mov_b32 s6, -1
.LBB35_1722:
	s_mov_b32 s7, 0
.LBB35_1723:
	s_delay_alu instid0(SALU_CYCLE_1)
	s_and_b32 vcc_lo, exec_lo, s7
	s_cbranch_vccz .LBB35_1763
; %bb.1724:
	s_cmp_gt_i32 s2, 22
	s_mov_b32 s3, -1
	s_cbranch_scc0 .LBB35_1756
; %bb.1725:
	s_cmp_lt_i32 s2, 24
	s_cbranch_scc1 .LBB35_1745
; %bb.1726:
	s_cmp_gt_i32 s2, 24
	s_cbranch_scc0 .LBB35_1734
; %bb.1727:
	s_wait_xcnt 0x0
	v_dual_mov_b32 v12, 0x80 :: v_dual_lshlrev_b32 v11, 16, v1
	s_mov_b32 s3, exec_lo
	s_delay_alu instid0(VALU_DEP_1) | instskip(NEXT) | instid1(VALU_DEP_1)
	v_and_b32_e32 v9, 0x7fffffff, v11
	v_cmpx_gt_u32_e32 0x47800000, v9
	s_cbranch_execz .LBB35_1733
; %bb.1728:
	v_and_b32_e32 v5, 0xffff, v1
	v_cmp_lt_u32_e32 vcc_lo, 0x37ffffff, v9
	s_mov_b32 s6, 0
                                        ; implicit-def: $vgpr9
	s_and_saveexec_b32 s7, vcc_lo
	s_delay_alu instid0(SALU_CYCLE_1)
	s_xor_b32 s7, exec_lo, s7
	s_cbranch_execz .LBB35_2172
; %bb.1729:
	v_bfe_u32 v9, v5, 5, 1
	s_mov_b32 s6, exec_lo
	s_delay_alu instid0(VALU_DEP_1) | instskip(NEXT) | instid1(VALU_DEP_1)
	v_add3_u32 v9, v11, v9, 0x88fffff
                                        ; implicit-def: $vgpr11
	v_lshrrev_b32_e32 v9, 21, v9
	s_and_not1_saveexec_b32 s7, s7
	s_cbranch_execnz .LBB35_2173
.LBB35_1730:
	s_or_b32 exec_lo, exec_lo, s7
	v_mov_b32_e32 v12, 0
	s_and_saveexec_b32 s7, s6
.LBB35_1731:
	v_lshrrev_b32_e32 v5, 8, v5
	s_delay_alu instid0(VALU_DEP_1)
	v_and_or_b32 v12, 0x80, v5, v9
.LBB35_1732:
	s_or_b32 exec_lo, exec_lo, s7
.LBB35_1733:
	s_delay_alu instid0(SALU_CYCLE_1)
	s_or_b32 exec_lo, exec_lo, s3
	s_mov_b32 s3, 0
	global_store_b8 v[6:7], v12, off
.LBB35_1734:
	s_and_b32 vcc_lo, exec_lo, s3
	s_cbranch_vccz .LBB35_1744
; %bb.1735:
	v_lshlrev_b32_e32 v11, 16, v1
	s_wait_xcnt 0x0
	v_and_b32_e32 v5, 0xffff, v1
	s_mov_b32 s3, exec_lo
                                        ; implicit-def: $vgpr9
	s_delay_alu instid0(VALU_DEP_2) | instskip(NEXT) | instid1(VALU_DEP_1)
	v_and_b32_e32 v12, 0x7fffffff, v11
	v_cmpx_gt_u32_e32 0x43f00000, v12
	s_xor_b32 s3, exec_lo, s3
	s_cbranch_execz .LBB35_1741
; %bb.1736:
	s_mov_b32 s6, exec_lo
                                        ; implicit-def: $vgpr9
	v_cmpx_lt_u32_e32 0x3c7fffff, v12
	s_xor_b32 s6, exec_lo, s6
; %bb.1737:
	v_bfe_u32 v9, v5, 4, 1
	s_delay_alu instid0(VALU_DEP_1) | instskip(NEXT) | instid1(VALU_DEP_1)
	v_add3_u32 v9, v11, v9, 0x407ffff
	v_and_b32_e32 v11, 0xff00000, v9
	v_lshrrev_b32_e32 v9, 20, v9
	s_delay_alu instid0(VALU_DEP_2) | instskip(NEXT) | instid1(VALU_DEP_2)
	v_cmp_ne_u32_e32 vcc_lo, 0x7f00000, v11
                                        ; implicit-def: $vgpr11
	v_cndmask_b32_e32 v9, 0x7e, v9, vcc_lo
; %bb.1738:
	s_and_not1_saveexec_b32 s6, s6
; %bb.1739:
	v_add_f32_e64 v9, 0x46800000, |v11|
; %bb.1740:
	s_or_b32 exec_lo, exec_lo, s6
                                        ; implicit-def: $vgpr12
.LBB35_1741:
	s_and_not1_saveexec_b32 s3, s3
; %bb.1742:
	v_mov_b32_e32 v9, 0x7f
	v_cmp_lt_u32_e32 vcc_lo, 0x7f800000, v12
	s_delay_alu instid0(VALU_DEP_2)
	v_cndmask_b32_e32 v9, 0x7e, v9, vcc_lo
; %bb.1743:
	s_or_b32 exec_lo, exec_lo, s3
	v_lshrrev_b32_e32 v5, 8, v5
	s_delay_alu instid0(VALU_DEP_1)
	v_and_or_b32 v5, 0x80, v5, v9
	global_store_b8 v[6:7], v5, off
.LBB35_1744:
	s_mov_b32 s3, 0
.LBB35_1745:
	s_delay_alu instid0(SALU_CYCLE_1)
	s_and_not1_b32 vcc_lo, exec_lo, s3
	s_cbranch_vccnz .LBB35_1755
; %bb.1746:
	v_lshlrev_b32_e32 v11, 16, v1
	s_wait_xcnt 0x0
	v_and_b32_e32 v5, 0xffff, v1
	s_mov_b32 s3, exec_lo
                                        ; implicit-def: $vgpr9
	s_delay_alu instid0(VALU_DEP_2) | instskip(NEXT) | instid1(VALU_DEP_1)
	v_and_b32_e32 v12, 0x7fffffff, v11
	v_cmpx_gt_u32_e32 0x47800000, v12
	s_xor_b32 s3, exec_lo, s3
	s_cbranch_execz .LBB35_1752
; %bb.1747:
	s_mov_b32 s6, exec_lo
                                        ; implicit-def: $vgpr9
	v_cmpx_lt_u32_e32 0x387fffff, v12
	s_xor_b32 s6, exec_lo, s6
; %bb.1748:
	v_bfe_u32 v9, v5, 5, 1
	s_delay_alu instid0(VALU_DEP_1) | instskip(NEXT) | instid1(VALU_DEP_1)
	v_add3_u32 v9, v11, v9, 0x80fffff
                                        ; implicit-def: $vgpr11
	v_lshrrev_b32_e32 v9, 21, v9
; %bb.1749:
	s_and_not1_saveexec_b32 s6, s6
; %bb.1750:
	v_add_f32_e64 v9, 0x43000000, |v11|
; %bb.1751:
	s_or_b32 exec_lo, exec_lo, s6
                                        ; implicit-def: $vgpr12
.LBB35_1752:
	s_and_not1_saveexec_b32 s3, s3
; %bb.1753:
	v_mov_b32_e32 v9, 0x7f
	v_cmp_lt_u32_e32 vcc_lo, 0x7f800000, v12
	s_delay_alu instid0(VALU_DEP_2)
	v_cndmask_b32_e32 v9, 0x7c, v9, vcc_lo
; %bb.1754:
	s_or_b32 exec_lo, exec_lo, s3
	v_lshrrev_b32_e32 v5, 8, v5
	s_delay_alu instid0(VALU_DEP_1)
	v_and_or_b32 v5, 0x80, v5, v9
	global_store_b8 v[6:7], v5, off
.LBB35_1755:
	s_mov_b32 s3, 0
	s_mov_b32 s6, -1
.LBB35_1756:
	s_and_not1_b32 vcc_lo, exec_lo, s3
	s_mov_b32 s3, 0
	s_cbranch_vccnz .LBB35_1763
; %bb.1757:
	s_cmp_gt_i32 s2, 14
	s_mov_b32 s3, -1
	s_cbranch_scc0 .LBB35_1761
; %bb.1758:
	s_cmp_eq_u32 s2, 15
	s_mov_b32 s0, -1
	s_cbranch_scc0 .LBB35_1760
; %bb.1759:
	s_mov_b32 s0, 0
	s_mov_b32 s6, -1
	global_store_b16 v[6:7], v1, off
.LBB35_1760:
	s_mov_b32 s3, 0
.LBB35_1761:
	s_delay_alu instid0(SALU_CYCLE_1)
	s_and_b32 vcc_lo, exec_lo, s3
	s_mov_b32 s3, 0
	s_cbranch_vccz .LBB35_1763
; %bb.1762:
	s_cmp_lg_u32 s2, 11
	s_mov_b32 s3, -1
	s_cselect_b32 s0, -1, 0
.LBB35_1763:
	s_delay_alu instid0(SALU_CYCLE_1)
	s_and_b32 vcc_lo, exec_lo, s0
	s_cbranch_vccnz .LBB35_2171
; %bb.1764:
	s_and_not1_b32 vcc_lo, exec_lo, s3
	s_cbranch_vccnz .LBB35_1766
.LBB35_1765:
	s_wait_xcnt 0x0
	v_and_b32_e32 v5, 0x7fff, v1
	s_mov_b32 s6, -1
	s_delay_alu instid0(VALU_DEP_1)
	v_cmp_ne_u16_e32 vcc_lo, 0, v5
	v_cndmask_b32_e64 v5, 0, 1, vcc_lo
	global_store_b8 v[6:7], v5, off
.LBB35_1766:
	s_mov_b32 s0, 0
	s_branch .LBB35_1768
.LBB35_1767:
	s_mov_b32 s0, -1
	s_mov_b32 s6, 0
.LBB35_1768:
	s_and_b32 vcc_lo, exec_lo, s0
	s_cbranch_vccz .LBB35_1807
; %bb.1769:
	s_and_b32 s0, 0xffff, s1
	s_mov_b32 s2, -1
	s_cmp_lt_i32 s0, 5
	s_cbranch_scc1 .LBB35_1790
; %bb.1770:
	s_cmp_lt_i32 s0, 8
	s_cbranch_scc1 .LBB35_1780
; %bb.1771:
	;; [unrolled: 3-line block ×3, first 2 shown]
	s_cmp_gt_i32 s0, 9
	s_cbranch_scc0 .LBB35_1774
; %bb.1773:
	s_wait_xcnt 0x0
	v_dual_mov_b32 v14, 0 :: v_dual_lshlrev_b32 v5, 16, v1
	s_mov_b32 s2, 0
	s_delay_alu instid0(VALU_DEP_1) | instskip(NEXT) | instid1(VALU_DEP_2)
	v_cvt_f64_f32_e32 v[12:13], v5
	v_mov_b32_e32 v15, v14
	global_store_b128 v[6:7], v[12:15], off
.LBB35_1774:
	s_and_not1_b32 vcc_lo, exec_lo, s2
	s_cbranch_vccnz .LBB35_1776
; %bb.1775:
	s_wait_xcnt 0x0
	v_dual_mov_b32 v13, 0 :: v_dual_lshlrev_b32 v12, 16, v1
	global_store_b64 v[6:7], v[12:13], off
.LBB35_1776:
	s_mov_b32 s2, 0
.LBB35_1777:
	s_delay_alu instid0(SALU_CYCLE_1)
	s_and_not1_b32 vcc_lo, exec_lo, s2
	s_cbranch_vccnz .LBB35_1779
; %bb.1778:
	s_wait_xcnt 0x0
	v_lshlrev_b32_e32 v5, 16, v1
	s_delay_alu instid0(VALU_DEP_1) | instskip(NEXT) | instid1(VALU_DEP_1)
	v_cvt_f16_f32_e32 v5, v5
	v_and_b32_e32 v5, 0xffff, v5
	global_store_b32 v[6:7], v5, off
.LBB35_1779:
	s_mov_b32 s2, 0
.LBB35_1780:
	s_delay_alu instid0(SALU_CYCLE_1)
	s_and_not1_b32 vcc_lo, exec_lo, s2
	s_cbranch_vccnz .LBB35_1789
; %bb.1781:
	s_cmp_lt_i32 s0, 6
	s_mov_b32 s2, -1
	s_cbranch_scc1 .LBB35_1787
; %bb.1782:
	s_cmp_gt_i32 s0, 6
	s_cbranch_scc0 .LBB35_1784
; %bb.1783:
	s_wait_xcnt 0x0
	v_lshlrev_b32_e32 v5, 16, v1
	s_mov_b32 s2, 0
	s_delay_alu instid0(VALU_DEP_1)
	v_cvt_f64_f32_e32 v[12:13], v5
	global_store_b64 v[6:7], v[12:13], off
.LBB35_1784:
	s_and_not1_b32 vcc_lo, exec_lo, s2
	s_cbranch_vccnz .LBB35_1786
; %bb.1785:
	s_wait_xcnt 0x0
	v_lshlrev_b32_e32 v5, 16, v1
	global_store_b32 v[6:7], v5, off
.LBB35_1786:
	s_mov_b32 s2, 0
.LBB35_1787:
	s_delay_alu instid0(SALU_CYCLE_1)
	s_and_not1_b32 vcc_lo, exec_lo, s2
	s_cbranch_vccnz .LBB35_1789
; %bb.1788:
	s_wait_xcnt 0x0
	v_lshlrev_b32_e32 v5, 16, v1
	s_delay_alu instid0(VALU_DEP_1)
	v_cvt_f16_f32_e32 v5, v5
	global_store_b16 v[6:7], v5, off
.LBB35_1789:
	s_mov_b32 s2, 0
.LBB35_1790:
	s_delay_alu instid0(SALU_CYCLE_1)
	s_and_not1_b32 vcc_lo, exec_lo, s2
	s_cbranch_vccnz .LBB35_1806
; %bb.1791:
	s_cmp_lt_i32 s0, 2
	s_mov_b32 s2, -1
	s_cbranch_scc1 .LBB35_1801
; %bb.1792:
	s_cmp_lt_i32 s0, 3
	s_cbranch_scc1 .LBB35_1798
; %bb.1793:
	s_cmp_gt_i32 s0, 3
	s_cbranch_scc0 .LBB35_1795
; %bb.1794:
	s_wait_xcnt 0x0
	v_lshlrev_b32_e32 v5, 16, v1
	s_mov_b32 s2, 0
	s_delay_alu instid0(VALU_DEP_1) | instskip(NEXT) | instid1(VALU_DEP_1)
	v_trunc_f32_e32 v5, v5
	v_mul_f32_e64 v9, 0x2f800000, |v5|
	v_ashrrev_i32_e32 v12, 31, v5
	s_delay_alu instid0(VALU_DEP_2) | instskip(NEXT) | instid1(VALU_DEP_2)
	v_floor_f32_e32 v9, v9
	v_mov_b32_e32 v13, v12
	s_delay_alu instid0(VALU_DEP_2) | instskip(SKIP_1) | instid1(VALU_DEP_2)
	v_fma_f32 v11, 0xcf800000, v9, |v5|
	v_cvt_u32_f32_e32 v5, v9
	v_cvt_u32_f32_e32 v9, v11
	s_delay_alu instid0(VALU_DEP_2) | instskip(NEXT) | instid1(VALU_DEP_2)
	v_xor_b32_e32 v15, v5, v12
	v_xor_b32_e32 v14, v9, v12
	s_delay_alu instid0(VALU_DEP_1)
	v_sub_nc_u64_e32 v[12:13], v[14:15], v[12:13]
	global_store_b64 v[6:7], v[12:13], off
.LBB35_1795:
	s_and_not1_b32 vcc_lo, exec_lo, s2
	s_cbranch_vccnz .LBB35_1797
; %bb.1796:
	s_wait_xcnt 0x0
	v_lshlrev_b32_e32 v5, 16, v1
	s_delay_alu instid0(VALU_DEP_1)
	v_cvt_i32_f32_e32 v5, v5
	global_store_b32 v[6:7], v5, off
.LBB35_1797:
	s_mov_b32 s2, 0
.LBB35_1798:
	s_delay_alu instid0(SALU_CYCLE_1)
	s_and_not1_b32 vcc_lo, exec_lo, s2
	s_cbranch_vccnz .LBB35_1800
; %bb.1799:
	s_wait_xcnt 0x0
	v_lshlrev_b32_e32 v5, 16, v1
	s_delay_alu instid0(VALU_DEP_1)
	v_cvt_i32_f32_e32 v5, v5
	global_store_b16 v[6:7], v5, off
.LBB35_1800:
	s_mov_b32 s2, 0
.LBB35_1801:
	s_delay_alu instid0(SALU_CYCLE_1)
	s_and_not1_b32 vcc_lo, exec_lo, s2
	s_cbranch_vccnz .LBB35_1806
; %bb.1802:
	s_wait_xcnt 0x0
	v_lshlrev_b32_e32 v1, 16, v1
	s_cmp_gt_i32 s0, 0
	s_mov_b32 s0, -1
	s_cbranch_scc0 .LBB35_1804
; %bb.1803:
	s_delay_alu instid0(VALU_DEP_1)
	v_cvt_i32_f32_e32 v5, v1
	s_mov_b32 s0, 0
	global_store_b8 v[6:7], v5, off
.LBB35_1804:
	s_and_not1_b32 vcc_lo, exec_lo, s0
	s_cbranch_vccnz .LBB35_1806
; %bb.1805:
	v_trunc_f32_e32 v1, v1
	s_wait_xcnt 0x0
	s_delay_alu instid0(VALU_DEP_1) | instskip(NEXT) | instid1(VALU_DEP_1)
	v_mul_f32_e64 v5, 0x2f800000, |v1|
	v_floor_f32_e32 v5, v5
	s_delay_alu instid0(VALU_DEP_1) | instskip(SKIP_1) | instid1(VALU_DEP_2)
	v_fma_f32 v5, 0xcf800000, v5, |v1|
	v_ashrrev_i32_e32 v1, 31, v1
	v_cvt_u32_f32_e32 v5, v5
	s_delay_alu instid0(VALU_DEP_1) | instskip(NEXT) | instid1(VALU_DEP_1)
	v_xor_b32_e32 v5, v5, v1
	v_sub_nc_u32_e32 v1, v5, v1
	global_store_b8 v[6:7], v1, off
.LBB35_1806:
	s_mov_b32 s6, -1
.LBB35_1807:
	s_delay_alu instid0(SALU_CYCLE_1)
	s_and_not1_b32 vcc_lo, exec_lo, s6
	s_cbranch_vccnz .LBB35_2122
; %bb.1808:
	s_wait_xcnt 0x0
	v_bfe_u32 v1, v3, 16, 1
	v_cmp_o_f32_e32 vcc_lo, v3, v3
	s_and_b32 s2, 0xffff, s1
	s_delay_alu instid0(SALU_CYCLE_1) | instskip(NEXT) | instid1(VALU_DEP_2)
	s_cmp_lt_i32 s2, 11
	v_add3_u32 v1, v3, v1, 0x7fff
	s_delay_alu instid0(VALU_DEP_1) | instskip(NEXT) | instid1(VALU_DEP_1)
	v_dual_mov_b32 v5, 0 :: v_dual_lshrrev_b32 v1, 16, v1
	v_add_nc_u64_e32 v[4:5], s[4:5], v[4:5]
	s_delay_alu instid0(VALU_DEP_2)
	v_cndmask_b32_e32 v1, 0x7fc0, v1, vcc_lo
	s_cbranch_scc1 .LBB35_1886
; %bb.1809:
	s_mov_b32 s7, -1
	s_mov_b32 s3, 0
	s_cmp_gt_i32 s2, 25
	s_mov_b32 s6, 0
	s_mov_b32 s0, 0
	s_cbranch_scc0 .LBB35_1842
; %bb.1810:
	s_cmp_gt_i32 s2, 28
	s_cbranch_scc0 .LBB35_1825
; %bb.1811:
	s_cmp_gt_i32 s2, 43
	;; [unrolled: 3-line block ×3, first 2 shown]
	s_cbranch_scc0 .LBB35_1815
; %bb.1813:
	s_mov_b32 s0, -1
	s_mov_b32 s7, 0
	s_cmp_eq_u32 s2, 46
	s_cbranch_scc0 .LBB35_1815
; %bb.1814:
	v_and_b32_e32 v3, 0xffff, v1
	s_mov_b32 s0, 0
	s_mov_b32 s6, -1
	global_store_b32 v[4:5], v3, off
.LBB35_1815:
	s_and_b32 vcc_lo, exec_lo, s7
	s_cbranch_vccz .LBB35_1820
; %bb.1816:
	s_cmp_eq_u32 s2, 44
	s_mov_b32 s0, -1
	s_cbranch_scc0 .LBB35_1820
; %bb.1817:
	s_wait_xcnt 0x0
	v_and_b32_e32 v3, 0xffff, v1
	v_mov_b32_e32 v6, 0xff
	s_mov_b32 s6, exec_lo
	s_delay_alu instid0(VALU_DEP_2) | instskip(NEXT) | instid1(VALU_DEP_1)
	v_bfe_u32 v7, v3, 7, 8
	v_cmpx_ne_u32_e32 0xff, v7
	s_cbranch_execz .LBB35_1819
; %bb.1818:
	v_dual_lshlrev_b32 v6, 16, v3 :: v_dual_bitop2_b32 v9, 64, v3 bitop3:0x40
	v_lshrrev_b32_e32 v3, 7, v3
	s_delay_alu instid0(VALU_DEP_2) | instskip(NEXT) | instid1(VALU_DEP_3)
	v_and_or_b32 v6, 0x3f0000, v6, v7
	v_cmp_ne_u32_e32 vcc_lo, 0, v9
	s_delay_alu instid0(VALU_DEP_2) | instskip(SKIP_1) | instid1(SALU_CYCLE_1)
	v_cmp_ne_u32_e64 s0, 0, v6
	s_and_b32 s0, vcc_lo, s0
	v_cndmask_b32_e64 v6, 0, 1, s0
	s_delay_alu instid0(VALU_DEP_1)
	v_add_nc_u32_e32 v6, v3, v6
.LBB35_1819:
	s_or_b32 exec_lo, exec_lo, s6
	s_mov_b32 s0, 0
	s_mov_b32 s6, -1
	global_store_b8 v[4:5], v6, off
.LBB35_1820:
	s_mov_b32 s7, 0
.LBB35_1821:
	s_delay_alu instid0(SALU_CYCLE_1)
	s_and_b32 vcc_lo, exec_lo, s7
	s_cbranch_vccz .LBB35_1824
; %bb.1822:
	s_cmp_eq_u32 s2, 29
	s_mov_b32 s0, -1
	s_cbranch_scc0 .LBB35_1824
; %bb.1823:
	s_wait_xcnt 0x0
	v_lshlrev_b32_e32 v3, 16, v1
	s_mov_b32 s0, 0
	s_mov_b32 s6, -1
	s_delay_alu instid0(VALU_DEP_1) | instskip(NEXT) | instid1(VALU_DEP_1)
	v_trunc_f32_e32 v3, v3
	v_mul_f32_e32 v6, 0x2f800000, v3
	s_delay_alu instid0(VALU_DEP_1) | instskip(NEXT) | instid1(VALU_DEP_1)
	v_floor_f32_e32 v6, v6
	v_fmamk_f32 v3, v6, 0xcf800000, v3
	v_cvt_u32_f32_e32 v7, v6
	s_delay_alu instid0(VALU_DEP_2)
	v_cvt_u32_f32_e32 v6, v3
	global_store_b64 v[4:5], v[6:7], off
.LBB35_1824:
	s_mov_b32 s7, 0
.LBB35_1825:
	s_delay_alu instid0(SALU_CYCLE_1)
	s_and_b32 vcc_lo, exec_lo, s7
	s_cbranch_vccz .LBB35_1841
; %bb.1826:
	s_cmp_lt_i32 s2, 27
	s_mov_b32 s6, -1
	s_cbranch_scc1 .LBB35_1832
; %bb.1827:
	s_cmp_gt_i32 s2, 27
	s_cbranch_scc0 .LBB35_1829
; %bb.1828:
	s_wait_xcnt 0x0
	v_lshlrev_b32_e32 v3, 16, v1
	s_mov_b32 s6, 0
	s_delay_alu instid0(VALU_DEP_1)
	v_cvt_u32_f32_e32 v3, v3
	global_store_b32 v[4:5], v3, off
.LBB35_1829:
	s_and_not1_b32 vcc_lo, exec_lo, s6
	s_cbranch_vccnz .LBB35_1831
; %bb.1830:
	s_wait_xcnt 0x0
	v_lshlrev_b32_e32 v3, 16, v1
	s_delay_alu instid0(VALU_DEP_1)
	v_cvt_u32_f32_e32 v3, v3
	global_store_b16 v[4:5], v3, off
.LBB35_1831:
	s_mov_b32 s6, 0
.LBB35_1832:
	s_delay_alu instid0(SALU_CYCLE_1)
	s_and_not1_b32 vcc_lo, exec_lo, s6
	s_cbranch_vccnz .LBB35_1840
; %bb.1833:
	s_wait_xcnt 0x0
	v_lshlrev_b32_e32 v7, 16, v1
	v_mov_b32_e32 v9, 0x80
	s_mov_b32 s6, exec_lo
	s_delay_alu instid0(VALU_DEP_2) | instskip(NEXT) | instid1(VALU_DEP_1)
	v_and_b32_e32 v6, 0x7fffffff, v7
	v_cmpx_gt_u32_e32 0x43800000, v6
	s_cbranch_execz .LBB35_1839
; %bb.1834:
	v_and_b32_e32 v3, 0xffff, v1
	v_cmp_lt_u32_e32 vcc_lo, 0x3bffffff, v6
	s_mov_b32 s7, 0
                                        ; implicit-def: $vgpr6
	s_and_saveexec_b32 s11, vcc_lo
	s_delay_alu instid0(SALU_CYCLE_1)
	s_xor_b32 s11, exec_lo, s11
	s_cbranch_execz .LBB35_2174
; %bb.1835:
	v_bfe_u32 v6, v3, 4, 1
	s_mov_b32 s7, exec_lo
	s_delay_alu instid0(VALU_DEP_1) | instskip(NEXT) | instid1(VALU_DEP_1)
	v_add3_u32 v6, v7, v6, 0x487ffff
                                        ; implicit-def: $vgpr7
	v_lshrrev_b32_e32 v6, 20, v6
	s_and_not1_saveexec_b32 s11, s11
	s_cbranch_execnz .LBB35_2175
.LBB35_1836:
	s_or_b32 exec_lo, exec_lo, s11
	v_mov_b32_e32 v9, 0
	s_and_saveexec_b32 s11, s7
.LBB35_1837:
	v_lshrrev_b32_e32 v3, 8, v3
	s_delay_alu instid0(VALU_DEP_1)
	v_and_or_b32 v9, 0x80, v3, v6
.LBB35_1838:
	s_or_b32 exec_lo, exec_lo, s11
.LBB35_1839:
	s_delay_alu instid0(SALU_CYCLE_1)
	s_or_b32 exec_lo, exec_lo, s6
	global_store_b8 v[4:5], v9, off
.LBB35_1840:
	s_mov_b32 s6, -1
.LBB35_1841:
	s_mov_b32 s7, 0
.LBB35_1842:
	s_delay_alu instid0(SALU_CYCLE_1)
	s_and_b32 vcc_lo, exec_lo, s7
	s_cbranch_vccz .LBB35_1882
; %bb.1843:
	s_cmp_gt_i32 s2, 22
	s_mov_b32 s3, -1
	s_cbranch_scc0 .LBB35_1875
; %bb.1844:
	s_cmp_lt_i32 s2, 24
	s_cbranch_scc1 .LBB35_1864
; %bb.1845:
	s_cmp_gt_i32 s2, 24
	s_cbranch_scc0 .LBB35_1853
; %bb.1846:
	s_wait_xcnt 0x0
	v_lshlrev_b32_e32 v7, 16, v1
	v_mov_b32_e32 v9, 0x80
	s_mov_b32 s3, exec_lo
	s_delay_alu instid0(VALU_DEP_2) | instskip(NEXT) | instid1(VALU_DEP_1)
	v_and_b32_e32 v6, 0x7fffffff, v7
	v_cmpx_gt_u32_e32 0x47800000, v6
	s_cbranch_execz .LBB35_1852
; %bb.1847:
	v_and_b32_e32 v3, 0xffff, v1
	v_cmp_lt_u32_e32 vcc_lo, 0x37ffffff, v6
	s_mov_b32 s6, 0
                                        ; implicit-def: $vgpr6
	s_and_saveexec_b32 s7, vcc_lo
	s_delay_alu instid0(SALU_CYCLE_1)
	s_xor_b32 s7, exec_lo, s7
	s_cbranch_execz .LBB35_2177
; %bb.1848:
	v_bfe_u32 v6, v3, 5, 1
	s_mov_b32 s6, exec_lo
	s_delay_alu instid0(VALU_DEP_1) | instskip(NEXT) | instid1(VALU_DEP_1)
	v_add3_u32 v6, v7, v6, 0x88fffff
                                        ; implicit-def: $vgpr7
	v_lshrrev_b32_e32 v6, 21, v6
	s_and_not1_saveexec_b32 s7, s7
	s_cbranch_execnz .LBB35_2178
.LBB35_1849:
	s_or_b32 exec_lo, exec_lo, s7
	v_mov_b32_e32 v9, 0
	s_and_saveexec_b32 s7, s6
.LBB35_1850:
	v_lshrrev_b32_e32 v3, 8, v3
	s_delay_alu instid0(VALU_DEP_1)
	v_and_or_b32 v9, 0x80, v3, v6
.LBB35_1851:
	s_or_b32 exec_lo, exec_lo, s7
.LBB35_1852:
	s_delay_alu instid0(SALU_CYCLE_1)
	s_or_b32 exec_lo, exec_lo, s3
	s_mov_b32 s3, 0
	global_store_b8 v[4:5], v9, off
.LBB35_1853:
	s_and_b32 vcc_lo, exec_lo, s3
	s_cbranch_vccz .LBB35_1863
; %bb.1854:
	s_wait_xcnt 0x0
	v_lshlrev_b32_e32 v7, 16, v1
	v_and_b32_e32 v3, 0xffff, v1
	s_mov_b32 s3, exec_lo
                                        ; implicit-def: $vgpr6
	s_delay_alu instid0(VALU_DEP_2) | instskip(NEXT) | instid1(VALU_DEP_1)
	v_and_b32_e32 v9, 0x7fffffff, v7
	v_cmpx_gt_u32_e32 0x43f00000, v9
	s_xor_b32 s3, exec_lo, s3
	s_cbranch_execz .LBB35_1860
; %bb.1855:
	s_mov_b32 s6, exec_lo
                                        ; implicit-def: $vgpr6
	v_cmpx_lt_u32_e32 0x3c7fffff, v9
	s_xor_b32 s6, exec_lo, s6
; %bb.1856:
	v_bfe_u32 v6, v3, 4, 1
	s_delay_alu instid0(VALU_DEP_1) | instskip(NEXT) | instid1(VALU_DEP_1)
	v_add3_u32 v6, v7, v6, 0x407ffff
	v_and_b32_e32 v7, 0xff00000, v6
	v_lshrrev_b32_e32 v6, 20, v6
	s_delay_alu instid0(VALU_DEP_2) | instskip(NEXT) | instid1(VALU_DEP_2)
	v_cmp_ne_u32_e32 vcc_lo, 0x7f00000, v7
                                        ; implicit-def: $vgpr7
	v_cndmask_b32_e32 v6, 0x7e, v6, vcc_lo
; %bb.1857:
	s_and_not1_saveexec_b32 s6, s6
; %bb.1858:
	v_add_f32_e64 v6, 0x46800000, |v7|
; %bb.1859:
	s_or_b32 exec_lo, exec_lo, s6
                                        ; implicit-def: $vgpr9
.LBB35_1860:
	s_and_not1_saveexec_b32 s3, s3
; %bb.1861:
	v_mov_b32_e32 v6, 0x7f
	v_cmp_lt_u32_e32 vcc_lo, 0x7f800000, v9
	s_delay_alu instid0(VALU_DEP_2)
	v_cndmask_b32_e32 v6, 0x7e, v6, vcc_lo
; %bb.1862:
	s_or_b32 exec_lo, exec_lo, s3
	v_lshrrev_b32_e32 v3, 8, v3
	s_delay_alu instid0(VALU_DEP_1)
	v_and_or_b32 v3, 0x80, v3, v6
	global_store_b8 v[4:5], v3, off
.LBB35_1863:
	s_mov_b32 s3, 0
.LBB35_1864:
	s_delay_alu instid0(SALU_CYCLE_1)
	s_and_not1_b32 vcc_lo, exec_lo, s3
	s_cbranch_vccnz .LBB35_1874
; %bb.1865:
	s_wait_xcnt 0x0
	v_lshlrev_b32_e32 v7, 16, v1
	v_and_b32_e32 v3, 0xffff, v1
	s_mov_b32 s3, exec_lo
                                        ; implicit-def: $vgpr6
	s_delay_alu instid0(VALU_DEP_2) | instskip(NEXT) | instid1(VALU_DEP_1)
	v_and_b32_e32 v9, 0x7fffffff, v7
	v_cmpx_gt_u32_e32 0x47800000, v9
	s_xor_b32 s3, exec_lo, s3
	s_cbranch_execz .LBB35_1871
; %bb.1866:
	s_mov_b32 s6, exec_lo
                                        ; implicit-def: $vgpr6
	v_cmpx_lt_u32_e32 0x387fffff, v9
	s_xor_b32 s6, exec_lo, s6
; %bb.1867:
	v_bfe_u32 v6, v3, 5, 1
	s_delay_alu instid0(VALU_DEP_1) | instskip(NEXT) | instid1(VALU_DEP_1)
	v_add3_u32 v6, v7, v6, 0x80fffff
                                        ; implicit-def: $vgpr7
	v_lshrrev_b32_e32 v6, 21, v6
; %bb.1868:
	s_and_not1_saveexec_b32 s6, s6
; %bb.1869:
	v_add_f32_e64 v6, 0x43000000, |v7|
; %bb.1870:
	s_or_b32 exec_lo, exec_lo, s6
                                        ; implicit-def: $vgpr9
.LBB35_1871:
	s_and_not1_saveexec_b32 s3, s3
; %bb.1872:
	v_mov_b32_e32 v6, 0x7f
	v_cmp_lt_u32_e32 vcc_lo, 0x7f800000, v9
	s_delay_alu instid0(VALU_DEP_2)
	v_cndmask_b32_e32 v6, 0x7c, v6, vcc_lo
; %bb.1873:
	s_or_b32 exec_lo, exec_lo, s3
	v_lshrrev_b32_e32 v3, 8, v3
	s_delay_alu instid0(VALU_DEP_1)
	v_and_or_b32 v3, 0x80, v3, v6
	global_store_b8 v[4:5], v3, off
.LBB35_1874:
	s_mov_b32 s3, 0
	s_mov_b32 s6, -1
.LBB35_1875:
	s_and_not1_b32 vcc_lo, exec_lo, s3
	s_mov_b32 s3, 0
	s_cbranch_vccnz .LBB35_1882
; %bb.1876:
	s_cmp_gt_i32 s2, 14
	s_mov_b32 s3, -1
	s_cbranch_scc0 .LBB35_1880
; %bb.1877:
	s_cmp_eq_u32 s2, 15
	s_mov_b32 s0, -1
	s_cbranch_scc0 .LBB35_1879
; %bb.1878:
	s_mov_b32 s0, 0
	s_mov_b32 s6, -1
	global_store_b16 v[4:5], v1, off
.LBB35_1879:
	s_mov_b32 s3, 0
.LBB35_1880:
	s_delay_alu instid0(SALU_CYCLE_1)
	s_and_b32 vcc_lo, exec_lo, s3
	s_mov_b32 s3, 0
	s_cbranch_vccz .LBB35_1882
; %bb.1881:
	s_cmp_lg_u32 s2, 11
	s_mov_b32 s3, -1
	s_cselect_b32 s0, -1, 0
.LBB35_1882:
	s_delay_alu instid0(SALU_CYCLE_1)
	s_and_b32 vcc_lo, exec_lo, s0
	s_cbranch_vccnz .LBB35_2176
; %bb.1883:
	s_and_not1_b32 vcc_lo, exec_lo, s3
	s_cbranch_vccnz .LBB35_1885
.LBB35_1884:
	s_wait_xcnt 0x0
	v_and_b32_e32 v3, 0x7fff, v1
	s_mov_b32 s6, -1
	s_delay_alu instid0(VALU_DEP_1)
	v_cmp_ne_u16_e32 vcc_lo, 0, v3
	v_cndmask_b32_e64 v3, 0, 1, vcc_lo
	global_store_b8 v[4:5], v3, off
.LBB35_1885:
	s_mov_b32 s0, 0
	s_branch .LBB35_1887
.LBB35_1886:
	s_mov_b32 s0, -1
	s_mov_b32 s6, 0
.LBB35_1887:
	s_and_b32 vcc_lo, exec_lo, s0
	s_cbranch_vccz .LBB35_1926
; %bb.1888:
	s_cmp_lt_i32 s2, 5
	s_mov_b32 s0, -1
	s_cbranch_scc1 .LBB35_1909
; %bb.1889:
	s_cmp_lt_i32 s2, 8
	s_cbranch_scc1 .LBB35_1899
; %bb.1890:
	s_cmp_lt_i32 s2, 9
	s_cbranch_scc1 .LBB35_1896
; %bb.1891:
	s_cmp_gt_i32 s2, 9
	s_cbranch_scc0 .LBB35_1893
; %bb.1892:
	s_wait_xcnt 0x0
	v_dual_mov_b32 v14, 0 :: v_dual_lshlrev_b32 v3, 16, v1
	s_mov_b32 s0, 0
	s_delay_alu instid0(VALU_DEP_1) | instskip(NEXT) | instid1(VALU_DEP_2)
	v_cvt_f64_f32_e32 v[12:13], v3
	v_mov_b32_e32 v15, v14
	global_store_b128 v[4:5], v[12:15], off
.LBB35_1893:
	s_and_not1_b32 vcc_lo, exec_lo, s0
	s_cbranch_vccnz .LBB35_1895
; %bb.1894:
	s_wait_xcnt 0x0
	v_dual_mov_b32 v7, 0 :: v_dual_lshlrev_b32 v6, 16, v1
	global_store_b64 v[4:5], v[6:7], off
.LBB35_1895:
	s_mov_b32 s0, 0
.LBB35_1896:
	s_delay_alu instid0(SALU_CYCLE_1)
	s_and_not1_b32 vcc_lo, exec_lo, s0
	s_cbranch_vccnz .LBB35_1898
; %bb.1897:
	s_wait_xcnt 0x0
	v_lshlrev_b32_e32 v3, 16, v1
	s_delay_alu instid0(VALU_DEP_1) | instskip(NEXT) | instid1(VALU_DEP_1)
	v_cvt_f16_f32_e32 v3, v3
	v_and_b32_e32 v3, 0xffff, v3
	global_store_b32 v[4:5], v3, off
.LBB35_1898:
	s_mov_b32 s0, 0
.LBB35_1899:
	s_delay_alu instid0(SALU_CYCLE_1)
	s_and_not1_b32 vcc_lo, exec_lo, s0
	s_cbranch_vccnz .LBB35_1908
; %bb.1900:
	s_cmp_lt_i32 s2, 6
	s_mov_b32 s0, -1
	s_cbranch_scc1 .LBB35_1906
; %bb.1901:
	s_cmp_gt_i32 s2, 6
	s_cbranch_scc0 .LBB35_1903
; %bb.1902:
	s_wait_xcnt 0x0
	v_lshlrev_b32_e32 v3, 16, v1
	s_mov_b32 s0, 0
	s_delay_alu instid0(VALU_DEP_1)
	v_cvt_f64_f32_e32 v[6:7], v3
	global_store_b64 v[4:5], v[6:7], off
.LBB35_1903:
	s_and_not1_b32 vcc_lo, exec_lo, s0
	s_cbranch_vccnz .LBB35_1905
; %bb.1904:
	s_wait_xcnt 0x0
	v_lshlrev_b32_e32 v3, 16, v1
	global_store_b32 v[4:5], v3, off
.LBB35_1905:
	s_mov_b32 s0, 0
.LBB35_1906:
	s_delay_alu instid0(SALU_CYCLE_1)
	s_and_not1_b32 vcc_lo, exec_lo, s0
	s_cbranch_vccnz .LBB35_1908
; %bb.1907:
	s_wait_xcnt 0x0
	v_lshlrev_b32_e32 v3, 16, v1
	s_delay_alu instid0(VALU_DEP_1)
	v_cvt_f16_f32_e32 v3, v3
	global_store_b16 v[4:5], v3, off
.LBB35_1908:
	s_mov_b32 s0, 0
.LBB35_1909:
	s_delay_alu instid0(SALU_CYCLE_1)
	s_and_not1_b32 vcc_lo, exec_lo, s0
	s_cbranch_vccnz .LBB35_1925
; %bb.1910:
	s_cmp_lt_i32 s2, 2
	s_mov_b32 s0, -1
	s_cbranch_scc1 .LBB35_1920
; %bb.1911:
	s_cmp_lt_i32 s2, 3
	s_cbranch_scc1 .LBB35_1917
; %bb.1912:
	s_cmp_gt_i32 s2, 3
	s_cbranch_scc0 .LBB35_1914
; %bb.1913:
	s_wait_xcnt 0x0
	v_lshlrev_b32_e32 v3, 16, v1
	s_mov_b32 s0, 0
	s_delay_alu instid0(VALU_DEP_1) | instskip(NEXT) | instid1(VALU_DEP_1)
	v_trunc_f32_e32 v3, v3
	v_mul_f32_e64 v6, 0x2f800000, |v3|
	s_delay_alu instid0(VALU_DEP_1) | instskip(SKIP_1) | instid1(VALU_DEP_2)
	v_floor_f32_e32 v7, v6
	v_ashrrev_i32_e32 v6, 31, v3
	v_fma_f32 v9, 0xcf800000, v7, |v3|
	v_cvt_u32_f32_e32 v3, v7
	s_delay_alu instid0(VALU_DEP_3) | instskip(NEXT) | instid1(VALU_DEP_3)
	v_mov_b32_e32 v7, v6
	v_cvt_u32_f32_e32 v9, v9
	s_delay_alu instid0(VALU_DEP_3) | instskip(NEXT) | instid1(VALU_DEP_2)
	v_xor_b32_e32 v13, v3, v6
	v_xor_b32_e32 v12, v9, v6
	s_delay_alu instid0(VALU_DEP_1)
	v_sub_nc_u64_e32 v[6:7], v[12:13], v[6:7]
	global_store_b64 v[4:5], v[6:7], off
.LBB35_1914:
	s_and_not1_b32 vcc_lo, exec_lo, s0
	s_cbranch_vccnz .LBB35_1916
; %bb.1915:
	s_wait_xcnt 0x0
	v_lshlrev_b32_e32 v3, 16, v1
	s_delay_alu instid0(VALU_DEP_1)
	v_cvt_i32_f32_e32 v3, v3
	global_store_b32 v[4:5], v3, off
.LBB35_1916:
	s_mov_b32 s0, 0
.LBB35_1917:
	s_delay_alu instid0(SALU_CYCLE_1)
	s_and_not1_b32 vcc_lo, exec_lo, s0
	s_cbranch_vccnz .LBB35_1919
; %bb.1918:
	s_wait_xcnt 0x0
	v_lshlrev_b32_e32 v3, 16, v1
	s_delay_alu instid0(VALU_DEP_1)
	v_cvt_i32_f32_e32 v3, v3
	global_store_b16 v[4:5], v3, off
.LBB35_1919:
	s_mov_b32 s0, 0
.LBB35_1920:
	s_delay_alu instid0(SALU_CYCLE_1)
	s_and_not1_b32 vcc_lo, exec_lo, s0
	s_cbranch_vccnz .LBB35_1925
; %bb.1921:
	s_wait_xcnt 0x0
	v_lshlrev_b32_e32 v1, 16, v1
	s_cmp_gt_i32 s2, 0
	s_mov_b32 s0, -1
	s_cbranch_scc0 .LBB35_1923
; %bb.1922:
	s_delay_alu instid0(VALU_DEP_1)
	v_cvt_i32_f32_e32 v3, v1
	s_mov_b32 s0, 0
	global_store_b8 v[4:5], v3, off
.LBB35_1923:
	s_and_not1_b32 vcc_lo, exec_lo, s0
	s_cbranch_vccnz .LBB35_1925
; %bb.1924:
	v_trunc_f32_e32 v1, v1
	s_wait_xcnt 0x0
	s_delay_alu instid0(VALU_DEP_1) | instskip(NEXT) | instid1(VALU_DEP_1)
	v_mul_f32_e64 v3, 0x2f800000, |v1|
	v_floor_f32_e32 v3, v3
	s_delay_alu instid0(VALU_DEP_1) | instskip(SKIP_1) | instid1(VALU_DEP_2)
	v_fma_f32 v3, 0xcf800000, v3, |v1|
	v_ashrrev_i32_e32 v1, 31, v1
	v_cvt_u32_f32_e32 v3, v3
	s_delay_alu instid0(VALU_DEP_1) | instskip(NEXT) | instid1(VALU_DEP_1)
	v_xor_b32_e32 v3, v3, v1
	v_sub_nc_u32_e32 v1, v3, v1
	global_store_b8 v[4:5], v1, off
.LBB35_1925:
	s_mov_b32 s6, -1
.LBB35_1926:
	s_delay_alu instid0(SALU_CYCLE_1)
	s_and_not1_b32 vcc_lo, exec_lo, s6
	s_cbranch_vccnz .LBB35_2122
; %bb.1927:
	s_wait_xcnt 0x0
	v_bfe_u32 v1, v10, 16, 1
	v_cmp_o_f32_e32 vcc_lo, v10, v10
	s_cmp_lt_i32 s2, 11
	s_delay_alu instid0(VALU_DEP_2) | instskip(NEXT) | instid1(VALU_DEP_1)
	v_add3_u32 v1, v10, v1, 0x7fff
	v_dual_mov_b32 v3, 0 :: v_dual_lshrrev_b32 v1, 16, v1
	s_delay_alu instid0(VALU_DEP_1) | instskip(NEXT) | instid1(VALU_DEP_2)
	v_add_nc_u64_e32 v[2:3], s[4:5], v[2:3]
	v_cndmask_b32_e32 v1, 0x7fc0, v1, vcc_lo
	s_cbranch_scc1 .LBB35_2005
; %bb.1928:
	s_mov_b32 s7, -1
	s_mov_b32 s3, 0
	s_cmp_gt_i32 s2, 25
	s_mov_b32 s6, 0
	s_mov_b32 s0, 0
	s_cbranch_scc0 .LBB35_1961
; %bb.1929:
	s_cmp_gt_i32 s2, 28
	s_cbranch_scc0 .LBB35_1944
; %bb.1930:
	s_cmp_gt_i32 s2, 43
	s_cbranch_scc0 .LBB35_1940
; %bb.1931:
	s_cmp_gt_i32 s2, 45
	s_cbranch_scc0 .LBB35_1934
; %bb.1932:
	s_mov_b32 s0, -1
	s_mov_b32 s7, 0
	s_cmp_eq_u32 s2, 46
	s_cbranch_scc0 .LBB35_1934
; %bb.1933:
	v_and_b32_e32 v4, 0xffff, v1
	s_mov_b32 s0, 0
	s_mov_b32 s6, -1
	global_store_b32 v[2:3], v4, off
.LBB35_1934:
	s_and_b32 vcc_lo, exec_lo, s7
	s_cbranch_vccz .LBB35_1939
; %bb.1935:
	s_cmp_eq_u32 s2, 44
	s_mov_b32 s0, -1
	s_cbranch_scc0 .LBB35_1939
; %bb.1936:
	s_wait_xcnt 0x0
	v_and_b32_e32 v4, 0xffff, v1
	v_mov_b32_e32 v5, 0xff
	s_mov_b32 s6, exec_lo
	s_delay_alu instid0(VALU_DEP_2) | instskip(NEXT) | instid1(VALU_DEP_1)
	v_bfe_u32 v6, v4, 7, 8
	v_cmpx_ne_u32_e32 0xff, v6
	s_cbranch_execz .LBB35_1938
; %bb.1937:
	v_dual_lshlrev_b32 v5, 16, v4 :: v_dual_bitop2_b32 v7, 64, v4 bitop3:0x40
	v_lshrrev_b32_e32 v4, 7, v4
	s_delay_alu instid0(VALU_DEP_2) | instskip(NEXT) | instid1(VALU_DEP_3)
	v_and_or_b32 v5, 0x3f0000, v5, v6
	v_cmp_ne_u32_e32 vcc_lo, 0, v7
	s_delay_alu instid0(VALU_DEP_2) | instskip(SKIP_1) | instid1(SALU_CYCLE_1)
	v_cmp_ne_u32_e64 s0, 0, v5
	s_and_b32 s0, vcc_lo, s0
	v_cndmask_b32_e64 v5, 0, 1, s0
	s_delay_alu instid0(VALU_DEP_1)
	v_add_nc_u32_e32 v5, v4, v5
.LBB35_1938:
	s_or_b32 exec_lo, exec_lo, s6
	s_mov_b32 s0, 0
	s_mov_b32 s6, -1
	global_store_b8 v[2:3], v5, off
.LBB35_1939:
	s_mov_b32 s7, 0
.LBB35_1940:
	s_delay_alu instid0(SALU_CYCLE_1)
	s_and_b32 vcc_lo, exec_lo, s7
	s_cbranch_vccz .LBB35_1943
; %bb.1941:
	s_cmp_eq_u32 s2, 29
	s_mov_b32 s0, -1
	s_cbranch_scc0 .LBB35_1943
; %bb.1942:
	s_wait_xcnt 0x0
	v_lshlrev_b32_e32 v4, 16, v1
	s_mov_b32 s0, 0
	s_mov_b32 s6, -1
	s_delay_alu instid0(VALU_DEP_1) | instskip(NEXT) | instid1(VALU_DEP_1)
	v_trunc_f32_e32 v4, v4
	v_mul_f32_e32 v5, 0x2f800000, v4
	s_delay_alu instid0(VALU_DEP_1) | instskip(NEXT) | instid1(VALU_DEP_1)
	v_floor_f32_e32 v5, v5
	v_fmamk_f32 v4, v5, 0xcf800000, v4
	v_cvt_u32_f32_e32 v5, v5
	s_delay_alu instid0(VALU_DEP_2)
	v_cvt_u32_f32_e32 v4, v4
	global_store_b64 v[2:3], v[4:5], off
.LBB35_1943:
	s_mov_b32 s7, 0
.LBB35_1944:
	s_delay_alu instid0(SALU_CYCLE_1)
	s_and_b32 vcc_lo, exec_lo, s7
	s_cbranch_vccz .LBB35_1960
; %bb.1945:
	s_cmp_lt_i32 s2, 27
	s_mov_b32 s6, -1
	s_cbranch_scc1 .LBB35_1951
; %bb.1946:
	s_cmp_gt_i32 s2, 27
	s_cbranch_scc0 .LBB35_1948
; %bb.1947:
	s_wait_xcnt 0x0
	v_lshlrev_b32_e32 v4, 16, v1
	s_mov_b32 s6, 0
	s_delay_alu instid0(VALU_DEP_1)
	v_cvt_u32_f32_e32 v4, v4
	global_store_b32 v[2:3], v4, off
.LBB35_1948:
	s_and_not1_b32 vcc_lo, exec_lo, s6
	s_cbranch_vccnz .LBB35_1950
; %bb.1949:
	s_wait_xcnt 0x0
	v_lshlrev_b32_e32 v4, 16, v1
	s_delay_alu instid0(VALU_DEP_1)
	v_cvt_u32_f32_e32 v4, v4
	global_store_b16 v[2:3], v4, off
.LBB35_1950:
	s_mov_b32 s6, 0
.LBB35_1951:
	s_delay_alu instid0(SALU_CYCLE_1)
	s_and_not1_b32 vcc_lo, exec_lo, s6
	s_cbranch_vccnz .LBB35_1959
; %bb.1952:
	v_dual_mov_b32 v7, 0x80 :: v_dual_lshlrev_b32 v6, 16, v1
	s_mov_b32 s6, exec_lo
	s_wait_xcnt 0x0
	s_delay_alu instid0(VALU_DEP_1) | instskip(NEXT) | instid1(VALU_DEP_1)
	v_and_b32_e32 v5, 0x7fffffff, v6
	v_cmpx_gt_u32_e32 0x43800000, v5
	s_cbranch_execz .LBB35_1958
; %bb.1953:
	v_and_b32_e32 v4, 0xffff, v1
	v_cmp_lt_u32_e32 vcc_lo, 0x3bffffff, v5
	s_mov_b32 s7, 0
                                        ; implicit-def: $vgpr5
	s_and_saveexec_b32 s11, vcc_lo
	s_delay_alu instid0(SALU_CYCLE_1)
	s_xor_b32 s11, exec_lo, s11
	s_cbranch_execz .LBB35_2179
; %bb.1954:
	v_bfe_u32 v5, v4, 4, 1
	s_mov_b32 s7, exec_lo
	s_delay_alu instid0(VALU_DEP_1) | instskip(NEXT) | instid1(VALU_DEP_1)
	v_add3_u32 v5, v6, v5, 0x487ffff
                                        ; implicit-def: $vgpr6
	v_lshrrev_b32_e32 v5, 20, v5
	s_and_not1_saveexec_b32 s11, s11
	s_cbranch_execnz .LBB35_2180
.LBB35_1955:
	s_or_b32 exec_lo, exec_lo, s11
	v_mov_b32_e32 v7, 0
	s_and_saveexec_b32 s11, s7
.LBB35_1956:
	v_lshrrev_b32_e32 v4, 8, v4
	s_delay_alu instid0(VALU_DEP_1)
	v_and_or_b32 v7, 0x80, v4, v5
.LBB35_1957:
	s_or_b32 exec_lo, exec_lo, s11
.LBB35_1958:
	s_delay_alu instid0(SALU_CYCLE_1)
	s_or_b32 exec_lo, exec_lo, s6
	global_store_b8 v[2:3], v7, off
.LBB35_1959:
	s_mov_b32 s6, -1
.LBB35_1960:
	s_mov_b32 s7, 0
.LBB35_1961:
	s_delay_alu instid0(SALU_CYCLE_1)
	s_and_b32 vcc_lo, exec_lo, s7
	s_cbranch_vccz .LBB35_2001
; %bb.1962:
	s_cmp_gt_i32 s2, 22
	s_mov_b32 s3, -1
	s_cbranch_scc0 .LBB35_1994
; %bb.1963:
	s_cmp_lt_i32 s2, 24
	s_cbranch_scc1 .LBB35_1983
; %bb.1964:
	s_cmp_gt_i32 s2, 24
	s_cbranch_scc0 .LBB35_1972
; %bb.1965:
	s_wait_xcnt 0x0
	v_dual_mov_b32 v7, 0x80 :: v_dual_lshlrev_b32 v6, 16, v1
	s_mov_b32 s3, exec_lo
	s_delay_alu instid0(VALU_DEP_1) | instskip(NEXT) | instid1(VALU_DEP_1)
	v_and_b32_e32 v5, 0x7fffffff, v6
	v_cmpx_gt_u32_e32 0x47800000, v5
	s_cbranch_execz .LBB35_1971
; %bb.1966:
	v_and_b32_e32 v4, 0xffff, v1
	v_cmp_lt_u32_e32 vcc_lo, 0x37ffffff, v5
	s_mov_b32 s6, 0
                                        ; implicit-def: $vgpr5
	s_and_saveexec_b32 s7, vcc_lo
	s_delay_alu instid0(SALU_CYCLE_1)
	s_xor_b32 s7, exec_lo, s7
	s_cbranch_execz .LBB35_2182
; %bb.1967:
	v_bfe_u32 v5, v4, 5, 1
	s_mov_b32 s6, exec_lo
	s_delay_alu instid0(VALU_DEP_1) | instskip(NEXT) | instid1(VALU_DEP_1)
	v_add3_u32 v5, v6, v5, 0x88fffff
                                        ; implicit-def: $vgpr6
	v_lshrrev_b32_e32 v5, 21, v5
	s_and_not1_saveexec_b32 s7, s7
	s_cbranch_execnz .LBB35_2183
.LBB35_1968:
	s_or_b32 exec_lo, exec_lo, s7
	v_mov_b32_e32 v7, 0
	s_and_saveexec_b32 s7, s6
.LBB35_1969:
	v_lshrrev_b32_e32 v4, 8, v4
	s_delay_alu instid0(VALU_DEP_1)
	v_and_or_b32 v7, 0x80, v4, v5
.LBB35_1970:
	s_or_b32 exec_lo, exec_lo, s7
.LBB35_1971:
	s_delay_alu instid0(SALU_CYCLE_1)
	s_or_b32 exec_lo, exec_lo, s3
	s_mov_b32 s3, 0
	global_store_b8 v[2:3], v7, off
.LBB35_1972:
	s_and_b32 vcc_lo, exec_lo, s3
	s_cbranch_vccz .LBB35_1982
; %bb.1973:
	v_lshlrev_b32_e32 v6, 16, v1
	s_wait_xcnt 0x0
	v_and_b32_e32 v4, 0xffff, v1
	s_mov_b32 s3, exec_lo
                                        ; implicit-def: $vgpr5
	s_delay_alu instid0(VALU_DEP_2) | instskip(NEXT) | instid1(VALU_DEP_1)
	v_and_b32_e32 v7, 0x7fffffff, v6
	v_cmpx_gt_u32_e32 0x43f00000, v7
	s_xor_b32 s3, exec_lo, s3
	s_cbranch_execz .LBB35_1979
; %bb.1974:
	s_mov_b32 s6, exec_lo
                                        ; implicit-def: $vgpr5
	v_cmpx_lt_u32_e32 0x3c7fffff, v7
	s_xor_b32 s6, exec_lo, s6
; %bb.1975:
	v_bfe_u32 v5, v4, 4, 1
	s_delay_alu instid0(VALU_DEP_1) | instskip(NEXT) | instid1(VALU_DEP_1)
	v_add3_u32 v5, v6, v5, 0x407ffff
	v_and_b32_e32 v6, 0xff00000, v5
	v_lshrrev_b32_e32 v5, 20, v5
	s_delay_alu instid0(VALU_DEP_2) | instskip(NEXT) | instid1(VALU_DEP_2)
	v_cmp_ne_u32_e32 vcc_lo, 0x7f00000, v6
                                        ; implicit-def: $vgpr6
	v_cndmask_b32_e32 v5, 0x7e, v5, vcc_lo
; %bb.1976:
	s_and_not1_saveexec_b32 s6, s6
; %bb.1977:
	v_add_f32_e64 v5, 0x46800000, |v6|
; %bb.1978:
	s_or_b32 exec_lo, exec_lo, s6
                                        ; implicit-def: $vgpr7
.LBB35_1979:
	s_and_not1_saveexec_b32 s3, s3
; %bb.1980:
	v_mov_b32_e32 v5, 0x7f
	v_cmp_lt_u32_e32 vcc_lo, 0x7f800000, v7
	s_delay_alu instid0(VALU_DEP_2)
	v_cndmask_b32_e32 v5, 0x7e, v5, vcc_lo
; %bb.1981:
	s_or_b32 exec_lo, exec_lo, s3
	v_lshrrev_b32_e32 v4, 8, v4
	s_delay_alu instid0(VALU_DEP_1)
	v_and_or_b32 v4, 0x80, v4, v5
	global_store_b8 v[2:3], v4, off
.LBB35_1982:
	s_mov_b32 s3, 0
.LBB35_1983:
	s_delay_alu instid0(SALU_CYCLE_1)
	s_and_not1_b32 vcc_lo, exec_lo, s3
	s_cbranch_vccnz .LBB35_1993
; %bb.1984:
	v_lshlrev_b32_e32 v6, 16, v1
	s_wait_xcnt 0x0
	v_and_b32_e32 v4, 0xffff, v1
	s_mov_b32 s3, exec_lo
                                        ; implicit-def: $vgpr5
	s_delay_alu instid0(VALU_DEP_2) | instskip(NEXT) | instid1(VALU_DEP_1)
	v_and_b32_e32 v7, 0x7fffffff, v6
	v_cmpx_gt_u32_e32 0x47800000, v7
	s_xor_b32 s3, exec_lo, s3
	s_cbranch_execz .LBB35_1990
; %bb.1985:
	s_mov_b32 s6, exec_lo
                                        ; implicit-def: $vgpr5
	v_cmpx_lt_u32_e32 0x387fffff, v7
	s_xor_b32 s6, exec_lo, s6
; %bb.1986:
	v_bfe_u32 v5, v4, 5, 1
	s_delay_alu instid0(VALU_DEP_1) | instskip(NEXT) | instid1(VALU_DEP_1)
	v_add3_u32 v5, v6, v5, 0x80fffff
                                        ; implicit-def: $vgpr6
	v_lshrrev_b32_e32 v5, 21, v5
; %bb.1987:
	s_and_not1_saveexec_b32 s6, s6
; %bb.1988:
	v_add_f32_e64 v5, 0x43000000, |v6|
; %bb.1989:
	s_or_b32 exec_lo, exec_lo, s6
                                        ; implicit-def: $vgpr7
.LBB35_1990:
	s_and_not1_saveexec_b32 s3, s3
; %bb.1991:
	v_mov_b32_e32 v5, 0x7f
	v_cmp_lt_u32_e32 vcc_lo, 0x7f800000, v7
	s_delay_alu instid0(VALU_DEP_2)
	v_cndmask_b32_e32 v5, 0x7c, v5, vcc_lo
; %bb.1992:
	s_or_b32 exec_lo, exec_lo, s3
	v_lshrrev_b32_e32 v4, 8, v4
	s_delay_alu instid0(VALU_DEP_1)
	v_and_or_b32 v4, 0x80, v4, v5
	global_store_b8 v[2:3], v4, off
.LBB35_1993:
	s_mov_b32 s3, 0
	s_mov_b32 s6, -1
.LBB35_1994:
	s_and_not1_b32 vcc_lo, exec_lo, s3
	s_mov_b32 s3, 0
	s_cbranch_vccnz .LBB35_2001
; %bb.1995:
	s_cmp_gt_i32 s2, 14
	s_mov_b32 s3, -1
	s_cbranch_scc0 .LBB35_1999
; %bb.1996:
	s_cmp_eq_u32 s2, 15
	s_mov_b32 s0, -1
	s_cbranch_scc0 .LBB35_1998
; %bb.1997:
	s_mov_b32 s0, 0
	s_mov_b32 s6, -1
	global_store_b16 v[2:3], v1, off
.LBB35_1998:
	s_mov_b32 s3, 0
.LBB35_1999:
	s_delay_alu instid0(SALU_CYCLE_1)
	s_and_b32 vcc_lo, exec_lo, s3
	s_mov_b32 s3, 0
	s_cbranch_vccz .LBB35_2001
; %bb.2000:
	s_cmp_lg_u32 s2, 11
	s_mov_b32 s3, -1
	s_cselect_b32 s0, -1, 0
.LBB35_2001:
	s_delay_alu instid0(SALU_CYCLE_1)
	s_and_b32 vcc_lo, exec_lo, s0
	s_cbranch_vccnz .LBB35_2181
; %bb.2002:
	s_and_not1_b32 vcc_lo, exec_lo, s3
	s_cbranch_vccnz .LBB35_2004
.LBB35_2003:
	s_wait_xcnt 0x0
	v_and_b32_e32 v4, 0x7fff, v1
	s_mov_b32 s6, -1
	s_delay_alu instid0(VALU_DEP_1)
	v_cmp_ne_u16_e32 vcc_lo, 0, v4
	v_cndmask_b32_e64 v4, 0, 1, vcc_lo
	global_store_b8 v[2:3], v4, off
.LBB35_2004:
	s_mov_b32 s0, 0
	s_branch .LBB35_2006
.LBB35_2005:
	s_mov_b32 s0, -1
	s_mov_b32 s6, 0
.LBB35_2006:
	s_and_b32 vcc_lo, exec_lo, s0
	s_cbranch_vccz .LBB35_2045
; %bb.2007:
	s_cmp_lt_i32 s2, 5
	s_mov_b32 s0, -1
	s_cbranch_scc1 .LBB35_2028
; %bb.2008:
	s_cmp_lt_i32 s2, 8
	s_cbranch_scc1 .LBB35_2018
; %bb.2009:
	s_cmp_lt_i32 s2, 9
	s_cbranch_scc1 .LBB35_2015
; %bb.2010:
	s_cmp_gt_i32 s2, 9
	s_cbranch_scc0 .LBB35_2012
; %bb.2011:
	s_wait_xcnt 0x0
	v_dual_lshlrev_b32 v4, 16, v1 :: v_dual_mov_b32 v6, 0
	s_mov_b32 s0, 0
	s_delay_alu instid0(VALU_DEP_1) | instskip(NEXT) | instid1(VALU_DEP_2)
	v_cvt_f64_f32_e32 v[4:5], v4
	v_mov_b32_e32 v7, v6
	global_store_b128 v[2:3], v[4:7], off
.LBB35_2012:
	s_and_not1_b32 vcc_lo, exec_lo, s0
	s_cbranch_vccnz .LBB35_2014
; %bb.2013:
	s_wait_xcnt 0x0
	v_dual_mov_b32 v5, 0 :: v_dual_lshlrev_b32 v4, 16, v1
	global_store_b64 v[2:3], v[4:5], off
.LBB35_2014:
	s_mov_b32 s0, 0
.LBB35_2015:
	s_delay_alu instid0(SALU_CYCLE_1)
	s_and_not1_b32 vcc_lo, exec_lo, s0
	s_cbranch_vccnz .LBB35_2017
; %bb.2016:
	s_wait_xcnt 0x0
	v_lshlrev_b32_e32 v4, 16, v1
	s_delay_alu instid0(VALU_DEP_1) | instskip(NEXT) | instid1(VALU_DEP_1)
	v_cvt_f16_f32_e32 v4, v4
	v_and_b32_e32 v4, 0xffff, v4
	global_store_b32 v[2:3], v4, off
.LBB35_2017:
	s_mov_b32 s0, 0
.LBB35_2018:
	s_delay_alu instid0(SALU_CYCLE_1)
	s_and_not1_b32 vcc_lo, exec_lo, s0
	s_cbranch_vccnz .LBB35_2027
; %bb.2019:
	s_cmp_lt_i32 s2, 6
	s_mov_b32 s0, -1
	s_cbranch_scc1 .LBB35_2025
; %bb.2020:
	s_cmp_gt_i32 s2, 6
	s_cbranch_scc0 .LBB35_2022
; %bb.2021:
	s_wait_xcnt 0x0
	v_lshlrev_b32_e32 v4, 16, v1
	s_mov_b32 s0, 0
	s_delay_alu instid0(VALU_DEP_1)
	v_cvt_f64_f32_e32 v[4:5], v4
	global_store_b64 v[2:3], v[4:5], off
.LBB35_2022:
	s_and_not1_b32 vcc_lo, exec_lo, s0
	s_cbranch_vccnz .LBB35_2024
; %bb.2023:
	s_wait_xcnt 0x0
	v_lshlrev_b32_e32 v4, 16, v1
	global_store_b32 v[2:3], v4, off
.LBB35_2024:
	s_mov_b32 s0, 0
.LBB35_2025:
	s_delay_alu instid0(SALU_CYCLE_1)
	s_and_not1_b32 vcc_lo, exec_lo, s0
	s_cbranch_vccnz .LBB35_2027
; %bb.2026:
	s_wait_xcnt 0x0
	v_lshlrev_b32_e32 v4, 16, v1
	s_delay_alu instid0(VALU_DEP_1)
	v_cvt_f16_f32_e32 v4, v4
	global_store_b16 v[2:3], v4, off
.LBB35_2027:
	s_mov_b32 s0, 0
.LBB35_2028:
	s_delay_alu instid0(SALU_CYCLE_1)
	s_and_not1_b32 vcc_lo, exec_lo, s0
	s_cbranch_vccnz .LBB35_2044
; %bb.2029:
	s_cmp_lt_i32 s2, 2
	s_mov_b32 s0, -1
	s_cbranch_scc1 .LBB35_2039
; %bb.2030:
	s_cmp_lt_i32 s2, 3
	s_cbranch_scc1 .LBB35_2036
; %bb.2031:
	s_cmp_gt_i32 s2, 3
	s_cbranch_scc0 .LBB35_2033
; %bb.2032:
	s_wait_xcnt 0x0
	v_lshlrev_b32_e32 v4, 16, v1
	s_mov_b32 s0, 0
	s_delay_alu instid0(VALU_DEP_1) | instskip(NEXT) | instid1(VALU_DEP_1)
	v_trunc_f32_e32 v4, v4
	v_mul_f32_e64 v5, 0x2f800000, |v4|
	s_delay_alu instid0(VALU_DEP_1) | instskip(NEXT) | instid1(VALU_DEP_1)
	v_floor_f32_e32 v5, v5
	v_fma_f32 v6, 0xcf800000, v5, |v4|
	v_ashrrev_i32_e32 v4, 31, v4
	v_cvt_u32_f32_e32 v7, v5
	s_delay_alu instid0(VALU_DEP_3) | instskip(NEXT) | instid1(VALU_DEP_2)
	v_cvt_u32_f32_e32 v6, v6
	v_dual_mov_b32 v5, v4 :: v_dual_bitop2_b32 v7, v7, v4 bitop3:0x14
	s_delay_alu instid0(VALU_DEP_2) | instskip(NEXT) | instid1(VALU_DEP_1)
	v_xor_b32_e32 v6, v6, v4
	v_sub_nc_u64_e32 v[4:5], v[6:7], v[4:5]
	global_store_b64 v[2:3], v[4:5], off
.LBB35_2033:
	s_and_not1_b32 vcc_lo, exec_lo, s0
	s_cbranch_vccnz .LBB35_2035
; %bb.2034:
	s_wait_xcnt 0x0
	v_lshlrev_b32_e32 v4, 16, v1
	s_delay_alu instid0(VALU_DEP_1)
	v_cvt_i32_f32_e32 v4, v4
	global_store_b32 v[2:3], v4, off
.LBB35_2035:
	s_mov_b32 s0, 0
.LBB35_2036:
	s_delay_alu instid0(SALU_CYCLE_1)
	s_and_not1_b32 vcc_lo, exec_lo, s0
	s_cbranch_vccnz .LBB35_2038
; %bb.2037:
	s_wait_xcnt 0x0
	v_lshlrev_b32_e32 v4, 16, v1
	s_delay_alu instid0(VALU_DEP_1)
	v_cvt_i32_f32_e32 v4, v4
	global_store_b16 v[2:3], v4, off
.LBB35_2038:
	s_mov_b32 s0, 0
.LBB35_2039:
	s_delay_alu instid0(SALU_CYCLE_1)
	s_and_not1_b32 vcc_lo, exec_lo, s0
	s_cbranch_vccnz .LBB35_2044
; %bb.2040:
	s_cmp_gt_i32 s2, 0
	s_mov_b32 s0, -1
	s_cbranch_scc0 .LBB35_2042
; %bb.2041:
	s_wait_xcnt 0x0
	v_lshlrev_b32_e32 v4, 16, v1
	s_mov_b32 s0, 0
	s_delay_alu instid0(VALU_DEP_1)
	v_cvt_i32_f32_e32 v4, v4
	global_store_b8 v[2:3], v4, off
.LBB35_2042:
	s_and_not1_b32 vcc_lo, exec_lo, s0
	s_cbranch_vccnz .LBB35_2044
; %bb.2043:
	s_wait_xcnt 0x0
	v_lshlrev_b32_e32 v1, 16, v1
	s_delay_alu instid0(VALU_DEP_1) | instskip(NEXT) | instid1(VALU_DEP_1)
	v_trunc_f32_e32 v1, v1
	v_mul_f32_e64 v4, 0x2f800000, |v1|
	s_delay_alu instid0(VALU_DEP_1) | instskip(NEXT) | instid1(VALU_DEP_1)
	v_floor_f32_e32 v4, v4
	v_fma_f32 v4, 0xcf800000, v4, |v1|
	v_ashrrev_i32_e32 v1, 31, v1
	s_delay_alu instid0(VALU_DEP_2) | instskip(NEXT) | instid1(VALU_DEP_1)
	v_cvt_u32_f32_e32 v4, v4
	v_xor_b32_e32 v4, v4, v1
	s_delay_alu instid0(VALU_DEP_1)
	v_sub_nc_u32_e32 v1, v4, v1
	global_store_b8 v[2:3], v1, off
.LBB35_2044:
	s_mov_b32 s6, -1
.LBB35_2045:
	s_delay_alu instid0(SALU_CYCLE_1)
	s_and_not1_b32 vcc_lo, exec_lo, s6
	s_cbranch_vccnz .LBB35_2122
; %bb.2046:
	s_wait_xcnt 0x0
	v_bfe_u32 v1, v8, 16, 1
	v_cmp_o_f32_e32 vcc_lo, v8, v8
	s_cmp_lt_i32 s2, 11
	s_delay_alu instid0(VALU_DEP_2) | instskip(NEXT) | instid1(VALU_DEP_1)
	v_add3_u32 v2, v8, v1, 0x7fff
	v_dual_mov_b32 v1, 0 :: v_dual_lshrrev_b32 v4, 16, v2
	s_delay_alu instid0(VALU_DEP_1) | instskip(NEXT) | instid1(VALU_DEP_2)
	v_add_nc_u64_e32 v[2:3], s[4:5], v[0:1]
	v_cndmask_b32_e32 v1, 0x7fc0, v4, vcc_lo
	s_cbranch_scc1 .LBB35_2167
; %bb.2047:
	s_mov_b32 s4, -1
	s_mov_b32 s3, 0
	s_cmp_gt_i32 s2, 25
	s_mov_b32 s0, 0
	s_cbranch_scc0 .LBB35_2080
; %bb.2048:
	s_cmp_gt_i32 s2, 28
	s_cbranch_scc0 .LBB35_2064
; %bb.2049:
	s_cmp_gt_i32 s2, 43
	;; [unrolled: 3-line block ×3, first 2 shown]
	s_cbranch_scc0 .LBB35_2054
; %bb.2051:
	s_cmp_eq_u32 s2, 46
	s_mov_b32 s0, -1
	s_cbranch_scc0 .LBB35_2053
; %bb.2052:
	v_and_b32_e32 v0, 0xffff, v1
	s_mov_b32 s0, 0
	global_store_b32 v[2:3], v0, off
.LBB35_2053:
	s_mov_b32 s4, 0
.LBB35_2054:
	s_delay_alu instid0(SALU_CYCLE_1)
	s_and_b32 vcc_lo, exec_lo, s4
	s_cbranch_vccz .LBB35_2059
; %bb.2055:
	s_cmp_eq_u32 s2, 44
	s_mov_b32 s0, -1
	s_cbranch_scc0 .LBB35_2059
; %bb.2056:
	s_wait_xcnt 0x0
	v_and_b32_e32 v0, 0xffff, v1
	v_mov_b32_e32 v4, 0xff
	s_mov_b32 s4, exec_lo
	s_delay_alu instid0(VALU_DEP_2) | instskip(NEXT) | instid1(VALU_DEP_1)
	v_bfe_u32 v5, v0, 7, 8
	v_cmpx_ne_u32_e32 0xff, v5
	s_cbranch_execz .LBB35_2058
; %bb.2057:
	v_dual_lshlrev_b32 v4, 16, v0 :: v_dual_bitop2_b32 v6, 64, v0 bitop3:0x40
	v_lshrrev_b32_e32 v0, 7, v0
	s_delay_alu instid0(VALU_DEP_2) | instskip(NEXT) | instid1(VALU_DEP_3)
	v_and_or_b32 v4, 0x3f0000, v4, v5
	v_cmp_ne_u32_e32 vcc_lo, 0, v6
	s_delay_alu instid0(VALU_DEP_2) | instskip(SKIP_1) | instid1(SALU_CYCLE_1)
	v_cmp_ne_u32_e64 s0, 0, v4
	s_and_b32 s0, vcc_lo, s0
	v_cndmask_b32_e64 v4, 0, 1, s0
	s_delay_alu instid0(VALU_DEP_1)
	v_add_nc_u32_e32 v4, v0, v4
.LBB35_2058:
	s_or_b32 exec_lo, exec_lo, s4
	s_mov_b32 s0, 0
	global_store_b8 v[2:3], v4, off
.LBB35_2059:
	s_mov_b32 s4, 0
.LBB35_2060:
	s_delay_alu instid0(SALU_CYCLE_1)
	s_and_b32 vcc_lo, exec_lo, s4
	s_cbranch_vccz .LBB35_2063
; %bb.2061:
	s_cmp_eq_u32 s2, 29
	s_mov_b32 s0, -1
	s_cbranch_scc0 .LBB35_2063
; %bb.2062:
	s_wait_xcnt 0x0
	v_lshlrev_b32_e32 v0, 16, v1
	s_mov_b32 s0, 0
	s_delay_alu instid0(VALU_DEP_1) | instskip(NEXT) | instid1(VALU_DEP_1)
	v_trunc_f32_e32 v0, v0
	v_mul_f32_e32 v4, 0x2f800000, v0
	s_delay_alu instid0(VALU_DEP_1) | instskip(NEXT) | instid1(VALU_DEP_1)
	v_floor_f32_e32 v4, v4
	v_fmamk_f32 v0, v4, 0xcf800000, v0
	v_cvt_u32_f32_e32 v5, v4
	s_delay_alu instid0(VALU_DEP_2)
	v_cvt_u32_f32_e32 v4, v0
	global_store_b64 v[2:3], v[4:5], off
.LBB35_2063:
	s_mov_b32 s4, 0
.LBB35_2064:
	s_delay_alu instid0(SALU_CYCLE_1)
	s_and_b32 vcc_lo, exec_lo, s4
	s_cbranch_vccz .LBB35_2079
; %bb.2065:
	s_cmp_lt_i32 s2, 27
	s_mov_b32 s4, -1
	s_cbranch_scc1 .LBB35_2071
; %bb.2066:
	s_cmp_gt_i32 s2, 27
	s_cbranch_scc0 .LBB35_2068
; %bb.2067:
	s_wait_xcnt 0x0
	v_lshlrev_b32_e32 v0, 16, v1
	s_mov_b32 s4, 0
	s_delay_alu instid0(VALU_DEP_1)
	v_cvt_u32_f32_e32 v0, v0
	global_store_b32 v[2:3], v0, off
.LBB35_2068:
	s_and_not1_b32 vcc_lo, exec_lo, s4
	s_cbranch_vccnz .LBB35_2070
; %bb.2069:
	s_wait_xcnt 0x0
	v_lshlrev_b32_e32 v0, 16, v1
	s_delay_alu instid0(VALU_DEP_1)
	v_cvt_u32_f32_e32 v0, v0
	global_store_b16 v[2:3], v0, off
.LBB35_2070:
	s_mov_b32 s4, 0
.LBB35_2071:
	s_delay_alu instid0(SALU_CYCLE_1)
	s_and_not1_b32 vcc_lo, exec_lo, s4
	s_cbranch_vccnz .LBB35_2079
; %bb.2072:
	s_wait_xcnt 0x0
	v_dual_mov_b32 v6, 0x80 :: v_dual_lshlrev_b32 v5, 16, v1
	s_mov_b32 s4, exec_lo
	s_delay_alu instid0(VALU_DEP_1) | instskip(NEXT) | instid1(VALU_DEP_1)
	v_and_b32_e32 v4, 0x7fffffff, v5
	v_cmpx_gt_u32_e32 0x43800000, v4
	s_cbranch_execz .LBB35_2078
; %bb.2073:
	v_and_b32_e32 v0, 0xffff, v1
	v_cmp_lt_u32_e32 vcc_lo, 0x3bffffff, v4
	s_mov_b32 s5, 0
                                        ; implicit-def: $vgpr4
	s_and_saveexec_b32 s6, vcc_lo
	s_delay_alu instid0(SALU_CYCLE_1)
	s_xor_b32 s6, exec_lo, s6
	s_cbranch_execz .LBB35_2184
; %bb.2074:
	v_bfe_u32 v4, v0, 4, 1
	s_mov_b32 s5, exec_lo
	s_delay_alu instid0(VALU_DEP_1) | instskip(NEXT) | instid1(VALU_DEP_1)
	v_add3_u32 v4, v5, v4, 0x487ffff
                                        ; implicit-def: $vgpr5
	v_lshrrev_b32_e32 v4, 20, v4
	s_and_not1_saveexec_b32 s6, s6
	s_cbranch_execnz .LBB35_2185
.LBB35_2075:
	s_or_b32 exec_lo, exec_lo, s6
	v_mov_b32_e32 v6, 0
	s_and_saveexec_b32 s6, s5
.LBB35_2076:
	v_lshrrev_b32_e32 v0, 8, v0
	s_delay_alu instid0(VALU_DEP_1)
	v_and_or_b32 v6, 0x80, v0, v4
.LBB35_2077:
	s_or_b32 exec_lo, exec_lo, s6
.LBB35_2078:
	s_delay_alu instid0(SALU_CYCLE_1)
	s_or_b32 exec_lo, exec_lo, s4
	global_store_b8 v[2:3], v6, off
.LBB35_2079:
	s_mov_b32 s4, 0
.LBB35_2080:
	s_delay_alu instid0(SALU_CYCLE_1)
	s_and_b32 vcc_lo, exec_lo, s4
	s_cbranch_vccz .LBB35_2120
; %bb.2081:
	s_cmp_gt_i32 s2, 22
	s_mov_b32 s3, -1
	s_cbranch_scc0 .LBB35_2113
; %bb.2082:
	s_cmp_lt_i32 s2, 24
	s_cbranch_scc1 .LBB35_2102
; %bb.2083:
	s_cmp_gt_i32 s2, 24
	s_cbranch_scc0 .LBB35_2091
; %bb.2084:
	s_wait_xcnt 0x0
	v_dual_mov_b32 v6, 0x80 :: v_dual_lshlrev_b32 v5, 16, v1
	s_mov_b32 s3, exec_lo
	s_delay_alu instid0(VALU_DEP_1) | instskip(NEXT) | instid1(VALU_DEP_1)
	v_and_b32_e32 v4, 0x7fffffff, v5
	v_cmpx_gt_u32_e32 0x47800000, v4
	s_cbranch_execz .LBB35_2090
; %bb.2085:
	v_and_b32_e32 v0, 0xffff, v1
	v_cmp_lt_u32_e32 vcc_lo, 0x37ffffff, v4
	s_mov_b32 s4, 0
                                        ; implicit-def: $vgpr4
	s_and_saveexec_b32 s5, vcc_lo
	s_delay_alu instid0(SALU_CYCLE_1)
	s_xor_b32 s5, exec_lo, s5
	s_cbranch_execz .LBB35_2187
; %bb.2086:
	v_bfe_u32 v4, v0, 5, 1
	s_mov_b32 s4, exec_lo
	s_delay_alu instid0(VALU_DEP_1) | instskip(NEXT) | instid1(VALU_DEP_1)
	v_add3_u32 v4, v5, v4, 0x88fffff
                                        ; implicit-def: $vgpr5
	v_lshrrev_b32_e32 v4, 21, v4
	s_and_not1_saveexec_b32 s5, s5
	s_cbranch_execnz .LBB35_2188
.LBB35_2087:
	s_or_b32 exec_lo, exec_lo, s5
	v_mov_b32_e32 v6, 0
	s_and_saveexec_b32 s5, s4
.LBB35_2088:
	v_lshrrev_b32_e32 v0, 8, v0
	s_delay_alu instid0(VALU_DEP_1)
	v_and_or_b32 v6, 0x80, v0, v4
.LBB35_2089:
	s_or_b32 exec_lo, exec_lo, s5
.LBB35_2090:
	s_delay_alu instid0(SALU_CYCLE_1)
	s_or_b32 exec_lo, exec_lo, s3
	s_mov_b32 s3, 0
	global_store_b8 v[2:3], v6, off
.LBB35_2091:
	s_and_b32 vcc_lo, exec_lo, s3
	s_cbranch_vccz .LBB35_2101
; %bb.2092:
	s_wait_xcnt 0x0
	v_lshlrev_b32_e32 v5, 16, v1
	v_and_b32_e32 v0, 0xffff, v1
	s_mov_b32 s3, exec_lo
                                        ; implicit-def: $vgpr4
	s_delay_alu instid0(VALU_DEP_2) | instskip(NEXT) | instid1(VALU_DEP_1)
	v_and_b32_e32 v6, 0x7fffffff, v5
	v_cmpx_gt_u32_e32 0x43f00000, v6
	s_xor_b32 s3, exec_lo, s3
	s_cbranch_execz .LBB35_2098
; %bb.2093:
	s_mov_b32 s4, exec_lo
                                        ; implicit-def: $vgpr4
	v_cmpx_lt_u32_e32 0x3c7fffff, v6
	s_xor_b32 s4, exec_lo, s4
; %bb.2094:
	v_bfe_u32 v4, v0, 4, 1
	s_delay_alu instid0(VALU_DEP_1) | instskip(NEXT) | instid1(VALU_DEP_1)
	v_add3_u32 v4, v5, v4, 0x407ffff
	v_and_b32_e32 v5, 0xff00000, v4
	v_lshrrev_b32_e32 v4, 20, v4
	s_delay_alu instid0(VALU_DEP_2) | instskip(NEXT) | instid1(VALU_DEP_2)
	v_cmp_ne_u32_e32 vcc_lo, 0x7f00000, v5
                                        ; implicit-def: $vgpr5
	v_cndmask_b32_e32 v4, 0x7e, v4, vcc_lo
; %bb.2095:
	s_and_not1_saveexec_b32 s4, s4
; %bb.2096:
	v_add_f32_e64 v4, 0x46800000, |v5|
; %bb.2097:
	s_or_b32 exec_lo, exec_lo, s4
                                        ; implicit-def: $vgpr6
.LBB35_2098:
	s_and_not1_saveexec_b32 s3, s3
; %bb.2099:
	v_mov_b32_e32 v4, 0x7f
	v_cmp_lt_u32_e32 vcc_lo, 0x7f800000, v6
	s_delay_alu instid0(VALU_DEP_2)
	v_cndmask_b32_e32 v4, 0x7e, v4, vcc_lo
; %bb.2100:
	s_or_b32 exec_lo, exec_lo, s3
	v_lshrrev_b32_e32 v0, 8, v0
	s_delay_alu instid0(VALU_DEP_1)
	v_and_or_b32 v0, 0x80, v0, v4
	global_store_b8 v[2:3], v0, off
.LBB35_2101:
	s_mov_b32 s3, 0
.LBB35_2102:
	s_delay_alu instid0(SALU_CYCLE_1)
	s_and_not1_b32 vcc_lo, exec_lo, s3
	s_cbranch_vccnz .LBB35_2112
; %bb.2103:
	s_wait_xcnt 0x0
	v_lshlrev_b32_e32 v5, 16, v1
	v_and_b32_e32 v0, 0xffff, v1
	s_mov_b32 s3, exec_lo
                                        ; implicit-def: $vgpr4
	s_delay_alu instid0(VALU_DEP_2) | instskip(NEXT) | instid1(VALU_DEP_1)
	v_and_b32_e32 v6, 0x7fffffff, v5
	v_cmpx_gt_u32_e32 0x47800000, v6
	s_xor_b32 s3, exec_lo, s3
	s_cbranch_execz .LBB35_2109
; %bb.2104:
	s_mov_b32 s4, exec_lo
                                        ; implicit-def: $vgpr4
	v_cmpx_lt_u32_e32 0x387fffff, v6
	s_xor_b32 s4, exec_lo, s4
; %bb.2105:
	v_bfe_u32 v4, v0, 5, 1
	s_delay_alu instid0(VALU_DEP_1) | instskip(NEXT) | instid1(VALU_DEP_1)
	v_add3_u32 v4, v5, v4, 0x80fffff
                                        ; implicit-def: $vgpr5
	v_lshrrev_b32_e32 v4, 21, v4
; %bb.2106:
	s_and_not1_saveexec_b32 s4, s4
; %bb.2107:
	v_add_f32_e64 v4, 0x43000000, |v5|
; %bb.2108:
	s_or_b32 exec_lo, exec_lo, s4
                                        ; implicit-def: $vgpr6
.LBB35_2109:
	s_and_not1_saveexec_b32 s3, s3
; %bb.2110:
	v_mov_b32_e32 v4, 0x7f
	v_cmp_lt_u32_e32 vcc_lo, 0x7f800000, v6
	s_delay_alu instid0(VALU_DEP_2)
	v_cndmask_b32_e32 v4, 0x7c, v4, vcc_lo
; %bb.2111:
	s_or_b32 exec_lo, exec_lo, s3
	v_lshrrev_b32_e32 v0, 8, v0
	s_delay_alu instid0(VALU_DEP_1)
	v_and_or_b32 v0, 0x80, v0, v4
	global_store_b8 v[2:3], v0, off
.LBB35_2112:
	s_mov_b32 s3, 0
.LBB35_2113:
	s_delay_alu instid0(SALU_CYCLE_1)
	s_and_not1_b32 vcc_lo, exec_lo, s3
	s_mov_b32 s3, 0
	s_cbranch_vccnz .LBB35_2120
; %bb.2114:
	s_cmp_gt_i32 s2, 14
	s_mov_b32 s3, -1
	s_cbranch_scc0 .LBB35_2118
; %bb.2115:
	s_cmp_eq_u32 s2, 15
	s_mov_b32 s0, -1
	s_cbranch_scc0 .LBB35_2117
; %bb.2116:
	s_mov_b32 s0, 0
	global_store_b16 v[2:3], v1, off
.LBB35_2117:
	s_mov_b32 s3, 0
.LBB35_2118:
	s_delay_alu instid0(SALU_CYCLE_1)
	s_and_b32 vcc_lo, exec_lo, s3
	s_mov_b32 s3, 0
	s_cbranch_vccz .LBB35_2120
; %bb.2119:
	s_cmp_lg_u32 s2, 11
	s_mov_b32 s3, -1
	s_cselect_b32 s0, -1, 0
.LBB35_2120:
	s_delay_alu instid0(SALU_CYCLE_1)
	s_and_b32 vcc_lo, exec_lo, s0
	s_cbranch_vccnz .LBB35_2186
.LBB35_2121:
	s_mov_b32 s0, 0
	s_branch .LBB35_2123
.LBB35_2122:
	s_mov_b32 s0, 0
	s_mov_b32 s3, 0
                                        ; implicit-def: $vgpr2_vgpr3
                                        ; implicit-def: $sgpr1
                                        ; implicit-def: $vgpr1
.LBB35_2123:
	s_and_not1_b32 s2, s8, exec_lo
	s_and_b32 s4, s10, exec_lo
	s_and_b32 s0, s0, exec_lo
	;; [unrolled: 1-line block ×3, first 2 shown]
	s_or_b32 s8, s2, s4
.LBB35_2124:
	s_wait_xcnt 0x0
	s_or_b32 exec_lo, exec_lo, s9
	s_and_saveexec_b32 s2, s8
	s_cbranch_execz .LBB35_2127
; %bb.2125:
	; divergent unreachable
	s_or_b32 exec_lo, exec_lo, s2
	s_and_saveexec_b32 s2, s34
	s_delay_alu instid0(SALU_CYCLE_1)
	s_xor_b32 s2, exec_lo, s2
	s_cbranch_execnz .LBB35_2128
.LBB35_2126:
	s_or_b32 exec_lo, exec_lo, s2
	s_and_saveexec_b32 s2, s0
	s_cbranch_execnz .LBB35_2129
	s_branch .LBB35_2166
.LBB35_2127:
	s_or_b32 exec_lo, exec_lo, s2
	s_and_saveexec_b32 s2, s34
	s_delay_alu instid0(SALU_CYCLE_1)
	s_xor_b32 s2, exec_lo, s2
	s_cbranch_execz .LBB35_2126
.LBB35_2128:
	s_wait_loadcnt 0x0
	v_and_b32_e32 v0, 0x7fff, v1
	s_delay_alu instid0(VALU_DEP_1)
	v_cmp_ne_u16_e32 vcc_lo, 0, v0
	v_cndmask_b32_e64 v0, 0, 1, vcc_lo
	global_store_b8 v[2:3], v0, off
	s_wait_xcnt 0x0
	s_or_b32 exec_lo, exec_lo, s2
	s_and_saveexec_b32 s2, s0
	s_cbranch_execz .LBB35_2166
.LBB35_2129:
	s_sext_i32_i16 s2, s1
	s_mov_b32 s0, -1
	s_cmp_lt_i32 s2, 5
	s_cbranch_scc1 .LBB35_2150
; %bb.2130:
	s_cmp_lt_i32 s2, 8
	s_cbranch_scc1 .LBB35_2140
; %bb.2131:
	s_cmp_lt_i32 s2, 9
	s_cbranch_scc1 .LBB35_2137
; %bb.2132:
	s_cmp_gt_i32 s2, 9
	s_cbranch_scc0 .LBB35_2134
; %bb.2133:
	s_wait_loadcnt 0x0
	v_dual_lshlrev_b32 v0, 16, v1 :: v_dual_mov_b32 v6, 0
	s_mov_b32 s0, 0
	s_delay_alu instid0(VALU_DEP_1) | instskip(NEXT) | instid1(VALU_DEP_2)
	v_cvt_f64_f32_e32 v[4:5], v0
	v_mov_b32_e32 v7, v6
	global_store_b128 v[2:3], v[4:7], off
.LBB35_2134:
	s_and_not1_b32 vcc_lo, exec_lo, s0
	s_cbranch_vccnz .LBB35_2136
; %bb.2135:
	s_wait_loadcnt 0x0
	v_dual_mov_b32 v5, 0 :: v_dual_lshlrev_b32 v4, 16, v1
	global_store_b64 v[2:3], v[4:5], off
.LBB35_2136:
	s_mov_b32 s0, 0
.LBB35_2137:
	s_delay_alu instid0(SALU_CYCLE_1)
	s_and_not1_b32 vcc_lo, exec_lo, s0
	s_cbranch_vccnz .LBB35_2139
; %bb.2138:
	s_wait_loadcnt 0x0
	v_lshlrev_b32_e32 v0, 16, v1
	s_delay_alu instid0(VALU_DEP_1) | instskip(NEXT) | instid1(VALU_DEP_1)
	v_cvt_f16_f32_e32 v0, v0
	v_and_b32_e32 v0, 0xffff, v0
	global_store_b32 v[2:3], v0, off
.LBB35_2139:
	s_mov_b32 s0, 0
.LBB35_2140:
	s_delay_alu instid0(SALU_CYCLE_1)
	s_and_not1_b32 vcc_lo, exec_lo, s0
	s_cbranch_vccnz .LBB35_2149
; %bb.2141:
	s_sext_i32_i16 s2, s1
	s_mov_b32 s0, -1
	s_cmp_lt_i32 s2, 6
	s_cbranch_scc1 .LBB35_2147
; %bb.2142:
	s_cmp_gt_i32 s2, 6
	s_cbranch_scc0 .LBB35_2144
; %bb.2143:
	s_wait_loadcnt 0x0
	v_lshlrev_b32_e32 v0, 16, v1
	s_mov_b32 s0, 0
	s_delay_alu instid0(VALU_DEP_1)
	v_cvt_f64_f32_e32 v[4:5], v0
	global_store_b64 v[2:3], v[4:5], off
.LBB35_2144:
	s_and_not1_b32 vcc_lo, exec_lo, s0
	s_cbranch_vccnz .LBB35_2146
; %bb.2145:
	s_wait_loadcnt 0x0
	v_lshlrev_b32_e32 v0, 16, v1
	global_store_b32 v[2:3], v0, off
.LBB35_2146:
	s_mov_b32 s0, 0
.LBB35_2147:
	s_delay_alu instid0(SALU_CYCLE_1)
	s_and_not1_b32 vcc_lo, exec_lo, s0
	s_cbranch_vccnz .LBB35_2149
; %bb.2148:
	s_wait_loadcnt 0x0
	v_lshlrev_b32_e32 v0, 16, v1
	s_delay_alu instid0(VALU_DEP_1)
	v_cvt_f16_f32_e32 v0, v0
	global_store_b16 v[2:3], v0, off
.LBB35_2149:
	s_mov_b32 s0, 0
.LBB35_2150:
	s_delay_alu instid0(SALU_CYCLE_1)
	s_and_not1_b32 vcc_lo, exec_lo, s0
	s_cbranch_vccnz .LBB35_2166
; %bb.2151:
	s_sext_i32_i16 s2, s1
	s_mov_b32 s0, -1
	s_cmp_lt_i32 s2, 2
	s_cbranch_scc1 .LBB35_2161
; %bb.2152:
	s_cmp_lt_i32 s2, 3
	s_cbranch_scc1 .LBB35_2158
; %bb.2153:
	s_cmp_gt_i32 s2, 3
	s_cbranch_scc0 .LBB35_2155
; %bb.2154:
	s_wait_loadcnt 0x0
	v_lshlrev_b32_e32 v0, 16, v1
	s_mov_b32 s0, 0
	s_delay_alu instid0(VALU_DEP_1) | instskip(NEXT) | instid1(VALU_DEP_1)
	v_trunc_f32_e32 v0, v0
	v_mul_f32_e64 v4, 0x2f800000, |v0|
	s_delay_alu instid0(VALU_DEP_1) | instskip(SKIP_1) | instid1(VALU_DEP_2)
	v_floor_f32_e32 v5, v4
	v_ashrrev_i32_e32 v4, 31, v0
	v_fma_f32 v6, 0xcf800000, v5, |v0|
	v_cvt_u32_f32_e32 v0, v5
	s_delay_alu instid0(VALU_DEP_3) | instskip(NEXT) | instid1(VALU_DEP_3)
	v_mov_b32_e32 v5, v4
	v_cvt_u32_f32_e32 v6, v6
	s_delay_alu instid0(VALU_DEP_3) | instskip(NEXT) | instid1(VALU_DEP_2)
	v_xor_b32_e32 v7, v0, v4
	v_xor_b32_e32 v6, v6, v4
	s_delay_alu instid0(VALU_DEP_1)
	v_sub_nc_u64_e32 v[4:5], v[6:7], v[4:5]
	global_store_b64 v[2:3], v[4:5], off
.LBB35_2155:
	s_and_not1_b32 vcc_lo, exec_lo, s0
	s_cbranch_vccnz .LBB35_2157
; %bb.2156:
	s_wait_loadcnt 0x0
	v_lshlrev_b32_e32 v0, 16, v1
	s_delay_alu instid0(VALU_DEP_1)
	v_cvt_i32_f32_e32 v0, v0
	global_store_b32 v[2:3], v0, off
.LBB35_2157:
	s_mov_b32 s0, 0
.LBB35_2158:
	s_delay_alu instid0(SALU_CYCLE_1)
	s_and_not1_b32 vcc_lo, exec_lo, s0
	s_cbranch_vccnz .LBB35_2160
; %bb.2159:
	s_wait_loadcnt 0x0
	v_lshlrev_b32_e32 v0, 16, v1
	s_delay_alu instid0(VALU_DEP_1)
	v_cvt_i32_f32_e32 v0, v0
	global_store_b16 v[2:3], v0, off
.LBB35_2160:
	s_mov_b32 s0, 0
.LBB35_2161:
	s_delay_alu instid0(SALU_CYCLE_1)
	s_and_not1_b32 vcc_lo, exec_lo, s0
	s_cbranch_vccnz .LBB35_2166
; %bb.2162:
	s_sext_i32_i16 s0, s1
	s_delay_alu instid0(SALU_CYCLE_1)
	s_cmp_gt_i32 s0, 0
	s_mov_b32 s0, -1
	s_cbranch_scc0 .LBB35_2164
; %bb.2163:
	s_wait_loadcnt 0x0
	v_lshlrev_b32_e32 v0, 16, v1
	s_mov_b32 s0, 0
	s_delay_alu instid0(VALU_DEP_1)
	v_cvt_i32_f32_e32 v0, v0
	global_store_b8 v[2:3], v0, off
.LBB35_2164:
	s_and_not1_b32 vcc_lo, exec_lo, s0
	s_cbranch_vccnz .LBB35_2166
; %bb.2165:
	s_wait_loadcnt 0x0
	v_lshlrev_b32_e32 v0, 16, v1
	s_delay_alu instid0(VALU_DEP_1) | instskip(NEXT) | instid1(VALU_DEP_1)
	v_trunc_f32_e32 v0, v0
	v_mul_f32_e64 v1, 0x2f800000, |v0|
	s_delay_alu instid0(VALU_DEP_1) | instskip(NEXT) | instid1(VALU_DEP_1)
	v_floor_f32_e32 v1, v1
	v_fma_f32 v1, 0xcf800000, v1, |v0|
	v_ashrrev_i32_e32 v0, 31, v0
	s_delay_alu instid0(VALU_DEP_2) | instskip(NEXT) | instid1(VALU_DEP_1)
	v_cvt_u32_f32_e32 v1, v1
	v_xor_b32_e32 v1, v1, v0
	s_delay_alu instid0(VALU_DEP_1)
	v_sub_nc_u32_e32 v0, v1, v0
	global_store_b8 v[2:3], v0, off
	s_endpgm
.LBB35_2166:
	s_endpgm
.LBB35_2167:
	s_mov_b32 s3, 0
	s_mov_b32 s0, -1
	s_branch .LBB35_2123
.LBB35_2168:
	s_or_b32 s10, s10, exec_lo
	s_trap 2
	s_cbranch_execz .LBB35_1635
	s_branch .LBB35_1636
.LBB35_2169:
	s_and_not1_saveexec_b32 s11, s11
	s_cbranch_execz .LBB35_1717
.LBB35_2170:
	v_add_f32_e64 v9, 0x46000000, |v11|
	s_and_not1_b32 s7, s7, exec_lo
	s_delay_alu instid0(VALU_DEP_1) | instskip(NEXT) | instid1(VALU_DEP_1)
	v_and_b32_e32 v9, 0xff, v9
	v_cmp_ne_u32_e32 vcc_lo, 0, v9
	s_and_b32 s12, vcc_lo, exec_lo
	s_delay_alu instid0(SALU_CYCLE_1)
	s_or_b32 s7, s7, s12
	s_or_b32 exec_lo, exec_lo, s11
	v_mov_b32_e32 v12, 0
	s_and_saveexec_b32 s11, s7
	s_cbranch_execnz .LBB35_1718
	s_branch .LBB35_1719
.LBB35_2171:
	s_or_b32 s10, s10, exec_lo
	s_trap 2
	s_cbranch_execz .LBB35_1765
	s_branch .LBB35_1766
.LBB35_2172:
	s_and_not1_saveexec_b32 s7, s7
	s_cbranch_execz .LBB35_1730
.LBB35_2173:
	v_add_f32_e64 v9, 0x42800000, |v11|
	s_and_not1_b32 s6, s6, exec_lo
	s_delay_alu instid0(VALU_DEP_1) | instskip(NEXT) | instid1(VALU_DEP_1)
	v_and_b32_e32 v9, 0xff, v9
	v_cmp_ne_u32_e32 vcc_lo, 0, v9
	s_and_b32 s11, vcc_lo, exec_lo
	s_delay_alu instid0(SALU_CYCLE_1)
	s_or_b32 s6, s6, s11
	s_or_b32 exec_lo, exec_lo, s7
	v_mov_b32_e32 v12, 0
	s_and_saveexec_b32 s7, s6
	s_cbranch_execnz .LBB35_1731
	s_branch .LBB35_1732
.LBB35_2174:
	s_and_not1_saveexec_b32 s11, s11
	s_cbranch_execz .LBB35_1836
.LBB35_2175:
	v_add_f32_e64 v6, 0x46000000, |v7|
	s_and_not1_b32 s7, s7, exec_lo
	s_delay_alu instid0(VALU_DEP_1) | instskip(NEXT) | instid1(VALU_DEP_1)
	v_and_b32_e32 v6, 0xff, v6
	v_cmp_ne_u32_e32 vcc_lo, 0, v6
	s_and_b32 s12, vcc_lo, exec_lo
	s_delay_alu instid0(SALU_CYCLE_1)
	s_or_b32 s7, s7, s12
	s_or_b32 exec_lo, exec_lo, s11
	v_mov_b32_e32 v9, 0
	s_and_saveexec_b32 s11, s7
	s_cbranch_execnz .LBB35_1837
	s_branch .LBB35_1838
.LBB35_2176:
	s_or_b32 s10, s10, exec_lo
	s_trap 2
	s_cbranch_execz .LBB35_1884
	s_branch .LBB35_1885
.LBB35_2177:
	s_and_not1_saveexec_b32 s7, s7
	s_cbranch_execz .LBB35_1849
.LBB35_2178:
	v_add_f32_e64 v6, 0x42800000, |v7|
	s_and_not1_b32 s6, s6, exec_lo
	s_delay_alu instid0(VALU_DEP_1) | instskip(NEXT) | instid1(VALU_DEP_1)
	v_and_b32_e32 v6, 0xff, v6
	v_cmp_ne_u32_e32 vcc_lo, 0, v6
	s_and_b32 s11, vcc_lo, exec_lo
	s_delay_alu instid0(SALU_CYCLE_1)
	s_or_b32 s6, s6, s11
	s_or_b32 exec_lo, exec_lo, s7
	v_mov_b32_e32 v9, 0
	s_and_saveexec_b32 s7, s6
	s_cbranch_execnz .LBB35_1850
	s_branch .LBB35_1851
.LBB35_2179:
	s_and_not1_saveexec_b32 s11, s11
	s_cbranch_execz .LBB35_1955
.LBB35_2180:
	v_add_f32_e64 v5, 0x46000000, |v6|
	s_and_not1_b32 s7, s7, exec_lo
	s_delay_alu instid0(VALU_DEP_1) | instskip(NEXT) | instid1(VALU_DEP_1)
	v_and_b32_e32 v5, 0xff, v5
	v_cmp_ne_u32_e32 vcc_lo, 0, v5
	s_and_b32 s12, vcc_lo, exec_lo
	s_delay_alu instid0(SALU_CYCLE_1)
	s_or_b32 s7, s7, s12
	s_or_b32 exec_lo, exec_lo, s11
	v_mov_b32_e32 v7, 0
	s_and_saveexec_b32 s11, s7
	s_cbranch_execnz .LBB35_1956
	s_branch .LBB35_1957
.LBB35_2181:
	s_or_b32 s10, s10, exec_lo
	s_trap 2
	s_cbranch_execz .LBB35_2003
	s_branch .LBB35_2004
.LBB35_2182:
	s_and_not1_saveexec_b32 s7, s7
	s_cbranch_execz .LBB35_1968
.LBB35_2183:
	v_add_f32_e64 v5, 0x42800000, |v6|
	s_and_not1_b32 s6, s6, exec_lo
	s_delay_alu instid0(VALU_DEP_1) | instskip(NEXT) | instid1(VALU_DEP_1)
	v_and_b32_e32 v5, 0xff, v5
	v_cmp_ne_u32_e32 vcc_lo, 0, v5
	s_and_b32 s11, vcc_lo, exec_lo
	s_delay_alu instid0(SALU_CYCLE_1)
	s_or_b32 s6, s6, s11
	s_or_b32 exec_lo, exec_lo, s7
	v_mov_b32_e32 v7, 0
	s_and_saveexec_b32 s7, s6
	s_cbranch_execnz .LBB35_1969
	s_branch .LBB35_1970
.LBB35_2184:
	s_and_not1_saveexec_b32 s6, s6
	s_cbranch_execz .LBB35_2075
.LBB35_2185:
	v_add_f32_e64 v4, 0x46000000, |v5|
	s_and_not1_b32 s5, s5, exec_lo
	s_delay_alu instid0(VALU_DEP_1) | instskip(NEXT) | instid1(VALU_DEP_1)
	v_and_b32_e32 v4, 0xff, v4
	v_cmp_ne_u32_e32 vcc_lo, 0, v4
	s_and_b32 s7, vcc_lo, exec_lo
	s_delay_alu instid0(SALU_CYCLE_1)
	s_or_b32 s5, s5, s7
	s_or_b32 exec_lo, exec_lo, s6
	v_mov_b32_e32 v6, 0
	s_and_saveexec_b32 s6, s5
	s_cbranch_execnz .LBB35_2076
	s_branch .LBB35_2077
.LBB35_2186:
	s_mov_b32 s3, 0
	s_or_b32 s10, s10, exec_lo
	s_trap 2
	s_branch .LBB35_2121
.LBB35_2187:
	s_and_not1_saveexec_b32 s5, s5
	s_cbranch_execz .LBB35_2087
.LBB35_2188:
	v_add_f32_e64 v4, 0x42800000, |v5|
	s_and_not1_b32 s4, s4, exec_lo
	s_delay_alu instid0(VALU_DEP_1) | instskip(NEXT) | instid1(VALU_DEP_1)
	v_and_b32_e32 v4, 0xff, v4
	v_cmp_ne_u32_e32 vcc_lo, 0, v4
	s_and_b32 s6, vcc_lo, exec_lo
	s_delay_alu instid0(SALU_CYCLE_1)
	s_or_b32 s4, s4, s6
	s_or_b32 exec_lo, exec_lo, s5
	v_mov_b32_e32 v6, 0
	s_and_saveexec_b32 s5, s4
	s_cbranch_execnz .LBB35_2088
	s_branch .LBB35_2089
	.section	.rodata,"a",@progbits
	.p2align	6, 0x0
	.amdhsa_kernel _ZN2at6native32elementwise_kernel_manual_unrollILi128ELi4EZNS0_15gpu_kernel_implIZZZNS0_12_GLOBAL__N_115softplus_kernelERNS_18TensorIteratorBaseERKN3c106ScalarES9_ENKUlvE_clEvENKUlvE2_clEvEUlNS6_8BFloat16EE_EEvS5_RKT_EUlibE0_EEviT1_
		.amdhsa_group_segment_fixed_size 0
		.amdhsa_private_segment_fixed_size 0
		.amdhsa_kernarg_size 368
		.amdhsa_user_sgpr_count 2
		.amdhsa_user_sgpr_dispatch_ptr 0
		.amdhsa_user_sgpr_queue_ptr 0
		.amdhsa_user_sgpr_kernarg_segment_ptr 1
		.amdhsa_user_sgpr_dispatch_id 0
		.amdhsa_user_sgpr_kernarg_preload_length 0
		.amdhsa_user_sgpr_kernarg_preload_offset 0
		.amdhsa_user_sgpr_private_segment_size 0
		.amdhsa_wavefront_size32 1
		.amdhsa_uses_dynamic_stack 0
		.amdhsa_enable_private_segment 0
		.amdhsa_system_sgpr_workgroup_id_x 1
		.amdhsa_system_sgpr_workgroup_id_y 0
		.amdhsa_system_sgpr_workgroup_id_z 0
		.amdhsa_system_sgpr_workgroup_info 0
		.amdhsa_system_vgpr_workitem_id 0
		.amdhsa_next_free_vgpr 30
		.amdhsa_next_free_sgpr 68
		.amdhsa_named_barrier_count 0
		.amdhsa_reserve_vcc 1
		.amdhsa_float_round_mode_32 0
		.amdhsa_float_round_mode_16_64 0
		.amdhsa_float_denorm_mode_32 3
		.amdhsa_float_denorm_mode_16_64 3
		.amdhsa_fp16_overflow 0
		.amdhsa_memory_ordered 1
		.amdhsa_forward_progress 1
		.amdhsa_inst_pref_size 255
		.amdhsa_round_robin_scheduling 0
		.amdhsa_exception_fp_ieee_invalid_op 0
		.amdhsa_exception_fp_denorm_src 0
		.amdhsa_exception_fp_ieee_div_zero 0
		.amdhsa_exception_fp_ieee_overflow 0
		.amdhsa_exception_fp_ieee_underflow 0
		.amdhsa_exception_fp_ieee_inexact 0
		.amdhsa_exception_int_div_zero 0
	.end_amdhsa_kernel
	.section	.text._ZN2at6native32elementwise_kernel_manual_unrollILi128ELi4EZNS0_15gpu_kernel_implIZZZNS0_12_GLOBAL__N_115softplus_kernelERNS_18TensorIteratorBaseERKN3c106ScalarES9_ENKUlvE_clEvENKUlvE2_clEvEUlNS6_8BFloat16EE_EEvS5_RKT_EUlibE0_EEviT1_,"axG",@progbits,_ZN2at6native32elementwise_kernel_manual_unrollILi128ELi4EZNS0_15gpu_kernel_implIZZZNS0_12_GLOBAL__N_115softplus_kernelERNS_18TensorIteratorBaseERKN3c106ScalarES9_ENKUlvE_clEvENKUlvE2_clEvEUlNS6_8BFloat16EE_EEvS5_RKT_EUlibE0_EEviT1_,comdat
.Lfunc_end35:
	.size	_ZN2at6native32elementwise_kernel_manual_unrollILi128ELi4EZNS0_15gpu_kernel_implIZZZNS0_12_GLOBAL__N_115softplus_kernelERNS_18TensorIteratorBaseERKN3c106ScalarES9_ENKUlvE_clEvENKUlvE2_clEvEUlNS6_8BFloat16EE_EEvS5_RKT_EUlibE0_EEviT1_, .Lfunc_end35-_ZN2at6native32elementwise_kernel_manual_unrollILi128ELi4EZNS0_15gpu_kernel_implIZZZNS0_12_GLOBAL__N_115softplus_kernelERNS_18TensorIteratorBaseERKN3c106ScalarES9_ENKUlvE_clEvENKUlvE2_clEvEUlNS6_8BFloat16EE_EEvS5_RKT_EUlibE0_EEviT1_
                                        ; -- End function
	.set _ZN2at6native32elementwise_kernel_manual_unrollILi128ELi4EZNS0_15gpu_kernel_implIZZZNS0_12_GLOBAL__N_115softplus_kernelERNS_18TensorIteratorBaseERKN3c106ScalarES9_ENKUlvE_clEvENKUlvE2_clEvEUlNS6_8BFloat16EE_EEvS5_RKT_EUlibE0_EEviT1_.num_vgpr, 30
	.set _ZN2at6native32elementwise_kernel_manual_unrollILi128ELi4EZNS0_15gpu_kernel_implIZZZNS0_12_GLOBAL__N_115softplus_kernelERNS_18TensorIteratorBaseERKN3c106ScalarES9_ENKUlvE_clEvENKUlvE2_clEvEUlNS6_8BFloat16EE_EEvS5_RKT_EUlibE0_EEviT1_.num_agpr, 0
	.set _ZN2at6native32elementwise_kernel_manual_unrollILi128ELi4EZNS0_15gpu_kernel_implIZZZNS0_12_GLOBAL__N_115softplus_kernelERNS_18TensorIteratorBaseERKN3c106ScalarES9_ENKUlvE_clEvENKUlvE2_clEvEUlNS6_8BFloat16EE_EEvS5_RKT_EUlibE0_EEviT1_.numbered_sgpr, 68
	.set _ZN2at6native32elementwise_kernel_manual_unrollILi128ELi4EZNS0_15gpu_kernel_implIZZZNS0_12_GLOBAL__N_115softplus_kernelERNS_18TensorIteratorBaseERKN3c106ScalarES9_ENKUlvE_clEvENKUlvE2_clEvEUlNS6_8BFloat16EE_EEvS5_RKT_EUlibE0_EEviT1_.num_named_barrier, 0
	.set _ZN2at6native32elementwise_kernel_manual_unrollILi128ELi4EZNS0_15gpu_kernel_implIZZZNS0_12_GLOBAL__N_115softplus_kernelERNS_18TensorIteratorBaseERKN3c106ScalarES9_ENKUlvE_clEvENKUlvE2_clEvEUlNS6_8BFloat16EE_EEvS5_RKT_EUlibE0_EEviT1_.private_seg_size, 0
	.set _ZN2at6native32elementwise_kernel_manual_unrollILi128ELi4EZNS0_15gpu_kernel_implIZZZNS0_12_GLOBAL__N_115softplus_kernelERNS_18TensorIteratorBaseERKN3c106ScalarES9_ENKUlvE_clEvENKUlvE2_clEvEUlNS6_8BFloat16EE_EEvS5_RKT_EUlibE0_EEviT1_.uses_vcc, 1
	.set _ZN2at6native32elementwise_kernel_manual_unrollILi128ELi4EZNS0_15gpu_kernel_implIZZZNS0_12_GLOBAL__N_115softplus_kernelERNS_18TensorIteratorBaseERKN3c106ScalarES9_ENKUlvE_clEvENKUlvE2_clEvEUlNS6_8BFloat16EE_EEvS5_RKT_EUlibE0_EEviT1_.uses_flat_scratch, 0
	.set _ZN2at6native32elementwise_kernel_manual_unrollILi128ELi4EZNS0_15gpu_kernel_implIZZZNS0_12_GLOBAL__N_115softplus_kernelERNS_18TensorIteratorBaseERKN3c106ScalarES9_ENKUlvE_clEvENKUlvE2_clEvEUlNS6_8BFloat16EE_EEvS5_RKT_EUlibE0_EEviT1_.has_dyn_sized_stack, 0
	.set _ZN2at6native32elementwise_kernel_manual_unrollILi128ELi4EZNS0_15gpu_kernel_implIZZZNS0_12_GLOBAL__N_115softplus_kernelERNS_18TensorIteratorBaseERKN3c106ScalarES9_ENKUlvE_clEvENKUlvE2_clEvEUlNS6_8BFloat16EE_EEvS5_RKT_EUlibE0_EEviT1_.has_recursion, 0
	.set _ZN2at6native32elementwise_kernel_manual_unrollILi128ELi4EZNS0_15gpu_kernel_implIZZZNS0_12_GLOBAL__N_115softplus_kernelERNS_18TensorIteratorBaseERKN3c106ScalarES9_ENKUlvE_clEvENKUlvE2_clEvEUlNS6_8BFloat16EE_EEvS5_RKT_EUlibE0_EEviT1_.has_indirect_call, 0
	.section	.AMDGPU.csdata,"",@progbits
; Kernel info:
; codeLenInByte = 58504
; TotalNumSgprs: 70
; NumVgprs: 30
; ScratchSize: 0
; MemoryBound: 0
; FloatMode: 240
; IeeeMode: 1
; LDSByteSize: 0 bytes/workgroup (compile time only)
; SGPRBlocks: 0
; VGPRBlocks: 1
; NumSGPRsForWavesPerEU: 70
; NumVGPRsForWavesPerEU: 30
; NamedBarCnt: 0
; Occupancy: 16
; WaveLimiterHint : 1
; COMPUTE_PGM_RSRC2:SCRATCH_EN: 0
; COMPUTE_PGM_RSRC2:USER_SGPR: 2
; COMPUTE_PGM_RSRC2:TRAP_HANDLER: 0
; COMPUTE_PGM_RSRC2:TGID_X_EN: 1
; COMPUTE_PGM_RSRC2:TGID_Y_EN: 0
; COMPUTE_PGM_RSRC2:TGID_Z_EN: 0
; COMPUTE_PGM_RSRC2:TIDIG_COMP_CNT: 0
	.section	.text._ZN2at6native29vectorized_elementwise_kernelILi16EZZZNS0_12_GLOBAL__N_124softplus_backward_kernelERNS_18TensorIteratorBaseERKN3c106ScalarES8_ENKUlvE_clEvENKUlvE_clEvEUlddE_St5arrayIPcLm3EEEEviT0_T1_,"axG",@progbits,_ZN2at6native29vectorized_elementwise_kernelILi16EZZZNS0_12_GLOBAL__N_124softplus_backward_kernelERNS_18TensorIteratorBaseERKN3c106ScalarES8_ENKUlvE_clEvENKUlvE_clEvEUlddE_St5arrayIPcLm3EEEEviT0_T1_,comdat
	.globl	_ZN2at6native29vectorized_elementwise_kernelILi16EZZZNS0_12_GLOBAL__N_124softplus_backward_kernelERNS_18TensorIteratorBaseERKN3c106ScalarES8_ENKUlvE_clEvENKUlvE_clEvEUlddE_St5arrayIPcLm3EEEEviT0_T1_ ; -- Begin function _ZN2at6native29vectorized_elementwise_kernelILi16EZZZNS0_12_GLOBAL__N_124softplus_backward_kernelERNS_18TensorIteratorBaseERKN3c106ScalarES8_ENKUlvE_clEvENKUlvE_clEvEUlddE_St5arrayIPcLm3EEEEviT0_T1_
	.p2align	8
	.type	_ZN2at6native29vectorized_elementwise_kernelILi16EZZZNS0_12_GLOBAL__N_124softplus_backward_kernelERNS_18TensorIteratorBaseERKN3c106ScalarES8_ENKUlvE_clEvENKUlvE_clEvEUlddE_St5arrayIPcLm3EEEEviT0_T1_,@function
_ZN2at6native29vectorized_elementwise_kernelILi16EZZZNS0_12_GLOBAL__N_124softplus_backward_kernelERNS_18TensorIteratorBaseERKN3c106ScalarES8_ENKUlvE_clEvENKUlvE_clEvEUlddE_St5arrayIPcLm3EEEEviT0_T1_: ; @_ZN2at6native29vectorized_elementwise_kernelILi16EZZZNS0_12_GLOBAL__N_124softplus_backward_kernelERNS_18TensorIteratorBaseERKN3c106ScalarES8_ENKUlvE_clEvENKUlvE_clEvEUlddE_St5arrayIPcLm3EEEEviT0_T1_
; %bb.0:
	s_clause 0x2
	s_load_b32 s3, s[0:1], 0x0
	s_load_b256 s[4:11], s[0:1], 0x8
	s_load_b64 s[12:13], s[0:1], 0x28
	s_wait_xcnt 0x0
	s_bfe_u32 s0, ttmp6, 0x4000c
	s_and_b32 s1, ttmp6, 15
	s_add_co_i32 s0, s0, 1
	s_getreg_b32 s2, hwreg(HW_REG_IB_STS2, 6, 4)
	s_mul_i32 s0, ttmp9, s0
	s_delay_alu instid0(SALU_CYCLE_1) | instskip(SKIP_2) | instid1(SALU_CYCLE_1)
	s_add_co_i32 s1, s1, s0
	s_cmp_eq_u32 s2, 0
	s_cselect_b32 s0, ttmp9, s1
	s_lshl_b32 s2, s0, 10
	s_mov_b32 s0, -1
	s_wait_kmcnt 0x0
	s_sub_co_i32 s16, s3, s2
	s_delay_alu instid0(SALU_CYCLE_1)
	s_cmp_gt_i32 s16, 0x3ff
	s_cbranch_scc0 .LBB36_10
; %bb.1:
	s_ashr_i32 s3, s2, 31
	v_lshlrev_b32_e32 v1, 5, v0
	s_lshl_b64 s[14:15], s[2:3], 3
	s_delay_alu instid0(SALU_CYCLE_1)
	s_add_nc_u64 s[0:1], s[12:13], s[14:15]
	s_add_nc_u64 s[18:19], s[10:11], s[14:15]
	global_load_b128 v[14:17], v1, s[0:1]
	s_wait_loadcnt 0x0
	v_mul_f64_e32 v[14:15], s[4:5], v[14:15]
	s_clause 0x2
	global_load_b128 v[10:13], v1, s[0:1] offset:16
	global_load_b128 v[2:5], v1, s[18:19] offset:16
	global_load_b128 v[6:9], v1, s[18:19]
	s_wait_xcnt 0x2
	s_mov_b32 s1, exec_lo
	s_wait_xcnt 0x0
	v_cmpx_nlt_f64_e32 s[6:7], v[14:15]
	s_cbranch_execz .LBB36_3
; %bb.2:
	v_mul_f64_e32 v[18:19], 0x3ff71547652b82fe, v[14:15]
	s_mov_b64 s[18:19], 0x3e5ade156a5dcb37
	v_cmp_nlt_f64_e32 vcc_lo, 0x40900000, v[14:15]
	v_cmp_ngt_f64_e64 s0, 0xc090cc00, v[14:15]
	s_delay_alu instid0(VALU_DEP_3) | instskip(NEXT) | instid1(VALU_DEP_1)
	v_rndne_f64_e32 v[18:19], v[18:19]
	v_fmamk_f64 v[20:21], v[18:19], 0xbfe62e42fefa39ef, v[14:15]
	v_cvt_i32_f64_e32 v24, v[18:19]
	s_delay_alu instid0(VALU_DEP_2) | instskip(NEXT) | instid1(VALU_DEP_1)
	v_fmamk_f64 v[20:21], v[18:19], 0xbc7abc9e3b39803f, v[20:21]
	v_fmaak_f64 v[22:23], s[18:19], v[20:21], 0x3e928af3fca7ab0c
	s_delay_alu instid0(VALU_DEP_1) | instskip(NEXT) | instid1(VALU_DEP_1)
	v_fmaak_f64 v[22:23], v[20:21], v[22:23], 0x3ec71dee623fde64
	v_fmaak_f64 v[22:23], v[20:21], v[22:23], 0x3efa01997c89e6b0
	s_delay_alu instid0(VALU_DEP_1) | instskip(NEXT) | instid1(VALU_DEP_1)
	v_fmaak_f64 v[22:23], v[20:21], v[22:23], 0x3f2a01a014761f6e
	;; [unrolled: 3-line block ×4, first 2 shown]
	v_fmaak_f64 v[22:23], v[20:21], v[22:23], 0x3fe000000000000b
	s_delay_alu instid0(VALU_DEP_1) | instskip(NEXT) | instid1(VALU_DEP_1)
	v_fma_f64 v[22:23], v[20:21], v[22:23], 1.0
	v_fma_f64 v[18:19], v[20:21], v[22:23], 1.0
	s_delay_alu instid0(VALU_DEP_1) | instskip(NEXT) | instid1(VALU_DEP_1)
	v_ldexp_f64 v[18:19], v[18:19], v24
	v_cndmask_b32_e32 v19, 0x7ff00000, v19, vcc_lo
	s_and_b32 vcc_lo, s0, vcc_lo
	s_delay_alu instid0(VALU_DEP_1) | instid1(SALU_CYCLE_1)
	v_dual_cndmask_b32 v14, 0, v18, vcc_lo :: v_dual_cndmask_b32 v15, 0, v19, s0
	s_wait_loadcnt 0x0
	s_delay_alu instid0(VALU_DEP_1) | instskip(SKIP_1) | instid1(VALU_DEP_1)
	v_mul_f64_e32 v[6:7], v[6:7], v[14:15]
	v_add_f64_e32 v[14:15], 1.0, v[14:15]
	v_div_scale_f64 v[18:19], null, v[14:15], v[14:15], v[6:7]
	s_delay_alu instid0(VALU_DEP_1) | instskip(SKIP_1) | instid1(TRANS32_DEP_1)
	v_rcp_f64_e32 v[20:21], v[18:19]
	v_nop
	v_fma_f64 v[22:23], -v[18:19], v[20:21], 1.0
	s_delay_alu instid0(VALU_DEP_1) | instskip(NEXT) | instid1(VALU_DEP_1)
	v_fmac_f64_e32 v[20:21], v[20:21], v[22:23]
	v_fma_f64 v[22:23], -v[18:19], v[20:21], 1.0
	s_delay_alu instid0(VALU_DEP_1) | instskip(SKIP_1) | instid1(VALU_DEP_1)
	v_fmac_f64_e32 v[20:21], v[20:21], v[22:23]
	v_div_scale_f64 v[22:23], vcc_lo, v[6:7], v[14:15], v[6:7]
	v_mul_f64_e32 v[24:25], v[22:23], v[20:21]
	s_delay_alu instid0(VALU_DEP_1) | instskip(NEXT) | instid1(VALU_DEP_1)
	v_fma_f64 v[18:19], -v[18:19], v[24:25], v[22:23]
	v_div_fmas_f64 v[18:19], v[18:19], v[20:21], v[24:25]
	s_delay_alu instid0(VALU_DEP_1)
	v_div_fixup_f64 v[6:7], v[18:19], v[14:15], v[6:7]
.LBB36_3:
	s_or_b32 exec_lo, exec_lo, s1
	v_mul_f64_e32 v[14:15], s[4:5], v[16:17]
	s_mov_b32 s1, exec_lo
	s_delay_alu instid0(VALU_DEP_1)
	v_cmpx_nlt_f64_e32 s[6:7], v[14:15]
	s_cbranch_execz .LBB36_5
; %bb.4:
	v_mul_f64_e32 v[16:17], 0x3ff71547652b82fe, v[14:15]
	s_mov_b64 s[18:19], 0x3e5ade156a5dcb37
	v_cmp_nlt_f64_e32 vcc_lo, 0x40900000, v[14:15]
	v_cmp_ngt_f64_e64 s0, 0xc090cc00, v[14:15]
	s_delay_alu instid0(VALU_DEP_3) | instskip(NEXT) | instid1(VALU_DEP_1)
	v_rndne_f64_e32 v[16:17], v[16:17]
	v_fmamk_f64 v[18:19], v[16:17], 0xbfe62e42fefa39ef, v[14:15]
	v_cvt_i32_f64_e32 v22, v[16:17]
	s_delay_alu instid0(VALU_DEP_2) | instskip(NEXT) | instid1(VALU_DEP_1)
	v_fmamk_f64 v[18:19], v[16:17], 0xbc7abc9e3b39803f, v[18:19]
	v_fmaak_f64 v[20:21], s[18:19], v[18:19], 0x3e928af3fca7ab0c
	s_delay_alu instid0(VALU_DEP_1) | instskip(NEXT) | instid1(VALU_DEP_1)
	v_fmaak_f64 v[20:21], v[18:19], v[20:21], 0x3ec71dee623fde64
	v_fmaak_f64 v[20:21], v[18:19], v[20:21], 0x3efa01997c89e6b0
	s_delay_alu instid0(VALU_DEP_1) | instskip(NEXT) | instid1(VALU_DEP_1)
	v_fmaak_f64 v[20:21], v[18:19], v[20:21], 0x3f2a01a014761f6e
	;; [unrolled: 3-line block ×4, first 2 shown]
	v_fmaak_f64 v[20:21], v[18:19], v[20:21], 0x3fe000000000000b
	s_delay_alu instid0(VALU_DEP_1) | instskip(NEXT) | instid1(VALU_DEP_1)
	v_fma_f64 v[20:21], v[18:19], v[20:21], 1.0
	v_fma_f64 v[16:17], v[18:19], v[20:21], 1.0
	s_delay_alu instid0(VALU_DEP_1) | instskip(NEXT) | instid1(VALU_DEP_1)
	v_ldexp_f64 v[16:17], v[16:17], v22
	v_cndmask_b32_e32 v17, 0x7ff00000, v17, vcc_lo
	s_and_b32 vcc_lo, s0, vcc_lo
	s_delay_alu instid0(VALU_DEP_1) | instid1(SALU_CYCLE_1)
	v_dual_cndmask_b32 v14, 0, v16, vcc_lo :: v_dual_cndmask_b32 v15, 0, v17, s0
	s_wait_loadcnt 0x0
	s_delay_alu instid0(VALU_DEP_1) | instskip(SKIP_1) | instid1(VALU_DEP_1)
	v_mul_f64_e32 v[8:9], v[8:9], v[14:15]
	v_add_f64_e32 v[14:15], 1.0, v[14:15]
	v_div_scale_f64 v[16:17], null, v[14:15], v[14:15], v[8:9]
	s_delay_alu instid0(VALU_DEP_1) | instskip(SKIP_1) | instid1(TRANS32_DEP_1)
	v_rcp_f64_e32 v[18:19], v[16:17]
	v_nop
	v_fma_f64 v[20:21], -v[16:17], v[18:19], 1.0
	s_delay_alu instid0(VALU_DEP_1) | instskip(NEXT) | instid1(VALU_DEP_1)
	v_fmac_f64_e32 v[18:19], v[18:19], v[20:21]
	v_fma_f64 v[20:21], -v[16:17], v[18:19], 1.0
	s_delay_alu instid0(VALU_DEP_1) | instskip(SKIP_1) | instid1(VALU_DEP_1)
	v_fmac_f64_e32 v[18:19], v[18:19], v[20:21]
	v_div_scale_f64 v[20:21], vcc_lo, v[8:9], v[14:15], v[8:9]
	v_mul_f64_e32 v[22:23], v[20:21], v[18:19]
	s_delay_alu instid0(VALU_DEP_1) | instskip(NEXT) | instid1(VALU_DEP_1)
	v_fma_f64 v[16:17], -v[16:17], v[22:23], v[20:21]
	v_div_fmas_f64 v[16:17], v[16:17], v[18:19], v[22:23]
	s_delay_alu instid0(VALU_DEP_1)
	v_div_fixup_f64 v[8:9], v[16:17], v[14:15], v[8:9]
.LBB36_5:
	s_or_b32 exec_lo, exec_lo, s1
	s_wait_loadcnt 0x2
	v_mul_f64_e32 v[10:11], s[4:5], v[10:11]
	s_mov_b32 s1, exec_lo
	s_delay_alu instid0(VALU_DEP_1)
	v_cmpx_nlt_f64_e32 s[6:7], v[10:11]
	s_cbranch_execz .LBB36_7
; %bb.6:
	v_mul_f64_e32 v[14:15], 0x3ff71547652b82fe, v[10:11]
	s_mov_b64 s[18:19], 0x3e5ade156a5dcb37
	v_cmp_nlt_f64_e32 vcc_lo, 0x40900000, v[10:11]
	v_cmp_ngt_f64_e64 s0, 0xc090cc00, v[10:11]
	s_delay_alu instid0(VALU_DEP_3) | instskip(NEXT) | instid1(VALU_DEP_1)
	v_rndne_f64_e32 v[14:15], v[14:15]
	v_fmamk_f64 v[16:17], v[14:15], 0xbfe62e42fefa39ef, v[10:11]
	v_cvt_i32_f64_e32 v20, v[14:15]
	s_delay_alu instid0(VALU_DEP_2) | instskip(NEXT) | instid1(VALU_DEP_1)
	v_fmamk_f64 v[16:17], v[14:15], 0xbc7abc9e3b39803f, v[16:17]
	v_fmaak_f64 v[18:19], s[18:19], v[16:17], 0x3e928af3fca7ab0c
	s_delay_alu instid0(VALU_DEP_1) | instskip(NEXT) | instid1(VALU_DEP_1)
	v_fmaak_f64 v[18:19], v[16:17], v[18:19], 0x3ec71dee623fde64
	v_fmaak_f64 v[18:19], v[16:17], v[18:19], 0x3efa01997c89e6b0
	s_delay_alu instid0(VALU_DEP_1) | instskip(NEXT) | instid1(VALU_DEP_1)
	v_fmaak_f64 v[18:19], v[16:17], v[18:19], 0x3f2a01a014761f6e
	;; [unrolled: 3-line block ×4, first 2 shown]
	v_fmaak_f64 v[18:19], v[16:17], v[18:19], 0x3fe000000000000b
	s_delay_alu instid0(VALU_DEP_1) | instskip(NEXT) | instid1(VALU_DEP_1)
	v_fma_f64 v[18:19], v[16:17], v[18:19], 1.0
	v_fma_f64 v[14:15], v[16:17], v[18:19], 1.0
	s_delay_alu instid0(VALU_DEP_1) | instskip(NEXT) | instid1(VALU_DEP_1)
	v_ldexp_f64 v[14:15], v[14:15], v20
	v_cndmask_b32_e32 v15, 0x7ff00000, v15, vcc_lo
	s_and_b32 vcc_lo, s0, vcc_lo
	s_delay_alu instid0(VALU_DEP_1) | instid1(SALU_CYCLE_1)
	v_dual_cndmask_b32 v10, 0, v14, vcc_lo :: v_dual_cndmask_b32 v11, 0, v15, s0
	s_wait_loadcnt 0x1
	s_delay_alu instid0(VALU_DEP_1) | instskip(SKIP_1) | instid1(VALU_DEP_1)
	v_mul_f64_e32 v[2:3], v[2:3], v[10:11]
	v_add_f64_e32 v[10:11], 1.0, v[10:11]
	v_div_scale_f64 v[14:15], null, v[10:11], v[10:11], v[2:3]
	s_delay_alu instid0(VALU_DEP_1) | instskip(SKIP_1) | instid1(TRANS32_DEP_1)
	v_rcp_f64_e32 v[16:17], v[14:15]
	v_nop
	v_fma_f64 v[18:19], -v[14:15], v[16:17], 1.0
	s_delay_alu instid0(VALU_DEP_1) | instskip(NEXT) | instid1(VALU_DEP_1)
	v_fmac_f64_e32 v[16:17], v[16:17], v[18:19]
	v_fma_f64 v[18:19], -v[14:15], v[16:17], 1.0
	s_delay_alu instid0(VALU_DEP_1) | instskip(SKIP_1) | instid1(VALU_DEP_1)
	v_fmac_f64_e32 v[16:17], v[16:17], v[18:19]
	v_div_scale_f64 v[18:19], vcc_lo, v[2:3], v[10:11], v[2:3]
	v_mul_f64_e32 v[20:21], v[18:19], v[16:17]
	s_delay_alu instid0(VALU_DEP_1) | instskip(NEXT) | instid1(VALU_DEP_1)
	v_fma_f64 v[14:15], -v[14:15], v[20:21], v[18:19]
	v_div_fmas_f64 v[14:15], v[14:15], v[16:17], v[20:21]
	s_delay_alu instid0(VALU_DEP_1)
	v_div_fixup_f64 v[2:3], v[14:15], v[10:11], v[2:3]
.LBB36_7:
	s_or_b32 exec_lo, exec_lo, s1
	v_mul_f64_e32 v[10:11], s[4:5], v[12:13]
	s_mov_b32 s1, exec_lo
	s_delay_alu instid0(VALU_DEP_1)
	v_cmpx_nlt_f64_e32 s[6:7], v[10:11]
	s_cbranch_execz .LBB36_9
; %bb.8:
	v_mul_f64_e32 v[12:13], 0x3ff71547652b82fe, v[10:11]
	s_mov_b64 s[18:19], 0x3e5ade156a5dcb37
	v_cmp_nlt_f64_e32 vcc_lo, 0x40900000, v[10:11]
	v_cmp_ngt_f64_e64 s0, 0xc090cc00, v[10:11]
	s_delay_alu instid0(VALU_DEP_3) | instskip(NEXT) | instid1(VALU_DEP_1)
	v_rndne_f64_e32 v[12:13], v[12:13]
	v_fmamk_f64 v[14:15], v[12:13], 0xbfe62e42fefa39ef, v[10:11]
	v_cvt_i32_f64_e32 v18, v[12:13]
	s_delay_alu instid0(VALU_DEP_2) | instskip(NEXT) | instid1(VALU_DEP_1)
	v_fmamk_f64 v[14:15], v[12:13], 0xbc7abc9e3b39803f, v[14:15]
	v_fmaak_f64 v[16:17], s[18:19], v[14:15], 0x3e928af3fca7ab0c
	s_delay_alu instid0(VALU_DEP_1) | instskip(NEXT) | instid1(VALU_DEP_1)
	v_fmaak_f64 v[16:17], v[14:15], v[16:17], 0x3ec71dee623fde64
	v_fmaak_f64 v[16:17], v[14:15], v[16:17], 0x3efa01997c89e6b0
	s_delay_alu instid0(VALU_DEP_1) | instskip(NEXT) | instid1(VALU_DEP_1)
	v_fmaak_f64 v[16:17], v[14:15], v[16:17], 0x3f2a01a014761f6e
	v_fmaak_f64 v[16:17], v[14:15], v[16:17], 0x3f56c16c1852b7b0
	s_delay_alu instid0(VALU_DEP_1) | instskip(NEXT) | instid1(VALU_DEP_1)
	v_fmaak_f64 v[16:17], v[14:15], v[16:17], 0x3f81111111122322
	v_fmaak_f64 v[16:17], v[14:15], v[16:17], 0x3fa55555555502a1
	s_delay_alu instid0(VALU_DEP_1) | instskip(NEXT) | instid1(VALU_DEP_1)
	v_fmaak_f64 v[16:17], v[14:15], v[16:17], 0x3fc5555555555511
	v_fmaak_f64 v[16:17], v[14:15], v[16:17], 0x3fe000000000000b
	s_delay_alu instid0(VALU_DEP_1) | instskip(NEXT) | instid1(VALU_DEP_1)
	v_fma_f64 v[16:17], v[14:15], v[16:17], 1.0
	v_fma_f64 v[12:13], v[14:15], v[16:17], 1.0
	s_delay_alu instid0(VALU_DEP_1) | instskip(NEXT) | instid1(VALU_DEP_1)
	v_ldexp_f64 v[12:13], v[12:13], v18
	v_cndmask_b32_e32 v13, 0x7ff00000, v13, vcc_lo
	s_and_b32 vcc_lo, s0, vcc_lo
	s_delay_alu instid0(VALU_DEP_1) | instid1(SALU_CYCLE_1)
	v_dual_cndmask_b32 v10, 0, v12, vcc_lo :: v_dual_cndmask_b32 v11, 0, v13, s0
	s_wait_loadcnt 0x1
	s_delay_alu instid0(VALU_DEP_1) | instskip(SKIP_1) | instid1(VALU_DEP_1)
	v_mul_f64_e32 v[4:5], v[4:5], v[10:11]
	v_add_f64_e32 v[10:11], 1.0, v[10:11]
	v_div_scale_f64 v[12:13], null, v[10:11], v[10:11], v[4:5]
	s_delay_alu instid0(VALU_DEP_1) | instskip(SKIP_1) | instid1(TRANS32_DEP_1)
	v_rcp_f64_e32 v[14:15], v[12:13]
	v_nop
	v_fma_f64 v[16:17], -v[12:13], v[14:15], 1.0
	s_delay_alu instid0(VALU_DEP_1) | instskip(NEXT) | instid1(VALU_DEP_1)
	v_fmac_f64_e32 v[14:15], v[14:15], v[16:17]
	v_fma_f64 v[16:17], -v[12:13], v[14:15], 1.0
	s_delay_alu instid0(VALU_DEP_1) | instskip(SKIP_1) | instid1(VALU_DEP_1)
	v_fmac_f64_e32 v[14:15], v[14:15], v[16:17]
	v_div_scale_f64 v[16:17], vcc_lo, v[4:5], v[10:11], v[4:5]
	v_mul_f64_e32 v[18:19], v[16:17], v[14:15]
	s_delay_alu instid0(VALU_DEP_1) | instskip(NEXT) | instid1(VALU_DEP_1)
	v_fma_f64 v[12:13], -v[12:13], v[18:19], v[16:17]
	v_div_fmas_f64 v[12:13], v[12:13], v[14:15], v[18:19]
	s_delay_alu instid0(VALU_DEP_1)
	v_div_fixup_f64 v[4:5], v[12:13], v[10:11], v[4:5]
.LBB36_9:
	s_or_b32 exec_lo, exec_lo, s1
	s_add_nc_u64 s[14:15], s[8:9], s[14:15]
	s_mov_b32 s0, 0
	s_wait_loadcnt 0x0
	s_clause 0x1
	global_store_b128 v1, v[6:9], s[14:15]
	global_store_b128 v1, v[2:5], s[14:15] offset:16
.LBB36_10:
	s_and_b32 vcc_lo, exec_lo, s0
	s_cbranch_vccz .LBB36_37
; %bb.11:
	s_wait_xcnt 0x0
	v_mov_b64_e32 v[2:3], 0
	v_mov_b64_e32 v[4:5], 0
	;; [unrolled: 1-line block ×3, first 2 shown]
	v_cmp_gt_i32_e64 s0, s16, v0
	v_dual_mov_b32 v19, v0 :: v_dual_bitop2_b32 v1, s2, v0 bitop3:0x54
	v_or_b32_e32 v18, 0x100, v0
	s_and_saveexec_b32 s1, s0
	s_cbranch_execz .LBB36_13
; %bb.12:
	s_clause 0x1
	global_load_b64 v[4:5], v1, s[10:11] scale_offset
	global_load_b64 v[16:17], v1, s[12:13] scale_offset
	v_or_b32_e32 v19, 0x100, v0
.LBB36_13:
	s_wait_xcnt 0x0
	s_or_b32 exec_lo, exec_lo, s1
	v_mov_b64_e32 v[14:15], 0
	s_mov_b32 s1, exec_lo
	v_cmpx_gt_i32_e64 s16, v19
	s_cbranch_execz .LBB36_15
; %bb.14:
	v_add_nc_u32_e32 v6, s2, v19
	v_add_nc_u32_e32 v19, 0x100, v19
	s_clause 0x1
	global_load_b64 v[2:3], v6, s[10:11] scale_offset
	global_load_b64 v[14:15], v6, s[12:13] scale_offset
.LBB36_15:
	s_wait_xcnt 0x0
	s_or_b32 exec_lo, exec_lo, s1
	v_mov_b64_e32 v[6:7], 0
	v_mov_b64_e32 v[8:9], 0
	;; [unrolled: 1-line block ×3, first 2 shown]
	s_mov_b32 s1, exec_lo
	v_cmpx_gt_i32_e64 s16, v19
	s_cbranch_execz .LBB36_17
; %bb.16:
	v_add_nc_u32_e32 v10, s2, v19
	v_add_nc_u32_e32 v19, 0x100, v19
	s_clause 0x1
	global_load_b64 v[8:9], v10, s[10:11] scale_offset
	global_load_b64 v[12:13], v10, s[12:13] scale_offset
.LBB36_17:
	s_wait_xcnt 0x0
	s_or_b32 exec_lo, exec_lo, s1
	v_mov_b64_e32 v[10:11], 0
	s_mov_b32 s1, exec_lo
	v_cmpx_gt_i32_e64 s16, v19
	s_cbranch_execnz .LBB36_20
; %bb.18:
	s_or_b32 exec_lo, exec_lo, s1
	s_and_saveexec_b32 s3, s0
	s_cbranch_execnz .LBB36_21
.LBB36_19:
	s_or_b32 exec_lo, exec_lo, s3
	s_delay_alu instid0(SALU_CYCLE_1)
	s_mov_b32 s3, exec_lo
	v_cmpx_gt_i32_e64 s16, v18
	s_cbranch_execnz .LBB36_24
	s_branch .LBB36_27
.LBB36_20:
	v_add_nc_u32_e32 v19, s2, v19
	s_clause 0x1
	global_load_b64 v[6:7], v19, s[10:11] scale_offset
	global_load_b64 v[10:11], v19, s[12:13] scale_offset
	s_wait_xcnt 0x0
	s_or_b32 exec_lo, exec_lo, s1
	s_and_saveexec_b32 s3, s0
	s_cbranch_execz .LBB36_19
.LBB36_21:
	s_wait_loadcnt 0x0
	v_mul_f64_e32 v[16:17], s[4:5], v[16:17]
	s_mov_b32 s10, exec_lo
	s_delay_alu instid0(VALU_DEP_1)
	v_cmpx_nlt_f64_e32 s[6:7], v[16:17]
	s_cbranch_execz .LBB36_23
; %bb.22:
	v_mul_f64_e32 v[20:21], 0x3ff71547652b82fe, v[16:17]
	s_mov_b64 s[12:13], 0x3e5ade156a5dcb37
	v_cmp_nlt_f64_e32 vcc_lo, 0x40900000, v[16:17]
	v_cmp_ngt_f64_e64 s1, 0xc090cc00, v[16:17]
	s_delay_alu instid0(VALU_DEP_3) | instskip(NEXT) | instid1(VALU_DEP_1)
	v_rndne_f64_e32 v[20:21], v[20:21]
	v_fmamk_f64 v[22:23], v[20:21], 0xbfe62e42fefa39ef, v[16:17]
	v_cvt_i32_f64_e32 v19, v[20:21]
	s_delay_alu instid0(VALU_DEP_2) | instskip(NEXT) | instid1(VALU_DEP_1)
	v_fmamk_f64 v[22:23], v[20:21], 0xbc7abc9e3b39803f, v[22:23]
	v_fmaak_f64 v[24:25], s[12:13], v[22:23], 0x3e928af3fca7ab0c
	s_delay_alu instid0(VALU_DEP_1) | instskip(NEXT) | instid1(VALU_DEP_1)
	v_fmaak_f64 v[24:25], v[22:23], v[24:25], 0x3ec71dee623fde64
	v_fmaak_f64 v[24:25], v[22:23], v[24:25], 0x3efa01997c89e6b0
	s_delay_alu instid0(VALU_DEP_1) | instskip(NEXT) | instid1(VALU_DEP_1)
	v_fmaak_f64 v[24:25], v[22:23], v[24:25], 0x3f2a01a014761f6e
	;; [unrolled: 3-line block ×4, first 2 shown]
	v_fmaak_f64 v[24:25], v[22:23], v[24:25], 0x3fe000000000000b
	s_delay_alu instid0(VALU_DEP_1) | instskip(NEXT) | instid1(VALU_DEP_1)
	v_fma_f64 v[24:25], v[22:23], v[24:25], 1.0
	v_fma_f64 v[20:21], v[22:23], v[24:25], 1.0
	s_delay_alu instid0(VALU_DEP_1) | instskip(NEXT) | instid1(VALU_DEP_1)
	v_ldexp_f64 v[20:21], v[20:21], v19
	v_cndmask_b32_e32 v19, 0x7ff00000, v21, vcc_lo
	s_and_b32 vcc_lo, s1, vcc_lo
	s_delay_alu instid0(VALU_DEP_1) | instid1(SALU_CYCLE_1)
	v_dual_cndmask_b32 v16, 0, v20, vcc_lo :: v_dual_cndmask_b32 v17, 0, v19, s1
	s_delay_alu instid0(VALU_DEP_1) | instskip(SKIP_1) | instid1(VALU_DEP_1)
	v_mul_f64_e32 v[4:5], v[4:5], v[16:17]
	v_add_f64_e32 v[16:17], 1.0, v[16:17]
	v_div_scale_f64 v[20:21], null, v[16:17], v[16:17], v[4:5]
	s_delay_alu instid0(VALU_DEP_1) | instskip(SKIP_1) | instid1(TRANS32_DEP_1)
	v_rcp_f64_e32 v[22:23], v[20:21]
	v_nop
	v_fma_f64 v[24:25], -v[20:21], v[22:23], 1.0
	s_delay_alu instid0(VALU_DEP_1) | instskip(NEXT) | instid1(VALU_DEP_1)
	v_fmac_f64_e32 v[22:23], v[22:23], v[24:25]
	v_fma_f64 v[24:25], -v[20:21], v[22:23], 1.0
	s_delay_alu instid0(VALU_DEP_1) | instskip(SKIP_1) | instid1(VALU_DEP_1)
	v_fmac_f64_e32 v[22:23], v[22:23], v[24:25]
	v_div_scale_f64 v[24:25], vcc_lo, v[4:5], v[16:17], v[4:5]
	v_mul_f64_e32 v[26:27], v[24:25], v[22:23]
	s_delay_alu instid0(VALU_DEP_1) | instskip(NEXT) | instid1(VALU_DEP_1)
	v_fma_f64 v[20:21], -v[20:21], v[26:27], v[24:25]
	v_div_fmas_f64 v[20:21], v[20:21], v[22:23], v[26:27]
	s_delay_alu instid0(VALU_DEP_1)
	v_div_fixup_f64 v[4:5], v[20:21], v[16:17], v[4:5]
.LBB36_23:
	s_or_b32 exec_lo, exec_lo, s10
	s_delay_alu instid0(SALU_CYCLE_1) | instskip(NEXT) | instid1(SALU_CYCLE_1)
	s_or_b32 exec_lo, exec_lo, s3
	s_mov_b32 s3, exec_lo
	v_cmpx_gt_i32_e64 s16, v18
	s_cbranch_execz .LBB36_27
.LBB36_24:
	s_wait_loadcnt 0x0
	v_mul_f64_e32 v[14:15], s[4:5], v[14:15]
	s_mov_b32 s10, exec_lo
	s_delay_alu instid0(VALU_DEP_1)
	v_cmpx_nlt_f64_e32 s[6:7], v[14:15]
	s_cbranch_execz .LBB36_26
; %bb.25:
	v_mul_f64_e32 v[16:17], 0x3ff71547652b82fe, v[14:15]
	s_mov_b64 s[12:13], 0x3e5ade156a5dcb37
	v_cmp_nlt_f64_e32 vcc_lo, 0x40900000, v[14:15]
	v_cmp_ngt_f64_e64 s1, 0xc090cc00, v[14:15]
	s_delay_alu instid0(VALU_DEP_3) | instskip(NEXT) | instid1(VALU_DEP_1)
	v_rndne_f64_e32 v[16:17], v[16:17]
	v_fmamk_f64 v[20:21], v[16:17], 0xbfe62e42fefa39ef, v[14:15]
	v_cvt_i32_f64_e32 v19, v[16:17]
	s_delay_alu instid0(VALU_DEP_2) | instskip(NEXT) | instid1(VALU_DEP_1)
	v_fmamk_f64 v[20:21], v[16:17], 0xbc7abc9e3b39803f, v[20:21]
	v_fmaak_f64 v[22:23], s[12:13], v[20:21], 0x3e928af3fca7ab0c
	s_delay_alu instid0(VALU_DEP_1) | instskip(NEXT) | instid1(VALU_DEP_1)
	v_fmaak_f64 v[22:23], v[20:21], v[22:23], 0x3ec71dee623fde64
	v_fmaak_f64 v[22:23], v[20:21], v[22:23], 0x3efa01997c89e6b0
	s_delay_alu instid0(VALU_DEP_1) | instskip(NEXT) | instid1(VALU_DEP_1)
	v_fmaak_f64 v[22:23], v[20:21], v[22:23], 0x3f2a01a014761f6e
	;; [unrolled: 3-line block ×4, first 2 shown]
	v_fmaak_f64 v[22:23], v[20:21], v[22:23], 0x3fe000000000000b
	s_delay_alu instid0(VALU_DEP_1) | instskip(NEXT) | instid1(VALU_DEP_1)
	v_fma_f64 v[22:23], v[20:21], v[22:23], 1.0
	v_fma_f64 v[16:17], v[20:21], v[22:23], 1.0
	s_delay_alu instid0(VALU_DEP_1) | instskip(NEXT) | instid1(VALU_DEP_1)
	v_ldexp_f64 v[16:17], v[16:17], v19
	v_cndmask_b32_e32 v17, 0x7ff00000, v17, vcc_lo
	s_and_b32 vcc_lo, s1, vcc_lo
	s_delay_alu instid0(VALU_DEP_1) | instid1(SALU_CYCLE_1)
	v_dual_cndmask_b32 v14, 0, v16, vcc_lo :: v_dual_cndmask_b32 v15, 0, v17, s1
	s_delay_alu instid0(VALU_DEP_1) | instskip(SKIP_1) | instid1(VALU_DEP_1)
	v_mul_f64_e32 v[2:3], v[2:3], v[14:15]
	v_add_f64_e32 v[14:15], 1.0, v[14:15]
	v_div_scale_f64 v[16:17], null, v[14:15], v[14:15], v[2:3]
	s_delay_alu instid0(VALU_DEP_1) | instskip(SKIP_1) | instid1(TRANS32_DEP_1)
	v_rcp_f64_e32 v[20:21], v[16:17]
	v_nop
	v_fma_f64 v[22:23], -v[16:17], v[20:21], 1.0
	s_delay_alu instid0(VALU_DEP_1) | instskip(NEXT) | instid1(VALU_DEP_1)
	v_fmac_f64_e32 v[20:21], v[20:21], v[22:23]
	v_fma_f64 v[22:23], -v[16:17], v[20:21], 1.0
	s_delay_alu instid0(VALU_DEP_1) | instskip(SKIP_1) | instid1(VALU_DEP_1)
	v_fmac_f64_e32 v[20:21], v[20:21], v[22:23]
	v_div_scale_f64 v[22:23], vcc_lo, v[2:3], v[14:15], v[2:3]
	v_mul_f64_e32 v[24:25], v[22:23], v[20:21]
	s_delay_alu instid0(VALU_DEP_1) | instskip(NEXT) | instid1(VALU_DEP_1)
	v_fma_f64 v[16:17], -v[16:17], v[24:25], v[22:23]
	v_div_fmas_f64 v[16:17], v[16:17], v[20:21], v[24:25]
	s_delay_alu instid0(VALU_DEP_1)
	v_div_fixup_f64 v[2:3], v[16:17], v[14:15], v[2:3]
.LBB36_26:
	s_or_b32 exec_lo, exec_lo, s10
.LBB36_27:
	s_delay_alu instid0(SALU_CYCLE_1) | instskip(SKIP_3) | instid1(VALU_DEP_1)
	s_or_b32 exec_lo, exec_lo, s3
	s_wait_loadcnt 0x0
	v_or_b32_e32 v14, 0x200, v0
	s_mov_b32 s3, exec_lo
	v_cmpx_gt_i32_e64 s16, v14
	s_cbranch_execz .LBB36_31
; %bb.28:
	v_mul_f64_e32 v[12:13], s[4:5], v[12:13]
	s_mov_b32 s10, exec_lo
	s_delay_alu instid0(VALU_DEP_1)
	v_cmpx_nlt_f64_e32 s[6:7], v[12:13]
	s_cbranch_execz .LBB36_30
; %bb.29:
	v_mul_f64_e32 v[14:15], 0x3ff71547652b82fe, v[12:13]
	s_mov_b64 s[12:13], 0x3e5ade156a5dcb37
	v_cmp_nlt_f64_e32 vcc_lo, 0x40900000, v[12:13]
	v_cmp_ngt_f64_e64 s1, 0xc090cc00, v[12:13]
	s_delay_alu instid0(VALU_DEP_3) | instskip(NEXT) | instid1(VALU_DEP_1)
	v_rndne_f64_e32 v[14:15], v[14:15]
	v_fmamk_f64 v[16:17], v[14:15], 0xbfe62e42fefa39ef, v[12:13]
	v_cvt_i32_f64_e32 v19, v[14:15]
	s_delay_alu instid0(VALU_DEP_2) | instskip(NEXT) | instid1(VALU_DEP_1)
	v_fmamk_f64 v[16:17], v[14:15], 0xbc7abc9e3b39803f, v[16:17]
	v_fmaak_f64 v[20:21], s[12:13], v[16:17], 0x3e928af3fca7ab0c
	s_delay_alu instid0(VALU_DEP_1) | instskip(NEXT) | instid1(VALU_DEP_1)
	v_fmaak_f64 v[20:21], v[16:17], v[20:21], 0x3ec71dee623fde64
	v_fmaak_f64 v[20:21], v[16:17], v[20:21], 0x3efa01997c89e6b0
	s_delay_alu instid0(VALU_DEP_1) | instskip(NEXT) | instid1(VALU_DEP_1)
	v_fmaak_f64 v[20:21], v[16:17], v[20:21], 0x3f2a01a014761f6e
	;; [unrolled: 3-line block ×4, first 2 shown]
	v_fmaak_f64 v[20:21], v[16:17], v[20:21], 0x3fe000000000000b
	s_delay_alu instid0(VALU_DEP_1) | instskip(NEXT) | instid1(VALU_DEP_1)
	v_fma_f64 v[20:21], v[16:17], v[20:21], 1.0
	v_fma_f64 v[14:15], v[16:17], v[20:21], 1.0
	s_delay_alu instid0(VALU_DEP_1) | instskip(NEXT) | instid1(VALU_DEP_1)
	v_ldexp_f64 v[14:15], v[14:15], v19
	v_cndmask_b32_e32 v15, 0x7ff00000, v15, vcc_lo
	s_and_b32 vcc_lo, s1, vcc_lo
	s_delay_alu instid0(VALU_DEP_1) | instid1(SALU_CYCLE_1)
	v_dual_cndmask_b32 v12, 0, v14, vcc_lo :: v_dual_cndmask_b32 v13, 0, v15, s1
	s_delay_alu instid0(VALU_DEP_1) | instskip(SKIP_1) | instid1(VALU_DEP_1)
	v_mul_f64_e32 v[8:9], v[8:9], v[12:13]
	v_add_f64_e32 v[12:13], 1.0, v[12:13]
	v_div_scale_f64 v[14:15], null, v[12:13], v[12:13], v[8:9]
	s_delay_alu instid0(VALU_DEP_1) | instskip(SKIP_1) | instid1(TRANS32_DEP_1)
	v_rcp_f64_e32 v[16:17], v[14:15]
	v_nop
	v_fma_f64 v[20:21], -v[14:15], v[16:17], 1.0
	s_delay_alu instid0(VALU_DEP_1) | instskip(NEXT) | instid1(VALU_DEP_1)
	v_fmac_f64_e32 v[16:17], v[16:17], v[20:21]
	v_fma_f64 v[20:21], -v[14:15], v[16:17], 1.0
	s_delay_alu instid0(VALU_DEP_1) | instskip(SKIP_1) | instid1(VALU_DEP_1)
	v_fmac_f64_e32 v[16:17], v[16:17], v[20:21]
	v_div_scale_f64 v[20:21], vcc_lo, v[8:9], v[12:13], v[8:9]
	v_mul_f64_e32 v[22:23], v[20:21], v[16:17]
	s_delay_alu instid0(VALU_DEP_1) | instskip(NEXT) | instid1(VALU_DEP_1)
	v_fma_f64 v[14:15], -v[14:15], v[22:23], v[20:21]
	v_div_fmas_f64 v[14:15], v[14:15], v[16:17], v[22:23]
	s_delay_alu instid0(VALU_DEP_1)
	v_div_fixup_f64 v[8:9], v[14:15], v[12:13], v[8:9]
.LBB36_30:
	s_or_b32 exec_lo, exec_lo, s10
.LBB36_31:
	s_delay_alu instid0(SALU_CYCLE_1) | instskip(SKIP_2) | instid1(VALU_DEP_1)
	s_or_b32 exec_lo, exec_lo, s3
	v_or_b32_e32 v12, 0x300, v0
	s_mov_b32 s3, exec_lo
	v_cmpx_gt_i32_e64 s16, v12
	s_cbranch_execnz .LBB36_38
; %bb.32:
	s_or_b32 exec_lo, exec_lo, s3
	s_and_saveexec_b32 s1, s0
	s_delay_alu instid0(SALU_CYCLE_1)
	s_xor_b32 s0, exec_lo, s1
	s_cbranch_execnz .LBB36_41
.LBB36_33:
	s_or_b32 exec_lo, exec_lo, s0
	s_delay_alu instid0(SALU_CYCLE_1)
	s_mov_b32 s0, exec_lo
	v_cmpx_gt_i32_e64 s16, v0
	s_cbranch_execnz .LBB36_42
.LBB36_34:
	s_or_b32 exec_lo, exec_lo, s0
	s_delay_alu instid0(SALU_CYCLE_1)
	s_mov_b32 s0, exec_lo
	v_cmpx_gt_i32_e64 s16, v0
	s_cbranch_execnz .LBB36_43
.LBB36_35:
	s_or_b32 exec_lo, exec_lo, s0
	s_delay_alu instid0(SALU_CYCLE_1)
	s_mov_b32 s0, exec_lo
	v_cmpx_gt_i32_e64 s16, v0
	s_cbranch_execz .LBB36_37
.LBB36_36:
	v_add_nc_u32_e32 v0, s2, v0
	global_store_b64 v0, v[6:7], s[8:9] scale_offset
.LBB36_37:
	s_endpgm
.LBB36_38:
	v_mul_f64_e32 v[10:11], s[4:5], v[10:11]
	s_mov_b32 s4, exec_lo
	s_delay_alu instid0(VALU_DEP_1)
	v_cmpx_nlt_f64_e32 s[6:7], v[10:11]
	s_cbranch_execz .LBB36_40
; %bb.39:
	v_mul_f64_e32 v[12:13], 0x3ff71547652b82fe, v[10:11]
	s_mov_b64 s[6:7], 0x3e5ade156a5dcb37
	v_cmp_nlt_f64_e32 vcc_lo, 0x40900000, v[10:11]
	v_cmp_ngt_f64_e64 s1, 0xc090cc00, v[10:11]
	s_delay_alu instid0(VALU_DEP_3) | instskip(NEXT) | instid1(VALU_DEP_1)
	v_rndne_f64_e32 v[12:13], v[12:13]
	v_fmamk_f64 v[14:15], v[12:13], 0xbfe62e42fefa39ef, v[10:11]
	v_cvt_i32_f64_e32 v19, v[12:13]
	s_delay_alu instid0(VALU_DEP_2) | instskip(NEXT) | instid1(VALU_DEP_1)
	v_fmamk_f64 v[14:15], v[12:13], 0xbc7abc9e3b39803f, v[14:15]
	v_fmaak_f64 v[16:17], s[6:7], v[14:15], 0x3e928af3fca7ab0c
	s_delay_alu instid0(VALU_DEP_1) | instskip(NEXT) | instid1(VALU_DEP_1)
	v_fmaak_f64 v[16:17], v[14:15], v[16:17], 0x3ec71dee623fde64
	v_fmaak_f64 v[16:17], v[14:15], v[16:17], 0x3efa01997c89e6b0
	s_delay_alu instid0(VALU_DEP_1) | instskip(NEXT) | instid1(VALU_DEP_1)
	v_fmaak_f64 v[16:17], v[14:15], v[16:17], 0x3f2a01a014761f6e
	;; [unrolled: 3-line block ×4, first 2 shown]
	v_fmaak_f64 v[16:17], v[14:15], v[16:17], 0x3fe000000000000b
	s_delay_alu instid0(VALU_DEP_1) | instskip(NEXT) | instid1(VALU_DEP_1)
	v_fma_f64 v[16:17], v[14:15], v[16:17], 1.0
	v_fma_f64 v[12:13], v[14:15], v[16:17], 1.0
	s_delay_alu instid0(VALU_DEP_1) | instskip(NEXT) | instid1(VALU_DEP_1)
	v_ldexp_f64 v[12:13], v[12:13], v19
	v_cndmask_b32_e32 v13, 0x7ff00000, v13, vcc_lo
	s_and_b32 vcc_lo, s1, vcc_lo
	s_delay_alu instid0(VALU_DEP_1) | instid1(SALU_CYCLE_1)
	v_dual_cndmask_b32 v10, 0, v12, vcc_lo :: v_dual_cndmask_b32 v11, 0, v13, s1
	s_delay_alu instid0(VALU_DEP_1) | instskip(SKIP_1) | instid1(VALU_DEP_1)
	v_mul_f64_e32 v[6:7], v[6:7], v[10:11]
	v_add_f64_e32 v[10:11], 1.0, v[10:11]
	v_div_scale_f64 v[12:13], null, v[10:11], v[10:11], v[6:7]
	s_delay_alu instid0(VALU_DEP_1) | instskip(SKIP_1) | instid1(TRANS32_DEP_1)
	v_rcp_f64_e32 v[14:15], v[12:13]
	v_nop
	v_fma_f64 v[16:17], -v[12:13], v[14:15], 1.0
	s_delay_alu instid0(VALU_DEP_1) | instskip(NEXT) | instid1(VALU_DEP_1)
	v_fmac_f64_e32 v[14:15], v[14:15], v[16:17]
	v_fma_f64 v[16:17], -v[12:13], v[14:15], 1.0
	s_delay_alu instid0(VALU_DEP_1) | instskip(SKIP_1) | instid1(VALU_DEP_1)
	v_fmac_f64_e32 v[14:15], v[14:15], v[16:17]
	v_div_scale_f64 v[16:17], vcc_lo, v[6:7], v[10:11], v[6:7]
	v_mul_f64_e32 v[20:21], v[16:17], v[14:15]
	s_delay_alu instid0(VALU_DEP_1) | instskip(NEXT) | instid1(VALU_DEP_1)
	v_fma_f64 v[12:13], -v[12:13], v[20:21], v[16:17]
	v_div_fmas_f64 v[12:13], v[12:13], v[14:15], v[20:21]
	s_delay_alu instid0(VALU_DEP_1)
	v_div_fixup_f64 v[6:7], v[12:13], v[10:11], v[6:7]
.LBB36_40:
	s_or_b32 exec_lo, exec_lo, s4
	s_delay_alu instid0(SALU_CYCLE_1) | instskip(SKIP_1) | instid1(SALU_CYCLE_1)
	s_or_b32 exec_lo, exec_lo, s3
	s_and_saveexec_b32 s1, s0
	s_xor_b32 s0, exec_lo, s1
	s_cbranch_execz .LBB36_33
.LBB36_41:
	v_mov_b32_e32 v0, v18
	global_store_b64 v1, v[4:5], s[8:9] scale_offset
	s_wait_xcnt 0x0
	s_or_b32 exec_lo, exec_lo, s0
	s_delay_alu instid0(SALU_CYCLE_1)
	s_mov_b32 s0, exec_lo
	v_cmpx_gt_i32_e64 s16, v0
	s_cbranch_execz .LBB36_34
.LBB36_42:
	v_add_nc_u32_e32 v1, s2, v0
	v_add_nc_u32_e32 v0, 0x100, v0
	global_store_b64 v1, v[2:3], s[8:9] scale_offset
	s_wait_xcnt 0x0
	s_or_b32 exec_lo, exec_lo, s0
	s_delay_alu instid0(SALU_CYCLE_1)
	s_mov_b32 s0, exec_lo
	v_cmpx_gt_i32_e64 s16, v0
	s_cbranch_execz .LBB36_35
.LBB36_43:
	v_add_nc_u32_e32 v1, s2, v0
	v_add_nc_u32_e32 v0, 0x100, v0
	global_store_b64 v1, v[8:9], s[8:9] scale_offset
	s_wait_xcnt 0x0
	s_or_b32 exec_lo, exec_lo, s0
	s_delay_alu instid0(SALU_CYCLE_1)
	s_mov_b32 s0, exec_lo
	v_cmpx_gt_i32_e64 s16, v0
	s_cbranch_execnz .LBB36_36
	s_branch .LBB36_37
	.section	.rodata,"a",@progbits
	.p2align	6, 0x0
	.amdhsa_kernel _ZN2at6native29vectorized_elementwise_kernelILi16EZZZNS0_12_GLOBAL__N_124softplus_backward_kernelERNS_18TensorIteratorBaseERKN3c106ScalarES8_ENKUlvE_clEvENKUlvE_clEvEUlddE_St5arrayIPcLm3EEEEviT0_T1_
		.amdhsa_group_segment_fixed_size 0
		.amdhsa_private_segment_fixed_size 0
		.amdhsa_kernarg_size 48
		.amdhsa_user_sgpr_count 2
		.amdhsa_user_sgpr_dispatch_ptr 0
		.amdhsa_user_sgpr_queue_ptr 0
		.amdhsa_user_sgpr_kernarg_segment_ptr 1
		.amdhsa_user_sgpr_dispatch_id 0
		.amdhsa_user_sgpr_kernarg_preload_length 0
		.amdhsa_user_sgpr_kernarg_preload_offset 0
		.amdhsa_user_sgpr_private_segment_size 0
		.amdhsa_wavefront_size32 1
		.amdhsa_uses_dynamic_stack 0
		.amdhsa_enable_private_segment 0
		.amdhsa_system_sgpr_workgroup_id_x 1
		.amdhsa_system_sgpr_workgroup_id_y 0
		.amdhsa_system_sgpr_workgroup_id_z 0
		.amdhsa_system_sgpr_workgroup_info 0
		.amdhsa_system_vgpr_workitem_id 0
		.amdhsa_next_free_vgpr 28
		.amdhsa_next_free_sgpr 20
		.amdhsa_named_barrier_count 0
		.amdhsa_reserve_vcc 1
		.amdhsa_float_round_mode_32 0
		.amdhsa_float_round_mode_16_64 0
		.amdhsa_float_denorm_mode_32 3
		.amdhsa_float_denorm_mode_16_64 3
		.amdhsa_fp16_overflow 0
		.amdhsa_memory_ordered 1
		.amdhsa_forward_progress 1
		.amdhsa_inst_pref_size 33
		.amdhsa_round_robin_scheduling 0
		.amdhsa_exception_fp_ieee_invalid_op 0
		.amdhsa_exception_fp_denorm_src 0
		.amdhsa_exception_fp_ieee_div_zero 0
		.amdhsa_exception_fp_ieee_overflow 0
		.amdhsa_exception_fp_ieee_underflow 0
		.amdhsa_exception_fp_ieee_inexact 0
		.amdhsa_exception_int_div_zero 0
	.end_amdhsa_kernel
	.section	.text._ZN2at6native29vectorized_elementwise_kernelILi16EZZZNS0_12_GLOBAL__N_124softplus_backward_kernelERNS_18TensorIteratorBaseERKN3c106ScalarES8_ENKUlvE_clEvENKUlvE_clEvEUlddE_St5arrayIPcLm3EEEEviT0_T1_,"axG",@progbits,_ZN2at6native29vectorized_elementwise_kernelILi16EZZZNS0_12_GLOBAL__N_124softplus_backward_kernelERNS_18TensorIteratorBaseERKN3c106ScalarES8_ENKUlvE_clEvENKUlvE_clEvEUlddE_St5arrayIPcLm3EEEEviT0_T1_,comdat
.Lfunc_end36:
	.size	_ZN2at6native29vectorized_elementwise_kernelILi16EZZZNS0_12_GLOBAL__N_124softplus_backward_kernelERNS_18TensorIteratorBaseERKN3c106ScalarES8_ENKUlvE_clEvENKUlvE_clEvEUlddE_St5arrayIPcLm3EEEEviT0_T1_, .Lfunc_end36-_ZN2at6native29vectorized_elementwise_kernelILi16EZZZNS0_12_GLOBAL__N_124softplus_backward_kernelERNS_18TensorIteratorBaseERKN3c106ScalarES8_ENKUlvE_clEvENKUlvE_clEvEUlddE_St5arrayIPcLm3EEEEviT0_T1_
                                        ; -- End function
	.set _ZN2at6native29vectorized_elementwise_kernelILi16EZZZNS0_12_GLOBAL__N_124softplus_backward_kernelERNS_18TensorIteratorBaseERKN3c106ScalarES8_ENKUlvE_clEvENKUlvE_clEvEUlddE_St5arrayIPcLm3EEEEviT0_T1_.num_vgpr, 28
	.set _ZN2at6native29vectorized_elementwise_kernelILi16EZZZNS0_12_GLOBAL__N_124softplus_backward_kernelERNS_18TensorIteratorBaseERKN3c106ScalarES8_ENKUlvE_clEvENKUlvE_clEvEUlddE_St5arrayIPcLm3EEEEviT0_T1_.num_agpr, 0
	.set _ZN2at6native29vectorized_elementwise_kernelILi16EZZZNS0_12_GLOBAL__N_124softplus_backward_kernelERNS_18TensorIteratorBaseERKN3c106ScalarES8_ENKUlvE_clEvENKUlvE_clEvEUlddE_St5arrayIPcLm3EEEEviT0_T1_.numbered_sgpr, 20
	.set _ZN2at6native29vectorized_elementwise_kernelILi16EZZZNS0_12_GLOBAL__N_124softplus_backward_kernelERNS_18TensorIteratorBaseERKN3c106ScalarES8_ENKUlvE_clEvENKUlvE_clEvEUlddE_St5arrayIPcLm3EEEEviT0_T1_.num_named_barrier, 0
	.set _ZN2at6native29vectorized_elementwise_kernelILi16EZZZNS0_12_GLOBAL__N_124softplus_backward_kernelERNS_18TensorIteratorBaseERKN3c106ScalarES8_ENKUlvE_clEvENKUlvE_clEvEUlddE_St5arrayIPcLm3EEEEviT0_T1_.private_seg_size, 0
	.set _ZN2at6native29vectorized_elementwise_kernelILi16EZZZNS0_12_GLOBAL__N_124softplus_backward_kernelERNS_18TensorIteratorBaseERKN3c106ScalarES8_ENKUlvE_clEvENKUlvE_clEvEUlddE_St5arrayIPcLm3EEEEviT0_T1_.uses_vcc, 1
	.set _ZN2at6native29vectorized_elementwise_kernelILi16EZZZNS0_12_GLOBAL__N_124softplus_backward_kernelERNS_18TensorIteratorBaseERKN3c106ScalarES8_ENKUlvE_clEvENKUlvE_clEvEUlddE_St5arrayIPcLm3EEEEviT0_T1_.uses_flat_scratch, 0
	.set _ZN2at6native29vectorized_elementwise_kernelILi16EZZZNS0_12_GLOBAL__N_124softplus_backward_kernelERNS_18TensorIteratorBaseERKN3c106ScalarES8_ENKUlvE_clEvENKUlvE_clEvEUlddE_St5arrayIPcLm3EEEEviT0_T1_.has_dyn_sized_stack, 0
	.set _ZN2at6native29vectorized_elementwise_kernelILi16EZZZNS0_12_GLOBAL__N_124softplus_backward_kernelERNS_18TensorIteratorBaseERKN3c106ScalarES8_ENKUlvE_clEvENKUlvE_clEvEUlddE_St5arrayIPcLm3EEEEviT0_T1_.has_recursion, 0
	.set _ZN2at6native29vectorized_elementwise_kernelILi16EZZZNS0_12_GLOBAL__N_124softplus_backward_kernelERNS_18TensorIteratorBaseERKN3c106ScalarES8_ENKUlvE_clEvENKUlvE_clEvEUlddE_St5arrayIPcLm3EEEEviT0_T1_.has_indirect_call, 0
	.section	.AMDGPU.csdata,"",@progbits
; Kernel info:
; codeLenInByte = 4188
; TotalNumSgprs: 22
; NumVgprs: 28
; ScratchSize: 0
; MemoryBound: 1
; FloatMode: 240
; IeeeMode: 1
; LDSByteSize: 0 bytes/workgroup (compile time only)
; SGPRBlocks: 0
; VGPRBlocks: 1
; NumSGPRsForWavesPerEU: 22
; NumVGPRsForWavesPerEU: 28
; NamedBarCnt: 0
; Occupancy: 16
; WaveLimiterHint : 0
; COMPUTE_PGM_RSRC2:SCRATCH_EN: 0
; COMPUTE_PGM_RSRC2:USER_SGPR: 2
; COMPUTE_PGM_RSRC2:TRAP_HANDLER: 0
; COMPUTE_PGM_RSRC2:TGID_X_EN: 1
; COMPUTE_PGM_RSRC2:TGID_Y_EN: 0
; COMPUTE_PGM_RSRC2:TGID_Z_EN: 0
; COMPUTE_PGM_RSRC2:TIDIG_COMP_CNT: 0
	.section	.text._ZN2at6native29vectorized_elementwise_kernelILi8EZZZNS0_12_GLOBAL__N_124softplus_backward_kernelERNS_18TensorIteratorBaseERKN3c106ScalarES8_ENKUlvE_clEvENKUlvE_clEvEUlddE_St5arrayIPcLm3EEEEviT0_T1_,"axG",@progbits,_ZN2at6native29vectorized_elementwise_kernelILi8EZZZNS0_12_GLOBAL__N_124softplus_backward_kernelERNS_18TensorIteratorBaseERKN3c106ScalarES8_ENKUlvE_clEvENKUlvE_clEvEUlddE_St5arrayIPcLm3EEEEviT0_T1_,comdat
	.globl	_ZN2at6native29vectorized_elementwise_kernelILi8EZZZNS0_12_GLOBAL__N_124softplus_backward_kernelERNS_18TensorIteratorBaseERKN3c106ScalarES8_ENKUlvE_clEvENKUlvE_clEvEUlddE_St5arrayIPcLm3EEEEviT0_T1_ ; -- Begin function _ZN2at6native29vectorized_elementwise_kernelILi8EZZZNS0_12_GLOBAL__N_124softplus_backward_kernelERNS_18TensorIteratorBaseERKN3c106ScalarES8_ENKUlvE_clEvENKUlvE_clEvEUlddE_St5arrayIPcLm3EEEEviT0_T1_
	.p2align	8
	.type	_ZN2at6native29vectorized_elementwise_kernelILi8EZZZNS0_12_GLOBAL__N_124softplus_backward_kernelERNS_18TensorIteratorBaseERKN3c106ScalarES8_ENKUlvE_clEvENKUlvE_clEvEUlddE_St5arrayIPcLm3EEEEviT0_T1_,@function
_ZN2at6native29vectorized_elementwise_kernelILi8EZZZNS0_12_GLOBAL__N_124softplus_backward_kernelERNS_18TensorIteratorBaseERKN3c106ScalarES8_ENKUlvE_clEvENKUlvE_clEvEUlddE_St5arrayIPcLm3EEEEviT0_T1_: ; @_ZN2at6native29vectorized_elementwise_kernelILi8EZZZNS0_12_GLOBAL__N_124softplus_backward_kernelERNS_18TensorIteratorBaseERKN3c106ScalarES8_ENKUlvE_clEvENKUlvE_clEvEUlddE_St5arrayIPcLm3EEEEviT0_T1_
; %bb.0:
	s_clause 0x2
	s_load_b32 s3, s[0:1], 0x0
	s_load_b256 s[4:11], s[0:1], 0x8
	s_load_b64 s[12:13], s[0:1], 0x28
	s_wait_xcnt 0x0
	s_bfe_u32 s0, ttmp6, 0x4000c
	s_and_b32 s1, ttmp6, 15
	s_add_co_i32 s0, s0, 1
	s_getreg_b32 s2, hwreg(HW_REG_IB_STS2, 6, 4)
	s_mul_i32 s0, ttmp9, s0
	s_delay_alu instid0(SALU_CYCLE_1) | instskip(SKIP_2) | instid1(SALU_CYCLE_1)
	s_add_co_i32 s1, s1, s0
	s_cmp_eq_u32 s2, 0
	s_cselect_b32 s0, ttmp9, s1
	s_lshl_b32 s2, s0, 10
	s_mov_b32 s0, -1
	s_wait_kmcnt 0x0
	s_sub_co_i32 s16, s3, s2
	s_delay_alu instid0(SALU_CYCLE_1)
	s_cmp_gt_i32 s16, 0x3ff
	s_cbranch_scc0 .LBB37_10
; %bb.1:
	s_ashr_i32 s3, s2, 31
	v_lshlrev_b32_e32 v1, 5, v0
	s_lshl_b64 s[14:15], s[2:3], 3
	s_delay_alu instid0(SALU_CYCLE_1)
	s_add_nc_u64 s[0:1], s[12:13], s[14:15]
	s_add_nc_u64 s[18:19], s[10:11], s[14:15]
	global_load_b128 v[14:17], v1, s[0:1]
	s_wait_loadcnt 0x0
	v_mul_f64_e32 v[14:15], s[4:5], v[14:15]
	s_clause 0x2
	global_load_b128 v[10:13], v1, s[0:1] offset:16
	global_load_b128 v[2:5], v1, s[18:19] offset:16
	global_load_b128 v[6:9], v1, s[18:19]
	s_wait_xcnt 0x2
	s_mov_b32 s1, exec_lo
	s_wait_xcnt 0x0
	v_cmpx_nlt_f64_e32 s[6:7], v[14:15]
	s_cbranch_execz .LBB37_3
; %bb.2:
	v_mul_f64_e32 v[18:19], 0x3ff71547652b82fe, v[14:15]
	s_mov_b64 s[18:19], 0x3e5ade156a5dcb37
	v_cmp_nlt_f64_e32 vcc_lo, 0x40900000, v[14:15]
	v_cmp_ngt_f64_e64 s0, 0xc090cc00, v[14:15]
	s_delay_alu instid0(VALU_DEP_3) | instskip(NEXT) | instid1(VALU_DEP_1)
	v_rndne_f64_e32 v[18:19], v[18:19]
	v_fmamk_f64 v[20:21], v[18:19], 0xbfe62e42fefa39ef, v[14:15]
	v_cvt_i32_f64_e32 v24, v[18:19]
	s_delay_alu instid0(VALU_DEP_2) | instskip(NEXT) | instid1(VALU_DEP_1)
	v_fmamk_f64 v[20:21], v[18:19], 0xbc7abc9e3b39803f, v[20:21]
	v_fmaak_f64 v[22:23], s[18:19], v[20:21], 0x3e928af3fca7ab0c
	s_delay_alu instid0(VALU_DEP_1) | instskip(NEXT) | instid1(VALU_DEP_1)
	v_fmaak_f64 v[22:23], v[20:21], v[22:23], 0x3ec71dee623fde64
	v_fmaak_f64 v[22:23], v[20:21], v[22:23], 0x3efa01997c89e6b0
	s_delay_alu instid0(VALU_DEP_1) | instskip(NEXT) | instid1(VALU_DEP_1)
	v_fmaak_f64 v[22:23], v[20:21], v[22:23], 0x3f2a01a014761f6e
	;; [unrolled: 3-line block ×4, first 2 shown]
	v_fmaak_f64 v[22:23], v[20:21], v[22:23], 0x3fe000000000000b
	s_delay_alu instid0(VALU_DEP_1) | instskip(NEXT) | instid1(VALU_DEP_1)
	v_fma_f64 v[22:23], v[20:21], v[22:23], 1.0
	v_fma_f64 v[18:19], v[20:21], v[22:23], 1.0
	s_delay_alu instid0(VALU_DEP_1) | instskip(NEXT) | instid1(VALU_DEP_1)
	v_ldexp_f64 v[18:19], v[18:19], v24
	v_cndmask_b32_e32 v19, 0x7ff00000, v19, vcc_lo
	s_and_b32 vcc_lo, s0, vcc_lo
	s_delay_alu instid0(VALU_DEP_1) | instid1(SALU_CYCLE_1)
	v_dual_cndmask_b32 v14, 0, v18, vcc_lo :: v_dual_cndmask_b32 v15, 0, v19, s0
	s_wait_loadcnt 0x0
	s_delay_alu instid0(VALU_DEP_1) | instskip(SKIP_1) | instid1(VALU_DEP_1)
	v_mul_f64_e32 v[6:7], v[6:7], v[14:15]
	v_add_f64_e32 v[14:15], 1.0, v[14:15]
	v_div_scale_f64 v[18:19], null, v[14:15], v[14:15], v[6:7]
	s_delay_alu instid0(VALU_DEP_1) | instskip(SKIP_1) | instid1(TRANS32_DEP_1)
	v_rcp_f64_e32 v[20:21], v[18:19]
	v_nop
	v_fma_f64 v[22:23], -v[18:19], v[20:21], 1.0
	s_delay_alu instid0(VALU_DEP_1) | instskip(NEXT) | instid1(VALU_DEP_1)
	v_fmac_f64_e32 v[20:21], v[20:21], v[22:23]
	v_fma_f64 v[22:23], -v[18:19], v[20:21], 1.0
	s_delay_alu instid0(VALU_DEP_1) | instskip(SKIP_1) | instid1(VALU_DEP_1)
	v_fmac_f64_e32 v[20:21], v[20:21], v[22:23]
	v_div_scale_f64 v[22:23], vcc_lo, v[6:7], v[14:15], v[6:7]
	v_mul_f64_e32 v[24:25], v[22:23], v[20:21]
	s_delay_alu instid0(VALU_DEP_1) | instskip(NEXT) | instid1(VALU_DEP_1)
	v_fma_f64 v[18:19], -v[18:19], v[24:25], v[22:23]
	v_div_fmas_f64 v[18:19], v[18:19], v[20:21], v[24:25]
	s_delay_alu instid0(VALU_DEP_1)
	v_div_fixup_f64 v[6:7], v[18:19], v[14:15], v[6:7]
.LBB37_3:
	s_or_b32 exec_lo, exec_lo, s1
	v_mul_f64_e32 v[14:15], s[4:5], v[16:17]
	s_mov_b32 s1, exec_lo
	s_delay_alu instid0(VALU_DEP_1)
	v_cmpx_nlt_f64_e32 s[6:7], v[14:15]
	s_cbranch_execz .LBB37_5
; %bb.4:
	v_mul_f64_e32 v[16:17], 0x3ff71547652b82fe, v[14:15]
	s_mov_b64 s[18:19], 0x3e5ade156a5dcb37
	v_cmp_nlt_f64_e32 vcc_lo, 0x40900000, v[14:15]
	v_cmp_ngt_f64_e64 s0, 0xc090cc00, v[14:15]
	s_delay_alu instid0(VALU_DEP_3) | instskip(NEXT) | instid1(VALU_DEP_1)
	v_rndne_f64_e32 v[16:17], v[16:17]
	v_fmamk_f64 v[18:19], v[16:17], 0xbfe62e42fefa39ef, v[14:15]
	v_cvt_i32_f64_e32 v22, v[16:17]
	s_delay_alu instid0(VALU_DEP_2) | instskip(NEXT) | instid1(VALU_DEP_1)
	v_fmamk_f64 v[18:19], v[16:17], 0xbc7abc9e3b39803f, v[18:19]
	v_fmaak_f64 v[20:21], s[18:19], v[18:19], 0x3e928af3fca7ab0c
	s_delay_alu instid0(VALU_DEP_1) | instskip(NEXT) | instid1(VALU_DEP_1)
	v_fmaak_f64 v[20:21], v[18:19], v[20:21], 0x3ec71dee623fde64
	v_fmaak_f64 v[20:21], v[18:19], v[20:21], 0x3efa01997c89e6b0
	s_delay_alu instid0(VALU_DEP_1) | instskip(NEXT) | instid1(VALU_DEP_1)
	v_fmaak_f64 v[20:21], v[18:19], v[20:21], 0x3f2a01a014761f6e
	;; [unrolled: 3-line block ×4, first 2 shown]
	v_fmaak_f64 v[20:21], v[18:19], v[20:21], 0x3fe000000000000b
	s_delay_alu instid0(VALU_DEP_1) | instskip(NEXT) | instid1(VALU_DEP_1)
	v_fma_f64 v[20:21], v[18:19], v[20:21], 1.0
	v_fma_f64 v[16:17], v[18:19], v[20:21], 1.0
	s_delay_alu instid0(VALU_DEP_1) | instskip(NEXT) | instid1(VALU_DEP_1)
	v_ldexp_f64 v[16:17], v[16:17], v22
	v_cndmask_b32_e32 v17, 0x7ff00000, v17, vcc_lo
	s_and_b32 vcc_lo, s0, vcc_lo
	s_delay_alu instid0(VALU_DEP_1) | instid1(SALU_CYCLE_1)
	v_dual_cndmask_b32 v14, 0, v16, vcc_lo :: v_dual_cndmask_b32 v15, 0, v17, s0
	s_wait_loadcnt 0x0
	s_delay_alu instid0(VALU_DEP_1) | instskip(SKIP_1) | instid1(VALU_DEP_1)
	v_mul_f64_e32 v[8:9], v[8:9], v[14:15]
	v_add_f64_e32 v[14:15], 1.0, v[14:15]
	v_div_scale_f64 v[16:17], null, v[14:15], v[14:15], v[8:9]
	s_delay_alu instid0(VALU_DEP_1) | instskip(SKIP_1) | instid1(TRANS32_DEP_1)
	v_rcp_f64_e32 v[18:19], v[16:17]
	v_nop
	v_fma_f64 v[20:21], -v[16:17], v[18:19], 1.0
	s_delay_alu instid0(VALU_DEP_1) | instskip(NEXT) | instid1(VALU_DEP_1)
	v_fmac_f64_e32 v[18:19], v[18:19], v[20:21]
	v_fma_f64 v[20:21], -v[16:17], v[18:19], 1.0
	s_delay_alu instid0(VALU_DEP_1) | instskip(SKIP_1) | instid1(VALU_DEP_1)
	v_fmac_f64_e32 v[18:19], v[18:19], v[20:21]
	v_div_scale_f64 v[20:21], vcc_lo, v[8:9], v[14:15], v[8:9]
	v_mul_f64_e32 v[22:23], v[20:21], v[18:19]
	s_delay_alu instid0(VALU_DEP_1) | instskip(NEXT) | instid1(VALU_DEP_1)
	v_fma_f64 v[16:17], -v[16:17], v[22:23], v[20:21]
	v_div_fmas_f64 v[16:17], v[16:17], v[18:19], v[22:23]
	s_delay_alu instid0(VALU_DEP_1)
	v_div_fixup_f64 v[8:9], v[16:17], v[14:15], v[8:9]
.LBB37_5:
	s_or_b32 exec_lo, exec_lo, s1
	s_wait_loadcnt 0x2
	v_mul_f64_e32 v[10:11], s[4:5], v[10:11]
	s_mov_b32 s1, exec_lo
	s_delay_alu instid0(VALU_DEP_1)
	v_cmpx_nlt_f64_e32 s[6:7], v[10:11]
	s_cbranch_execz .LBB37_7
; %bb.6:
	v_mul_f64_e32 v[14:15], 0x3ff71547652b82fe, v[10:11]
	s_mov_b64 s[18:19], 0x3e5ade156a5dcb37
	v_cmp_nlt_f64_e32 vcc_lo, 0x40900000, v[10:11]
	v_cmp_ngt_f64_e64 s0, 0xc090cc00, v[10:11]
	s_delay_alu instid0(VALU_DEP_3) | instskip(NEXT) | instid1(VALU_DEP_1)
	v_rndne_f64_e32 v[14:15], v[14:15]
	v_fmamk_f64 v[16:17], v[14:15], 0xbfe62e42fefa39ef, v[10:11]
	v_cvt_i32_f64_e32 v20, v[14:15]
	s_delay_alu instid0(VALU_DEP_2) | instskip(NEXT) | instid1(VALU_DEP_1)
	v_fmamk_f64 v[16:17], v[14:15], 0xbc7abc9e3b39803f, v[16:17]
	v_fmaak_f64 v[18:19], s[18:19], v[16:17], 0x3e928af3fca7ab0c
	s_delay_alu instid0(VALU_DEP_1) | instskip(NEXT) | instid1(VALU_DEP_1)
	v_fmaak_f64 v[18:19], v[16:17], v[18:19], 0x3ec71dee623fde64
	v_fmaak_f64 v[18:19], v[16:17], v[18:19], 0x3efa01997c89e6b0
	s_delay_alu instid0(VALU_DEP_1) | instskip(NEXT) | instid1(VALU_DEP_1)
	v_fmaak_f64 v[18:19], v[16:17], v[18:19], 0x3f2a01a014761f6e
	v_fmaak_f64 v[18:19], v[16:17], v[18:19], 0x3f56c16c1852b7b0
	s_delay_alu instid0(VALU_DEP_1) | instskip(NEXT) | instid1(VALU_DEP_1)
	v_fmaak_f64 v[18:19], v[16:17], v[18:19], 0x3f81111111122322
	v_fmaak_f64 v[18:19], v[16:17], v[18:19], 0x3fa55555555502a1
	s_delay_alu instid0(VALU_DEP_1) | instskip(NEXT) | instid1(VALU_DEP_1)
	v_fmaak_f64 v[18:19], v[16:17], v[18:19], 0x3fc5555555555511
	v_fmaak_f64 v[18:19], v[16:17], v[18:19], 0x3fe000000000000b
	s_delay_alu instid0(VALU_DEP_1) | instskip(NEXT) | instid1(VALU_DEP_1)
	v_fma_f64 v[18:19], v[16:17], v[18:19], 1.0
	v_fma_f64 v[14:15], v[16:17], v[18:19], 1.0
	s_delay_alu instid0(VALU_DEP_1) | instskip(NEXT) | instid1(VALU_DEP_1)
	v_ldexp_f64 v[14:15], v[14:15], v20
	v_cndmask_b32_e32 v15, 0x7ff00000, v15, vcc_lo
	s_and_b32 vcc_lo, s0, vcc_lo
	s_delay_alu instid0(VALU_DEP_1) | instid1(SALU_CYCLE_1)
	v_dual_cndmask_b32 v10, 0, v14, vcc_lo :: v_dual_cndmask_b32 v11, 0, v15, s0
	s_wait_loadcnt 0x1
	s_delay_alu instid0(VALU_DEP_1) | instskip(SKIP_1) | instid1(VALU_DEP_1)
	v_mul_f64_e32 v[2:3], v[2:3], v[10:11]
	v_add_f64_e32 v[10:11], 1.0, v[10:11]
	v_div_scale_f64 v[14:15], null, v[10:11], v[10:11], v[2:3]
	s_delay_alu instid0(VALU_DEP_1) | instskip(SKIP_1) | instid1(TRANS32_DEP_1)
	v_rcp_f64_e32 v[16:17], v[14:15]
	v_nop
	v_fma_f64 v[18:19], -v[14:15], v[16:17], 1.0
	s_delay_alu instid0(VALU_DEP_1) | instskip(NEXT) | instid1(VALU_DEP_1)
	v_fmac_f64_e32 v[16:17], v[16:17], v[18:19]
	v_fma_f64 v[18:19], -v[14:15], v[16:17], 1.0
	s_delay_alu instid0(VALU_DEP_1) | instskip(SKIP_1) | instid1(VALU_DEP_1)
	v_fmac_f64_e32 v[16:17], v[16:17], v[18:19]
	v_div_scale_f64 v[18:19], vcc_lo, v[2:3], v[10:11], v[2:3]
	v_mul_f64_e32 v[20:21], v[18:19], v[16:17]
	s_delay_alu instid0(VALU_DEP_1) | instskip(NEXT) | instid1(VALU_DEP_1)
	v_fma_f64 v[14:15], -v[14:15], v[20:21], v[18:19]
	v_div_fmas_f64 v[14:15], v[14:15], v[16:17], v[20:21]
	s_delay_alu instid0(VALU_DEP_1)
	v_div_fixup_f64 v[2:3], v[14:15], v[10:11], v[2:3]
.LBB37_7:
	s_or_b32 exec_lo, exec_lo, s1
	v_mul_f64_e32 v[10:11], s[4:5], v[12:13]
	s_mov_b32 s1, exec_lo
	s_delay_alu instid0(VALU_DEP_1)
	v_cmpx_nlt_f64_e32 s[6:7], v[10:11]
	s_cbranch_execz .LBB37_9
; %bb.8:
	v_mul_f64_e32 v[12:13], 0x3ff71547652b82fe, v[10:11]
	s_mov_b64 s[18:19], 0x3e5ade156a5dcb37
	v_cmp_nlt_f64_e32 vcc_lo, 0x40900000, v[10:11]
	v_cmp_ngt_f64_e64 s0, 0xc090cc00, v[10:11]
	s_delay_alu instid0(VALU_DEP_3) | instskip(NEXT) | instid1(VALU_DEP_1)
	v_rndne_f64_e32 v[12:13], v[12:13]
	v_fmamk_f64 v[14:15], v[12:13], 0xbfe62e42fefa39ef, v[10:11]
	v_cvt_i32_f64_e32 v18, v[12:13]
	s_delay_alu instid0(VALU_DEP_2) | instskip(NEXT) | instid1(VALU_DEP_1)
	v_fmamk_f64 v[14:15], v[12:13], 0xbc7abc9e3b39803f, v[14:15]
	v_fmaak_f64 v[16:17], s[18:19], v[14:15], 0x3e928af3fca7ab0c
	s_delay_alu instid0(VALU_DEP_1) | instskip(NEXT) | instid1(VALU_DEP_1)
	v_fmaak_f64 v[16:17], v[14:15], v[16:17], 0x3ec71dee623fde64
	v_fmaak_f64 v[16:17], v[14:15], v[16:17], 0x3efa01997c89e6b0
	s_delay_alu instid0(VALU_DEP_1) | instskip(NEXT) | instid1(VALU_DEP_1)
	v_fmaak_f64 v[16:17], v[14:15], v[16:17], 0x3f2a01a014761f6e
	;; [unrolled: 3-line block ×4, first 2 shown]
	v_fmaak_f64 v[16:17], v[14:15], v[16:17], 0x3fe000000000000b
	s_delay_alu instid0(VALU_DEP_1) | instskip(NEXT) | instid1(VALU_DEP_1)
	v_fma_f64 v[16:17], v[14:15], v[16:17], 1.0
	v_fma_f64 v[12:13], v[14:15], v[16:17], 1.0
	s_delay_alu instid0(VALU_DEP_1) | instskip(NEXT) | instid1(VALU_DEP_1)
	v_ldexp_f64 v[12:13], v[12:13], v18
	v_cndmask_b32_e32 v13, 0x7ff00000, v13, vcc_lo
	s_and_b32 vcc_lo, s0, vcc_lo
	s_delay_alu instid0(VALU_DEP_1) | instid1(SALU_CYCLE_1)
	v_dual_cndmask_b32 v10, 0, v12, vcc_lo :: v_dual_cndmask_b32 v11, 0, v13, s0
	s_wait_loadcnt 0x1
	s_delay_alu instid0(VALU_DEP_1) | instskip(SKIP_1) | instid1(VALU_DEP_1)
	v_mul_f64_e32 v[4:5], v[4:5], v[10:11]
	v_add_f64_e32 v[10:11], 1.0, v[10:11]
	v_div_scale_f64 v[12:13], null, v[10:11], v[10:11], v[4:5]
	s_delay_alu instid0(VALU_DEP_1) | instskip(SKIP_1) | instid1(TRANS32_DEP_1)
	v_rcp_f64_e32 v[14:15], v[12:13]
	v_nop
	v_fma_f64 v[16:17], -v[12:13], v[14:15], 1.0
	s_delay_alu instid0(VALU_DEP_1) | instskip(NEXT) | instid1(VALU_DEP_1)
	v_fmac_f64_e32 v[14:15], v[14:15], v[16:17]
	v_fma_f64 v[16:17], -v[12:13], v[14:15], 1.0
	s_delay_alu instid0(VALU_DEP_1) | instskip(SKIP_1) | instid1(VALU_DEP_1)
	v_fmac_f64_e32 v[14:15], v[14:15], v[16:17]
	v_div_scale_f64 v[16:17], vcc_lo, v[4:5], v[10:11], v[4:5]
	v_mul_f64_e32 v[18:19], v[16:17], v[14:15]
	s_delay_alu instid0(VALU_DEP_1) | instskip(NEXT) | instid1(VALU_DEP_1)
	v_fma_f64 v[12:13], -v[12:13], v[18:19], v[16:17]
	v_div_fmas_f64 v[12:13], v[12:13], v[14:15], v[18:19]
	s_delay_alu instid0(VALU_DEP_1)
	v_div_fixup_f64 v[4:5], v[12:13], v[10:11], v[4:5]
.LBB37_9:
	s_or_b32 exec_lo, exec_lo, s1
	s_add_nc_u64 s[14:15], s[8:9], s[14:15]
	s_mov_b32 s0, 0
	s_wait_loadcnt 0x0
	s_clause 0x1
	global_store_b128 v1, v[6:9], s[14:15]
	global_store_b128 v1, v[2:5], s[14:15] offset:16
.LBB37_10:
	s_and_b32 vcc_lo, exec_lo, s0
	s_cbranch_vccz .LBB37_37
; %bb.11:
	s_wait_xcnt 0x0
	v_mov_b64_e32 v[2:3], 0
	v_mov_b64_e32 v[4:5], 0
	;; [unrolled: 1-line block ×3, first 2 shown]
	v_cmp_gt_i32_e64 s0, s16, v0
	v_dual_mov_b32 v19, v0 :: v_dual_bitop2_b32 v1, s2, v0 bitop3:0x54
	v_or_b32_e32 v18, 0x100, v0
	s_and_saveexec_b32 s1, s0
	s_cbranch_execz .LBB37_13
; %bb.12:
	s_clause 0x1
	global_load_b64 v[4:5], v1, s[10:11] scale_offset
	global_load_b64 v[16:17], v1, s[12:13] scale_offset
	v_or_b32_e32 v19, 0x100, v0
.LBB37_13:
	s_wait_xcnt 0x0
	s_or_b32 exec_lo, exec_lo, s1
	v_mov_b64_e32 v[14:15], 0
	s_mov_b32 s1, exec_lo
	v_cmpx_gt_i32_e64 s16, v19
	s_cbranch_execz .LBB37_15
; %bb.14:
	v_add_nc_u32_e32 v6, s2, v19
	v_add_nc_u32_e32 v19, 0x100, v19
	s_clause 0x1
	global_load_b64 v[2:3], v6, s[10:11] scale_offset
	global_load_b64 v[14:15], v6, s[12:13] scale_offset
.LBB37_15:
	s_wait_xcnt 0x0
	s_or_b32 exec_lo, exec_lo, s1
	v_mov_b64_e32 v[6:7], 0
	v_mov_b64_e32 v[8:9], 0
	;; [unrolled: 1-line block ×3, first 2 shown]
	s_mov_b32 s1, exec_lo
	v_cmpx_gt_i32_e64 s16, v19
	s_cbranch_execz .LBB37_17
; %bb.16:
	v_add_nc_u32_e32 v10, s2, v19
	v_add_nc_u32_e32 v19, 0x100, v19
	s_clause 0x1
	global_load_b64 v[8:9], v10, s[10:11] scale_offset
	global_load_b64 v[12:13], v10, s[12:13] scale_offset
.LBB37_17:
	s_wait_xcnt 0x0
	s_or_b32 exec_lo, exec_lo, s1
	v_mov_b64_e32 v[10:11], 0
	s_mov_b32 s1, exec_lo
	v_cmpx_gt_i32_e64 s16, v19
	s_cbranch_execnz .LBB37_20
; %bb.18:
	s_or_b32 exec_lo, exec_lo, s1
	s_and_saveexec_b32 s3, s0
	s_cbranch_execnz .LBB37_21
.LBB37_19:
	s_or_b32 exec_lo, exec_lo, s3
	s_delay_alu instid0(SALU_CYCLE_1)
	s_mov_b32 s3, exec_lo
	v_cmpx_gt_i32_e64 s16, v18
	s_cbranch_execnz .LBB37_24
	s_branch .LBB37_27
.LBB37_20:
	v_add_nc_u32_e32 v19, s2, v19
	s_clause 0x1
	global_load_b64 v[6:7], v19, s[10:11] scale_offset
	global_load_b64 v[10:11], v19, s[12:13] scale_offset
	s_wait_xcnt 0x0
	s_or_b32 exec_lo, exec_lo, s1
	s_and_saveexec_b32 s3, s0
	s_cbranch_execz .LBB37_19
.LBB37_21:
	s_wait_loadcnt 0x0
	v_mul_f64_e32 v[16:17], s[4:5], v[16:17]
	s_mov_b32 s10, exec_lo
	s_delay_alu instid0(VALU_DEP_1)
	v_cmpx_nlt_f64_e32 s[6:7], v[16:17]
	s_cbranch_execz .LBB37_23
; %bb.22:
	v_mul_f64_e32 v[20:21], 0x3ff71547652b82fe, v[16:17]
	s_mov_b64 s[12:13], 0x3e5ade156a5dcb37
	v_cmp_nlt_f64_e32 vcc_lo, 0x40900000, v[16:17]
	v_cmp_ngt_f64_e64 s1, 0xc090cc00, v[16:17]
	s_delay_alu instid0(VALU_DEP_3) | instskip(NEXT) | instid1(VALU_DEP_1)
	v_rndne_f64_e32 v[20:21], v[20:21]
	v_fmamk_f64 v[22:23], v[20:21], 0xbfe62e42fefa39ef, v[16:17]
	v_cvt_i32_f64_e32 v19, v[20:21]
	s_delay_alu instid0(VALU_DEP_2) | instskip(NEXT) | instid1(VALU_DEP_1)
	v_fmamk_f64 v[22:23], v[20:21], 0xbc7abc9e3b39803f, v[22:23]
	v_fmaak_f64 v[24:25], s[12:13], v[22:23], 0x3e928af3fca7ab0c
	s_delay_alu instid0(VALU_DEP_1) | instskip(NEXT) | instid1(VALU_DEP_1)
	v_fmaak_f64 v[24:25], v[22:23], v[24:25], 0x3ec71dee623fde64
	v_fmaak_f64 v[24:25], v[22:23], v[24:25], 0x3efa01997c89e6b0
	s_delay_alu instid0(VALU_DEP_1) | instskip(NEXT) | instid1(VALU_DEP_1)
	v_fmaak_f64 v[24:25], v[22:23], v[24:25], 0x3f2a01a014761f6e
	v_fmaak_f64 v[24:25], v[22:23], v[24:25], 0x3f56c16c1852b7b0
	s_delay_alu instid0(VALU_DEP_1) | instskip(NEXT) | instid1(VALU_DEP_1)
	v_fmaak_f64 v[24:25], v[22:23], v[24:25], 0x3f81111111122322
	v_fmaak_f64 v[24:25], v[22:23], v[24:25], 0x3fa55555555502a1
	s_delay_alu instid0(VALU_DEP_1) | instskip(NEXT) | instid1(VALU_DEP_1)
	v_fmaak_f64 v[24:25], v[22:23], v[24:25], 0x3fc5555555555511
	v_fmaak_f64 v[24:25], v[22:23], v[24:25], 0x3fe000000000000b
	s_delay_alu instid0(VALU_DEP_1) | instskip(NEXT) | instid1(VALU_DEP_1)
	v_fma_f64 v[24:25], v[22:23], v[24:25], 1.0
	v_fma_f64 v[20:21], v[22:23], v[24:25], 1.0
	s_delay_alu instid0(VALU_DEP_1) | instskip(NEXT) | instid1(VALU_DEP_1)
	v_ldexp_f64 v[20:21], v[20:21], v19
	v_cndmask_b32_e32 v19, 0x7ff00000, v21, vcc_lo
	s_and_b32 vcc_lo, s1, vcc_lo
	s_delay_alu instid0(VALU_DEP_1) | instid1(SALU_CYCLE_1)
	v_dual_cndmask_b32 v16, 0, v20, vcc_lo :: v_dual_cndmask_b32 v17, 0, v19, s1
	s_delay_alu instid0(VALU_DEP_1) | instskip(SKIP_1) | instid1(VALU_DEP_1)
	v_mul_f64_e32 v[4:5], v[4:5], v[16:17]
	v_add_f64_e32 v[16:17], 1.0, v[16:17]
	v_div_scale_f64 v[20:21], null, v[16:17], v[16:17], v[4:5]
	s_delay_alu instid0(VALU_DEP_1) | instskip(SKIP_1) | instid1(TRANS32_DEP_1)
	v_rcp_f64_e32 v[22:23], v[20:21]
	v_nop
	v_fma_f64 v[24:25], -v[20:21], v[22:23], 1.0
	s_delay_alu instid0(VALU_DEP_1) | instskip(NEXT) | instid1(VALU_DEP_1)
	v_fmac_f64_e32 v[22:23], v[22:23], v[24:25]
	v_fma_f64 v[24:25], -v[20:21], v[22:23], 1.0
	s_delay_alu instid0(VALU_DEP_1) | instskip(SKIP_1) | instid1(VALU_DEP_1)
	v_fmac_f64_e32 v[22:23], v[22:23], v[24:25]
	v_div_scale_f64 v[24:25], vcc_lo, v[4:5], v[16:17], v[4:5]
	v_mul_f64_e32 v[26:27], v[24:25], v[22:23]
	s_delay_alu instid0(VALU_DEP_1) | instskip(NEXT) | instid1(VALU_DEP_1)
	v_fma_f64 v[20:21], -v[20:21], v[26:27], v[24:25]
	v_div_fmas_f64 v[20:21], v[20:21], v[22:23], v[26:27]
	s_delay_alu instid0(VALU_DEP_1)
	v_div_fixup_f64 v[4:5], v[20:21], v[16:17], v[4:5]
.LBB37_23:
	s_or_b32 exec_lo, exec_lo, s10
	s_delay_alu instid0(SALU_CYCLE_1) | instskip(NEXT) | instid1(SALU_CYCLE_1)
	s_or_b32 exec_lo, exec_lo, s3
	s_mov_b32 s3, exec_lo
	v_cmpx_gt_i32_e64 s16, v18
	s_cbranch_execz .LBB37_27
.LBB37_24:
	s_wait_loadcnt 0x0
	v_mul_f64_e32 v[14:15], s[4:5], v[14:15]
	s_mov_b32 s10, exec_lo
	s_delay_alu instid0(VALU_DEP_1)
	v_cmpx_nlt_f64_e32 s[6:7], v[14:15]
	s_cbranch_execz .LBB37_26
; %bb.25:
	v_mul_f64_e32 v[16:17], 0x3ff71547652b82fe, v[14:15]
	s_mov_b64 s[12:13], 0x3e5ade156a5dcb37
	v_cmp_nlt_f64_e32 vcc_lo, 0x40900000, v[14:15]
	v_cmp_ngt_f64_e64 s1, 0xc090cc00, v[14:15]
	s_delay_alu instid0(VALU_DEP_3) | instskip(NEXT) | instid1(VALU_DEP_1)
	v_rndne_f64_e32 v[16:17], v[16:17]
	v_fmamk_f64 v[20:21], v[16:17], 0xbfe62e42fefa39ef, v[14:15]
	v_cvt_i32_f64_e32 v19, v[16:17]
	s_delay_alu instid0(VALU_DEP_2) | instskip(NEXT) | instid1(VALU_DEP_1)
	v_fmamk_f64 v[20:21], v[16:17], 0xbc7abc9e3b39803f, v[20:21]
	v_fmaak_f64 v[22:23], s[12:13], v[20:21], 0x3e928af3fca7ab0c
	s_delay_alu instid0(VALU_DEP_1) | instskip(NEXT) | instid1(VALU_DEP_1)
	v_fmaak_f64 v[22:23], v[20:21], v[22:23], 0x3ec71dee623fde64
	v_fmaak_f64 v[22:23], v[20:21], v[22:23], 0x3efa01997c89e6b0
	s_delay_alu instid0(VALU_DEP_1) | instskip(NEXT) | instid1(VALU_DEP_1)
	v_fmaak_f64 v[22:23], v[20:21], v[22:23], 0x3f2a01a014761f6e
	;; [unrolled: 3-line block ×4, first 2 shown]
	v_fmaak_f64 v[22:23], v[20:21], v[22:23], 0x3fe000000000000b
	s_delay_alu instid0(VALU_DEP_1) | instskip(NEXT) | instid1(VALU_DEP_1)
	v_fma_f64 v[22:23], v[20:21], v[22:23], 1.0
	v_fma_f64 v[16:17], v[20:21], v[22:23], 1.0
	s_delay_alu instid0(VALU_DEP_1) | instskip(NEXT) | instid1(VALU_DEP_1)
	v_ldexp_f64 v[16:17], v[16:17], v19
	v_cndmask_b32_e32 v17, 0x7ff00000, v17, vcc_lo
	s_and_b32 vcc_lo, s1, vcc_lo
	s_delay_alu instid0(VALU_DEP_1) | instid1(SALU_CYCLE_1)
	v_dual_cndmask_b32 v14, 0, v16, vcc_lo :: v_dual_cndmask_b32 v15, 0, v17, s1
	s_delay_alu instid0(VALU_DEP_1) | instskip(SKIP_1) | instid1(VALU_DEP_1)
	v_mul_f64_e32 v[2:3], v[2:3], v[14:15]
	v_add_f64_e32 v[14:15], 1.0, v[14:15]
	v_div_scale_f64 v[16:17], null, v[14:15], v[14:15], v[2:3]
	s_delay_alu instid0(VALU_DEP_1) | instskip(SKIP_1) | instid1(TRANS32_DEP_1)
	v_rcp_f64_e32 v[20:21], v[16:17]
	v_nop
	v_fma_f64 v[22:23], -v[16:17], v[20:21], 1.0
	s_delay_alu instid0(VALU_DEP_1) | instskip(NEXT) | instid1(VALU_DEP_1)
	v_fmac_f64_e32 v[20:21], v[20:21], v[22:23]
	v_fma_f64 v[22:23], -v[16:17], v[20:21], 1.0
	s_delay_alu instid0(VALU_DEP_1) | instskip(SKIP_1) | instid1(VALU_DEP_1)
	v_fmac_f64_e32 v[20:21], v[20:21], v[22:23]
	v_div_scale_f64 v[22:23], vcc_lo, v[2:3], v[14:15], v[2:3]
	v_mul_f64_e32 v[24:25], v[22:23], v[20:21]
	s_delay_alu instid0(VALU_DEP_1) | instskip(NEXT) | instid1(VALU_DEP_1)
	v_fma_f64 v[16:17], -v[16:17], v[24:25], v[22:23]
	v_div_fmas_f64 v[16:17], v[16:17], v[20:21], v[24:25]
	s_delay_alu instid0(VALU_DEP_1)
	v_div_fixup_f64 v[2:3], v[16:17], v[14:15], v[2:3]
.LBB37_26:
	s_or_b32 exec_lo, exec_lo, s10
.LBB37_27:
	s_delay_alu instid0(SALU_CYCLE_1) | instskip(SKIP_3) | instid1(VALU_DEP_1)
	s_or_b32 exec_lo, exec_lo, s3
	s_wait_loadcnt 0x0
	v_or_b32_e32 v14, 0x200, v0
	s_mov_b32 s3, exec_lo
	v_cmpx_gt_i32_e64 s16, v14
	s_cbranch_execz .LBB37_31
; %bb.28:
	v_mul_f64_e32 v[12:13], s[4:5], v[12:13]
	s_mov_b32 s10, exec_lo
	s_delay_alu instid0(VALU_DEP_1)
	v_cmpx_nlt_f64_e32 s[6:7], v[12:13]
	s_cbranch_execz .LBB37_30
; %bb.29:
	v_mul_f64_e32 v[14:15], 0x3ff71547652b82fe, v[12:13]
	s_mov_b64 s[12:13], 0x3e5ade156a5dcb37
	v_cmp_nlt_f64_e32 vcc_lo, 0x40900000, v[12:13]
	v_cmp_ngt_f64_e64 s1, 0xc090cc00, v[12:13]
	s_delay_alu instid0(VALU_DEP_3) | instskip(NEXT) | instid1(VALU_DEP_1)
	v_rndne_f64_e32 v[14:15], v[14:15]
	v_fmamk_f64 v[16:17], v[14:15], 0xbfe62e42fefa39ef, v[12:13]
	v_cvt_i32_f64_e32 v19, v[14:15]
	s_delay_alu instid0(VALU_DEP_2) | instskip(NEXT) | instid1(VALU_DEP_1)
	v_fmamk_f64 v[16:17], v[14:15], 0xbc7abc9e3b39803f, v[16:17]
	v_fmaak_f64 v[20:21], s[12:13], v[16:17], 0x3e928af3fca7ab0c
	s_delay_alu instid0(VALU_DEP_1) | instskip(NEXT) | instid1(VALU_DEP_1)
	v_fmaak_f64 v[20:21], v[16:17], v[20:21], 0x3ec71dee623fde64
	v_fmaak_f64 v[20:21], v[16:17], v[20:21], 0x3efa01997c89e6b0
	s_delay_alu instid0(VALU_DEP_1) | instskip(NEXT) | instid1(VALU_DEP_1)
	v_fmaak_f64 v[20:21], v[16:17], v[20:21], 0x3f2a01a014761f6e
	;; [unrolled: 3-line block ×4, first 2 shown]
	v_fmaak_f64 v[20:21], v[16:17], v[20:21], 0x3fe000000000000b
	s_delay_alu instid0(VALU_DEP_1) | instskip(NEXT) | instid1(VALU_DEP_1)
	v_fma_f64 v[20:21], v[16:17], v[20:21], 1.0
	v_fma_f64 v[14:15], v[16:17], v[20:21], 1.0
	s_delay_alu instid0(VALU_DEP_1) | instskip(NEXT) | instid1(VALU_DEP_1)
	v_ldexp_f64 v[14:15], v[14:15], v19
	v_cndmask_b32_e32 v15, 0x7ff00000, v15, vcc_lo
	s_and_b32 vcc_lo, s1, vcc_lo
	s_delay_alu instid0(VALU_DEP_1) | instid1(SALU_CYCLE_1)
	v_dual_cndmask_b32 v12, 0, v14, vcc_lo :: v_dual_cndmask_b32 v13, 0, v15, s1
	s_delay_alu instid0(VALU_DEP_1) | instskip(SKIP_1) | instid1(VALU_DEP_1)
	v_mul_f64_e32 v[8:9], v[8:9], v[12:13]
	v_add_f64_e32 v[12:13], 1.0, v[12:13]
	v_div_scale_f64 v[14:15], null, v[12:13], v[12:13], v[8:9]
	s_delay_alu instid0(VALU_DEP_1) | instskip(SKIP_1) | instid1(TRANS32_DEP_1)
	v_rcp_f64_e32 v[16:17], v[14:15]
	v_nop
	v_fma_f64 v[20:21], -v[14:15], v[16:17], 1.0
	s_delay_alu instid0(VALU_DEP_1) | instskip(NEXT) | instid1(VALU_DEP_1)
	v_fmac_f64_e32 v[16:17], v[16:17], v[20:21]
	v_fma_f64 v[20:21], -v[14:15], v[16:17], 1.0
	s_delay_alu instid0(VALU_DEP_1) | instskip(SKIP_1) | instid1(VALU_DEP_1)
	v_fmac_f64_e32 v[16:17], v[16:17], v[20:21]
	v_div_scale_f64 v[20:21], vcc_lo, v[8:9], v[12:13], v[8:9]
	v_mul_f64_e32 v[22:23], v[20:21], v[16:17]
	s_delay_alu instid0(VALU_DEP_1) | instskip(NEXT) | instid1(VALU_DEP_1)
	v_fma_f64 v[14:15], -v[14:15], v[22:23], v[20:21]
	v_div_fmas_f64 v[14:15], v[14:15], v[16:17], v[22:23]
	s_delay_alu instid0(VALU_DEP_1)
	v_div_fixup_f64 v[8:9], v[14:15], v[12:13], v[8:9]
.LBB37_30:
	s_or_b32 exec_lo, exec_lo, s10
.LBB37_31:
	s_delay_alu instid0(SALU_CYCLE_1) | instskip(SKIP_2) | instid1(VALU_DEP_1)
	s_or_b32 exec_lo, exec_lo, s3
	v_or_b32_e32 v12, 0x300, v0
	s_mov_b32 s3, exec_lo
	v_cmpx_gt_i32_e64 s16, v12
	s_cbranch_execnz .LBB37_38
; %bb.32:
	s_or_b32 exec_lo, exec_lo, s3
	s_and_saveexec_b32 s1, s0
	s_delay_alu instid0(SALU_CYCLE_1)
	s_xor_b32 s0, exec_lo, s1
	s_cbranch_execnz .LBB37_41
.LBB37_33:
	s_or_b32 exec_lo, exec_lo, s0
	s_delay_alu instid0(SALU_CYCLE_1)
	s_mov_b32 s0, exec_lo
	v_cmpx_gt_i32_e64 s16, v0
	s_cbranch_execnz .LBB37_42
.LBB37_34:
	s_or_b32 exec_lo, exec_lo, s0
	s_delay_alu instid0(SALU_CYCLE_1)
	s_mov_b32 s0, exec_lo
	v_cmpx_gt_i32_e64 s16, v0
	s_cbranch_execnz .LBB37_43
.LBB37_35:
	s_or_b32 exec_lo, exec_lo, s0
	s_delay_alu instid0(SALU_CYCLE_1)
	s_mov_b32 s0, exec_lo
	v_cmpx_gt_i32_e64 s16, v0
	s_cbranch_execz .LBB37_37
.LBB37_36:
	v_add_nc_u32_e32 v0, s2, v0
	global_store_b64 v0, v[6:7], s[8:9] scale_offset
.LBB37_37:
	s_endpgm
.LBB37_38:
	v_mul_f64_e32 v[10:11], s[4:5], v[10:11]
	s_mov_b32 s4, exec_lo
	s_delay_alu instid0(VALU_DEP_1)
	v_cmpx_nlt_f64_e32 s[6:7], v[10:11]
	s_cbranch_execz .LBB37_40
; %bb.39:
	v_mul_f64_e32 v[12:13], 0x3ff71547652b82fe, v[10:11]
	s_mov_b64 s[6:7], 0x3e5ade156a5dcb37
	v_cmp_nlt_f64_e32 vcc_lo, 0x40900000, v[10:11]
	v_cmp_ngt_f64_e64 s1, 0xc090cc00, v[10:11]
	s_delay_alu instid0(VALU_DEP_3) | instskip(NEXT) | instid1(VALU_DEP_1)
	v_rndne_f64_e32 v[12:13], v[12:13]
	v_fmamk_f64 v[14:15], v[12:13], 0xbfe62e42fefa39ef, v[10:11]
	v_cvt_i32_f64_e32 v19, v[12:13]
	s_delay_alu instid0(VALU_DEP_2) | instskip(NEXT) | instid1(VALU_DEP_1)
	v_fmamk_f64 v[14:15], v[12:13], 0xbc7abc9e3b39803f, v[14:15]
	v_fmaak_f64 v[16:17], s[6:7], v[14:15], 0x3e928af3fca7ab0c
	s_delay_alu instid0(VALU_DEP_1) | instskip(NEXT) | instid1(VALU_DEP_1)
	v_fmaak_f64 v[16:17], v[14:15], v[16:17], 0x3ec71dee623fde64
	v_fmaak_f64 v[16:17], v[14:15], v[16:17], 0x3efa01997c89e6b0
	s_delay_alu instid0(VALU_DEP_1) | instskip(NEXT) | instid1(VALU_DEP_1)
	v_fmaak_f64 v[16:17], v[14:15], v[16:17], 0x3f2a01a014761f6e
	;; [unrolled: 3-line block ×4, first 2 shown]
	v_fmaak_f64 v[16:17], v[14:15], v[16:17], 0x3fe000000000000b
	s_delay_alu instid0(VALU_DEP_1) | instskip(NEXT) | instid1(VALU_DEP_1)
	v_fma_f64 v[16:17], v[14:15], v[16:17], 1.0
	v_fma_f64 v[12:13], v[14:15], v[16:17], 1.0
	s_delay_alu instid0(VALU_DEP_1) | instskip(NEXT) | instid1(VALU_DEP_1)
	v_ldexp_f64 v[12:13], v[12:13], v19
	v_cndmask_b32_e32 v13, 0x7ff00000, v13, vcc_lo
	s_and_b32 vcc_lo, s1, vcc_lo
	s_delay_alu instid0(VALU_DEP_1) | instid1(SALU_CYCLE_1)
	v_dual_cndmask_b32 v10, 0, v12, vcc_lo :: v_dual_cndmask_b32 v11, 0, v13, s1
	s_delay_alu instid0(VALU_DEP_1) | instskip(SKIP_1) | instid1(VALU_DEP_1)
	v_mul_f64_e32 v[6:7], v[6:7], v[10:11]
	v_add_f64_e32 v[10:11], 1.0, v[10:11]
	v_div_scale_f64 v[12:13], null, v[10:11], v[10:11], v[6:7]
	s_delay_alu instid0(VALU_DEP_1) | instskip(SKIP_1) | instid1(TRANS32_DEP_1)
	v_rcp_f64_e32 v[14:15], v[12:13]
	v_nop
	v_fma_f64 v[16:17], -v[12:13], v[14:15], 1.0
	s_delay_alu instid0(VALU_DEP_1) | instskip(NEXT) | instid1(VALU_DEP_1)
	v_fmac_f64_e32 v[14:15], v[14:15], v[16:17]
	v_fma_f64 v[16:17], -v[12:13], v[14:15], 1.0
	s_delay_alu instid0(VALU_DEP_1) | instskip(SKIP_1) | instid1(VALU_DEP_1)
	v_fmac_f64_e32 v[14:15], v[14:15], v[16:17]
	v_div_scale_f64 v[16:17], vcc_lo, v[6:7], v[10:11], v[6:7]
	v_mul_f64_e32 v[20:21], v[16:17], v[14:15]
	s_delay_alu instid0(VALU_DEP_1) | instskip(NEXT) | instid1(VALU_DEP_1)
	v_fma_f64 v[12:13], -v[12:13], v[20:21], v[16:17]
	v_div_fmas_f64 v[12:13], v[12:13], v[14:15], v[20:21]
	s_delay_alu instid0(VALU_DEP_1)
	v_div_fixup_f64 v[6:7], v[12:13], v[10:11], v[6:7]
.LBB37_40:
	s_or_b32 exec_lo, exec_lo, s4
	s_delay_alu instid0(SALU_CYCLE_1) | instskip(SKIP_1) | instid1(SALU_CYCLE_1)
	s_or_b32 exec_lo, exec_lo, s3
	s_and_saveexec_b32 s1, s0
	s_xor_b32 s0, exec_lo, s1
	s_cbranch_execz .LBB37_33
.LBB37_41:
	v_mov_b32_e32 v0, v18
	global_store_b64 v1, v[4:5], s[8:9] scale_offset
	s_wait_xcnt 0x0
	s_or_b32 exec_lo, exec_lo, s0
	s_delay_alu instid0(SALU_CYCLE_1)
	s_mov_b32 s0, exec_lo
	v_cmpx_gt_i32_e64 s16, v0
	s_cbranch_execz .LBB37_34
.LBB37_42:
	v_add_nc_u32_e32 v1, s2, v0
	v_add_nc_u32_e32 v0, 0x100, v0
	global_store_b64 v1, v[2:3], s[8:9] scale_offset
	s_wait_xcnt 0x0
	s_or_b32 exec_lo, exec_lo, s0
	s_delay_alu instid0(SALU_CYCLE_1)
	s_mov_b32 s0, exec_lo
	v_cmpx_gt_i32_e64 s16, v0
	s_cbranch_execz .LBB37_35
.LBB37_43:
	v_add_nc_u32_e32 v1, s2, v0
	v_add_nc_u32_e32 v0, 0x100, v0
	global_store_b64 v1, v[8:9], s[8:9] scale_offset
	s_wait_xcnt 0x0
	s_or_b32 exec_lo, exec_lo, s0
	s_delay_alu instid0(SALU_CYCLE_1)
	s_mov_b32 s0, exec_lo
	v_cmpx_gt_i32_e64 s16, v0
	s_cbranch_execnz .LBB37_36
	s_branch .LBB37_37
	.section	.rodata,"a",@progbits
	.p2align	6, 0x0
	.amdhsa_kernel _ZN2at6native29vectorized_elementwise_kernelILi8EZZZNS0_12_GLOBAL__N_124softplus_backward_kernelERNS_18TensorIteratorBaseERKN3c106ScalarES8_ENKUlvE_clEvENKUlvE_clEvEUlddE_St5arrayIPcLm3EEEEviT0_T1_
		.amdhsa_group_segment_fixed_size 0
		.amdhsa_private_segment_fixed_size 0
		.amdhsa_kernarg_size 48
		.amdhsa_user_sgpr_count 2
		.amdhsa_user_sgpr_dispatch_ptr 0
		.amdhsa_user_sgpr_queue_ptr 0
		.amdhsa_user_sgpr_kernarg_segment_ptr 1
		.amdhsa_user_sgpr_dispatch_id 0
		.amdhsa_user_sgpr_kernarg_preload_length 0
		.amdhsa_user_sgpr_kernarg_preload_offset 0
		.amdhsa_user_sgpr_private_segment_size 0
		.amdhsa_wavefront_size32 1
		.amdhsa_uses_dynamic_stack 0
		.amdhsa_enable_private_segment 0
		.amdhsa_system_sgpr_workgroup_id_x 1
		.amdhsa_system_sgpr_workgroup_id_y 0
		.amdhsa_system_sgpr_workgroup_id_z 0
		.amdhsa_system_sgpr_workgroup_info 0
		.amdhsa_system_vgpr_workitem_id 0
		.amdhsa_next_free_vgpr 28
		.amdhsa_next_free_sgpr 20
		.amdhsa_named_barrier_count 0
		.amdhsa_reserve_vcc 1
		.amdhsa_float_round_mode_32 0
		.amdhsa_float_round_mode_16_64 0
		.amdhsa_float_denorm_mode_32 3
		.amdhsa_float_denorm_mode_16_64 3
		.amdhsa_fp16_overflow 0
		.amdhsa_memory_ordered 1
		.amdhsa_forward_progress 1
		.amdhsa_inst_pref_size 33
		.amdhsa_round_robin_scheduling 0
		.amdhsa_exception_fp_ieee_invalid_op 0
		.amdhsa_exception_fp_denorm_src 0
		.amdhsa_exception_fp_ieee_div_zero 0
		.amdhsa_exception_fp_ieee_overflow 0
		.amdhsa_exception_fp_ieee_underflow 0
		.amdhsa_exception_fp_ieee_inexact 0
		.amdhsa_exception_int_div_zero 0
	.end_amdhsa_kernel
	.section	.text._ZN2at6native29vectorized_elementwise_kernelILi8EZZZNS0_12_GLOBAL__N_124softplus_backward_kernelERNS_18TensorIteratorBaseERKN3c106ScalarES8_ENKUlvE_clEvENKUlvE_clEvEUlddE_St5arrayIPcLm3EEEEviT0_T1_,"axG",@progbits,_ZN2at6native29vectorized_elementwise_kernelILi8EZZZNS0_12_GLOBAL__N_124softplus_backward_kernelERNS_18TensorIteratorBaseERKN3c106ScalarES8_ENKUlvE_clEvENKUlvE_clEvEUlddE_St5arrayIPcLm3EEEEviT0_T1_,comdat
.Lfunc_end37:
	.size	_ZN2at6native29vectorized_elementwise_kernelILi8EZZZNS0_12_GLOBAL__N_124softplus_backward_kernelERNS_18TensorIteratorBaseERKN3c106ScalarES8_ENKUlvE_clEvENKUlvE_clEvEUlddE_St5arrayIPcLm3EEEEviT0_T1_, .Lfunc_end37-_ZN2at6native29vectorized_elementwise_kernelILi8EZZZNS0_12_GLOBAL__N_124softplus_backward_kernelERNS_18TensorIteratorBaseERKN3c106ScalarES8_ENKUlvE_clEvENKUlvE_clEvEUlddE_St5arrayIPcLm3EEEEviT0_T1_
                                        ; -- End function
	.set _ZN2at6native29vectorized_elementwise_kernelILi8EZZZNS0_12_GLOBAL__N_124softplus_backward_kernelERNS_18TensorIteratorBaseERKN3c106ScalarES8_ENKUlvE_clEvENKUlvE_clEvEUlddE_St5arrayIPcLm3EEEEviT0_T1_.num_vgpr, 28
	.set _ZN2at6native29vectorized_elementwise_kernelILi8EZZZNS0_12_GLOBAL__N_124softplus_backward_kernelERNS_18TensorIteratorBaseERKN3c106ScalarES8_ENKUlvE_clEvENKUlvE_clEvEUlddE_St5arrayIPcLm3EEEEviT0_T1_.num_agpr, 0
	.set _ZN2at6native29vectorized_elementwise_kernelILi8EZZZNS0_12_GLOBAL__N_124softplus_backward_kernelERNS_18TensorIteratorBaseERKN3c106ScalarES8_ENKUlvE_clEvENKUlvE_clEvEUlddE_St5arrayIPcLm3EEEEviT0_T1_.numbered_sgpr, 20
	.set _ZN2at6native29vectorized_elementwise_kernelILi8EZZZNS0_12_GLOBAL__N_124softplus_backward_kernelERNS_18TensorIteratorBaseERKN3c106ScalarES8_ENKUlvE_clEvENKUlvE_clEvEUlddE_St5arrayIPcLm3EEEEviT0_T1_.num_named_barrier, 0
	.set _ZN2at6native29vectorized_elementwise_kernelILi8EZZZNS0_12_GLOBAL__N_124softplus_backward_kernelERNS_18TensorIteratorBaseERKN3c106ScalarES8_ENKUlvE_clEvENKUlvE_clEvEUlddE_St5arrayIPcLm3EEEEviT0_T1_.private_seg_size, 0
	.set _ZN2at6native29vectorized_elementwise_kernelILi8EZZZNS0_12_GLOBAL__N_124softplus_backward_kernelERNS_18TensorIteratorBaseERKN3c106ScalarES8_ENKUlvE_clEvENKUlvE_clEvEUlddE_St5arrayIPcLm3EEEEviT0_T1_.uses_vcc, 1
	.set _ZN2at6native29vectorized_elementwise_kernelILi8EZZZNS0_12_GLOBAL__N_124softplus_backward_kernelERNS_18TensorIteratorBaseERKN3c106ScalarES8_ENKUlvE_clEvENKUlvE_clEvEUlddE_St5arrayIPcLm3EEEEviT0_T1_.uses_flat_scratch, 0
	.set _ZN2at6native29vectorized_elementwise_kernelILi8EZZZNS0_12_GLOBAL__N_124softplus_backward_kernelERNS_18TensorIteratorBaseERKN3c106ScalarES8_ENKUlvE_clEvENKUlvE_clEvEUlddE_St5arrayIPcLm3EEEEviT0_T1_.has_dyn_sized_stack, 0
	.set _ZN2at6native29vectorized_elementwise_kernelILi8EZZZNS0_12_GLOBAL__N_124softplus_backward_kernelERNS_18TensorIteratorBaseERKN3c106ScalarES8_ENKUlvE_clEvENKUlvE_clEvEUlddE_St5arrayIPcLm3EEEEviT0_T1_.has_recursion, 0
	.set _ZN2at6native29vectorized_elementwise_kernelILi8EZZZNS0_12_GLOBAL__N_124softplus_backward_kernelERNS_18TensorIteratorBaseERKN3c106ScalarES8_ENKUlvE_clEvENKUlvE_clEvEUlddE_St5arrayIPcLm3EEEEviT0_T1_.has_indirect_call, 0
	.section	.AMDGPU.csdata,"",@progbits
; Kernel info:
; codeLenInByte = 4188
; TotalNumSgprs: 22
; NumVgprs: 28
; ScratchSize: 0
; MemoryBound: 1
; FloatMode: 240
; IeeeMode: 1
; LDSByteSize: 0 bytes/workgroup (compile time only)
; SGPRBlocks: 0
; VGPRBlocks: 1
; NumSGPRsForWavesPerEU: 22
; NumVGPRsForWavesPerEU: 28
; NamedBarCnt: 0
; Occupancy: 16
; WaveLimiterHint : 0
; COMPUTE_PGM_RSRC2:SCRATCH_EN: 0
; COMPUTE_PGM_RSRC2:USER_SGPR: 2
; COMPUTE_PGM_RSRC2:TRAP_HANDLER: 0
; COMPUTE_PGM_RSRC2:TGID_X_EN: 1
; COMPUTE_PGM_RSRC2:TGID_Y_EN: 0
; COMPUTE_PGM_RSRC2:TGID_Z_EN: 0
; COMPUTE_PGM_RSRC2:TIDIG_COMP_CNT: 0
	.section	.text._ZN2at6native29vectorized_elementwise_kernelILi4EZZZNS0_12_GLOBAL__N_124softplus_backward_kernelERNS_18TensorIteratorBaseERKN3c106ScalarES8_ENKUlvE_clEvENKUlvE_clEvEUlddE_St5arrayIPcLm3EEEEviT0_T1_,"axG",@progbits,_ZN2at6native29vectorized_elementwise_kernelILi4EZZZNS0_12_GLOBAL__N_124softplus_backward_kernelERNS_18TensorIteratorBaseERKN3c106ScalarES8_ENKUlvE_clEvENKUlvE_clEvEUlddE_St5arrayIPcLm3EEEEviT0_T1_,comdat
	.globl	_ZN2at6native29vectorized_elementwise_kernelILi4EZZZNS0_12_GLOBAL__N_124softplus_backward_kernelERNS_18TensorIteratorBaseERKN3c106ScalarES8_ENKUlvE_clEvENKUlvE_clEvEUlddE_St5arrayIPcLm3EEEEviT0_T1_ ; -- Begin function _ZN2at6native29vectorized_elementwise_kernelILi4EZZZNS0_12_GLOBAL__N_124softplus_backward_kernelERNS_18TensorIteratorBaseERKN3c106ScalarES8_ENKUlvE_clEvENKUlvE_clEvEUlddE_St5arrayIPcLm3EEEEviT0_T1_
	.p2align	8
	.type	_ZN2at6native29vectorized_elementwise_kernelILi4EZZZNS0_12_GLOBAL__N_124softplus_backward_kernelERNS_18TensorIteratorBaseERKN3c106ScalarES8_ENKUlvE_clEvENKUlvE_clEvEUlddE_St5arrayIPcLm3EEEEviT0_T1_,@function
_ZN2at6native29vectorized_elementwise_kernelILi4EZZZNS0_12_GLOBAL__N_124softplus_backward_kernelERNS_18TensorIteratorBaseERKN3c106ScalarES8_ENKUlvE_clEvENKUlvE_clEvEUlddE_St5arrayIPcLm3EEEEviT0_T1_: ; @_ZN2at6native29vectorized_elementwise_kernelILi4EZZZNS0_12_GLOBAL__N_124softplus_backward_kernelERNS_18TensorIteratorBaseERKN3c106ScalarES8_ENKUlvE_clEvENKUlvE_clEvEUlddE_St5arrayIPcLm3EEEEviT0_T1_
; %bb.0:
	s_clause 0x2
	s_load_b32 s3, s[0:1], 0x0
	s_load_b256 s[4:11], s[0:1], 0x8
	s_load_b64 s[12:13], s[0:1], 0x28
	s_wait_xcnt 0x0
	s_bfe_u32 s0, ttmp6, 0x4000c
	s_and_b32 s1, ttmp6, 15
	s_add_co_i32 s0, s0, 1
	s_getreg_b32 s2, hwreg(HW_REG_IB_STS2, 6, 4)
	s_mul_i32 s0, ttmp9, s0
	s_delay_alu instid0(SALU_CYCLE_1) | instskip(SKIP_2) | instid1(SALU_CYCLE_1)
	s_add_co_i32 s1, s1, s0
	s_cmp_eq_u32 s2, 0
	s_cselect_b32 s0, ttmp9, s1
	s_lshl_b32 s2, s0, 10
	s_mov_b32 s0, -1
	s_wait_kmcnt 0x0
	s_sub_co_i32 s16, s3, s2
	s_delay_alu instid0(SALU_CYCLE_1)
	s_cmp_gt_i32 s16, 0x3ff
	s_cbranch_scc0 .LBB38_10
; %bb.1:
	s_ashr_i32 s3, s2, 31
	v_lshlrev_b32_e32 v1, 5, v0
	s_lshl_b64 s[14:15], s[2:3], 3
	s_delay_alu instid0(SALU_CYCLE_1)
	s_add_nc_u64 s[0:1], s[12:13], s[14:15]
	s_add_nc_u64 s[18:19], s[10:11], s[14:15]
	global_load_b128 v[14:17], v1, s[0:1]
	s_wait_loadcnt 0x0
	v_mul_f64_e32 v[14:15], s[4:5], v[14:15]
	s_clause 0x2
	global_load_b128 v[10:13], v1, s[0:1] offset:16
	global_load_b128 v[2:5], v1, s[18:19] offset:16
	global_load_b128 v[6:9], v1, s[18:19]
	s_wait_xcnt 0x2
	s_mov_b32 s1, exec_lo
	s_wait_xcnt 0x0
	v_cmpx_nlt_f64_e32 s[6:7], v[14:15]
	s_cbranch_execz .LBB38_3
; %bb.2:
	v_mul_f64_e32 v[18:19], 0x3ff71547652b82fe, v[14:15]
	s_mov_b64 s[18:19], 0x3e5ade156a5dcb37
	v_cmp_nlt_f64_e32 vcc_lo, 0x40900000, v[14:15]
	v_cmp_ngt_f64_e64 s0, 0xc090cc00, v[14:15]
	s_delay_alu instid0(VALU_DEP_3) | instskip(NEXT) | instid1(VALU_DEP_1)
	v_rndne_f64_e32 v[18:19], v[18:19]
	v_fmamk_f64 v[20:21], v[18:19], 0xbfe62e42fefa39ef, v[14:15]
	v_cvt_i32_f64_e32 v24, v[18:19]
	s_delay_alu instid0(VALU_DEP_2) | instskip(NEXT) | instid1(VALU_DEP_1)
	v_fmamk_f64 v[20:21], v[18:19], 0xbc7abc9e3b39803f, v[20:21]
	v_fmaak_f64 v[22:23], s[18:19], v[20:21], 0x3e928af3fca7ab0c
	s_delay_alu instid0(VALU_DEP_1) | instskip(NEXT) | instid1(VALU_DEP_1)
	v_fmaak_f64 v[22:23], v[20:21], v[22:23], 0x3ec71dee623fde64
	v_fmaak_f64 v[22:23], v[20:21], v[22:23], 0x3efa01997c89e6b0
	s_delay_alu instid0(VALU_DEP_1) | instskip(NEXT) | instid1(VALU_DEP_1)
	v_fmaak_f64 v[22:23], v[20:21], v[22:23], 0x3f2a01a014761f6e
	v_fmaak_f64 v[22:23], v[20:21], v[22:23], 0x3f56c16c1852b7b0
	s_delay_alu instid0(VALU_DEP_1) | instskip(NEXT) | instid1(VALU_DEP_1)
	v_fmaak_f64 v[22:23], v[20:21], v[22:23], 0x3f81111111122322
	v_fmaak_f64 v[22:23], v[20:21], v[22:23], 0x3fa55555555502a1
	s_delay_alu instid0(VALU_DEP_1) | instskip(NEXT) | instid1(VALU_DEP_1)
	v_fmaak_f64 v[22:23], v[20:21], v[22:23], 0x3fc5555555555511
	v_fmaak_f64 v[22:23], v[20:21], v[22:23], 0x3fe000000000000b
	s_delay_alu instid0(VALU_DEP_1) | instskip(NEXT) | instid1(VALU_DEP_1)
	v_fma_f64 v[22:23], v[20:21], v[22:23], 1.0
	v_fma_f64 v[18:19], v[20:21], v[22:23], 1.0
	s_delay_alu instid0(VALU_DEP_1) | instskip(NEXT) | instid1(VALU_DEP_1)
	v_ldexp_f64 v[18:19], v[18:19], v24
	v_cndmask_b32_e32 v19, 0x7ff00000, v19, vcc_lo
	s_and_b32 vcc_lo, s0, vcc_lo
	s_delay_alu instid0(VALU_DEP_1) | instid1(SALU_CYCLE_1)
	v_dual_cndmask_b32 v14, 0, v18, vcc_lo :: v_dual_cndmask_b32 v15, 0, v19, s0
	s_wait_loadcnt 0x0
	s_delay_alu instid0(VALU_DEP_1) | instskip(SKIP_1) | instid1(VALU_DEP_1)
	v_mul_f64_e32 v[6:7], v[6:7], v[14:15]
	v_add_f64_e32 v[14:15], 1.0, v[14:15]
	v_div_scale_f64 v[18:19], null, v[14:15], v[14:15], v[6:7]
	s_delay_alu instid0(VALU_DEP_1) | instskip(SKIP_1) | instid1(TRANS32_DEP_1)
	v_rcp_f64_e32 v[20:21], v[18:19]
	v_nop
	v_fma_f64 v[22:23], -v[18:19], v[20:21], 1.0
	s_delay_alu instid0(VALU_DEP_1) | instskip(NEXT) | instid1(VALU_DEP_1)
	v_fmac_f64_e32 v[20:21], v[20:21], v[22:23]
	v_fma_f64 v[22:23], -v[18:19], v[20:21], 1.0
	s_delay_alu instid0(VALU_DEP_1) | instskip(SKIP_1) | instid1(VALU_DEP_1)
	v_fmac_f64_e32 v[20:21], v[20:21], v[22:23]
	v_div_scale_f64 v[22:23], vcc_lo, v[6:7], v[14:15], v[6:7]
	v_mul_f64_e32 v[24:25], v[22:23], v[20:21]
	s_delay_alu instid0(VALU_DEP_1) | instskip(NEXT) | instid1(VALU_DEP_1)
	v_fma_f64 v[18:19], -v[18:19], v[24:25], v[22:23]
	v_div_fmas_f64 v[18:19], v[18:19], v[20:21], v[24:25]
	s_delay_alu instid0(VALU_DEP_1)
	v_div_fixup_f64 v[6:7], v[18:19], v[14:15], v[6:7]
.LBB38_3:
	s_or_b32 exec_lo, exec_lo, s1
	v_mul_f64_e32 v[14:15], s[4:5], v[16:17]
	s_mov_b32 s1, exec_lo
	s_delay_alu instid0(VALU_DEP_1)
	v_cmpx_nlt_f64_e32 s[6:7], v[14:15]
	s_cbranch_execz .LBB38_5
; %bb.4:
	v_mul_f64_e32 v[16:17], 0x3ff71547652b82fe, v[14:15]
	s_mov_b64 s[18:19], 0x3e5ade156a5dcb37
	v_cmp_nlt_f64_e32 vcc_lo, 0x40900000, v[14:15]
	v_cmp_ngt_f64_e64 s0, 0xc090cc00, v[14:15]
	s_delay_alu instid0(VALU_DEP_3) | instskip(NEXT) | instid1(VALU_DEP_1)
	v_rndne_f64_e32 v[16:17], v[16:17]
	v_fmamk_f64 v[18:19], v[16:17], 0xbfe62e42fefa39ef, v[14:15]
	v_cvt_i32_f64_e32 v22, v[16:17]
	s_delay_alu instid0(VALU_DEP_2) | instskip(NEXT) | instid1(VALU_DEP_1)
	v_fmamk_f64 v[18:19], v[16:17], 0xbc7abc9e3b39803f, v[18:19]
	v_fmaak_f64 v[20:21], s[18:19], v[18:19], 0x3e928af3fca7ab0c
	s_delay_alu instid0(VALU_DEP_1) | instskip(NEXT) | instid1(VALU_DEP_1)
	v_fmaak_f64 v[20:21], v[18:19], v[20:21], 0x3ec71dee623fde64
	v_fmaak_f64 v[20:21], v[18:19], v[20:21], 0x3efa01997c89e6b0
	s_delay_alu instid0(VALU_DEP_1) | instskip(NEXT) | instid1(VALU_DEP_1)
	v_fmaak_f64 v[20:21], v[18:19], v[20:21], 0x3f2a01a014761f6e
	;; [unrolled: 3-line block ×4, first 2 shown]
	v_fmaak_f64 v[20:21], v[18:19], v[20:21], 0x3fe000000000000b
	s_delay_alu instid0(VALU_DEP_1) | instskip(NEXT) | instid1(VALU_DEP_1)
	v_fma_f64 v[20:21], v[18:19], v[20:21], 1.0
	v_fma_f64 v[16:17], v[18:19], v[20:21], 1.0
	s_delay_alu instid0(VALU_DEP_1) | instskip(NEXT) | instid1(VALU_DEP_1)
	v_ldexp_f64 v[16:17], v[16:17], v22
	v_cndmask_b32_e32 v17, 0x7ff00000, v17, vcc_lo
	s_and_b32 vcc_lo, s0, vcc_lo
	s_delay_alu instid0(VALU_DEP_1) | instid1(SALU_CYCLE_1)
	v_dual_cndmask_b32 v14, 0, v16, vcc_lo :: v_dual_cndmask_b32 v15, 0, v17, s0
	s_wait_loadcnt 0x0
	s_delay_alu instid0(VALU_DEP_1) | instskip(SKIP_1) | instid1(VALU_DEP_1)
	v_mul_f64_e32 v[8:9], v[8:9], v[14:15]
	v_add_f64_e32 v[14:15], 1.0, v[14:15]
	v_div_scale_f64 v[16:17], null, v[14:15], v[14:15], v[8:9]
	s_delay_alu instid0(VALU_DEP_1) | instskip(SKIP_1) | instid1(TRANS32_DEP_1)
	v_rcp_f64_e32 v[18:19], v[16:17]
	v_nop
	v_fma_f64 v[20:21], -v[16:17], v[18:19], 1.0
	s_delay_alu instid0(VALU_DEP_1) | instskip(NEXT) | instid1(VALU_DEP_1)
	v_fmac_f64_e32 v[18:19], v[18:19], v[20:21]
	v_fma_f64 v[20:21], -v[16:17], v[18:19], 1.0
	s_delay_alu instid0(VALU_DEP_1) | instskip(SKIP_1) | instid1(VALU_DEP_1)
	v_fmac_f64_e32 v[18:19], v[18:19], v[20:21]
	v_div_scale_f64 v[20:21], vcc_lo, v[8:9], v[14:15], v[8:9]
	v_mul_f64_e32 v[22:23], v[20:21], v[18:19]
	s_delay_alu instid0(VALU_DEP_1) | instskip(NEXT) | instid1(VALU_DEP_1)
	v_fma_f64 v[16:17], -v[16:17], v[22:23], v[20:21]
	v_div_fmas_f64 v[16:17], v[16:17], v[18:19], v[22:23]
	s_delay_alu instid0(VALU_DEP_1)
	v_div_fixup_f64 v[8:9], v[16:17], v[14:15], v[8:9]
.LBB38_5:
	s_or_b32 exec_lo, exec_lo, s1
	s_wait_loadcnt 0x2
	v_mul_f64_e32 v[10:11], s[4:5], v[10:11]
	s_mov_b32 s1, exec_lo
	s_delay_alu instid0(VALU_DEP_1)
	v_cmpx_nlt_f64_e32 s[6:7], v[10:11]
	s_cbranch_execz .LBB38_7
; %bb.6:
	v_mul_f64_e32 v[14:15], 0x3ff71547652b82fe, v[10:11]
	s_mov_b64 s[18:19], 0x3e5ade156a5dcb37
	v_cmp_nlt_f64_e32 vcc_lo, 0x40900000, v[10:11]
	v_cmp_ngt_f64_e64 s0, 0xc090cc00, v[10:11]
	s_delay_alu instid0(VALU_DEP_3) | instskip(NEXT) | instid1(VALU_DEP_1)
	v_rndne_f64_e32 v[14:15], v[14:15]
	v_fmamk_f64 v[16:17], v[14:15], 0xbfe62e42fefa39ef, v[10:11]
	v_cvt_i32_f64_e32 v20, v[14:15]
	s_delay_alu instid0(VALU_DEP_2) | instskip(NEXT) | instid1(VALU_DEP_1)
	v_fmamk_f64 v[16:17], v[14:15], 0xbc7abc9e3b39803f, v[16:17]
	v_fmaak_f64 v[18:19], s[18:19], v[16:17], 0x3e928af3fca7ab0c
	s_delay_alu instid0(VALU_DEP_1) | instskip(NEXT) | instid1(VALU_DEP_1)
	v_fmaak_f64 v[18:19], v[16:17], v[18:19], 0x3ec71dee623fde64
	v_fmaak_f64 v[18:19], v[16:17], v[18:19], 0x3efa01997c89e6b0
	s_delay_alu instid0(VALU_DEP_1) | instskip(NEXT) | instid1(VALU_DEP_1)
	v_fmaak_f64 v[18:19], v[16:17], v[18:19], 0x3f2a01a014761f6e
	;; [unrolled: 3-line block ×4, first 2 shown]
	v_fmaak_f64 v[18:19], v[16:17], v[18:19], 0x3fe000000000000b
	s_delay_alu instid0(VALU_DEP_1) | instskip(NEXT) | instid1(VALU_DEP_1)
	v_fma_f64 v[18:19], v[16:17], v[18:19], 1.0
	v_fma_f64 v[14:15], v[16:17], v[18:19], 1.0
	s_delay_alu instid0(VALU_DEP_1) | instskip(NEXT) | instid1(VALU_DEP_1)
	v_ldexp_f64 v[14:15], v[14:15], v20
	v_cndmask_b32_e32 v15, 0x7ff00000, v15, vcc_lo
	s_and_b32 vcc_lo, s0, vcc_lo
	s_delay_alu instid0(VALU_DEP_1) | instid1(SALU_CYCLE_1)
	v_dual_cndmask_b32 v10, 0, v14, vcc_lo :: v_dual_cndmask_b32 v11, 0, v15, s0
	s_wait_loadcnt 0x1
	s_delay_alu instid0(VALU_DEP_1) | instskip(SKIP_1) | instid1(VALU_DEP_1)
	v_mul_f64_e32 v[2:3], v[2:3], v[10:11]
	v_add_f64_e32 v[10:11], 1.0, v[10:11]
	v_div_scale_f64 v[14:15], null, v[10:11], v[10:11], v[2:3]
	s_delay_alu instid0(VALU_DEP_1) | instskip(SKIP_1) | instid1(TRANS32_DEP_1)
	v_rcp_f64_e32 v[16:17], v[14:15]
	v_nop
	v_fma_f64 v[18:19], -v[14:15], v[16:17], 1.0
	s_delay_alu instid0(VALU_DEP_1) | instskip(NEXT) | instid1(VALU_DEP_1)
	v_fmac_f64_e32 v[16:17], v[16:17], v[18:19]
	v_fma_f64 v[18:19], -v[14:15], v[16:17], 1.0
	s_delay_alu instid0(VALU_DEP_1) | instskip(SKIP_1) | instid1(VALU_DEP_1)
	v_fmac_f64_e32 v[16:17], v[16:17], v[18:19]
	v_div_scale_f64 v[18:19], vcc_lo, v[2:3], v[10:11], v[2:3]
	v_mul_f64_e32 v[20:21], v[18:19], v[16:17]
	s_delay_alu instid0(VALU_DEP_1) | instskip(NEXT) | instid1(VALU_DEP_1)
	v_fma_f64 v[14:15], -v[14:15], v[20:21], v[18:19]
	v_div_fmas_f64 v[14:15], v[14:15], v[16:17], v[20:21]
	s_delay_alu instid0(VALU_DEP_1)
	v_div_fixup_f64 v[2:3], v[14:15], v[10:11], v[2:3]
.LBB38_7:
	s_or_b32 exec_lo, exec_lo, s1
	v_mul_f64_e32 v[10:11], s[4:5], v[12:13]
	s_mov_b32 s1, exec_lo
	s_delay_alu instid0(VALU_DEP_1)
	v_cmpx_nlt_f64_e32 s[6:7], v[10:11]
	s_cbranch_execz .LBB38_9
; %bb.8:
	v_mul_f64_e32 v[12:13], 0x3ff71547652b82fe, v[10:11]
	s_mov_b64 s[18:19], 0x3e5ade156a5dcb37
	v_cmp_nlt_f64_e32 vcc_lo, 0x40900000, v[10:11]
	v_cmp_ngt_f64_e64 s0, 0xc090cc00, v[10:11]
	s_delay_alu instid0(VALU_DEP_3) | instskip(NEXT) | instid1(VALU_DEP_1)
	v_rndne_f64_e32 v[12:13], v[12:13]
	v_fmamk_f64 v[14:15], v[12:13], 0xbfe62e42fefa39ef, v[10:11]
	v_cvt_i32_f64_e32 v18, v[12:13]
	s_delay_alu instid0(VALU_DEP_2) | instskip(NEXT) | instid1(VALU_DEP_1)
	v_fmamk_f64 v[14:15], v[12:13], 0xbc7abc9e3b39803f, v[14:15]
	v_fmaak_f64 v[16:17], s[18:19], v[14:15], 0x3e928af3fca7ab0c
	s_delay_alu instid0(VALU_DEP_1) | instskip(NEXT) | instid1(VALU_DEP_1)
	v_fmaak_f64 v[16:17], v[14:15], v[16:17], 0x3ec71dee623fde64
	v_fmaak_f64 v[16:17], v[14:15], v[16:17], 0x3efa01997c89e6b0
	s_delay_alu instid0(VALU_DEP_1) | instskip(NEXT) | instid1(VALU_DEP_1)
	v_fmaak_f64 v[16:17], v[14:15], v[16:17], 0x3f2a01a014761f6e
	;; [unrolled: 3-line block ×4, first 2 shown]
	v_fmaak_f64 v[16:17], v[14:15], v[16:17], 0x3fe000000000000b
	s_delay_alu instid0(VALU_DEP_1) | instskip(NEXT) | instid1(VALU_DEP_1)
	v_fma_f64 v[16:17], v[14:15], v[16:17], 1.0
	v_fma_f64 v[12:13], v[14:15], v[16:17], 1.0
	s_delay_alu instid0(VALU_DEP_1) | instskip(NEXT) | instid1(VALU_DEP_1)
	v_ldexp_f64 v[12:13], v[12:13], v18
	v_cndmask_b32_e32 v13, 0x7ff00000, v13, vcc_lo
	s_and_b32 vcc_lo, s0, vcc_lo
	s_delay_alu instid0(VALU_DEP_1) | instid1(SALU_CYCLE_1)
	v_dual_cndmask_b32 v10, 0, v12, vcc_lo :: v_dual_cndmask_b32 v11, 0, v13, s0
	s_wait_loadcnt 0x1
	s_delay_alu instid0(VALU_DEP_1) | instskip(SKIP_1) | instid1(VALU_DEP_1)
	v_mul_f64_e32 v[4:5], v[4:5], v[10:11]
	v_add_f64_e32 v[10:11], 1.0, v[10:11]
	v_div_scale_f64 v[12:13], null, v[10:11], v[10:11], v[4:5]
	s_delay_alu instid0(VALU_DEP_1) | instskip(SKIP_1) | instid1(TRANS32_DEP_1)
	v_rcp_f64_e32 v[14:15], v[12:13]
	v_nop
	v_fma_f64 v[16:17], -v[12:13], v[14:15], 1.0
	s_delay_alu instid0(VALU_DEP_1) | instskip(NEXT) | instid1(VALU_DEP_1)
	v_fmac_f64_e32 v[14:15], v[14:15], v[16:17]
	v_fma_f64 v[16:17], -v[12:13], v[14:15], 1.0
	s_delay_alu instid0(VALU_DEP_1) | instskip(SKIP_1) | instid1(VALU_DEP_1)
	v_fmac_f64_e32 v[14:15], v[14:15], v[16:17]
	v_div_scale_f64 v[16:17], vcc_lo, v[4:5], v[10:11], v[4:5]
	v_mul_f64_e32 v[18:19], v[16:17], v[14:15]
	s_delay_alu instid0(VALU_DEP_1) | instskip(NEXT) | instid1(VALU_DEP_1)
	v_fma_f64 v[12:13], -v[12:13], v[18:19], v[16:17]
	v_div_fmas_f64 v[12:13], v[12:13], v[14:15], v[18:19]
	s_delay_alu instid0(VALU_DEP_1)
	v_div_fixup_f64 v[4:5], v[12:13], v[10:11], v[4:5]
.LBB38_9:
	s_or_b32 exec_lo, exec_lo, s1
	s_add_nc_u64 s[14:15], s[8:9], s[14:15]
	s_mov_b32 s0, 0
	s_wait_loadcnt 0x0
	s_clause 0x1
	global_store_b128 v1, v[6:9], s[14:15]
	global_store_b128 v1, v[2:5], s[14:15] offset:16
.LBB38_10:
	s_and_b32 vcc_lo, exec_lo, s0
	s_cbranch_vccz .LBB38_37
; %bb.11:
	s_wait_xcnt 0x0
	v_mov_b64_e32 v[2:3], 0
	v_mov_b64_e32 v[4:5], 0
	;; [unrolled: 1-line block ×3, first 2 shown]
	v_cmp_gt_i32_e64 s0, s16, v0
	v_dual_mov_b32 v19, v0 :: v_dual_bitop2_b32 v1, s2, v0 bitop3:0x54
	v_or_b32_e32 v18, 0x100, v0
	s_and_saveexec_b32 s1, s0
	s_cbranch_execz .LBB38_13
; %bb.12:
	s_clause 0x1
	global_load_b64 v[4:5], v1, s[10:11] scale_offset
	global_load_b64 v[16:17], v1, s[12:13] scale_offset
	v_or_b32_e32 v19, 0x100, v0
.LBB38_13:
	s_wait_xcnt 0x0
	s_or_b32 exec_lo, exec_lo, s1
	v_mov_b64_e32 v[14:15], 0
	s_mov_b32 s1, exec_lo
	v_cmpx_gt_i32_e64 s16, v19
	s_cbranch_execz .LBB38_15
; %bb.14:
	v_add_nc_u32_e32 v6, s2, v19
	v_add_nc_u32_e32 v19, 0x100, v19
	s_clause 0x1
	global_load_b64 v[2:3], v6, s[10:11] scale_offset
	global_load_b64 v[14:15], v6, s[12:13] scale_offset
.LBB38_15:
	s_wait_xcnt 0x0
	s_or_b32 exec_lo, exec_lo, s1
	v_mov_b64_e32 v[6:7], 0
	v_mov_b64_e32 v[8:9], 0
	;; [unrolled: 1-line block ×3, first 2 shown]
	s_mov_b32 s1, exec_lo
	v_cmpx_gt_i32_e64 s16, v19
	s_cbranch_execz .LBB38_17
; %bb.16:
	v_add_nc_u32_e32 v10, s2, v19
	v_add_nc_u32_e32 v19, 0x100, v19
	s_clause 0x1
	global_load_b64 v[8:9], v10, s[10:11] scale_offset
	global_load_b64 v[12:13], v10, s[12:13] scale_offset
.LBB38_17:
	s_wait_xcnt 0x0
	s_or_b32 exec_lo, exec_lo, s1
	v_mov_b64_e32 v[10:11], 0
	s_mov_b32 s1, exec_lo
	v_cmpx_gt_i32_e64 s16, v19
	s_cbranch_execnz .LBB38_20
; %bb.18:
	s_or_b32 exec_lo, exec_lo, s1
	s_and_saveexec_b32 s3, s0
	s_cbranch_execnz .LBB38_21
.LBB38_19:
	s_or_b32 exec_lo, exec_lo, s3
	s_delay_alu instid0(SALU_CYCLE_1)
	s_mov_b32 s3, exec_lo
	v_cmpx_gt_i32_e64 s16, v18
	s_cbranch_execnz .LBB38_24
	s_branch .LBB38_27
.LBB38_20:
	v_add_nc_u32_e32 v19, s2, v19
	s_clause 0x1
	global_load_b64 v[6:7], v19, s[10:11] scale_offset
	global_load_b64 v[10:11], v19, s[12:13] scale_offset
	s_wait_xcnt 0x0
	s_or_b32 exec_lo, exec_lo, s1
	s_and_saveexec_b32 s3, s0
	s_cbranch_execz .LBB38_19
.LBB38_21:
	s_wait_loadcnt 0x0
	v_mul_f64_e32 v[16:17], s[4:5], v[16:17]
	s_mov_b32 s10, exec_lo
	s_delay_alu instid0(VALU_DEP_1)
	v_cmpx_nlt_f64_e32 s[6:7], v[16:17]
	s_cbranch_execz .LBB38_23
; %bb.22:
	v_mul_f64_e32 v[20:21], 0x3ff71547652b82fe, v[16:17]
	s_mov_b64 s[12:13], 0x3e5ade156a5dcb37
	v_cmp_nlt_f64_e32 vcc_lo, 0x40900000, v[16:17]
	v_cmp_ngt_f64_e64 s1, 0xc090cc00, v[16:17]
	s_delay_alu instid0(VALU_DEP_3) | instskip(NEXT) | instid1(VALU_DEP_1)
	v_rndne_f64_e32 v[20:21], v[20:21]
	v_fmamk_f64 v[22:23], v[20:21], 0xbfe62e42fefa39ef, v[16:17]
	v_cvt_i32_f64_e32 v19, v[20:21]
	s_delay_alu instid0(VALU_DEP_2) | instskip(NEXT) | instid1(VALU_DEP_1)
	v_fmamk_f64 v[22:23], v[20:21], 0xbc7abc9e3b39803f, v[22:23]
	v_fmaak_f64 v[24:25], s[12:13], v[22:23], 0x3e928af3fca7ab0c
	s_delay_alu instid0(VALU_DEP_1) | instskip(NEXT) | instid1(VALU_DEP_1)
	v_fmaak_f64 v[24:25], v[22:23], v[24:25], 0x3ec71dee623fde64
	v_fmaak_f64 v[24:25], v[22:23], v[24:25], 0x3efa01997c89e6b0
	s_delay_alu instid0(VALU_DEP_1) | instskip(NEXT) | instid1(VALU_DEP_1)
	v_fmaak_f64 v[24:25], v[22:23], v[24:25], 0x3f2a01a014761f6e
	;; [unrolled: 3-line block ×4, first 2 shown]
	v_fmaak_f64 v[24:25], v[22:23], v[24:25], 0x3fe000000000000b
	s_delay_alu instid0(VALU_DEP_1) | instskip(NEXT) | instid1(VALU_DEP_1)
	v_fma_f64 v[24:25], v[22:23], v[24:25], 1.0
	v_fma_f64 v[20:21], v[22:23], v[24:25], 1.0
	s_delay_alu instid0(VALU_DEP_1) | instskip(NEXT) | instid1(VALU_DEP_1)
	v_ldexp_f64 v[20:21], v[20:21], v19
	v_cndmask_b32_e32 v19, 0x7ff00000, v21, vcc_lo
	s_and_b32 vcc_lo, s1, vcc_lo
	s_delay_alu instid0(VALU_DEP_1) | instid1(SALU_CYCLE_1)
	v_dual_cndmask_b32 v16, 0, v20, vcc_lo :: v_dual_cndmask_b32 v17, 0, v19, s1
	s_delay_alu instid0(VALU_DEP_1) | instskip(SKIP_1) | instid1(VALU_DEP_1)
	v_mul_f64_e32 v[4:5], v[4:5], v[16:17]
	v_add_f64_e32 v[16:17], 1.0, v[16:17]
	v_div_scale_f64 v[20:21], null, v[16:17], v[16:17], v[4:5]
	s_delay_alu instid0(VALU_DEP_1) | instskip(SKIP_1) | instid1(TRANS32_DEP_1)
	v_rcp_f64_e32 v[22:23], v[20:21]
	v_nop
	v_fma_f64 v[24:25], -v[20:21], v[22:23], 1.0
	s_delay_alu instid0(VALU_DEP_1) | instskip(NEXT) | instid1(VALU_DEP_1)
	v_fmac_f64_e32 v[22:23], v[22:23], v[24:25]
	v_fma_f64 v[24:25], -v[20:21], v[22:23], 1.0
	s_delay_alu instid0(VALU_DEP_1) | instskip(SKIP_1) | instid1(VALU_DEP_1)
	v_fmac_f64_e32 v[22:23], v[22:23], v[24:25]
	v_div_scale_f64 v[24:25], vcc_lo, v[4:5], v[16:17], v[4:5]
	v_mul_f64_e32 v[26:27], v[24:25], v[22:23]
	s_delay_alu instid0(VALU_DEP_1) | instskip(NEXT) | instid1(VALU_DEP_1)
	v_fma_f64 v[20:21], -v[20:21], v[26:27], v[24:25]
	v_div_fmas_f64 v[20:21], v[20:21], v[22:23], v[26:27]
	s_delay_alu instid0(VALU_DEP_1)
	v_div_fixup_f64 v[4:5], v[20:21], v[16:17], v[4:5]
.LBB38_23:
	s_or_b32 exec_lo, exec_lo, s10
	s_delay_alu instid0(SALU_CYCLE_1) | instskip(NEXT) | instid1(SALU_CYCLE_1)
	s_or_b32 exec_lo, exec_lo, s3
	s_mov_b32 s3, exec_lo
	v_cmpx_gt_i32_e64 s16, v18
	s_cbranch_execz .LBB38_27
.LBB38_24:
	s_wait_loadcnt 0x0
	v_mul_f64_e32 v[14:15], s[4:5], v[14:15]
	s_mov_b32 s10, exec_lo
	s_delay_alu instid0(VALU_DEP_1)
	v_cmpx_nlt_f64_e32 s[6:7], v[14:15]
	s_cbranch_execz .LBB38_26
; %bb.25:
	v_mul_f64_e32 v[16:17], 0x3ff71547652b82fe, v[14:15]
	s_mov_b64 s[12:13], 0x3e5ade156a5dcb37
	v_cmp_nlt_f64_e32 vcc_lo, 0x40900000, v[14:15]
	v_cmp_ngt_f64_e64 s1, 0xc090cc00, v[14:15]
	s_delay_alu instid0(VALU_DEP_3) | instskip(NEXT) | instid1(VALU_DEP_1)
	v_rndne_f64_e32 v[16:17], v[16:17]
	v_fmamk_f64 v[20:21], v[16:17], 0xbfe62e42fefa39ef, v[14:15]
	v_cvt_i32_f64_e32 v19, v[16:17]
	s_delay_alu instid0(VALU_DEP_2) | instskip(NEXT) | instid1(VALU_DEP_1)
	v_fmamk_f64 v[20:21], v[16:17], 0xbc7abc9e3b39803f, v[20:21]
	v_fmaak_f64 v[22:23], s[12:13], v[20:21], 0x3e928af3fca7ab0c
	s_delay_alu instid0(VALU_DEP_1) | instskip(NEXT) | instid1(VALU_DEP_1)
	v_fmaak_f64 v[22:23], v[20:21], v[22:23], 0x3ec71dee623fde64
	v_fmaak_f64 v[22:23], v[20:21], v[22:23], 0x3efa01997c89e6b0
	s_delay_alu instid0(VALU_DEP_1) | instskip(NEXT) | instid1(VALU_DEP_1)
	v_fmaak_f64 v[22:23], v[20:21], v[22:23], 0x3f2a01a014761f6e
	;; [unrolled: 3-line block ×4, first 2 shown]
	v_fmaak_f64 v[22:23], v[20:21], v[22:23], 0x3fe000000000000b
	s_delay_alu instid0(VALU_DEP_1) | instskip(NEXT) | instid1(VALU_DEP_1)
	v_fma_f64 v[22:23], v[20:21], v[22:23], 1.0
	v_fma_f64 v[16:17], v[20:21], v[22:23], 1.0
	s_delay_alu instid0(VALU_DEP_1) | instskip(NEXT) | instid1(VALU_DEP_1)
	v_ldexp_f64 v[16:17], v[16:17], v19
	v_cndmask_b32_e32 v17, 0x7ff00000, v17, vcc_lo
	s_and_b32 vcc_lo, s1, vcc_lo
	s_delay_alu instid0(VALU_DEP_1) | instid1(SALU_CYCLE_1)
	v_dual_cndmask_b32 v14, 0, v16, vcc_lo :: v_dual_cndmask_b32 v15, 0, v17, s1
	s_delay_alu instid0(VALU_DEP_1) | instskip(SKIP_1) | instid1(VALU_DEP_1)
	v_mul_f64_e32 v[2:3], v[2:3], v[14:15]
	v_add_f64_e32 v[14:15], 1.0, v[14:15]
	v_div_scale_f64 v[16:17], null, v[14:15], v[14:15], v[2:3]
	s_delay_alu instid0(VALU_DEP_1) | instskip(SKIP_1) | instid1(TRANS32_DEP_1)
	v_rcp_f64_e32 v[20:21], v[16:17]
	v_nop
	v_fma_f64 v[22:23], -v[16:17], v[20:21], 1.0
	s_delay_alu instid0(VALU_DEP_1) | instskip(NEXT) | instid1(VALU_DEP_1)
	v_fmac_f64_e32 v[20:21], v[20:21], v[22:23]
	v_fma_f64 v[22:23], -v[16:17], v[20:21], 1.0
	s_delay_alu instid0(VALU_DEP_1) | instskip(SKIP_1) | instid1(VALU_DEP_1)
	v_fmac_f64_e32 v[20:21], v[20:21], v[22:23]
	v_div_scale_f64 v[22:23], vcc_lo, v[2:3], v[14:15], v[2:3]
	v_mul_f64_e32 v[24:25], v[22:23], v[20:21]
	s_delay_alu instid0(VALU_DEP_1) | instskip(NEXT) | instid1(VALU_DEP_1)
	v_fma_f64 v[16:17], -v[16:17], v[24:25], v[22:23]
	v_div_fmas_f64 v[16:17], v[16:17], v[20:21], v[24:25]
	s_delay_alu instid0(VALU_DEP_1)
	v_div_fixup_f64 v[2:3], v[16:17], v[14:15], v[2:3]
.LBB38_26:
	s_or_b32 exec_lo, exec_lo, s10
.LBB38_27:
	s_delay_alu instid0(SALU_CYCLE_1) | instskip(SKIP_3) | instid1(VALU_DEP_1)
	s_or_b32 exec_lo, exec_lo, s3
	s_wait_loadcnt 0x0
	v_or_b32_e32 v14, 0x200, v0
	s_mov_b32 s3, exec_lo
	v_cmpx_gt_i32_e64 s16, v14
	s_cbranch_execz .LBB38_31
; %bb.28:
	v_mul_f64_e32 v[12:13], s[4:5], v[12:13]
	s_mov_b32 s10, exec_lo
	s_delay_alu instid0(VALU_DEP_1)
	v_cmpx_nlt_f64_e32 s[6:7], v[12:13]
	s_cbranch_execz .LBB38_30
; %bb.29:
	v_mul_f64_e32 v[14:15], 0x3ff71547652b82fe, v[12:13]
	s_mov_b64 s[12:13], 0x3e5ade156a5dcb37
	v_cmp_nlt_f64_e32 vcc_lo, 0x40900000, v[12:13]
	v_cmp_ngt_f64_e64 s1, 0xc090cc00, v[12:13]
	s_delay_alu instid0(VALU_DEP_3) | instskip(NEXT) | instid1(VALU_DEP_1)
	v_rndne_f64_e32 v[14:15], v[14:15]
	v_fmamk_f64 v[16:17], v[14:15], 0xbfe62e42fefa39ef, v[12:13]
	v_cvt_i32_f64_e32 v19, v[14:15]
	s_delay_alu instid0(VALU_DEP_2) | instskip(NEXT) | instid1(VALU_DEP_1)
	v_fmamk_f64 v[16:17], v[14:15], 0xbc7abc9e3b39803f, v[16:17]
	v_fmaak_f64 v[20:21], s[12:13], v[16:17], 0x3e928af3fca7ab0c
	s_delay_alu instid0(VALU_DEP_1) | instskip(NEXT) | instid1(VALU_DEP_1)
	v_fmaak_f64 v[20:21], v[16:17], v[20:21], 0x3ec71dee623fde64
	v_fmaak_f64 v[20:21], v[16:17], v[20:21], 0x3efa01997c89e6b0
	s_delay_alu instid0(VALU_DEP_1) | instskip(NEXT) | instid1(VALU_DEP_1)
	v_fmaak_f64 v[20:21], v[16:17], v[20:21], 0x3f2a01a014761f6e
	;; [unrolled: 3-line block ×4, first 2 shown]
	v_fmaak_f64 v[20:21], v[16:17], v[20:21], 0x3fe000000000000b
	s_delay_alu instid0(VALU_DEP_1) | instskip(NEXT) | instid1(VALU_DEP_1)
	v_fma_f64 v[20:21], v[16:17], v[20:21], 1.0
	v_fma_f64 v[14:15], v[16:17], v[20:21], 1.0
	s_delay_alu instid0(VALU_DEP_1) | instskip(NEXT) | instid1(VALU_DEP_1)
	v_ldexp_f64 v[14:15], v[14:15], v19
	v_cndmask_b32_e32 v15, 0x7ff00000, v15, vcc_lo
	s_and_b32 vcc_lo, s1, vcc_lo
	s_delay_alu instid0(VALU_DEP_1) | instid1(SALU_CYCLE_1)
	v_dual_cndmask_b32 v12, 0, v14, vcc_lo :: v_dual_cndmask_b32 v13, 0, v15, s1
	s_delay_alu instid0(VALU_DEP_1) | instskip(SKIP_1) | instid1(VALU_DEP_1)
	v_mul_f64_e32 v[8:9], v[8:9], v[12:13]
	v_add_f64_e32 v[12:13], 1.0, v[12:13]
	v_div_scale_f64 v[14:15], null, v[12:13], v[12:13], v[8:9]
	s_delay_alu instid0(VALU_DEP_1) | instskip(SKIP_1) | instid1(TRANS32_DEP_1)
	v_rcp_f64_e32 v[16:17], v[14:15]
	v_nop
	v_fma_f64 v[20:21], -v[14:15], v[16:17], 1.0
	s_delay_alu instid0(VALU_DEP_1) | instskip(NEXT) | instid1(VALU_DEP_1)
	v_fmac_f64_e32 v[16:17], v[16:17], v[20:21]
	v_fma_f64 v[20:21], -v[14:15], v[16:17], 1.0
	s_delay_alu instid0(VALU_DEP_1) | instskip(SKIP_1) | instid1(VALU_DEP_1)
	v_fmac_f64_e32 v[16:17], v[16:17], v[20:21]
	v_div_scale_f64 v[20:21], vcc_lo, v[8:9], v[12:13], v[8:9]
	v_mul_f64_e32 v[22:23], v[20:21], v[16:17]
	s_delay_alu instid0(VALU_DEP_1) | instskip(NEXT) | instid1(VALU_DEP_1)
	v_fma_f64 v[14:15], -v[14:15], v[22:23], v[20:21]
	v_div_fmas_f64 v[14:15], v[14:15], v[16:17], v[22:23]
	s_delay_alu instid0(VALU_DEP_1)
	v_div_fixup_f64 v[8:9], v[14:15], v[12:13], v[8:9]
.LBB38_30:
	s_or_b32 exec_lo, exec_lo, s10
.LBB38_31:
	s_delay_alu instid0(SALU_CYCLE_1) | instskip(SKIP_2) | instid1(VALU_DEP_1)
	s_or_b32 exec_lo, exec_lo, s3
	v_or_b32_e32 v12, 0x300, v0
	s_mov_b32 s3, exec_lo
	v_cmpx_gt_i32_e64 s16, v12
	s_cbranch_execnz .LBB38_38
; %bb.32:
	s_or_b32 exec_lo, exec_lo, s3
	s_and_saveexec_b32 s1, s0
	s_delay_alu instid0(SALU_CYCLE_1)
	s_xor_b32 s0, exec_lo, s1
	s_cbranch_execnz .LBB38_41
.LBB38_33:
	s_or_b32 exec_lo, exec_lo, s0
	s_delay_alu instid0(SALU_CYCLE_1)
	s_mov_b32 s0, exec_lo
	v_cmpx_gt_i32_e64 s16, v0
	s_cbranch_execnz .LBB38_42
.LBB38_34:
	s_or_b32 exec_lo, exec_lo, s0
	s_delay_alu instid0(SALU_CYCLE_1)
	s_mov_b32 s0, exec_lo
	v_cmpx_gt_i32_e64 s16, v0
	s_cbranch_execnz .LBB38_43
.LBB38_35:
	s_or_b32 exec_lo, exec_lo, s0
	s_delay_alu instid0(SALU_CYCLE_1)
	s_mov_b32 s0, exec_lo
	v_cmpx_gt_i32_e64 s16, v0
	s_cbranch_execz .LBB38_37
.LBB38_36:
	v_add_nc_u32_e32 v0, s2, v0
	global_store_b64 v0, v[6:7], s[8:9] scale_offset
.LBB38_37:
	s_endpgm
.LBB38_38:
	v_mul_f64_e32 v[10:11], s[4:5], v[10:11]
	s_mov_b32 s4, exec_lo
	s_delay_alu instid0(VALU_DEP_1)
	v_cmpx_nlt_f64_e32 s[6:7], v[10:11]
	s_cbranch_execz .LBB38_40
; %bb.39:
	v_mul_f64_e32 v[12:13], 0x3ff71547652b82fe, v[10:11]
	s_mov_b64 s[6:7], 0x3e5ade156a5dcb37
	v_cmp_nlt_f64_e32 vcc_lo, 0x40900000, v[10:11]
	v_cmp_ngt_f64_e64 s1, 0xc090cc00, v[10:11]
	s_delay_alu instid0(VALU_DEP_3) | instskip(NEXT) | instid1(VALU_DEP_1)
	v_rndne_f64_e32 v[12:13], v[12:13]
	v_fmamk_f64 v[14:15], v[12:13], 0xbfe62e42fefa39ef, v[10:11]
	v_cvt_i32_f64_e32 v19, v[12:13]
	s_delay_alu instid0(VALU_DEP_2) | instskip(NEXT) | instid1(VALU_DEP_1)
	v_fmamk_f64 v[14:15], v[12:13], 0xbc7abc9e3b39803f, v[14:15]
	v_fmaak_f64 v[16:17], s[6:7], v[14:15], 0x3e928af3fca7ab0c
	s_delay_alu instid0(VALU_DEP_1) | instskip(NEXT) | instid1(VALU_DEP_1)
	v_fmaak_f64 v[16:17], v[14:15], v[16:17], 0x3ec71dee623fde64
	v_fmaak_f64 v[16:17], v[14:15], v[16:17], 0x3efa01997c89e6b0
	s_delay_alu instid0(VALU_DEP_1) | instskip(NEXT) | instid1(VALU_DEP_1)
	v_fmaak_f64 v[16:17], v[14:15], v[16:17], 0x3f2a01a014761f6e
	;; [unrolled: 3-line block ×4, first 2 shown]
	v_fmaak_f64 v[16:17], v[14:15], v[16:17], 0x3fe000000000000b
	s_delay_alu instid0(VALU_DEP_1) | instskip(NEXT) | instid1(VALU_DEP_1)
	v_fma_f64 v[16:17], v[14:15], v[16:17], 1.0
	v_fma_f64 v[12:13], v[14:15], v[16:17], 1.0
	s_delay_alu instid0(VALU_DEP_1) | instskip(NEXT) | instid1(VALU_DEP_1)
	v_ldexp_f64 v[12:13], v[12:13], v19
	v_cndmask_b32_e32 v13, 0x7ff00000, v13, vcc_lo
	s_and_b32 vcc_lo, s1, vcc_lo
	s_delay_alu instid0(VALU_DEP_1) | instid1(SALU_CYCLE_1)
	v_dual_cndmask_b32 v10, 0, v12, vcc_lo :: v_dual_cndmask_b32 v11, 0, v13, s1
	s_delay_alu instid0(VALU_DEP_1) | instskip(SKIP_1) | instid1(VALU_DEP_1)
	v_mul_f64_e32 v[6:7], v[6:7], v[10:11]
	v_add_f64_e32 v[10:11], 1.0, v[10:11]
	v_div_scale_f64 v[12:13], null, v[10:11], v[10:11], v[6:7]
	s_delay_alu instid0(VALU_DEP_1) | instskip(SKIP_1) | instid1(TRANS32_DEP_1)
	v_rcp_f64_e32 v[14:15], v[12:13]
	v_nop
	v_fma_f64 v[16:17], -v[12:13], v[14:15], 1.0
	s_delay_alu instid0(VALU_DEP_1) | instskip(NEXT) | instid1(VALU_DEP_1)
	v_fmac_f64_e32 v[14:15], v[14:15], v[16:17]
	v_fma_f64 v[16:17], -v[12:13], v[14:15], 1.0
	s_delay_alu instid0(VALU_DEP_1) | instskip(SKIP_1) | instid1(VALU_DEP_1)
	v_fmac_f64_e32 v[14:15], v[14:15], v[16:17]
	v_div_scale_f64 v[16:17], vcc_lo, v[6:7], v[10:11], v[6:7]
	v_mul_f64_e32 v[20:21], v[16:17], v[14:15]
	s_delay_alu instid0(VALU_DEP_1) | instskip(NEXT) | instid1(VALU_DEP_1)
	v_fma_f64 v[12:13], -v[12:13], v[20:21], v[16:17]
	v_div_fmas_f64 v[12:13], v[12:13], v[14:15], v[20:21]
	s_delay_alu instid0(VALU_DEP_1)
	v_div_fixup_f64 v[6:7], v[12:13], v[10:11], v[6:7]
.LBB38_40:
	s_or_b32 exec_lo, exec_lo, s4
	s_delay_alu instid0(SALU_CYCLE_1) | instskip(SKIP_1) | instid1(SALU_CYCLE_1)
	s_or_b32 exec_lo, exec_lo, s3
	s_and_saveexec_b32 s1, s0
	s_xor_b32 s0, exec_lo, s1
	s_cbranch_execz .LBB38_33
.LBB38_41:
	v_mov_b32_e32 v0, v18
	global_store_b64 v1, v[4:5], s[8:9] scale_offset
	s_wait_xcnt 0x0
	s_or_b32 exec_lo, exec_lo, s0
	s_delay_alu instid0(SALU_CYCLE_1)
	s_mov_b32 s0, exec_lo
	v_cmpx_gt_i32_e64 s16, v0
	s_cbranch_execz .LBB38_34
.LBB38_42:
	v_add_nc_u32_e32 v1, s2, v0
	v_add_nc_u32_e32 v0, 0x100, v0
	global_store_b64 v1, v[2:3], s[8:9] scale_offset
	s_wait_xcnt 0x0
	s_or_b32 exec_lo, exec_lo, s0
	s_delay_alu instid0(SALU_CYCLE_1)
	s_mov_b32 s0, exec_lo
	v_cmpx_gt_i32_e64 s16, v0
	s_cbranch_execz .LBB38_35
.LBB38_43:
	v_add_nc_u32_e32 v1, s2, v0
	v_add_nc_u32_e32 v0, 0x100, v0
	global_store_b64 v1, v[8:9], s[8:9] scale_offset
	s_wait_xcnt 0x0
	s_or_b32 exec_lo, exec_lo, s0
	s_delay_alu instid0(SALU_CYCLE_1)
	s_mov_b32 s0, exec_lo
	v_cmpx_gt_i32_e64 s16, v0
	s_cbranch_execnz .LBB38_36
	s_branch .LBB38_37
	.section	.rodata,"a",@progbits
	.p2align	6, 0x0
	.amdhsa_kernel _ZN2at6native29vectorized_elementwise_kernelILi4EZZZNS0_12_GLOBAL__N_124softplus_backward_kernelERNS_18TensorIteratorBaseERKN3c106ScalarES8_ENKUlvE_clEvENKUlvE_clEvEUlddE_St5arrayIPcLm3EEEEviT0_T1_
		.amdhsa_group_segment_fixed_size 0
		.amdhsa_private_segment_fixed_size 0
		.amdhsa_kernarg_size 48
		.amdhsa_user_sgpr_count 2
		.amdhsa_user_sgpr_dispatch_ptr 0
		.amdhsa_user_sgpr_queue_ptr 0
		.amdhsa_user_sgpr_kernarg_segment_ptr 1
		.amdhsa_user_sgpr_dispatch_id 0
		.amdhsa_user_sgpr_kernarg_preload_length 0
		.amdhsa_user_sgpr_kernarg_preload_offset 0
		.amdhsa_user_sgpr_private_segment_size 0
		.amdhsa_wavefront_size32 1
		.amdhsa_uses_dynamic_stack 0
		.amdhsa_enable_private_segment 0
		.amdhsa_system_sgpr_workgroup_id_x 1
		.amdhsa_system_sgpr_workgroup_id_y 0
		.amdhsa_system_sgpr_workgroup_id_z 0
		.amdhsa_system_sgpr_workgroup_info 0
		.amdhsa_system_vgpr_workitem_id 0
		.amdhsa_next_free_vgpr 28
		.amdhsa_next_free_sgpr 20
		.amdhsa_named_barrier_count 0
		.amdhsa_reserve_vcc 1
		.amdhsa_float_round_mode_32 0
		.amdhsa_float_round_mode_16_64 0
		.amdhsa_float_denorm_mode_32 3
		.amdhsa_float_denorm_mode_16_64 3
		.amdhsa_fp16_overflow 0
		.amdhsa_memory_ordered 1
		.amdhsa_forward_progress 1
		.amdhsa_inst_pref_size 33
		.amdhsa_round_robin_scheduling 0
		.amdhsa_exception_fp_ieee_invalid_op 0
		.amdhsa_exception_fp_denorm_src 0
		.amdhsa_exception_fp_ieee_div_zero 0
		.amdhsa_exception_fp_ieee_overflow 0
		.amdhsa_exception_fp_ieee_underflow 0
		.amdhsa_exception_fp_ieee_inexact 0
		.amdhsa_exception_int_div_zero 0
	.end_amdhsa_kernel
	.section	.text._ZN2at6native29vectorized_elementwise_kernelILi4EZZZNS0_12_GLOBAL__N_124softplus_backward_kernelERNS_18TensorIteratorBaseERKN3c106ScalarES8_ENKUlvE_clEvENKUlvE_clEvEUlddE_St5arrayIPcLm3EEEEviT0_T1_,"axG",@progbits,_ZN2at6native29vectorized_elementwise_kernelILi4EZZZNS0_12_GLOBAL__N_124softplus_backward_kernelERNS_18TensorIteratorBaseERKN3c106ScalarES8_ENKUlvE_clEvENKUlvE_clEvEUlddE_St5arrayIPcLm3EEEEviT0_T1_,comdat
.Lfunc_end38:
	.size	_ZN2at6native29vectorized_elementwise_kernelILi4EZZZNS0_12_GLOBAL__N_124softplus_backward_kernelERNS_18TensorIteratorBaseERKN3c106ScalarES8_ENKUlvE_clEvENKUlvE_clEvEUlddE_St5arrayIPcLm3EEEEviT0_T1_, .Lfunc_end38-_ZN2at6native29vectorized_elementwise_kernelILi4EZZZNS0_12_GLOBAL__N_124softplus_backward_kernelERNS_18TensorIteratorBaseERKN3c106ScalarES8_ENKUlvE_clEvENKUlvE_clEvEUlddE_St5arrayIPcLm3EEEEviT0_T1_
                                        ; -- End function
	.set _ZN2at6native29vectorized_elementwise_kernelILi4EZZZNS0_12_GLOBAL__N_124softplus_backward_kernelERNS_18TensorIteratorBaseERKN3c106ScalarES8_ENKUlvE_clEvENKUlvE_clEvEUlddE_St5arrayIPcLm3EEEEviT0_T1_.num_vgpr, 28
	.set _ZN2at6native29vectorized_elementwise_kernelILi4EZZZNS0_12_GLOBAL__N_124softplus_backward_kernelERNS_18TensorIteratorBaseERKN3c106ScalarES8_ENKUlvE_clEvENKUlvE_clEvEUlddE_St5arrayIPcLm3EEEEviT0_T1_.num_agpr, 0
	.set _ZN2at6native29vectorized_elementwise_kernelILi4EZZZNS0_12_GLOBAL__N_124softplus_backward_kernelERNS_18TensorIteratorBaseERKN3c106ScalarES8_ENKUlvE_clEvENKUlvE_clEvEUlddE_St5arrayIPcLm3EEEEviT0_T1_.numbered_sgpr, 20
	.set _ZN2at6native29vectorized_elementwise_kernelILi4EZZZNS0_12_GLOBAL__N_124softplus_backward_kernelERNS_18TensorIteratorBaseERKN3c106ScalarES8_ENKUlvE_clEvENKUlvE_clEvEUlddE_St5arrayIPcLm3EEEEviT0_T1_.num_named_barrier, 0
	.set _ZN2at6native29vectorized_elementwise_kernelILi4EZZZNS0_12_GLOBAL__N_124softplus_backward_kernelERNS_18TensorIteratorBaseERKN3c106ScalarES8_ENKUlvE_clEvENKUlvE_clEvEUlddE_St5arrayIPcLm3EEEEviT0_T1_.private_seg_size, 0
	.set _ZN2at6native29vectorized_elementwise_kernelILi4EZZZNS0_12_GLOBAL__N_124softplus_backward_kernelERNS_18TensorIteratorBaseERKN3c106ScalarES8_ENKUlvE_clEvENKUlvE_clEvEUlddE_St5arrayIPcLm3EEEEviT0_T1_.uses_vcc, 1
	.set _ZN2at6native29vectorized_elementwise_kernelILi4EZZZNS0_12_GLOBAL__N_124softplus_backward_kernelERNS_18TensorIteratorBaseERKN3c106ScalarES8_ENKUlvE_clEvENKUlvE_clEvEUlddE_St5arrayIPcLm3EEEEviT0_T1_.uses_flat_scratch, 0
	.set _ZN2at6native29vectorized_elementwise_kernelILi4EZZZNS0_12_GLOBAL__N_124softplus_backward_kernelERNS_18TensorIteratorBaseERKN3c106ScalarES8_ENKUlvE_clEvENKUlvE_clEvEUlddE_St5arrayIPcLm3EEEEviT0_T1_.has_dyn_sized_stack, 0
	.set _ZN2at6native29vectorized_elementwise_kernelILi4EZZZNS0_12_GLOBAL__N_124softplus_backward_kernelERNS_18TensorIteratorBaseERKN3c106ScalarES8_ENKUlvE_clEvENKUlvE_clEvEUlddE_St5arrayIPcLm3EEEEviT0_T1_.has_recursion, 0
	.set _ZN2at6native29vectorized_elementwise_kernelILi4EZZZNS0_12_GLOBAL__N_124softplus_backward_kernelERNS_18TensorIteratorBaseERKN3c106ScalarES8_ENKUlvE_clEvENKUlvE_clEvEUlddE_St5arrayIPcLm3EEEEviT0_T1_.has_indirect_call, 0
	.section	.AMDGPU.csdata,"",@progbits
; Kernel info:
; codeLenInByte = 4188
; TotalNumSgprs: 22
; NumVgprs: 28
; ScratchSize: 0
; MemoryBound: 1
; FloatMode: 240
; IeeeMode: 1
; LDSByteSize: 0 bytes/workgroup (compile time only)
; SGPRBlocks: 0
; VGPRBlocks: 1
; NumSGPRsForWavesPerEU: 22
; NumVGPRsForWavesPerEU: 28
; NamedBarCnt: 0
; Occupancy: 16
; WaveLimiterHint : 0
; COMPUTE_PGM_RSRC2:SCRATCH_EN: 0
; COMPUTE_PGM_RSRC2:USER_SGPR: 2
; COMPUTE_PGM_RSRC2:TRAP_HANDLER: 0
; COMPUTE_PGM_RSRC2:TGID_X_EN: 1
; COMPUTE_PGM_RSRC2:TGID_Y_EN: 0
; COMPUTE_PGM_RSRC2:TGID_Z_EN: 0
; COMPUTE_PGM_RSRC2:TIDIG_COMP_CNT: 0
	.section	.text._ZN2at6native29vectorized_elementwise_kernelILi2EZZZNS0_12_GLOBAL__N_124softplus_backward_kernelERNS_18TensorIteratorBaseERKN3c106ScalarES8_ENKUlvE_clEvENKUlvE_clEvEUlddE_St5arrayIPcLm3EEEEviT0_T1_,"axG",@progbits,_ZN2at6native29vectorized_elementwise_kernelILi2EZZZNS0_12_GLOBAL__N_124softplus_backward_kernelERNS_18TensorIteratorBaseERKN3c106ScalarES8_ENKUlvE_clEvENKUlvE_clEvEUlddE_St5arrayIPcLm3EEEEviT0_T1_,comdat
	.globl	_ZN2at6native29vectorized_elementwise_kernelILi2EZZZNS0_12_GLOBAL__N_124softplus_backward_kernelERNS_18TensorIteratorBaseERKN3c106ScalarES8_ENKUlvE_clEvENKUlvE_clEvEUlddE_St5arrayIPcLm3EEEEviT0_T1_ ; -- Begin function _ZN2at6native29vectorized_elementwise_kernelILi2EZZZNS0_12_GLOBAL__N_124softplus_backward_kernelERNS_18TensorIteratorBaseERKN3c106ScalarES8_ENKUlvE_clEvENKUlvE_clEvEUlddE_St5arrayIPcLm3EEEEviT0_T1_
	.p2align	8
	.type	_ZN2at6native29vectorized_elementwise_kernelILi2EZZZNS0_12_GLOBAL__N_124softplus_backward_kernelERNS_18TensorIteratorBaseERKN3c106ScalarES8_ENKUlvE_clEvENKUlvE_clEvEUlddE_St5arrayIPcLm3EEEEviT0_T1_,@function
_ZN2at6native29vectorized_elementwise_kernelILi2EZZZNS0_12_GLOBAL__N_124softplus_backward_kernelERNS_18TensorIteratorBaseERKN3c106ScalarES8_ENKUlvE_clEvENKUlvE_clEvEUlddE_St5arrayIPcLm3EEEEviT0_T1_: ; @_ZN2at6native29vectorized_elementwise_kernelILi2EZZZNS0_12_GLOBAL__N_124softplus_backward_kernelERNS_18TensorIteratorBaseERKN3c106ScalarES8_ENKUlvE_clEvENKUlvE_clEvEUlddE_St5arrayIPcLm3EEEEviT0_T1_
; %bb.0:
	s_clause 0x2
	s_load_b32 s3, s[0:1], 0x0
	s_load_b256 s[4:11], s[0:1], 0x8
	s_load_b64 s[12:13], s[0:1], 0x28
	s_wait_xcnt 0x0
	s_bfe_u32 s0, ttmp6, 0x4000c
	s_and_b32 s1, ttmp6, 15
	s_add_co_i32 s0, s0, 1
	s_getreg_b32 s2, hwreg(HW_REG_IB_STS2, 6, 4)
	s_mul_i32 s0, ttmp9, s0
	s_delay_alu instid0(SALU_CYCLE_1) | instskip(SKIP_2) | instid1(SALU_CYCLE_1)
	s_add_co_i32 s1, s1, s0
	s_cmp_eq_u32 s2, 0
	s_cselect_b32 s0, ttmp9, s1
	s_lshl_b32 s2, s0, 10
	s_mov_b32 s0, -1
	s_wait_kmcnt 0x0
	s_sub_co_i32 s16, s3, s2
	s_delay_alu instid0(SALU_CYCLE_1)
	s_cmp_gt_i32 s16, 0x3ff
	s_cbranch_scc0 .LBB39_10
; %bb.1:
	s_ashr_i32 s3, s2, 31
	s_delay_alu instid0(SALU_CYCLE_1) | instskip(NEXT) | instid1(SALU_CYCLE_1)
	s_lshl_b64 s[14:15], s[2:3], 3
	s_add_nc_u64 s[0:1], s[12:13], s[14:15]
	s_add_nc_u64 s[18:19], s[10:11], s[14:15]
	s_clause 0x3
	global_load_b128 v[14:17], v0, s[0:1] scale_offset
	global_load_b128 v[6:9], v0, s[18:19] scale_offset
	global_load_b128 v[2:5], v0, s[18:19] offset:4096 scale_offset
	global_load_b128 v[10:13], v0, s[0:1] offset:4096 scale_offset
	s_wait_xcnt 0x0
	s_mov_b32 s1, exec_lo
	s_wait_loadcnt 0x3
	v_mul_f64_e32 v[14:15], s[4:5], v[14:15]
	s_delay_alu instid0(VALU_DEP_1)
	v_cmpx_nlt_f64_e32 s[6:7], v[14:15]
	s_cbranch_execz .LBB39_3
; %bb.2:
	v_mul_f64_e32 v[18:19], 0x3ff71547652b82fe, v[14:15]
	s_mov_b64 s[18:19], 0x3e5ade156a5dcb37
	v_cmp_nlt_f64_e32 vcc_lo, 0x40900000, v[14:15]
	v_cmp_ngt_f64_e64 s0, 0xc090cc00, v[14:15]
	s_delay_alu instid0(VALU_DEP_3) | instskip(NEXT) | instid1(VALU_DEP_1)
	v_rndne_f64_e32 v[18:19], v[18:19]
	v_fmamk_f64 v[20:21], v[18:19], 0xbfe62e42fefa39ef, v[14:15]
	v_cvt_i32_f64_e32 v1, v[18:19]
	s_delay_alu instid0(VALU_DEP_2) | instskip(NEXT) | instid1(VALU_DEP_1)
	v_fmamk_f64 v[20:21], v[18:19], 0xbc7abc9e3b39803f, v[20:21]
	v_fmaak_f64 v[22:23], s[18:19], v[20:21], 0x3e928af3fca7ab0c
	s_delay_alu instid0(VALU_DEP_1) | instskip(NEXT) | instid1(VALU_DEP_1)
	v_fmaak_f64 v[22:23], v[20:21], v[22:23], 0x3ec71dee623fde64
	v_fmaak_f64 v[22:23], v[20:21], v[22:23], 0x3efa01997c89e6b0
	s_delay_alu instid0(VALU_DEP_1) | instskip(NEXT) | instid1(VALU_DEP_1)
	v_fmaak_f64 v[22:23], v[20:21], v[22:23], 0x3f2a01a014761f6e
	;; [unrolled: 3-line block ×4, first 2 shown]
	v_fmaak_f64 v[22:23], v[20:21], v[22:23], 0x3fe000000000000b
	s_delay_alu instid0(VALU_DEP_1) | instskip(NEXT) | instid1(VALU_DEP_1)
	v_fma_f64 v[22:23], v[20:21], v[22:23], 1.0
	v_fma_f64 v[18:19], v[20:21], v[22:23], 1.0
	s_delay_alu instid0(VALU_DEP_1) | instskip(NEXT) | instid1(VALU_DEP_1)
	v_ldexp_f64 v[18:19], v[18:19], v1
	v_cndmask_b32_e32 v1, 0x7ff00000, v19, vcc_lo
	s_and_b32 vcc_lo, s0, vcc_lo
	s_delay_alu instid0(VALU_DEP_1) | instid1(SALU_CYCLE_1)
	v_dual_cndmask_b32 v14, 0, v18, vcc_lo :: v_dual_cndmask_b32 v15, 0, v1, s0
	s_wait_loadcnt 0x2
	s_delay_alu instid0(VALU_DEP_1) | instskip(SKIP_1) | instid1(VALU_DEP_1)
	v_mul_f64_e32 v[6:7], v[6:7], v[14:15]
	v_add_f64_e32 v[14:15], 1.0, v[14:15]
	v_div_scale_f64 v[18:19], null, v[14:15], v[14:15], v[6:7]
	s_delay_alu instid0(VALU_DEP_1) | instskip(SKIP_1) | instid1(TRANS32_DEP_1)
	v_rcp_f64_e32 v[20:21], v[18:19]
	v_nop
	v_fma_f64 v[22:23], -v[18:19], v[20:21], 1.0
	s_delay_alu instid0(VALU_DEP_1) | instskip(NEXT) | instid1(VALU_DEP_1)
	v_fmac_f64_e32 v[20:21], v[20:21], v[22:23]
	v_fma_f64 v[22:23], -v[18:19], v[20:21], 1.0
	s_delay_alu instid0(VALU_DEP_1) | instskip(SKIP_1) | instid1(VALU_DEP_1)
	v_fmac_f64_e32 v[20:21], v[20:21], v[22:23]
	v_div_scale_f64 v[22:23], vcc_lo, v[6:7], v[14:15], v[6:7]
	v_mul_f64_e32 v[24:25], v[22:23], v[20:21]
	s_delay_alu instid0(VALU_DEP_1) | instskip(NEXT) | instid1(VALU_DEP_1)
	v_fma_f64 v[18:19], -v[18:19], v[24:25], v[22:23]
	v_div_fmas_f64 v[18:19], v[18:19], v[20:21], v[24:25]
	s_delay_alu instid0(VALU_DEP_1)
	v_div_fixup_f64 v[6:7], v[18:19], v[14:15], v[6:7]
.LBB39_3:
	s_or_b32 exec_lo, exec_lo, s1
	v_mul_f64_e32 v[14:15], s[4:5], v[16:17]
	s_mov_b32 s1, exec_lo
	s_delay_alu instid0(VALU_DEP_1)
	v_cmpx_nlt_f64_e32 s[6:7], v[14:15]
	s_cbranch_execz .LBB39_5
; %bb.4:
	v_mul_f64_e32 v[16:17], 0x3ff71547652b82fe, v[14:15]
	s_mov_b64 s[18:19], 0x3e5ade156a5dcb37
	v_cmp_nlt_f64_e32 vcc_lo, 0x40900000, v[14:15]
	v_cmp_ngt_f64_e64 s0, 0xc090cc00, v[14:15]
	s_delay_alu instid0(VALU_DEP_3) | instskip(NEXT) | instid1(VALU_DEP_1)
	v_rndne_f64_e32 v[16:17], v[16:17]
	v_fmamk_f64 v[18:19], v[16:17], 0xbfe62e42fefa39ef, v[14:15]
	v_cvt_i32_f64_e32 v1, v[16:17]
	s_delay_alu instid0(VALU_DEP_2) | instskip(NEXT) | instid1(VALU_DEP_1)
	v_fmamk_f64 v[18:19], v[16:17], 0xbc7abc9e3b39803f, v[18:19]
	v_fmaak_f64 v[20:21], s[18:19], v[18:19], 0x3e928af3fca7ab0c
	s_delay_alu instid0(VALU_DEP_1) | instskip(NEXT) | instid1(VALU_DEP_1)
	v_fmaak_f64 v[20:21], v[18:19], v[20:21], 0x3ec71dee623fde64
	v_fmaak_f64 v[20:21], v[18:19], v[20:21], 0x3efa01997c89e6b0
	s_delay_alu instid0(VALU_DEP_1) | instskip(NEXT) | instid1(VALU_DEP_1)
	v_fmaak_f64 v[20:21], v[18:19], v[20:21], 0x3f2a01a014761f6e
	;; [unrolled: 3-line block ×4, first 2 shown]
	v_fmaak_f64 v[20:21], v[18:19], v[20:21], 0x3fe000000000000b
	s_delay_alu instid0(VALU_DEP_1) | instskip(NEXT) | instid1(VALU_DEP_1)
	v_fma_f64 v[20:21], v[18:19], v[20:21], 1.0
	v_fma_f64 v[16:17], v[18:19], v[20:21], 1.0
	s_delay_alu instid0(VALU_DEP_1) | instskip(NEXT) | instid1(VALU_DEP_1)
	v_ldexp_f64 v[16:17], v[16:17], v1
	v_cndmask_b32_e32 v1, 0x7ff00000, v17, vcc_lo
	s_and_b32 vcc_lo, s0, vcc_lo
	s_delay_alu instid0(VALU_DEP_1) | instid1(SALU_CYCLE_1)
	v_dual_cndmask_b32 v14, 0, v16, vcc_lo :: v_dual_cndmask_b32 v15, 0, v1, s0
	s_wait_loadcnt 0x2
	s_delay_alu instid0(VALU_DEP_1) | instskip(SKIP_1) | instid1(VALU_DEP_1)
	v_mul_f64_e32 v[8:9], v[8:9], v[14:15]
	v_add_f64_e32 v[14:15], 1.0, v[14:15]
	v_div_scale_f64 v[16:17], null, v[14:15], v[14:15], v[8:9]
	s_delay_alu instid0(VALU_DEP_1) | instskip(SKIP_1) | instid1(TRANS32_DEP_1)
	v_rcp_f64_e32 v[18:19], v[16:17]
	v_nop
	v_fma_f64 v[20:21], -v[16:17], v[18:19], 1.0
	s_delay_alu instid0(VALU_DEP_1) | instskip(NEXT) | instid1(VALU_DEP_1)
	v_fmac_f64_e32 v[18:19], v[18:19], v[20:21]
	v_fma_f64 v[20:21], -v[16:17], v[18:19], 1.0
	s_delay_alu instid0(VALU_DEP_1) | instskip(SKIP_1) | instid1(VALU_DEP_1)
	v_fmac_f64_e32 v[18:19], v[18:19], v[20:21]
	v_div_scale_f64 v[20:21], vcc_lo, v[8:9], v[14:15], v[8:9]
	v_mul_f64_e32 v[22:23], v[20:21], v[18:19]
	s_delay_alu instid0(VALU_DEP_1) | instskip(NEXT) | instid1(VALU_DEP_1)
	v_fma_f64 v[16:17], -v[16:17], v[22:23], v[20:21]
	v_div_fmas_f64 v[16:17], v[16:17], v[18:19], v[22:23]
	s_delay_alu instid0(VALU_DEP_1)
	v_div_fixup_f64 v[8:9], v[16:17], v[14:15], v[8:9]
.LBB39_5:
	s_or_b32 exec_lo, exec_lo, s1
	s_wait_loadcnt 0x0
	v_mul_f64_e32 v[10:11], s[4:5], v[10:11]
	s_mov_b32 s1, exec_lo
	s_delay_alu instid0(VALU_DEP_1)
	v_cmpx_nlt_f64_e32 s[6:7], v[10:11]
	s_cbranch_execz .LBB39_7
; %bb.6:
	v_mul_f64_e32 v[14:15], 0x3ff71547652b82fe, v[10:11]
	s_mov_b64 s[18:19], 0x3e5ade156a5dcb37
	v_cmp_nlt_f64_e32 vcc_lo, 0x40900000, v[10:11]
	v_cmp_ngt_f64_e64 s0, 0xc090cc00, v[10:11]
	s_delay_alu instid0(VALU_DEP_3) | instskip(NEXT) | instid1(VALU_DEP_1)
	v_rndne_f64_e32 v[14:15], v[14:15]
	v_fmamk_f64 v[16:17], v[14:15], 0xbfe62e42fefa39ef, v[10:11]
	v_cvt_i32_f64_e32 v1, v[14:15]
	s_delay_alu instid0(VALU_DEP_2) | instskip(NEXT) | instid1(VALU_DEP_1)
	v_fmamk_f64 v[16:17], v[14:15], 0xbc7abc9e3b39803f, v[16:17]
	v_fmaak_f64 v[18:19], s[18:19], v[16:17], 0x3e928af3fca7ab0c
	s_delay_alu instid0(VALU_DEP_1) | instskip(NEXT) | instid1(VALU_DEP_1)
	v_fmaak_f64 v[18:19], v[16:17], v[18:19], 0x3ec71dee623fde64
	v_fmaak_f64 v[18:19], v[16:17], v[18:19], 0x3efa01997c89e6b0
	s_delay_alu instid0(VALU_DEP_1) | instskip(NEXT) | instid1(VALU_DEP_1)
	v_fmaak_f64 v[18:19], v[16:17], v[18:19], 0x3f2a01a014761f6e
	;; [unrolled: 3-line block ×4, first 2 shown]
	v_fmaak_f64 v[18:19], v[16:17], v[18:19], 0x3fe000000000000b
	s_delay_alu instid0(VALU_DEP_1) | instskip(NEXT) | instid1(VALU_DEP_1)
	v_fma_f64 v[18:19], v[16:17], v[18:19], 1.0
	v_fma_f64 v[14:15], v[16:17], v[18:19], 1.0
	s_delay_alu instid0(VALU_DEP_1) | instskip(NEXT) | instid1(VALU_DEP_1)
	v_ldexp_f64 v[14:15], v[14:15], v1
	v_cndmask_b32_e32 v1, 0x7ff00000, v15, vcc_lo
	s_and_b32 vcc_lo, s0, vcc_lo
	s_delay_alu instid0(VALU_DEP_1) | instid1(SALU_CYCLE_1)
	v_dual_cndmask_b32 v10, 0, v14, vcc_lo :: v_dual_cndmask_b32 v11, 0, v1, s0
	s_delay_alu instid0(VALU_DEP_1) | instskip(SKIP_1) | instid1(VALU_DEP_1)
	v_mul_f64_e32 v[2:3], v[2:3], v[10:11]
	v_add_f64_e32 v[10:11], 1.0, v[10:11]
	v_div_scale_f64 v[14:15], null, v[10:11], v[10:11], v[2:3]
	s_delay_alu instid0(VALU_DEP_1) | instskip(SKIP_1) | instid1(TRANS32_DEP_1)
	v_rcp_f64_e32 v[16:17], v[14:15]
	v_nop
	v_fma_f64 v[18:19], -v[14:15], v[16:17], 1.0
	s_delay_alu instid0(VALU_DEP_1) | instskip(NEXT) | instid1(VALU_DEP_1)
	v_fmac_f64_e32 v[16:17], v[16:17], v[18:19]
	v_fma_f64 v[18:19], -v[14:15], v[16:17], 1.0
	s_delay_alu instid0(VALU_DEP_1) | instskip(SKIP_1) | instid1(VALU_DEP_1)
	v_fmac_f64_e32 v[16:17], v[16:17], v[18:19]
	v_div_scale_f64 v[18:19], vcc_lo, v[2:3], v[10:11], v[2:3]
	v_mul_f64_e32 v[20:21], v[18:19], v[16:17]
	s_delay_alu instid0(VALU_DEP_1) | instskip(NEXT) | instid1(VALU_DEP_1)
	v_fma_f64 v[14:15], -v[14:15], v[20:21], v[18:19]
	v_div_fmas_f64 v[14:15], v[14:15], v[16:17], v[20:21]
	s_delay_alu instid0(VALU_DEP_1)
	v_div_fixup_f64 v[2:3], v[14:15], v[10:11], v[2:3]
.LBB39_7:
	s_or_b32 exec_lo, exec_lo, s1
	v_mul_f64_e32 v[10:11], s[4:5], v[12:13]
	s_mov_b32 s1, exec_lo
	s_delay_alu instid0(VALU_DEP_1)
	v_cmpx_nlt_f64_e32 s[6:7], v[10:11]
	s_cbranch_execz .LBB39_9
; %bb.8:
	v_mul_f64_e32 v[12:13], 0x3ff71547652b82fe, v[10:11]
	s_mov_b64 s[18:19], 0x3e5ade156a5dcb37
	v_cmp_nlt_f64_e32 vcc_lo, 0x40900000, v[10:11]
	v_cmp_ngt_f64_e64 s0, 0xc090cc00, v[10:11]
	s_delay_alu instid0(VALU_DEP_3) | instskip(NEXT) | instid1(VALU_DEP_1)
	v_rndne_f64_e32 v[12:13], v[12:13]
	v_fmamk_f64 v[14:15], v[12:13], 0xbfe62e42fefa39ef, v[10:11]
	v_cvt_i32_f64_e32 v1, v[12:13]
	s_delay_alu instid0(VALU_DEP_2) | instskip(NEXT) | instid1(VALU_DEP_1)
	v_fmamk_f64 v[14:15], v[12:13], 0xbc7abc9e3b39803f, v[14:15]
	v_fmaak_f64 v[16:17], s[18:19], v[14:15], 0x3e928af3fca7ab0c
	s_delay_alu instid0(VALU_DEP_1) | instskip(NEXT) | instid1(VALU_DEP_1)
	v_fmaak_f64 v[16:17], v[14:15], v[16:17], 0x3ec71dee623fde64
	v_fmaak_f64 v[16:17], v[14:15], v[16:17], 0x3efa01997c89e6b0
	s_delay_alu instid0(VALU_DEP_1) | instskip(NEXT) | instid1(VALU_DEP_1)
	v_fmaak_f64 v[16:17], v[14:15], v[16:17], 0x3f2a01a014761f6e
	;; [unrolled: 3-line block ×4, first 2 shown]
	v_fmaak_f64 v[16:17], v[14:15], v[16:17], 0x3fe000000000000b
	s_delay_alu instid0(VALU_DEP_1) | instskip(NEXT) | instid1(VALU_DEP_1)
	v_fma_f64 v[16:17], v[14:15], v[16:17], 1.0
	v_fma_f64 v[12:13], v[14:15], v[16:17], 1.0
	s_delay_alu instid0(VALU_DEP_1) | instskip(NEXT) | instid1(VALU_DEP_1)
	v_ldexp_f64 v[12:13], v[12:13], v1
	v_cndmask_b32_e32 v1, 0x7ff00000, v13, vcc_lo
	s_and_b32 vcc_lo, s0, vcc_lo
	s_delay_alu instid0(VALU_DEP_1) | instid1(SALU_CYCLE_1)
	v_dual_cndmask_b32 v10, 0, v12, vcc_lo :: v_dual_cndmask_b32 v11, 0, v1, s0
	s_delay_alu instid0(VALU_DEP_1) | instskip(SKIP_1) | instid1(VALU_DEP_1)
	v_mul_f64_e32 v[4:5], v[4:5], v[10:11]
	v_add_f64_e32 v[10:11], 1.0, v[10:11]
	v_div_scale_f64 v[12:13], null, v[10:11], v[10:11], v[4:5]
	s_delay_alu instid0(VALU_DEP_1) | instskip(SKIP_1) | instid1(TRANS32_DEP_1)
	v_rcp_f64_e32 v[14:15], v[12:13]
	v_nop
	v_fma_f64 v[16:17], -v[12:13], v[14:15], 1.0
	s_delay_alu instid0(VALU_DEP_1) | instskip(NEXT) | instid1(VALU_DEP_1)
	v_fmac_f64_e32 v[14:15], v[14:15], v[16:17]
	v_fma_f64 v[16:17], -v[12:13], v[14:15], 1.0
	s_delay_alu instid0(VALU_DEP_1) | instskip(SKIP_1) | instid1(VALU_DEP_1)
	v_fmac_f64_e32 v[14:15], v[14:15], v[16:17]
	v_div_scale_f64 v[16:17], vcc_lo, v[4:5], v[10:11], v[4:5]
	v_mul_f64_e32 v[18:19], v[16:17], v[14:15]
	s_delay_alu instid0(VALU_DEP_1) | instskip(NEXT) | instid1(VALU_DEP_1)
	v_fma_f64 v[12:13], -v[12:13], v[18:19], v[16:17]
	v_div_fmas_f64 v[12:13], v[12:13], v[14:15], v[18:19]
	s_delay_alu instid0(VALU_DEP_1)
	v_div_fixup_f64 v[4:5], v[12:13], v[10:11], v[4:5]
.LBB39_9:
	s_or_b32 exec_lo, exec_lo, s1
	s_add_nc_u64 s[14:15], s[8:9], s[14:15]
	s_mov_b32 s0, 0
	s_clause 0x1
	global_store_b128 v0, v[6:9], s[14:15] scale_offset
	global_store_b128 v0, v[2:5], s[14:15] offset:4096 scale_offset
.LBB39_10:
	s_and_b32 vcc_lo, exec_lo, s0
	s_cbranch_vccz .LBB39_37
; %bb.11:
	s_wait_xcnt 0x0
	v_mov_b64_e32 v[2:3], 0
	v_mov_b64_e32 v[4:5], 0
	;; [unrolled: 1-line block ×3, first 2 shown]
	v_cmp_gt_i32_e64 s0, s16, v0
	v_dual_mov_b32 v19, v0 :: v_dual_bitop2_b32 v1, s2, v0 bitop3:0x54
	v_or_b32_e32 v18, 0x100, v0
	s_and_saveexec_b32 s1, s0
	s_cbranch_execz .LBB39_13
; %bb.12:
	s_clause 0x1
	global_load_b64 v[4:5], v1, s[10:11] scale_offset
	global_load_b64 v[16:17], v1, s[12:13] scale_offset
	v_or_b32_e32 v19, 0x100, v0
.LBB39_13:
	s_wait_xcnt 0x0
	s_or_b32 exec_lo, exec_lo, s1
	v_mov_b64_e32 v[14:15], 0
	s_mov_b32 s1, exec_lo
	v_cmpx_gt_i32_e64 s16, v19
	s_cbranch_execz .LBB39_15
; %bb.14:
	v_add_nc_u32_e32 v6, s2, v19
	v_add_nc_u32_e32 v19, 0x100, v19
	s_clause 0x1
	global_load_b64 v[2:3], v6, s[10:11] scale_offset
	global_load_b64 v[14:15], v6, s[12:13] scale_offset
.LBB39_15:
	s_wait_xcnt 0x0
	s_or_b32 exec_lo, exec_lo, s1
	v_mov_b64_e32 v[6:7], 0
	v_mov_b64_e32 v[8:9], 0
	;; [unrolled: 1-line block ×3, first 2 shown]
	s_mov_b32 s1, exec_lo
	v_cmpx_gt_i32_e64 s16, v19
	s_cbranch_execz .LBB39_17
; %bb.16:
	v_add_nc_u32_e32 v10, s2, v19
	v_add_nc_u32_e32 v19, 0x100, v19
	s_clause 0x1
	global_load_b64 v[8:9], v10, s[10:11] scale_offset
	global_load_b64 v[12:13], v10, s[12:13] scale_offset
.LBB39_17:
	s_wait_xcnt 0x0
	s_or_b32 exec_lo, exec_lo, s1
	v_mov_b64_e32 v[10:11], 0
	s_mov_b32 s1, exec_lo
	v_cmpx_gt_i32_e64 s16, v19
	s_cbranch_execnz .LBB39_20
; %bb.18:
	s_or_b32 exec_lo, exec_lo, s1
	s_and_saveexec_b32 s3, s0
	s_cbranch_execnz .LBB39_21
.LBB39_19:
	s_or_b32 exec_lo, exec_lo, s3
	s_delay_alu instid0(SALU_CYCLE_1)
	s_mov_b32 s3, exec_lo
	v_cmpx_gt_i32_e64 s16, v18
	s_cbranch_execnz .LBB39_24
	s_branch .LBB39_27
.LBB39_20:
	v_add_nc_u32_e32 v19, s2, v19
	s_clause 0x1
	global_load_b64 v[6:7], v19, s[10:11] scale_offset
	global_load_b64 v[10:11], v19, s[12:13] scale_offset
	s_wait_xcnt 0x0
	s_or_b32 exec_lo, exec_lo, s1
	s_and_saveexec_b32 s3, s0
	s_cbranch_execz .LBB39_19
.LBB39_21:
	s_wait_loadcnt 0x0
	v_mul_f64_e32 v[16:17], s[4:5], v[16:17]
	s_mov_b32 s10, exec_lo
	s_delay_alu instid0(VALU_DEP_1)
	v_cmpx_nlt_f64_e32 s[6:7], v[16:17]
	s_cbranch_execz .LBB39_23
; %bb.22:
	v_mul_f64_e32 v[20:21], 0x3ff71547652b82fe, v[16:17]
	s_mov_b64 s[12:13], 0x3e5ade156a5dcb37
	v_cmp_nlt_f64_e32 vcc_lo, 0x40900000, v[16:17]
	v_cmp_ngt_f64_e64 s1, 0xc090cc00, v[16:17]
	s_delay_alu instid0(VALU_DEP_3) | instskip(NEXT) | instid1(VALU_DEP_1)
	v_rndne_f64_e32 v[20:21], v[20:21]
	v_fmamk_f64 v[22:23], v[20:21], 0xbfe62e42fefa39ef, v[16:17]
	v_cvt_i32_f64_e32 v19, v[20:21]
	s_delay_alu instid0(VALU_DEP_2) | instskip(NEXT) | instid1(VALU_DEP_1)
	v_fmamk_f64 v[22:23], v[20:21], 0xbc7abc9e3b39803f, v[22:23]
	v_fmaak_f64 v[24:25], s[12:13], v[22:23], 0x3e928af3fca7ab0c
	s_delay_alu instid0(VALU_DEP_1) | instskip(NEXT) | instid1(VALU_DEP_1)
	v_fmaak_f64 v[24:25], v[22:23], v[24:25], 0x3ec71dee623fde64
	v_fmaak_f64 v[24:25], v[22:23], v[24:25], 0x3efa01997c89e6b0
	s_delay_alu instid0(VALU_DEP_1) | instskip(NEXT) | instid1(VALU_DEP_1)
	v_fmaak_f64 v[24:25], v[22:23], v[24:25], 0x3f2a01a014761f6e
	v_fmaak_f64 v[24:25], v[22:23], v[24:25], 0x3f56c16c1852b7b0
	s_delay_alu instid0(VALU_DEP_1) | instskip(NEXT) | instid1(VALU_DEP_1)
	v_fmaak_f64 v[24:25], v[22:23], v[24:25], 0x3f81111111122322
	v_fmaak_f64 v[24:25], v[22:23], v[24:25], 0x3fa55555555502a1
	s_delay_alu instid0(VALU_DEP_1) | instskip(NEXT) | instid1(VALU_DEP_1)
	v_fmaak_f64 v[24:25], v[22:23], v[24:25], 0x3fc5555555555511
	v_fmaak_f64 v[24:25], v[22:23], v[24:25], 0x3fe000000000000b
	s_delay_alu instid0(VALU_DEP_1) | instskip(NEXT) | instid1(VALU_DEP_1)
	v_fma_f64 v[24:25], v[22:23], v[24:25], 1.0
	v_fma_f64 v[20:21], v[22:23], v[24:25], 1.0
	s_delay_alu instid0(VALU_DEP_1) | instskip(NEXT) | instid1(VALU_DEP_1)
	v_ldexp_f64 v[20:21], v[20:21], v19
	v_cndmask_b32_e32 v19, 0x7ff00000, v21, vcc_lo
	s_and_b32 vcc_lo, s1, vcc_lo
	s_delay_alu instid0(VALU_DEP_1) | instid1(SALU_CYCLE_1)
	v_dual_cndmask_b32 v16, 0, v20, vcc_lo :: v_dual_cndmask_b32 v17, 0, v19, s1
	s_delay_alu instid0(VALU_DEP_1) | instskip(SKIP_1) | instid1(VALU_DEP_1)
	v_mul_f64_e32 v[4:5], v[4:5], v[16:17]
	v_add_f64_e32 v[16:17], 1.0, v[16:17]
	v_div_scale_f64 v[20:21], null, v[16:17], v[16:17], v[4:5]
	s_delay_alu instid0(VALU_DEP_1) | instskip(SKIP_1) | instid1(TRANS32_DEP_1)
	v_rcp_f64_e32 v[22:23], v[20:21]
	v_nop
	v_fma_f64 v[24:25], -v[20:21], v[22:23], 1.0
	s_delay_alu instid0(VALU_DEP_1) | instskip(NEXT) | instid1(VALU_DEP_1)
	v_fmac_f64_e32 v[22:23], v[22:23], v[24:25]
	v_fma_f64 v[24:25], -v[20:21], v[22:23], 1.0
	s_delay_alu instid0(VALU_DEP_1) | instskip(SKIP_1) | instid1(VALU_DEP_1)
	v_fmac_f64_e32 v[22:23], v[22:23], v[24:25]
	v_div_scale_f64 v[24:25], vcc_lo, v[4:5], v[16:17], v[4:5]
	v_mul_f64_e32 v[26:27], v[24:25], v[22:23]
	s_delay_alu instid0(VALU_DEP_1) | instskip(NEXT) | instid1(VALU_DEP_1)
	v_fma_f64 v[20:21], -v[20:21], v[26:27], v[24:25]
	v_div_fmas_f64 v[20:21], v[20:21], v[22:23], v[26:27]
	s_delay_alu instid0(VALU_DEP_1)
	v_div_fixup_f64 v[4:5], v[20:21], v[16:17], v[4:5]
.LBB39_23:
	s_or_b32 exec_lo, exec_lo, s10
	s_delay_alu instid0(SALU_CYCLE_1) | instskip(NEXT) | instid1(SALU_CYCLE_1)
	s_or_b32 exec_lo, exec_lo, s3
	s_mov_b32 s3, exec_lo
	v_cmpx_gt_i32_e64 s16, v18
	s_cbranch_execz .LBB39_27
.LBB39_24:
	s_wait_loadcnt 0x0
	v_mul_f64_e32 v[14:15], s[4:5], v[14:15]
	s_mov_b32 s10, exec_lo
	s_delay_alu instid0(VALU_DEP_1)
	v_cmpx_nlt_f64_e32 s[6:7], v[14:15]
	s_cbranch_execz .LBB39_26
; %bb.25:
	v_mul_f64_e32 v[16:17], 0x3ff71547652b82fe, v[14:15]
	s_mov_b64 s[12:13], 0x3e5ade156a5dcb37
	v_cmp_nlt_f64_e32 vcc_lo, 0x40900000, v[14:15]
	v_cmp_ngt_f64_e64 s1, 0xc090cc00, v[14:15]
	s_delay_alu instid0(VALU_DEP_3) | instskip(NEXT) | instid1(VALU_DEP_1)
	v_rndne_f64_e32 v[16:17], v[16:17]
	v_fmamk_f64 v[20:21], v[16:17], 0xbfe62e42fefa39ef, v[14:15]
	v_cvt_i32_f64_e32 v19, v[16:17]
	s_delay_alu instid0(VALU_DEP_2) | instskip(NEXT) | instid1(VALU_DEP_1)
	v_fmamk_f64 v[20:21], v[16:17], 0xbc7abc9e3b39803f, v[20:21]
	v_fmaak_f64 v[22:23], s[12:13], v[20:21], 0x3e928af3fca7ab0c
	s_delay_alu instid0(VALU_DEP_1) | instskip(NEXT) | instid1(VALU_DEP_1)
	v_fmaak_f64 v[22:23], v[20:21], v[22:23], 0x3ec71dee623fde64
	v_fmaak_f64 v[22:23], v[20:21], v[22:23], 0x3efa01997c89e6b0
	s_delay_alu instid0(VALU_DEP_1) | instskip(NEXT) | instid1(VALU_DEP_1)
	v_fmaak_f64 v[22:23], v[20:21], v[22:23], 0x3f2a01a014761f6e
	;; [unrolled: 3-line block ×4, first 2 shown]
	v_fmaak_f64 v[22:23], v[20:21], v[22:23], 0x3fe000000000000b
	s_delay_alu instid0(VALU_DEP_1) | instskip(NEXT) | instid1(VALU_DEP_1)
	v_fma_f64 v[22:23], v[20:21], v[22:23], 1.0
	v_fma_f64 v[16:17], v[20:21], v[22:23], 1.0
	s_delay_alu instid0(VALU_DEP_1) | instskip(NEXT) | instid1(VALU_DEP_1)
	v_ldexp_f64 v[16:17], v[16:17], v19
	v_cndmask_b32_e32 v17, 0x7ff00000, v17, vcc_lo
	s_and_b32 vcc_lo, s1, vcc_lo
	s_delay_alu instid0(VALU_DEP_1) | instid1(SALU_CYCLE_1)
	v_dual_cndmask_b32 v14, 0, v16, vcc_lo :: v_dual_cndmask_b32 v15, 0, v17, s1
	s_delay_alu instid0(VALU_DEP_1) | instskip(SKIP_1) | instid1(VALU_DEP_1)
	v_mul_f64_e32 v[2:3], v[2:3], v[14:15]
	v_add_f64_e32 v[14:15], 1.0, v[14:15]
	v_div_scale_f64 v[16:17], null, v[14:15], v[14:15], v[2:3]
	s_delay_alu instid0(VALU_DEP_1) | instskip(SKIP_1) | instid1(TRANS32_DEP_1)
	v_rcp_f64_e32 v[20:21], v[16:17]
	v_nop
	v_fma_f64 v[22:23], -v[16:17], v[20:21], 1.0
	s_delay_alu instid0(VALU_DEP_1) | instskip(NEXT) | instid1(VALU_DEP_1)
	v_fmac_f64_e32 v[20:21], v[20:21], v[22:23]
	v_fma_f64 v[22:23], -v[16:17], v[20:21], 1.0
	s_delay_alu instid0(VALU_DEP_1) | instskip(SKIP_1) | instid1(VALU_DEP_1)
	v_fmac_f64_e32 v[20:21], v[20:21], v[22:23]
	v_div_scale_f64 v[22:23], vcc_lo, v[2:3], v[14:15], v[2:3]
	v_mul_f64_e32 v[24:25], v[22:23], v[20:21]
	s_delay_alu instid0(VALU_DEP_1) | instskip(NEXT) | instid1(VALU_DEP_1)
	v_fma_f64 v[16:17], -v[16:17], v[24:25], v[22:23]
	v_div_fmas_f64 v[16:17], v[16:17], v[20:21], v[24:25]
	s_delay_alu instid0(VALU_DEP_1)
	v_div_fixup_f64 v[2:3], v[16:17], v[14:15], v[2:3]
.LBB39_26:
	s_or_b32 exec_lo, exec_lo, s10
.LBB39_27:
	s_delay_alu instid0(SALU_CYCLE_1) | instskip(SKIP_3) | instid1(VALU_DEP_1)
	s_or_b32 exec_lo, exec_lo, s3
	s_wait_loadcnt 0x0
	v_or_b32_e32 v14, 0x200, v0
	s_mov_b32 s3, exec_lo
	v_cmpx_gt_i32_e64 s16, v14
	s_cbranch_execz .LBB39_31
; %bb.28:
	v_mul_f64_e32 v[12:13], s[4:5], v[12:13]
	s_mov_b32 s10, exec_lo
	s_delay_alu instid0(VALU_DEP_1)
	v_cmpx_nlt_f64_e32 s[6:7], v[12:13]
	s_cbranch_execz .LBB39_30
; %bb.29:
	v_mul_f64_e32 v[14:15], 0x3ff71547652b82fe, v[12:13]
	s_mov_b64 s[12:13], 0x3e5ade156a5dcb37
	v_cmp_nlt_f64_e32 vcc_lo, 0x40900000, v[12:13]
	v_cmp_ngt_f64_e64 s1, 0xc090cc00, v[12:13]
	s_delay_alu instid0(VALU_DEP_3) | instskip(NEXT) | instid1(VALU_DEP_1)
	v_rndne_f64_e32 v[14:15], v[14:15]
	v_fmamk_f64 v[16:17], v[14:15], 0xbfe62e42fefa39ef, v[12:13]
	v_cvt_i32_f64_e32 v19, v[14:15]
	s_delay_alu instid0(VALU_DEP_2) | instskip(NEXT) | instid1(VALU_DEP_1)
	v_fmamk_f64 v[16:17], v[14:15], 0xbc7abc9e3b39803f, v[16:17]
	v_fmaak_f64 v[20:21], s[12:13], v[16:17], 0x3e928af3fca7ab0c
	s_delay_alu instid0(VALU_DEP_1) | instskip(NEXT) | instid1(VALU_DEP_1)
	v_fmaak_f64 v[20:21], v[16:17], v[20:21], 0x3ec71dee623fde64
	v_fmaak_f64 v[20:21], v[16:17], v[20:21], 0x3efa01997c89e6b0
	s_delay_alu instid0(VALU_DEP_1) | instskip(NEXT) | instid1(VALU_DEP_1)
	v_fmaak_f64 v[20:21], v[16:17], v[20:21], 0x3f2a01a014761f6e
	;; [unrolled: 3-line block ×4, first 2 shown]
	v_fmaak_f64 v[20:21], v[16:17], v[20:21], 0x3fe000000000000b
	s_delay_alu instid0(VALU_DEP_1) | instskip(NEXT) | instid1(VALU_DEP_1)
	v_fma_f64 v[20:21], v[16:17], v[20:21], 1.0
	v_fma_f64 v[14:15], v[16:17], v[20:21], 1.0
	s_delay_alu instid0(VALU_DEP_1) | instskip(NEXT) | instid1(VALU_DEP_1)
	v_ldexp_f64 v[14:15], v[14:15], v19
	v_cndmask_b32_e32 v15, 0x7ff00000, v15, vcc_lo
	s_and_b32 vcc_lo, s1, vcc_lo
	s_delay_alu instid0(VALU_DEP_1) | instid1(SALU_CYCLE_1)
	v_dual_cndmask_b32 v12, 0, v14, vcc_lo :: v_dual_cndmask_b32 v13, 0, v15, s1
	s_delay_alu instid0(VALU_DEP_1) | instskip(SKIP_1) | instid1(VALU_DEP_1)
	v_mul_f64_e32 v[8:9], v[8:9], v[12:13]
	v_add_f64_e32 v[12:13], 1.0, v[12:13]
	v_div_scale_f64 v[14:15], null, v[12:13], v[12:13], v[8:9]
	s_delay_alu instid0(VALU_DEP_1) | instskip(SKIP_1) | instid1(TRANS32_DEP_1)
	v_rcp_f64_e32 v[16:17], v[14:15]
	v_nop
	v_fma_f64 v[20:21], -v[14:15], v[16:17], 1.0
	s_delay_alu instid0(VALU_DEP_1) | instskip(NEXT) | instid1(VALU_DEP_1)
	v_fmac_f64_e32 v[16:17], v[16:17], v[20:21]
	v_fma_f64 v[20:21], -v[14:15], v[16:17], 1.0
	s_delay_alu instid0(VALU_DEP_1) | instskip(SKIP_1) | instid1(VALU_DEP_1)
	v_fmac_f64_e32 v[16:17], v[16:17], v[20:21]
	v_div_scale_f64 v[20:21], vcc_lo, v[8:9], v[12:13], v[8:9]
	v_mul_f64_e32 v[22:23], v[20:21], v[16:17]
	s_delay_alu instid0(VALU_DEP_1) | instskip(NEXT) | instid1(VALU_DEP_1)
	v_fma_f64 v[14:15], -v[14:15], v[22:23], v[20:21]
	v_div_fmas_f64 v[14:15], v[14:15], v[16:17], v[22:23]
	s_delay_alu instid0(VALU_DEP_1)
	v_div_fixup_f64 v[8:9], v[14:15], v[12:13], v[8:9]
.LBB39_30:
	s_or_b32 exec_lo, exec_lo, s10
.LBB39_31:
	s_delay_alu instid0(SALU_CYCLE_1) | instskip(SKIP_2) | instid1(VALU_DEP_1)
	s_or_b32 exec_lo, exec_lo, s3
	v_or_b32_e32 v12, 0x300, v0
	s_mov_b32 s3, exec_lo
	v_cmpx_gt_i32_e64 s16, v12
	s_cbranch_execnz .LBB39_38
; %bb.32:
	s_or_b32 exec_lo, exec_lo, s3
	s_and_saveexec_b32 s1, s0
	s_delay_alu instid0(SALU_CYCLE_1)
	s_xor_b32 s0, exec_lo, s1
	s_cbranch_execnz .LBB39_41
.LBB39_33:
	s_or_b32 exec_lo, exec_lo, s0
	s_delay_alu instid0(SALU_CYCLE_1)
	s_mov_b32 s0, exec_lo
	v_cmpx_gt_i32_e64 s16, v0
	s_cbranch_execnz .LBB39_42
.LBB39_34:
	s_or_b32 exec_lo, exec_lo, s0
	s_delay_alu instid0(SALU_CYCLE_1)
	s_mov_b32 s0, exec_lo
	v_cmpx_gt_i32_e64 s16, v0
	s_cbranch_execnz .LBB39_43
.LBB39_35:
	s_or_b32 exec_lo, exec_lo, s0
	s_delay_alu instid0(SALU_CYCLE_1)
	s_mov_b32 s0, exec_lo
	v_cmpx_gt_i32_e64 s16, v0
	s_cbranch_execz .LBB39_37
.LBB39_36:
	v_add_nc_u32_e32 v0, s2, v0
	global_store_b64 v0, v[6:7], s[8:9] scale_offset
.LBB39_37:
	s_endpgm
.LBB39_38:
	v_mul_f64_e32 v[10:11], s[4:5], v[10:11]
	s_mov_b32 s4, exec_lo
	s_delay_alu instid0(VALU_DEP_1)
	v_cmpx_nlt_f64_e32 s[6:7], v[10:11]
	s_cbranch_execz .LBB39_40
; %bb.39:
	v_mul_f64_e32 v[12:13], 0x3ff71547652b82fe, v[10:11]
	s_mov_b64 s[6:7], 0x3e5ade156a5dcb37
	v_cmp_nlt_f64_e32 vcc_lo, 0x40900000, v[10:11]
	v_cmp_ngt_f64_e64 s1, 0xc090cc00, v[10:11]
	s_delay_alu instid0(VALU_DEP_3) | instskip(NEXT) | instid1(VALU_DEP_1)
	v_rndne_f64_e32 v[12:13], v[12:13]
	v_fmamk_f64 v[14:15], v[12:13], 0xbfe62e42fefa39ef, v[10:11]
	v_cvt_i32_f64_e32 v19, v[12:13]
	s_delay_alu instid0(VALU_DEP_2) | instskip(NEXT) | instid1(VALU_DEP_1)
	v_fmamk_f64 v[14:15], v[12:13], 0xbc7abc9e3b39803f, v[14:15]
	v_fmaak_f64 v[16:17], s[6:7], v[14:15], 0x3e928af3fca7ab0c
	s_delay_alu instid0(VALU_DEP_1) | instskip(NEXT) | instid1(VALU_DEP_1)
	v_fmaak_f64 v[16:17], v[14:15], v[16:17], 0x3ec71dee623fde64
	v_fmaak_f64 v[16:17], v[14:15], v[16:17], 0x3efa01997c89e6b0
	s_delay_alu instid0(VALU_DEP_1) | instskip(NEXT) | instid1(VALU_DEP_1)
	v_fmaak_f64 v[16:17], v[14:15], v[16:17], 0x3f2a01a014761f6e
	;; [unrolled: 3-line block ×4, first 2 shown]
	v_fmaak_f64 v[16:17], v[14:15], v[16:17], 0x3fe000000000000b
	s_delay_alu instid0(VALU_DEP_1) | instskip(NEXT) | instid1(VALU_DEP_1)
	v_fma_f64 v[16:17], v[14:15], v[16:17], 1.0
	v_fma_f64 v[12:13], v[14:15], v[16:17], 1.0
	s_delay_alu instid0(VALU_DEP_1) | instskip(NEXT) | instid1(VALU_DEP_1)
	v_ldexp_f64 v[12:13], v[12:13], v19
	v_cndmask_b32_e32 v13, 0x7ff00000, v13, vcc_lo
	s_and_b32 vcc_lo, s1, vcc_lo
	s_delay_alu instid0(VALU_DEP_1) | instid1(SALU_CYCLE_1)
	v_dual_cndmask_b32 v10, 0, v12, vcc_lo :: v_dual_cndmask_b32 v11, 0, v13, s1
	s_delay_alu instid0(VALU_DEP_1) | instskip(SKIP_1) | instid1(VALU_DEP_1)
	v_mul_f64_e32 v[6:7], v[6:7], v[10:11]
	v_add_f64_e32 v[10:11], 1.0, v[10:11]
	v_div_scale_f64 v[12:13], null, v[10:11], v[10:11], v[6:7]
	s_delay_alu instid0(VALU_DEP_1) | instskip(SKIP_1) | instid1(TRANS32_DEP_1)
	v_rcp_f64_e32 v[14:15], v[12:13]
	v_nop
	v_fma_f64 v[16:17], -v[12:13], v[14:15], 1.0
	s_delay_alu instid0(VALU_DEP_1) | instskip(NEXT) | instid1(VALU_DEP_1)
	v_fmac_f64_e32 v[14:15], v[14:15], v[16:17]
	v_fma_f64 v[16:17], -v[12:13], v[14:15], 1.0
	s_delay_alu instid0(VALU_DEP_1) | instskip(SKIP_1) | instid1(VALU_DEP_1)
	v_fmac_f64_e32 v[14:15], v[14:15], v[16:17]
	v_div_scale_f64 v[16:17], vcc_lo, v[6:7], v[10:11], v[6:7]
	v_mul_f64_e32 v[20:21], v[16:17], v[14:15]
	s_delay_alu instid0(VALU_DEP_1) | instskip(NEXT) | instid1(VALU_DEP_1)
	v_fma_f64 v[12:13], -v[12:13], v[20:21], v[16:17]
	v_div_fmas_f64 v[12:13], v[12:13], v[14:15], v[20:21]
	s_delay_alu instid0(VALU_DEP_1)
	v_div_fixup_f64 v[6:7], v[12:13], v[10:11], v[6:7]
.LBB39_40:
	s_or_b32 exec_lo, exec_lo, s4
	s_delay_alu instid0(SALU_CYCLE_1) | instskip(SKIP_1) | instid1(SALU_CYCLE_1)
	s_or_b32 exec_lo, exec_lo, s3
	s_and_saveexec_b32 s1, s0
	s_xor_b32 s0, exec_lo, s1
	s_cbranch_execz .LBB39_33
.LBB39_41:
	v_mov_b32_e32 v0, v18
	global_store_b64 v1, v[4:5], s[8:9] scale_offset
	s_wait_xcnt 0x0
	s_or_b32 exec_lo, exec_lo, s0
	s_delay_alu instid0(SALU_CYCLE_1)
	s_mov_b32 s0, exec_lo
	v_cmpx_gt_i32_e64 s16, v0
	s_cbranch_execz .LBB39_34
.LBB39_42:
	v_add_nc_u32_e32 v1, s2, v0
	v_add_nc_u32_e32 v0, 0x100, v0
	global_store_b64 v1, v[2:3], s[8:9] scale_offset
	s_wait_xcnt 0x0
	s_or_b32 exec_lo, exec_lo, s0
	s_delay_alu instid0(SALU_CYCLE_1)
	s_mov_b32 s0, exec_lo
	v_cmpx_gt_i32_e64 s16, v0
	s_cbranch_execz .LBB39_35
.LBB39_43:
	v_add_nc_u32_e32 v1, s2, v0
	v_add_nc_u32_e32 v0, 0x100, v0
	global_store_b64 v1, v[8:9], s[8:9] scale_offset
	s_wait_xcnt 0x0
	s_or_b32 exec_lo, exec_lo, s0
	s_delay_alu instid0(SALU_CYCLE_1)
	s_mov_b32 s0, exec_lo
	v_cmpx_gt_i32_e64 s16, v0
	s_cbranch_execnz .LBB39_36
	s_branch .LBB39_37
	.section	.rodata,"a",@progbits
	.p2align	6, 0x0
	.amdhsa_kernel _ZN2at6native29vectorized_elementwise_kernelILi2EZZZNS0_12_GLOBAL__N_124softplus_backward_kernelERNS_18TensorIteratorBaseERKN3c106ScalarES8_ENKUlvE_clEvENKUlvE_clEvEUlddE_St5arrayIPcLm3EEEEviT0_T1_
		.amdhsa_group_segment_fixed_size 0
		.amdhsa_private_segment_fixed_size 0
		.amdhsa_kernarg_size 48
		.amdhsa_user_sgpr_count 2
		.amdhsa_user_sgpr_dispatch_ptr 0
		.amdhsa_user_sgpr_queue_ptr 0
		.amdhsa_user_sgpr_kernarg_segment_ptr 1
		.amdhsa_user_sgpr_dispatch_id 0
		.amdhsa_user_sgpr_kernarg_preload_length 0
		.amdhsa_user_sgpr_kernarg_preload_offset 0
		.amdhsa_user_sgpr_private_segment_size 0
		.amdhsa_wavefront_size32 1
		.amdhsa_uses_dynamic_stack 0
		.amdhsa_enable_private_segment 0
		.amdhsa_system_sgpr_workgroup_id_x 1
		.amdhsa_system_sgpr_workgroup_id_y 0
		.amdhsa_system_sgpr_workgroup_id_z 0
		.amdhsa_system_sgpr_workgroup_info 0
		.amdhsa_system_vgpr_workitem_id 0
		.amdhsa_next_free_vgpr 28
		.amdhsa_next_free_sgpr 20
		.amdhsa_named_barrier_count 0
		.amdhsa_reserve_vcc 1
		.amdhsa_float_round_mode_32 0
		.amdhsa_float_round_mode_16_64 0
		.amdhsa_float_denorm_mode_32 3
		.amdhsa_float_denorm_mode_16_64 3
		.amdhsa_fp16_overflow 0
		.amdhsa_memory_ordered 1
		.amdhsa_forward_progress 1
		.amdhsa_inst_pref_size 33
		.amdhsa_round_robin_scheduling 0
		.amdhsa_exception_fp_ieee_invalid_op 0
		.amdhsa_exception_fp_denorm_src 0
		.amdhsa_exception_fp_ieee_div_zero 0
		.amdhsa_exception_fp_ieee_overflow 0
		.amdhsa_exception_fp_ieee_underflow 0
		.amdhsa_exception_fp_ieee_inexact 0
		.amdhsa_exception_int_div_zero 0
	.end_amdhsa_kernel
	.section	.text._ZN2at6native29vectorized_elementwise_kernelILi2EZZZNS0_12_GLOBAL__N_124softplus_backward_kernelERNS_18TensorIteratorBaseERKN3c106ScalarES8_ENKUlvE_clEvENKUlvE_clEvEUlddE_St5arrayIPcLm3EEEEviT0_T1_,"axG",@progbits,_ZN2at6native29vectorized_elementwise_kernelILi2EZZZNS0_12_GLOBAL__N_124softplus_backward_kernelERNS_18TensorIteratorBaseERKN3c106ScalarES8_ENKUlvE_clEvENKUlvE_clEvEUlddE_St5arrayIPcLm3EEEEviT0_T1_,comdat
.Lfunc_end39:
	.size	_ZN2at6native29vectorized_elementwise_kernelILi2EZZZNS0_12_GLOBAL__N_124softplus_backward_kernelERNS_18TensorIteratorBaseERKN3c106ScalarES8_ENKUlvE_clEvENKUlvE_clEvEUlddE_St5arrayIPcLm3EEEEviT0_T1_, .Lfunc_end39-_ZN2at6native29vectorized_elementwise_kernelILi2EZZZNS0_12_GLOBAL__N_124softplus_backward_kernelERNS_18TensorIteratorBaseERKN3c106ScalarES8_ENKUlvE_clEvENKUlvE_clEvEUlddE_St5arrayIPcLm3EEEEviT0_T1_
                                        ; -- End function
	.set _ZN2at6native29vectorized_elementwise_kernelILi2EZZZNS0_12_GLOBAL__N_124softplus_backward_kernelERNS_18TensorIteratorBaseERKN3c106ScalarES8_ENKUlvE_clEvENKUlvE_clEvEUlddE_St5arrayIPcLm3EEEEviT0_T1_.num_vgpr, 28
	.set _ZN2at6native29vectorized_elementwise_kernelILi2EZZZNS0_12_GLOBAL__N_124softplus_backward_kernelERNS_18TensorIteratorBaseERKN3c106ScalarES8_ENKUlvE_clEvENKUlvE_clEvEUlddE_St5arrayIPcLm3EEEEviT0_T1_.num_agpr, 0
	.set _ZN2at6native29vectorized_elementwise_kernelILi2EZZZNS0_12_GLOBAL__N_124softplus_backward_kernelERNS_18TensorIteratorBaseERKN3c106ScalarES8_ENKUlvE_clEvENKUlvE_clEvEUlddE_St5arrayIPcLm3EEEEviT0_T1_.numbered_sgpr, 20
	.set _ZN2at6native29vectorized_elementwise_kernelILi2EZZZNS0_12_GLOBAL__N_124softplus_backward_kernelERNS_18TensorIteratorBaseERKN3c106ScalarES8_ENKUlvE_clEvENKUlvE_clEvEUlddE_St5arrayIPcLm3EEEEviT0_T1_.num_named_barrier, 0
	.set _ZN2at6native29vectorized_elementwise_kernelILi2EZZZNS0_12_GLOBAL__N_124softplus_backward_kernelERNS_18TensorIteratorBaseERKN3c106ScalarES8_ENKUlvE_clEvENKUlvE_clEvEUlddE_St5arrayIPcLm3EEEEviT0_T1_.private_seg_size, 0
	.set _ZN2at6native29vectorized_elementwise_kernelILi2EZZZNS0_12_GLOBAL__N_124softplus_backward_kernelERNS_18TensorIteratorBaseERKN3c106ScalarES8_ENKUlvE_clEvENKUlvE_clEvEUlddE_St5arrayIPcLm3EEEEviT0_T1_.uses_vcc, 1
	.set _ZN2at6native29vectorized_elementwise_kernelILi2EZZZNS0_12_GLOBAL__N_124softplus_backward_kernelERNS_18TensorIteratorBaseERKN3c106ScalarES8_ENKUlvE_clEvENKUlvE_clEvEUlddE_St5arrayIPcLm3EEEEviT0_T1_.uses_flat_scratch, 0
	.set _ZN2at6native29vectorized_elementwise_kernelILi2EZZZNS0_12_GLOBAL__N_124softplus_backward_kernelERNS_18TensorIteratorBaseERKN3c106ScalarES8_ENKUlvE_clEvENKUlvE_clEvEUlddE_St5arrayIPcLm3EEEEviT0_T1_.has_dyn_sized_stack, 0
	.set _ZN2at6native29vectorized_elementwise_kernelILi2EZZZNS0_12_GLOBAL__N_124softplus_backward_kernelERNS_18TensorIteratorBaseERKN3c106ScalarES8_ENKUlvE_clEvENKUlvE_clEvEUlddE_St5arrayIPcLm3EEEEviT0_T1_.has_recursion, 0
	.set _ZN2at6native29vectorized_elementwise_kernelILi2EZZZNS0_12_GLOBAL__N_124softplus_backward_kernelERNS_18TensorIteratorBaseERKN3c106ScalarES8_ENKUlvE_clEvENKUlvE_clEvEUlddE_St5arrayIPcLm3EEEEviT0_T1_.has_indirect_call, 0
	.section	.AMDGPU.csdata,"",@progbits
; Kernel info:
; codeLenInByte = 4172
; TotalNumSgprs: 22
; NumVgprs: 28
; ScratchSize: 0
; MemoryBound: 0
; FloatMode: 240
; IeeeMode: 1
; LDSByteSize: 0 bytes/workgroup (compile time only)
; SGPRBlocks: 0
; VGPRBlocks: 1
; NumSGPRsForWavesPerEU: 22
; NumVGPRsForWavesPerEU: 28
; NamedBarCnt: 0
; Occupancy: 16
; WaveLimiterHint : 1
; COMPUTE_PGM_RSRC2:SCRATCH_EN: 0
; COMPUTE_PGM_RSRC2:USER_SGPR: 2
; COMPUTE_PGM_RSRC2:TRAP_HANDLER: 0
; COMPUTE_PGM_RSRC2:TGID_X_EN: 1
; COMPUTE_PGM_RSRC2:TGID_Y_EN: 0
; COMPUTE_PGM_RSRC2:TGID_Z_EN: 0
; COMPUTE_PGM_RSRC2:TIDIG_COMP_CNT: 0
	.section	.text._ZN2at6native27unrolled_elementwise_kernelIZZZNS0_12_GLOBAL__N_124softplus_backward_kernelERNS_18TensorIteratorBaseERKN3c106ScalarES8_ENKUlvE_clEvENKUlvE_clEvEUlddE_St5arrayIPcLm3EELi4E23TrivialOffsetCalculatorILi2EjESF_ILi1EjENS0_6memory15LoadWithoutCastENSI_16StoreWithoutCastEEEviT_T0_T2_T3_T4_T5_,"axG",@progbits,_ZN2at6native27unrolled_elementwise_kernelIZZZNS0_12_GLOBAL__N_124softplus_backward_kernelERNS_18TensorIteratorBaseERKN3c106ScalarES8_ENKUlvE_clEvENKUlvE_clEvEUlddE_St5arrayIPcLm3EELi4E23TrivialOffsetCalculatorILi2EjESF_ILi1EjENS0_6memory15LoadWithoutCastENSI_16StoreWithoutCastEEEviT_T0_T2_T3_T4_T5_,comdat
	.globl	_ZN2at6native27unrolled_elementwise_kernelIZZZNS0_12_GLOBAL__N_124softplus_backward_kernelERNS_18TensorIteratorBaseERKN3c106ScalarES8_ENKUlvE_clEvENKUlvE_clEvEUlddE_St5arrayIPcLm3EELi4E23TrivialOffsetCalculatorILi2EjESF_ILi1EjENS0_6memory15LoadWithoutCastENSI_16StoreWithoutCastEEEviT_T0_T2_T3_T4_T5_ ; -- Begin function _ZN2at6native27unrolled_elementwise_kernelIZZZNS0_12_GLOBAL__N_124softplus_backward_kernelERNS_18TensorIteratorBaseERKN3c106ScalarES8_ENKUlvE_clEvENKUlvE_clEvEUlddE_St5arrayIPcLm3EELi4E23TrivialOffsetCalculatorILi2EjESF_ILi1EjENS0_6memory15LoadWithoutCastENSI_16StoreWithoutCastEEEviT_T0_T2_T3_T4_T5_
	.p2align	8
	.type	_ZN2at6native27unrolled_elementwise_kernelIZZZNS0_12_GLOBAL__N_124softplus_backward_kernelERNS_18TensorIteratorBaseERKN3c106ScalarES8_ENKUlvE_clEvENKUlvE_clEvEUlddE_St5arrayIPcLm3EELi4E23TrivialOffsetCalculatorILi2EjESF_ILi1EjENS0_6memory15LoadWithoutCastENSI_16StoreWithoutCastEEEviT_T0_T2_T3_T4_T5_,@function
_ZN2at6native27unrolled_elementwise_kernelIZZZNS0_12_GLOBAL__N_124softplus_backward_kernelERNS_18TensorIteratorBaseERKN3c106ScalarES8_ENKUlvE_clEvENKUlvE_clEvEUlddE_St5arrayIPcLm3EELi4E23TrivialOffsetCalculatorILi2EjESF_ILi1EjENS0_6memory15LoadWithoutCastENSI_16StoreWithoutCastEEEviT_T0_T2_T3_T4_T5_: ; @_ZN2at6native27unrolled_elementwise_kernelIZZZNS0_12_GLOBAL__N_124softplus_backward_kernelERNS_18TensorIteratorBaseERKN3c106ScalarES8_ENKUlvE_clEvENKUlvE_clEvEUlddE_St5arrayIPcLm3EELi4E23TrivialOffsetCalculatorILi2EjESF_ILi1EjENS0_6memory15LoadWithoutCastENSI_16StoreWithoutCastEEEviT_T0_T2_T3_T4_T5_
; %bb.0:
	s_load_b32 s13, s[0:1], 0x0
	s_bfe_u32 s14, ttmp6, 0x4000c
	s_clause 0x1
	s_load_b256 s[4:11], s[0:1], 0x8
	s_load_b64 s[2:3], s[0:1], 0x28
	s_add_co_i32 s14, s14, 1
	s_and_b32 s12, ttmp6, 15
	s_wait_xcnt 0x0
	s_mul_i32 s1, ttmp9, s14
	s_getreg_b32 s0, hwreg(HW_REG_IB_STS2, 6, 4)
	s_add_co_i32 s12, s12, s1
	s_cmp_eq_u32 s0, 0
	v_mov_b64_e32 v[2:3], 0
	s_cselect_b32 s0, ttmp9, s12
	v_mov_b64_e32 v[4:5], 0
	s_lshl_b32 s12, s0, 10
	v_mov_b64_e32 v[16:17], 0
	v_or_b32_e32 v1, 0x100, v0
	v_dual_mov_b32 v19, v0 :: v_dual_bitop2_b32 v18, s12, v0 bitop3:0x54
	s_wait_kmcnt 0x0
	s_sub_co_i32 s13, s13, s12
	s_delay_alu instid0(SALU_CYCLE_1)
	v_cmp_gt_i32_e64 s0, s13, v0
	s_and_saveexec_b32 s1, s0
	s_cbranch_execz .LBB40_2
; %bb.1:
	s_clause 0x1
	global_load_b64 v[4:5], v18, s[10:11] scale_offset
	global_load_b64 v[16:17], v18, s[2:3] scale_offset
	v_or_b32_e32 v19, 0x100, v0
.LBB40_2:
	s_wait_xcnt 0x0
	s_or_b32 exec_lo, exec_lo, s1
	v_mov_b64_e32 v[14:15], 0
	s_mov_b32 s1, exec_lo
	v_cmpx_gt_i32_e64 s13, v19
	s_cbranch_execz .LBB40_4
; %bb.3:
	v_add_nc_u32_e32 v6, s12, v19
	v_add_nc_u32_e32 v19, 0x100, v19
	s_clause 0x1
	global_load_b64 v[2:3], v6, s[10:11] scale_offset
	global_load_b64 v[14:15], v6, s[2:3] scale_offset
.LBB40_4:
	s_wait_xcnt 0x0
	s_or_b32 exec_lo, exec_lo, s1
	v_mov_b64_e32 v[6:7], 0
	v_mov_b64_e32 v[8:9], 0
	;; [unrolled: 1-line block ×3, first 2 shown]
	s_mov_b32 s1, exec_lo
	v_cmpx_gt_i32_e64 s13, v19
	s_cbranch_execz .LBB40_6
; %bb.5:
	v_add_nc_u32_e32 v10, s12, v19
	v_add_nc_u32_e32 v19, 0x100, v19
	s_clause 0x1
	global_load_b64 v[8:9], v10, s[10:11] scale_offset
	global_load_b64 v[12:13], v10, s[2:3] scale_offset
.LBB40_6:
	s_wait_xcnt 0x0
	s_or_b32 exec_lo, exec_lo, s1
	v_mov_b64_e32 v[10:11], 0
	s_mov_b32 s1, exec_lo
	v_cmpx_gt_i32_e64 s13, v19
	s_cbranch_execnz .LBB40_9
; %bb.7:
	s_or_b32 exec_lo, exec_lo, s1
	s_and_saveexec_b32 s2, s0
	s_cbranch_execnz .LBB40_10
.LBB40_8:
	s_or_b32 exec_lo, exec_lo, s2
	s_delay_alu instid0(SALU_CYCLE_1)
	s_mov_b32 s2, exec_lo
	v_cmpx_gt_i32_e64 s13, v1
	s_cbranch_execnz .LBB40_13
	s_branch .LBB40_16
.LBB40_9:
	v_add_nc_u32_e32 v19, s12, v19
	s_clause 0x1
	global_load_b64 v[6:7], v19, s[10:11] scale_offset
	global_load_b64 v[10:11], v19, s[2:3] scale_offset
	s_wait_xcnt 0x0
	s_or_b32 exec_lo, exec_lo, s1
	s_and_saveexec_b32 s2, s0
	s_cbranch_execz .LBB40_8
.LBB40_10:
	s_wait_loadcnt 0x0
	v_mul_f64_e32 v[16:17], s[4:5], v[16:17]
	s_mov_b32 s3, exec_lo
	s_delay_alu instid0(VALU_DEP_1)
	v_cmpx_nlt_f64_e32 s[6:7], v[16:17]
	s_cbranch_execz .LBB40_12
; %bb.11:
	v_mul_f64_e32 v[20:21], 0x3ff71547652b82fe, v[16:17]
	s_mov_b64 s[10:11], 0x3e5ade156a5dcb37
	v_cmp_nlt_f64_e32 vcc_lo, 0x40900000, v[16:17]
	v_cmp_ngt_f64_e64 s1, 0xc090cc00, v[16:17]
	s_delay_alu instid0(VALU_DEP_3) | instskip(NEXT) | instid1(VALU_DEP_1)
	v_rndne_f64_e32 v[20:21], v[20:21]
	v_fmamk_f64 v[22:23], v[20:21], 0xbfe62e42fefa39ef, v[16:17]
	v_cvt_i32_f64_e32 v19, v[20:21]
	s_delay_alu instid0(VALU_DEP_2) | instskip(NEXT) | instid1(VALU_DEP_1)
	v_fmamk_f64 v[22:23], v[20:21], 0xbc7abc9e3b39803f, v[22:23]
	v_fmaak_f64 v[24:25], s[10:11], v[22:23], 0x3e928af3fca7ab0c
	s_delay_alu instid0(VALU_DEP_1) | instskip(NEXT) | instid1(VALU_DEP_1)
	v_fmaak_f64 v[24:25], v[22:23], v[24:25], 0x3ec71dee623fde64
	v_fmaak_f64 v[24:25], v[22:23], v[24:25], 0x3efa01997c89e6b0
	s_delay_alu instid0(VALU_DEP_1) | instskip(NEXT) | instid1(VALU_DEP_1)
	v_fmaak_f64 v[24:25], v[22:23], v[24:25], 0x3f2a01a014761f6e
	;; [unrolled: 3-line block ×4, first 2 shown]
	v_fmaak_f64 v[24:25], v[22:23], v[24:25], 0x3fe000000000000b
	s_delay_alu instid0(VALU_DEP_1) | instskip(NEXT) | instid1(VALU_DEP_1)
	v_fma_f64 v[24:25], v[22:23], v[24:25], 1.0
	v_fma_f64 v[20:21], v[22:23], v[24:25], 1.0
	s_delay_alu instid0(VALU_DEP_1) | instskip(NEXT) | instid1(VALU_DEP_1)
	v_ldexp_f64 v[20:21], v[20:21], v19
	v_cndmask_b32_e32 v19, 0x7ff00000, v21, vcc_lo
	s_and_b32 vcc_lo, s1, vcc_lo
	s_delay_alu instid0(VALU_DEP_1) | instid1(SALU_CYCLE_1)
	v_dual_cndmask_b32 v16, 0, v20, vcc_lo :: v_dual_cndmask_b32 v17, 0, v19, s1
	s_delay_alu instid0(VALU_DEP_1) | instskip(SKIP_1) | instid1(VALU_DEP_1)
	v_mul_f64_e32 v[4:5], v[4:5], v[16:17]
	v_add_f64_e32 v[16:17], 1.0, v[16:17]
	v_div_scale_f64 v[20:21], null, v[16:17], v[16:17], v[4:5]
	s_delay_alu instid0(VALU_DEP_1) | instskip(SKIP_1) | instid1(TRANS32_DEP_1)
	v_rcp_f64_e32 v[22:23], v[20:21]
	v_nop
	v_fma_f64 v[24:25], -v[20:21], v[22:23], 1.0
	s_delay_alu instid0(VALU_DEP_1) | instskip(NEXT) | instid1(VALU_DEP_1)
	v_fmac_f64_e32 v[22:23], v[22:23], v[24:25]
	v_fma_f64 v[24:25], -v[20:21], v[22:23], 1.0
	s_delay_alu instid0(VALU_DEP_1) | instskip(SKIP_1) | instid1(VALU_DEP_1)
	v_fmac_f64_e32 v[22:23], v[22:23], v[24:25]
	v_div_scale_f64 v[24:25], vcc_lo, v[4:5], v[16:17], v[4:5]
	v_mul_f64_e32 v[26:27], v[24:25], v[22:23]
	s_delay_alu instid0(VALU_DEP_1) | instskip(NEXT) | instid1(VALU_DEP_1)
	v_fma_f64 v[20:21], -v[20:21], v[26:27], v[24:25]
	v_div_fmas_f64 v[20:21], v[20:21], v[22:23], v[26:27]
	s_delay_alu instid0(VALU_DEP_1)
	v_div_fixup_f64 v[4:5], v[20:21], v[16:17], v[4:5]
.LBB40_12:
	s_or_b32 exec_lo, exec_lo, s3
	s_delay_alu instid0(SALU_CYCLE_1) | instskip(NEXT) | instid1(SALU_CYCLE_1)
	s_or_b32 exec_lo, exec_lo, s2
	s_mov_b32 s2, exec_lo
	v_cmpx_gt_i32_e64 s13, v1
	s_cbranch_execz .LBB40_16
.LBB40_13:
	s_wait_loadcnt 0x0
	v_mul_f64_e32 v[14:15], s[4:5], v[14:15]
	s_mov_b32 s3, exec_lo
	s_delay_alu instid0(VALU_DEP_1)
	v_cmpx_nlt_f64_e32 s[6:7], v[14:15]
	s_cbranch_execz .LBB40_15
; %bb.14:
	v_mul_f64_e32 v[16:17], 0x3ff71547652b82fe, v[14:15]
	s_mov_b64 s[10:11], 0x3e5ade156a5dcb37
	v_cmp_nlt_f64_e32 vcc_lo, 0x40900000, v[14:15]
	v_cmp_ngt_f64_e64 s1, 0xc090cc00, v[14:15]
	s_delay_alu instid0(VALU_DEP_3) | instskip(NEXT) | instid1(VALU_DEP_1)
	v_rndne_f64_e32 v[16:17], v[16:17]
	v_fmamk_f64 v[20:21], v[16:17], 0xbfe62e42fefa39ef, v[14:15]
	v_cvt_i32_f64_e32 v19, v[16:17]
	s_delay_alu instid0(VALU_DEP_2) | instskip(NEXT) | instid1(VALU_DEP_1)
	v_fmamk_f64 v[20:21], v[16:17], 0xbc7abc9e3b39803f, v[20:21]
	v_fmaak_f64 v[22:23], s[10:11], v[20:21], 0x3e928af3fca7ab0c
	s_delay_alu instid0(VALU_DEP_1) | instskip(NEXT) | instid1(VALU_DEP_1)
	v_fmaak_f64 v[22:23], v[20:21], v[22:23], 0x3ec71dee623fde64
	v_fmaak_f64 v[22:23], v[20:21], v[22:23], 0x3efa01997c89e6b0
	s_delay_alu instid0(VALU_DEP_1) | instskip(NEXT) | instid1(VALU_DEP_1)
	v_fmaak_f64 v[22:23], v[20:21], v[22:23], 0x3f2a01a014761f6e
	;; [unrolled: 3-line block ×4, first 2 shown]
	v_fmaak_f64 v[22:23], v[20:21], v[22:23], 0x3fe000000000000b
	s_delay_alu instid0(VALU_DEP_1) | instskip(NEXT) | instid1(VALU_DEP_1)
	v_fma_f64 v[22:23], v[20:21], v[22:23], 1.0
	v_fma_f64 v[16:17], v[20:21], v[22:23], 1.0
	s_delay_alu instid0(VALU_DEP_1) | instskip(NEXT) | instid1(VALU_DEP_1)
	v_ldexp_f64 v[16:17], v[16:17], v19
	v_cndmask_b32_e32 v17, 0x7ff00000, v17, vcc_lo
	s_and_b32 vcc_lo, s1, vcc_lo
	s_delay_alu instid0(VALU_DEP_1) | instid1(SALU_CYCLE_1)
	v_dual_cndmask_b32 v14, 0, v16, vcc_lo :: v_dual_cndmask_b32 v15, 0, v17, s1
	s_delay_alu instid0(VALU_DEP_1) | instskip(SKIP_1) | instid1(VALU_DEP_1)
	v_mul_f64_e32 v[2:3], v[2:3], v[14:15]
	v_add_f64_e32 v[14:15], 1.0, v[14:15]
	v_div_scale_f64 v[16:17], null, v[14:15], v[14:15], v[2:3]
	s_delay_alu instid0(VALU_DEP_1) | instskip(SKIP_1) | instid1(TRANS32_DEP_1)
	v_rcp_f64_e32 v[20:21], v[16:17]
	v_nop
	v_fma_f64 v[22:23], -v[16:17], v[20:21], 1.0
	s_delay_alu instid0(VALU_DEP_1) | instskip(NEXT) | instid1(VALU_DEP_1)
	v_fmac_f64_e32 v[20:21], v[20:21], v[22:23]
	v_fma_f64 v[22:23], -v[16:17], v[20:21], 1.0
	s_delay_alu instid0(VALU_DEP_1) | instskip(SKIP_1) | instid1(VALU_DEP_1)
	v_fmac_f64_e32 v[20:21], v[20:21], v[22:23]
	v_div_scale_f64 v[22:23], vcc_lo, v[2:3], v[14:15], v[2:3]
	v_mul_f64_e32 v[24:25], v[22:23], v[20:21]
	s_delay_alu instid0(VALU_DEP_1) | instskip(NEXT) | instid1(VALU_DEP_1)
	v_fma_f64 v[16:17], -v[16:17], v[24:25], v[22:23]
	v_div_fmas_f64 v[16:17], v[16:17], v[20:21], v[24:25]
	s_delay_alu instid0(VALU_DEP_1)
	v_div_fixup_f64 v[2:3], v[16:17], v[14:15], v[2:3]
.LBB40_15:
	s_or_b32 exec_lo, exec_lo, s3
.LBB40_16:
	s_delay_alu instid0(SALU_CYCLE_1) | instskip(SKIP_3) | instid1(VALU_DEP_1)
	s_or_b32 exec_lo, exec_lo, s2
	s_wait_loadcnt 0x0
	v_or_b32_e32 v14, 0x200, v0
	s_mov_b32 s2, exec_lo
	v_cmpx_gt_i32_e64 s13, v14
	s_cbranch_execz .LBB40_20
; %bb.17:
	v_mul_f64_e32 v[12:13], s[4:5], v[12:13]
	s_mov_b32 s3, exec_lo
	s_delay_alu instid0(VALU_DEP_1)
	v_cmpx_nlt_f64_e32 s[6:7], v[12:13]
	s_cbranch_execz .LBB40_19
; %bb.18:
	v_mul_f64_e32 v[14:15], 0x3ff71547652b82fe, v[12:13]
	s_mov_b64 s[10:11], 0x3e5ade156a5dcb37
	v_cmp_nlt_f64_e32 vcc_lo, 0x40900000, v[12:13]
	v_cmp_ngt_f64_e64 s1, 0xc090cc00, v[12:13]
	s_delay_alu instid0(VALU_DEP_3) | instskip(NEXT) | instid1(VALU_DEP_1)
	v_rndne_f64_e32 v[14:15], v[14:15]
	v_fmamk_f64 v[16:17], v[14:15], 0xbfe62e42fefa39ef, v[12:13]
	v_cvt_i32_f64_e32 v19, v[14:15]
	s_delay_alu instid0(VALU_DEP_2) | instskip(NEXT) | instid1(VALU_DEP_1)
	v_fmamk_f64 v[16:17], v[14:15], 0xbc7abc9e3b39803f, v[16:17]
	v_fmaak_f64 v[20:21], s[10:11], v[16:17], 0x3e928af3fca7ab0c
	s_delay_alu instid0(VALU_DEP_1) | instskip(NEXT) | instid1(VALU_DEP_1)
	v_fmaak_f64 v[20:21], v[16:17], v[20:21], 0x3ec71dee623fde64
	v_fmaak_f64 v[20:21], v[16:17], v[20:21], 0x3efa01997c89e6b0
	s_delay_alu instid0(VALU_DEP_1) | instskip(NEXT) | instid1(VALU_DEP_1)
	v_fmaak_f64 v[20:21], v[16:17], v[20:21], 0x3f2a01a014761f6e
	;; [unrolled: 3-line block ×4, first 2 shown]
	v_fmaak_f64 v[20:21], v[16:17], v[20:21], 0x3fe000000000000b
	s_delay_alu instid0(VALU_DEP_1) | instskip(NEXT) | instid1(VALU_DEP_1)
	v_fma_f64 v[20:21], v[16:17], v[20:21], 1.0
	v_fma_f64 v[14:15], v[16:17], v[20:21], 1.0
	s_delay_alu instid0(VALU_DEP_1) | instskip(NEXT) | instid1(VALU_DEP_1)
	v_ldexp_f64 v[14:15], v[14:15], v19
	v_cndmask_b32_e32 v15, 0x7ff00000, v15, vcc_lo
	s_and_b32 vcc_lo, s1, vcc_lo
	s_delay_alu instid0(VALU_DEP_1) | instid1(SALU_CYCLE_1)
	v_dual_cndmask_b32 v12, 0, v14, vcc_lo :: v_dual_cndmask_b32 v13, 0, v15, s1
	s_delay_alu instid0(VALU_DEP_1) | instskip(SKIP_1) | instid1(VALU_DEP_1)
	v_mul_f64_e32 v[8:9], v[8:9], v[12:13]
	v_add_f64_e32 v[12:13], 1.0, v[12:13]
	v_div_scale_f64 v[14:15], null, v[12:13], v[12:13], v[8:9]
	s_delay_alu instid0(VALU_DEP_1) | instskip(SKIP_1) | instid1(TRANS32_DEP_1)
	v_rcp_f64_e32 v[16:17], v[14:15]
	v_nop
	v_fma_f64 v[20:21], -v[14:15], v[16:17], 1.0
	s_delay_alu instid0(VALU_DEP_1) | instskip(NEXT) | instid1(VALU_DEP_1)
	v_fmac_f64_e32 v[16:17], v[16:17], v[20:21]
	v_fma_f64 v[20:21], -v[14:15], v[16:17], 1.0
	s_delay_alu instid0(VALU_DEP_1) | instskip(SKIP_1) | instid1(VALU_DEP_1)
	v_fmac_f64_e32 v[16:17], v[16:17], v[20:21]
	v_div_scale_f64 v[20:21], vcc_lo, v[8:9], v[12:13], v[8:9]
	v_mul_f64_e32 v[22:23], v[20:21], v[16:17]
	s_delay_alu instid0(VALU_DEP_1) | instskip(NEXT) | instid1(VALU_DEP_1)
	v_fma_f64 v[14:15], -v[14:15], v[22:23], v[20:21]
	v_div_fmas_f64 v[14:15], v[14:15], v[16:17], v[22:23]
	s_delay_alu instid0(VALU_DEP_1)
	v_div_fixup_f64 v[8:9], v[14:15], v[12:13], v[8:9]
.LBB40_19:
	s_or_b32 exec_lo, exec_lo, s3
.LBB40_20:
	s_delay_alu instid0(SALU_CYCLE_1) | instskip(SKIP_2) | instid1(VALU_DEP_1)
	s_or_b32 exec_lo, exec_lo, s2
	v_or_b32_e32 v12, 0x300, v0
	s_mov_b32 s2, exec_lo
	v_cmpx_gt_i32_e64 s13, v12
	s_cbranch_execnz .LBB40_26
; %bb.21:
	s_or_b32 exec_lo, exec_lo, s2
	s_and_saveexec_b32 s1, s0
	s_delay_alu instid0(SALU_CYCLE_1)
	s_xor_b32 s0, exec_lo, s1
	s_cbranch_execnz .LBB40_29
.LBB40_22:
	s_or_b32 exec_lo, exec_lo, s0
	s_delay_alu instid0(SALU_CYCLE_1)
	s_mov_b32 s0, exec_lo
	v_cmpx_gt_i32_e64 s13, v0
	s_cbranch_execnz .LBB40_30
.LBB40_23:
	s_or_b32 exec_lo, exec_lo, s0
	s_delay_alu instid0(SALU_CYCLE_1)
	s_mov_b32 s0, exec_lo
	v_cmpx_gt_i32_e64 s13, v0
	s_cbranch_execnz .LBB40_31
.LBB40_24:
	s_or_b32 exec_lo, exec_lo, s0
	s_delay_alu instid0(SALU_CYCLE_1)
	s_mov_b32 s0, exec_lo
	v_cmpx_gt_i32_e64 s13, v0
	s_cbranch_execnz .LBB40_32
.LBB40_25:
	s_endpgm
.LBB40_26:
	v_mul_f64_e32 v[10:11], s[4:5], v[10:11]
	s_mov_b32 s3, exec_lo
	s_delay_alu instid0(VALU_DEP_1)
	v_cmpx_nlt_f64_e32 s[6:7], v[10:11]
	s_cbranch_execz .LBB40_28
; %bb.27:
	v_mul_f64_e32 v[12:13], 0x3ff71547652b82fe, v[10:11]
	s_mov_b64 s[4:5], 0x3e5ade156a5dcb37
	v_cmp_nlt_f64_e32 vcc_lo, 0x40900000, v[10:11]
	v_cmp_ngt_f64_e64 s1, 0xc090cc00, v[10:11]
	s_delay_alu instid0(VALU_DEP_3) | instskip(NEXT) | instid1(VALU_DEP_1)
	v_rndne_f64_e32 v[12:13], v[12:13]
	v_fmamk_f64 v[14:15], v[12:13], 0xbfe62e42fefa39ef, v[10:11]
	v_cvt_i32_f64_e32 v19, v[12:13]
	s_delay_alu instid0(VALU_DEP_2) | instskip(NEXT) | instid1(VALU_DEP_1)
	v_fmamk_f64 v[14:15], v[12:13], 0xbc7abc9e3b39803f, v[14:15]
	v_fmaak_f64 v[16:17], s[4:5], v[14:15], 0x3e928af3fca7ab0c
	s_delay_alu instid0(VALU_DEP_1) | instskip(NEXT) | instid1(VALU_DEP_1)
	v_fmaak_f64 v[16:17], v[14:15], v[16:17], 0x3ec71dee623fde64
	v_fmaak_f64 v[16:17], v[14:15], v[16:17], 0x3efa01997c89e6b0
	s_delay_alu instid0(VALU_DEP_1) | instskip(NEXT) | instid1(VALU_DEP_1)
	v_fmaak_f64 v[16:17], v[14:15], v[16:17], 0x3f2a01a014761f6e
	;; [unrolled: 3-line block ×4, first 2 shown]
	v_fmaak_f64 v[16:17], v[14:15], v[16:17], 0x3fe000000000000b
	s_delay_alu instid0(VALU_DEP_1) | instskip(NEXT) | instid1(VALU_DEP_1)
	v_fma_f64 v[16:17], v[14:15], v[16:17], 1.0
	v_fma_f64 v[12:13], v[14:15], v[16:17], 1.0
	s_delay_alu instid0(VALU_DEP_1) | instskip(NEXT) | instid1(VALU_DEP_1)
	v_ldexp_f64 v[12:13], v[12:13], v19
	v_cndmask_b32_e32 v13, 0x7ff00000, v13, vcc_lo
	s_and_b32 vcc_lo, s1, vcc_lo
	s_delay_alu instid0(VALU_DEP_1) | instid1(SALU_CYCLE_1)
	v_dual_cndmask_b32 v10, 0, v12, vcc_lo :: v_dual_cndmask_b32 v11, 0, v13, s1
	s_delay_alu instid0(VALU_DEP_1) | instskip(SKIP_1) | instid1(VALU_DEP_1)
	v_mul_f64_e32 v[6:7], v[6:7], v[10:11]
	v_add_f64_e32 v[10:11], 1.0, v[10:11]
	v_div_scale_f64 v[12:13], null, v[10:11], v[10:11], v[6:7]
	s_delay_alu instid0(VALU_DEP_1) | instskip(SKIP_1) | instid1(TRANS32_DEP_1)
	v_rcp_f64_e32 v[14:15], v[12:13]
	v_nop
	v_fma_f64 v[16:17], -v[12:13], v[14:15], 1.0
	s_delay_alu instid0(VALU_DEP_1) | instskip(NEXT) | instid1(VALU_DEP_1)
	v_fmac_f64_e32 v[14:15], v[14:15], v[16:17]
	v_fma_f64 v[16:17], -v[12:13], v[14:15], 1.0
	s_delay_alu instid0(VALU_DEP_1) | instskip(SKIP_1) | instid1(VALU_DEP_1)
	v_fmac_f64_e32 v[14:15], v[14:15], v[16:17]
	v_div_scale_f64 v[16:17], vcc_lo, v[6:7], v[10:11], v[6:7]
	v_mul_f64_e32 v[20:21], v[16:17], v[14:15]
	s_delay_alu instid0(VALU_DEP_1) | instskip(NEXT) | instid1(VALU_DEP_1)
	v_fma_f64 v[12:13], -v[12:13], v[20:21], v[16:17]
	v_div_fmas_f64 v[12:13], v[12:13], v[14:15], v[20:21]
	s_delay_alu instid0(VALU_DEP_1)
	v_div_fixup_f64 v[6:7], v[12:13], v[10:11], v[6:7]
.LBB40_28:
	s_or_b32 exec_lo, exec_lo, s3
	s_delay_alu instid0(SALU_CYCLE_1) | instskip(SKIP_1) | instid1(SALU_CYCLE_1)
	s_or_b32 exec_lo, exec_lo, s2
	s_and_saveexec_b32 s1, s0
	s_xor_b32 s0, exec_lo, s1
	s_cbranch_execz .LBB40_22
.LBB40_29:
	v_mov_b32_e32 v0, v1
	global_store_b64 v18, v[4:5], s[8:9] scale_offset
	s_wait_xcnt 0x0
	s_or_b32 exec_lo, exec_lo, s0
	s_delay_alu instid0(SALU_CYCLE_1)
	s_mov_b32 s0, exec_lo
	v_cmpx_gt_i32_e64 s13, v0
	s_cbranch_execz .LBB40_23
.LBB40_30:
	v_add_nc_u32_e32 v1, 0x100, v0
	s_delay_alu instid0(VALU_DEP_1) | instskip(SKIP_3) | instid1(SALU_CYCLE_1)
	v_dual_add_nc_u32 v4, s12, v0 :: v_dual_mov_b32 v0, v1
	global_store_b64 v4, v[2:3], s[8:9] scale_offset
	s_wait_xcnt 0x0
	s_or_b32 exec_lo, exec_lo, s0
	s_mov_b32 s0, exec_lo
	v_cmpx_gt_i32_e64 s13, v0
	s_cbranch_execz .LBB40_24
.LBB40_31:
	v_add_nc_u32_e32 v1, 0x100, v0
	s_delay_alu instid0(VALU_DEP_1) | instskip(SKIP_3) | instid1(SALU_CYCLE_1)
	v_dual_add_nc_u32 v2, s12, v0 :: v_dual_mov_b32 v0, v1
	global_store_b64 v2, v[8:9], s[8:9] scale_offset
	s_wait_xcnt 0x0
	s_or_b32 exec_lo, exec_lo, s0
	s_mov_b32 s0, exec_lo
	v_cmpx_gt_i32_e64 s13, v0
	s_cbranch_execz .LBB40_25
.LBB40_32:
	v_add_nc_u32_e32 v0, s12, v0
	global_store_b64 v0, v[6:7], s[8:9] scale_offset
	s_endpgm
	.section	.rodata,"a",@progbits
	.p2align	6, 0x0
	.amdhsa_kernel _ZN2at6native27unrolled_elementwise_kernelIZZZNS0_12_GLOBAL__N_124softplus_backward_kernelERNS_18TensorIteratorBaseERKN3c106ScalarES8_ENKUlvE_clEvENKUlvE_clEvEUlddE_St5arrayIPcLm3EELi4E23TrivialOffsetCalculatorILi2EjESF_ILi1EjENS0_6memory15LoadWithoutCastENSI_16StoreWithoutCastEEEviT_T0_T2_T3_T4_T5_
		.amdhsa_group_segment_fixed_size 0
		.amdhsa_private_segment_fixed_size 0
		.amdhsa_kernarg_size 52
		.amdhsa_user_sgpr_count 2
		.amdhsa_user_sgpr_dispatch_ptr 0
		.amdhsa_user_sgpr_queue_ptr 0
		.amdhsa_user_sgpr_kernarg_segment_ptr 1
		.amdhsa_user_sgpr_dispatch_id 0
		.amdhsa_user_sgpr_kernarg_preload_length 0
		.amdhsa_user_sgpr_kernarg_preload_offset 0
		.amdhsa_user_sgpr_private_segment_size 0
		.amdhsa_wavefront_size32 1
		.amdhsa_uses_dynamic_stack 0
		.amdhsa_enable_private_segment 0
		.amdhsa_system_sgpr_workgroup_id_x 1
		.amdhsa_system_sgpr_workgroup_id_y 0
		.amdhsa_system_sgpr_workgroup_id_z 0
		.amdhsa_system_sgpr_workgroup_info 0
		.amdhsa_system_vgpr_workitem_id 0
		.amdhsa_next_free_vgpr 28
		.amdhsa_next_free_sgpr 15
		.amdhsa_named_barrier_count 0
		.amdhsa_reserve_vcc 1
		.amdhsa_float_round_mode_32 0
		.amdhsa_float_round_mode_16_64 0
		.amdhsa_float_denorm_mode_32 3
		.amdhsa_float_denorm_mode_16_64 3
		.amdhsa_fp16_overflow 0
		.amdhsa_memory_ordered 1
		.amdhsa_forward_progress 1
		.amdhsa_inst_pref_size 19
		.amdhsa_round_robin_scheduling 0
		.amdhsa_exception_fp_ieee_invalid_op 0
		.amdhsa_exception_fp_denorm_src 0
		.amdhsa_exception_fp_ieee_div_zero 0
		.amdhsa_exception_fp_ieee_overflow 0
		.amdhsa_exception_fp_ieee_underflow 0
		.amdhsa_exception_fp_ieee_inexact 0
		.amdhsa_exception_int_div_zero 0
	.end_amdhsa_kernel
	.section	.text._ZN2at6native27unrolled_elementwise_kernelIZZZNS0_12_GLOBAL__N_124softplus_backward_kernelERNS_18TensorIteratorBaseERKN3c106ScalarES8_ENKUlvE_clEvENKUlvE_clEvEUlddE_St5arrayIPcLm3EELi4E23TrivialOffsetCalculatorILi2EjESF_ILi1EjENS0_6memory15LoadWithoutCastENSI_16StoreWithoutCastEEEviT_T0_T2_T3_T4_T5_,"axG",@progbits,_ZN2at6native27unrolled_elementwise_kernelIZZZNS0_12_GLOBAL__N_124softplus_backward_kernelERNS_18TensorIteratorBaseERKN3c106ScalarES8_ENKUlvE_clEvENKUlvE_clEvEUlddE_St5arrayIPcLm3EELi4E23TrivialOffsetCalculatorILi2EjESF_ILi1EjENS0_6memory15LoadWithoutCastENSI_16StoreWithoutCastEEEviT_T0_T2_T3_T4_T5_,comdat
.Lfunc_end40:
	.size	_ZN2at6native27unrolled_elementwise_kernelIZZZNS0_12_GLOBAL__N_124softplus_backward_kernelERNS_18TensorIteratorBaseERKN3c106ScalarES8_ENKUlvE_clEvENKUlvE_clEvEUlddE_St5arrayIPcLm3EELi4E23TrivialOffsetCalculatorILi2EjESF_ILi1EjENS0_6memory15LoadWithoutCastENSI_16StoreWithoutCastEEEviT_T0_T2_T3_T4_T5_, .Lfunc_end40-_ZN2at6native27unrolled_elementwise_kernelIZZZNS0_12_GLOBAL__N_124softplus_backward_kernelERNS_18TensorIteratorBaseERKN3c106ScalarES8_ENKUlvE_clEvENKUlvE_clEvEUlddE_St5arrayIPcLm3EELi4E23TrivialOffsetCalculatorILi2EjESF_ILi1EjENS0_6memory15LoadWithoutCastENSI_16StoreWithoutCastEEEviT_T0_T2_T3_T4_T5_
                                        ; -- End function
	.set _ZN2at6native27unrolled_elementwise_kernelIZZZNS0_12_GLOBAL__N_124softplus_backward_kernelERNS_18TensorIteratorBaseERKN3c106ScalarES8_ENKUlvE_clEvENKUlvE_clEvEUlddE_St5arrayIPcLm3EELi4E23TrivialOffsetCalculatorILi2EjESF_ILi1EjENS0_6memory15LoadWithoutCastENSI_16StoreWithoutCastEEEviT_T0_T2_T3_T4_T5_.num_vgpr, 28
	.set _ZN2at6native27unrolled_elementwise_kernelIZZZNS0_12_GLOBAL__N_124softplus_backward_kernelERNS_18TensorIteratorBaseERKN3c106ScalarES8_ENKUlvE_clEvENKUlvE_clEvEUlddE_St5arrayIPcLm3EELi4E23TrivialOffsetCalculatorILi2EjESF_ILi1EjENS0_6memory15LoadWithoutCastENSI_16StoreWithoutCastEEEviT_T0_T2_T3_T4_T5_.num_agpr, 0
	.set _ZN2at6native27unrolled_elementwise_kernelIZZZNS0_12_GLOBAL__N_124softplus_backward_kernelERNS_18TensorIteratorBaseERKN3c106ScalarES8_ENKUlvE_clEvENKUlvE_clEvEUlddE_St5arrayIPcLm3EELi4E23TrivialOffsetCalculatorILi2EjESF_ILi1EjENS0_6memory15LoadWithoutCastENSI_16StoreWithoutCastEEEviT_T0_T2_T3_T4_T5_.numbered_sgpr, 15
	.set _ZN2at6native27unrolled_elementwise_kernelIZZZNS0_12_GLOBAL__N_124softplus_backward_kernelERNS_18TensorIteratorBaseERKN3c106ScalarES8_ENKUlvE_clEvENKUlvE_clEvEUlddE_St5arrayIPcLm3EELi4E23TrivialOffsetCalculatorILi2EjESF_ILi1EjENS0_6memory15LoadWithoutCastENSI_16StoreWithoutCastEEEviT_T0_T2_T3_T4_T5_.num_named_barrier, 0
	.set _ZN2at6native27unrolled_elementwise_kernelIZZZNS0_12_GLOBAL__N_124softplus_backward_kernelERNS_18TensorIteratorBaseERKN3c106ScalarES8_ENKUlvE_clEvENKUlvE_clEvEUlddE_St5arrayIPcLm3EELi4E23TrivialOffsetCalculatorILi2EjESF_ILi1EjENS0_6memory15LoadWithoutCastENSI_16StoreWithoutCastEEEviT_T0_T2_T3_T4_T5_.private_seg_size, 0
	.set _ZN2at6native27unrolled_elementwise_kernelIZZZNS0_12_GLOBAL__N_124softplus_backward_kernelERNS_18TensorIteratorBaseERKN3c106ScalarES8_ENKUlvE_clEvENKUlvE_clEvEUlddE_St5arrayIPcLm3EELi4E23TrivialOffsetCalculatorILi2EjESF_ILi1EjENS0_6memory15LoadWithoutCastENSI_16StoreWithoutCastEEEviT_T0_T2_T3_T4_T5_.uses_vcc, 1
	.set _ZN2at6native27unrolled_elementwise_kernelIZZZNS0_12_GLOBAL__N_124softplus_backward_kernelERNS_18TensorIteratorBaseERKN3c106ScalarES8_ENKUlvE_clEvENKUlvE_clEvEUlddE_St5arrayIPcLm3EELi4E23TrivialOffsetCalculatorILi2EjESF_ILi1EjENS0_6memory15LoadWithoutCastENSI_16StoreWithoutCastEEEviT_T0_T2_T3_T4_T5_.uses_flat_scratch, 0
	.set _ZN2at6native27unrolled_elementwise_kernelIZZZNS0_12_GLOBAL__N_124softplus_backward_kernelERNS_18TensorIteratorBaseERKN3c106ScalarES8_ENKUlvE_clEvENKUlvE_clEvEUlddE_St5arrayIPcLm3EELi4E23TrivialOffsetCalculatorILi2EjESF_ILi1EjENS0_6memory15LoadWithoutCastENSI_16StoreWithoutCastEEEviT_T0_T2_T3_T4_T5_.has_dyn_sized_stack, 0
	.set _ZN2at6native27unrolled_elementwise_kernelIZZZNS0_12_GLOBAL__N_124softplus_backward_kernelERNS_18TensorIteratorBaseERKN3c106ScalarES8_ENKUlvE_clEvENKUlvE_clEvEUlddE_St5arrayIPcLm3EELi4E23TrivialOffsetCalculatorILi2EjESF_ILi1EjENS0_6memory15LoadWithoutCastENSI_16StoreWithoutCastEEEviT_T0_T2_T3_T4_T5_.has_recursion, 0
	.set _ZN2at6native27unrolled_elementwise_kernelIZZZNS0_12_GLOBAL__N_124softplus_backward_kernelERNS_18TensorIteratorBaseERKN3c106ScalarES8_ENKUlvE_clEvENKUlvE_clEvEUlddE_St5arrayIPcLm3EELi4E23TrivialOffsetCalculatorILi2EjESF_ILi1EjENS0_6memory15LoadWithoutCastENSI_16StoreWithoutCastEEEviT_T0_T2_T3_T4_T5_.has_indirect_call, 0
	.section	.AMDGPU.csdata,"",@progbits
; Kernel info:
; codeLenInByte = 2428
; TotalNumSgprs: 17
; NumVgprs: 28
; ScratchSize: 0
; MemoryBound: 0
; FloatMode: 240
; IeeeMode: 1
; LDSByteSize: 0 bytes/workgroup (compile time only)
; SGPRBlocks: 0
; VGPRBlocks: 1
; NumSGPRsForWavesPerEU: 17
; NumVGPRsForWavesPerEU: 28
; NamedBarCnt: 0
; Occupancy: 16
; WaveLimiterHint : 0
; COMPUTE_PGM_RSRC2:SCRATCH_EN: 0
; COMPUTE_PGM_RSRC2:USER_SGPR: 2
; COMPUTE_PGM_RSRC2:TRAP_HANDLER: 0
; COMPUTE_PGM_RSRC2:TGID_X_EN: 1
; COMPUTE_PGM_RSRC2:TGID_Y_EN: 0
; COMPUTE_PGM_RSRC2:TGID_Z_EN: 0
; COMPUTE_PGM_RSRC2:TIDIG_COMP_CNT: 0
	.section	.text._ZN2at6native32elementwise_kernel_manual_unrollILi128ELi4EZNS0_22gpu_kernel_impl_nocastIZZZNS0_12_GLOBAL__N_124softplus_backward_kernelERNS_18TensorIteratorBaseERKN3c106ScalarES9_ENKUlvE_clEvENKUlvE_clEvEUlddE_EEvS5_RKT_EUlibE_EEviT1_,"axG",@progbits,_ZN2at6native32elementwise_kernel_manual_unrollILi128ELi4EZNS0_22gpu_kernel_impl_nocastIZZZNS0_12_GLOBAL__N_124softplus_backward_kernelERNS_18TensorIteratorBaseERKN3c106ScalarES9_ENKUlvE_clEvENKUlvE_clEvEUlddE_EEvS5_RKT_EUlibE_EEviT1_,comdat
	.globl	_ZN2at6native32elementwise_kernel_manual_unrollILi128ELi4EZNS0_22gpu_kernel_impl_nocastIZZZNS0_12_GLOBAL__N_124softplus_backward_kernelERNS_18TensorIteratorBaseERKN3c106ScalarES9_ENKUlvE_clEvENKUlvE_clEvEUlddE_EEvS5_RKT_EUlibE_EEviT1_ ; -- Begin function _ZN2at6native32elementwise_kernel_manual_unrollILi128ELi4EZNS0_22gpu_kernel_impl_nocastIZZZNS0_12_GLOBAL__N_124softplus_backward_kernelERNS_18TensorIteratorBaseERKN3c106ScalarES9_ENKUlvE_clEvENKUlvE_clEvEUlddE_EEvS5_RKT_EUlibE_EEviT1_
	.p2align	8
	.type	_ZN2at6native32elementwise_kernel_manual_unrollILi128ELi4EZNS0_22gpu_kernel_impl_nocastIZZZNS0_12_GLOBAL__N_124softplus_backward_kernelERNS_18TensorIteratorBaseERKN3c106ScalarES9_ENKUlvE_clEvENKUlvE_clEvEUlddE_EEvS5_RKT_EUlibE_EEviT1_,@function
_ZN2at6native32elementwise_kernel_manual_unrollILi128ELi4EZNS0_22gpu_kernel_impl_nocastIZZZNS0_12_GLOBAL__N_124softplus_backward_kernelERNS_18TensorIteratorBaseERKN3c106ScalarES9_ENKUlvE_clEvENKUlvE_clEvEUlddE_EEvS5_RKT_EUlibE_EEviT1_: ; @_ZN2at6native32elementwise_kernel_manual_unrollILi128ELi4EZNS0_22gpu_kernel_impl_nocastIZZZNS0_12_GLOBAL__N_124softplus_backward_kernelERNS_18TensorIteratorBaseERKN3c106ScalarES9_ENKUlvE_clEvENKUlvE_clEvEUlddE_EEvS5_RKT_EUlibE_EEviT1_
; %bb.0:
	s_clause 0x1
	s_load_b32 s30, s[0:1], 0x8
	s_load_b32 s37, s[0:1], 0x0
	s_bfe_u32 s2, ttmp6, 0x4000c
	s_and_b32 s3, ttmp6, 15
	s_add_co_i32 s2, s2, 1
	s_getreg_b32 s4, hwreg(HW_REG_IB_STS2, 6, 4)
	s_mul_i32 s2, ttmp9, s2
	s_mov_b32 s25, 0
	s_add_co_i32 s3, s3, s2
	s_cmp_eq_u32 s4, 0
	s_cselect_b32 s2, ttmp9, s3
	s_delay_alu instid0(SALU_CYCLE_1) | instskip(SKIP_3) | instid1(VALU_DEP_1)
	v_lshl_or_b32 v0, s2, 9, v0
	s_add_nc_u64 s[2:3], s[0:1], 8
	s_wait_xcnt 0x0
	s_mov_b32 s0, exec_lo
	v_or_b32_e32 v1, 0x180, v0
	s_wait_kmcnt 0x0
	s_add_co_i32 s31, s30, -1
	s_delay_alu instid0(SALU_CYCLE_1)
	s_cmp_gt_u32 s31, 1
	s_cselect_b32 s33, -1, 0
	v_cmpx_le_i32_e64 s37, v1
	s_xor_b32 s34, exec_lo, s0
	s_cbranch_execz .LBB41_62
; %bb.1:
	s_clause 0x5
	s_load_b128 s[12:15], s[2:3], 0x4
	s_load_b64 s[0:1], s[2:3], 0x14
	s_load_b128 s[16:19], s[2:3], 0xc4
	s_load_b64 s[22:23], s[2:3], 0xd4
	s_load_b64 s[20:21], s[2:3], 0x1a8
	s_load_b256 s[4:11], s[2:3], 0x188
	s_cmp_lg_u32 s30, 0
	s_mov_b32 s27, s25
	s_cselect_b32 s38, -1, 0
	s_min_u32 s36, s31, 15
	s_cmp_gt_u32 s30, 1
	s_cselect_b32 s35, -1, 0
	s_wait_kmcnt 0x0
	s_mov_b32 s24, s13
	s_mov_b32 s26, s0
	s_mov_b32 s13, exec_lo
	v_cmpx_gt_i32_e64 s37, v0
	s_cbranch_execnz .LBB41_5
; %bb.2:
	s_or_b32 exec_lo, exec_lo, s13
	s_delay_alu instid0(SALU_CYCLE_1)
	s_mov_b32 s13, exec_lo
	v_cmpx_gt_i32_e64 s37, v0
	s_cbranch_execnz .LBB41_19
.LBB41_3:
	s_or_b32 exec_lo, exec_lo, s13
	s_delay_alu instid0(SALU_CYCLE_1)
	s_mov_b32 s13, exec_lo
	v_cmpx_gt_i32_e64 s37, v0
	s_cbranch_execnz .LBB41_33
.LBB41_4:
	s_or_b32 exec_lo, exec_lo, s13
	s_delay_alu instid0(SALU_CYCLE_1)
	s_mov_b32 s13, exec_lo
	v_cmpx_gt_i32_e64 s37, v0
	s_cbranch_execnz .LBB41_47
	s_branch .LBB41_61
.LBB41_5:
	s_and_not1_b32 vcc_lo, exec_lo, s33
	s_cbranch_vccnz .LBB41_11
; %bb.6:
	s_and_not1_b32 vcc_lo, exec_lo, s38
	s_cbranch_vccnz .LBB41_12
; %bb.7:
	v_dual_mov_b32 v6, 0 :: v_dual_mov_b32 v1, v0
	v_dual_mov_b32 v5, 0 :: v_dual_mov_b32 v4, 0
	s_add_co_i32 s0, s36, 1
	s_mov_b64 s[28:29], 0xffffffffffffffe8
	s_and_b32 s0, s0, 30
	s_add_nc_u64 s[28:29], s[2:3], s[28:29]
.LBB41_8:                               ; =>This Inner Loop Header: Depth=1
	s_clause 0x1
	s_load_b128 s[40:43], s[28:29], 0x1c
	s_load_b64 s[48:49], s[28:29], 0x2c
	s_add_co_i32 s0, s0, -2
	s_delay_alu instid0(SALU_CYCLE_1) | instskip(SKIP_2) | instid1(VALU_DEP_1)
	s_cmp_lg_u32 s0, 0
	s_wait_kmcnt 0x0
	v_mul_hi_u32 v2, s41, v1
	v_add_nc_u32_e32 v2, v1, v2
	s_delay_alu instid0(VALU_DEP_1) | instskip(NEXT) | instid1(VALU_DEP_1)
	v_lshrrev_b32_e32 v2, s42, v2
	v_mul_hi_u32 v3, s48, v2
	v_mul_lo_u32 v7, v2, s40
	s_clause 0x1
	s_load_b128 s[44:47], s[28:29], 0xdc
	s_load_b64 s[40:41], s[28:29], 0xec
	s_wait_xcnt 0x0
	s_add_nc_u64 s[28:29], s[28:29], 24
	s_delay_alu instid0(VALU_DEP_2) | instskip(NEXT) | instid1(VALU_DEP_2)
	v_add_nc_u32_e32 v3, v2, v3
	v_sub_nc_u32_e32 v7, v1, v7
	s_delay_alu instid0(VALU_DEP_2) | instskip(SKIP_1) | instid1(VALU_DEP_2)
	v_lshrrev_b32_e32 v1, s49, v3
	s_wait_kmcnt 0x0
	v_mad_u32 v6, v7, s44, v6
	s_delay_alu instid0(VALU_DEP_2) | instskip(SKIP_2) | instid1(VALU_DEP_3)
	v_mul_lo_u32 v3, v1, s43
	v_mad_u32 v4, v7, s46, v4
	v_mad_u32 v5, v7, s45, v5
	v_sub_nc_u32_e32 v2, v2, v3
	s_delay_alu instid0(VALU_DEP_1) | instskip(NEXT) | instid1(VALU_DEP_4)
	v_mad_u32 v6, v2, s47, v6
	v_mad_u32 v4, v2, s41, v4
	s_delay_alu instid0(VALU_DEP_4)
	v_mad_u32 v5, v2, s40, v5
	s_cbranch_scc1 .LBB41_8
; %bb.9:
	s_bitcmp1_b32 s36, 0
	s_cselect_b32 s0, -1, 0
	s_delay_alu instid0(SALU_CYCLE_1)
	s_and_b32 vcc_lo, exec_lo, s0
	s_cbranch_vccnz .LBB41_13
; %bb.10:
	s_clause 0x1
	s_load_b96 s[40:42], s[28:29], 0x1c
	s_load_b96 s[44:46], s[28:29], 0xdc
	s_wait_kmcnt 0x0
	v_mul_hi_u32 v2, s41, v1
	s_delay_alu instid0(VALU_DEP_1) | instskip(NEXT) | instid1(VALU_DEP_1)
	v_add_nc_u32_e32 v2, v1, v2
	v_lshrrev_b32_e32 v2, s42, v2
	s_delay_alu instid0(VALU_DEP_1) | instskip(NEXT) | instid1(VALU_DEP_1)
	v_mul_lo_u32 v2, v2, s40
	v_sub_nc_u32_e32 v1, v1, v2
	s_delay_alu instid0(VALU_DEP_1)
	v_mad_u32 v6, v1, s44, v6
	v_mad_u32 v5, v1, s45, v5
	;; [unrolled: 1-line block ×3, first 2 shown]
	s_cbranch_execz .LBB41_14
	s_branch .LBB41_16
.LBB41_11:
                                        ; implicit-def: $vgpr4
                                        ; implicit-def: $vgpr5
                                        ; implicit-def: $vgpr6
	s_branch .LBB41_14
.LBB41_12:
	v_dual_mov_b32 v4, 0 :: v_dual_mov_b32 v5, 0
	v_mov_b32_e32 v6, 0
.LBB41_13:
	s_cbranch_execnz .LBB41_16
.LBB41_14:
	v_mov_b32_e32 v1, 0
	s_and_not1_b32 vcc_lo, exec_lo, s35
	s_delay_alu instid0(VALU_DEP_1) | instskip(NEXT) | instid1(VALU_DEP_1)
	v_mul_u64_e32 v[2:3], s[24:25], v[0:1]
	v_add_nc_u32_e32 v2, v0, v3
	s_delay_alu instid0(VALU_DEP_1) | instskip(NEXT) | instid1(VALU_DEP_1)
	v_lshrrev_b32_e32 v2, s14, v2
	v_mul_lo_u32 v3, v2, s12
	s_delay_alu instid0(VALU_DEP_1) | instskip(NEXT) | instid1(VALU_DEP_1)
	v_sub_nc_u32_e32 v3, v0, v3
	v_mul_lo_u32 v6, v3, s16
	v_mul_lo_u32 v4, v3, s18
	;; [unrolled: 1-line block ×3, first 2 shown]
	s_cbranch_vccnz .LBB41_16
; %bb.15:
	v_mov_b32_e32 v3, v1
	s_delay_alu instid0(VALU_DEP_1) | instskip(NEXT) | instid1(VALU_DEP_1)
	v_mul_u64_e32 v[8:9], s[26:27], v[2:3]
	v_add_nc_u32_e32 v1, v2, v9
	s_delay_alu instid0(VALU_DEP_1) | instskip(NEXT) | instid1(VALU_DEP_1)
	v_lshrrev_b32_e32 v1, s1, v1
	v_mul_lo_u32 v1, v1, s15
	s_delay_alu instid0(VALU_DEP_1) | instskip(NEXT) | instid1(VALU_DEP_1)
	v_sub_nc_u32_e32 v1, v2, v1
	v_mad_u32 v6, v1, s19, v6
	v_mad_u32 v5, v1, s22, v5
	;; [unrolled: 1-line block ×3, first 2 shown]
.LBB41_16:
	global_load_b64 v[8:9], v4, s[8:9]
	global_load_b64 v[2:3], v5, s[6:7]
	s_mov_b32 s28, exec_lo
	s_wait_loadcnt 0x1
	s_wait_xcnt 0x0
	v_mul_f64_e32 v[4:5], s[10:11], v[8:9]
	s_delay_alu instid0(VALU_DEP_1)
	v_cmpx_nlt_f64_e32 s[20:21], v[4:5]
	s_cbranch_execz .LBB41_18
; %bb.17:
	v_mul_f64_e32 v[8:9], 0x3ff71547652b82fe, v[4:5]
	s_mov_b64 s[40:41], 0x3e5ade156a5dcb37
	v_cmp_nlt_f64_e32 vcc_lo, 0x40900000, v[4:5]
	v_cmp_ngt_f64_e64 s0, 0xc090cc00, v[4:5]
	s_delay_alu instid0(VALU_DEP_3) | instskip(NEXT) | instid1(VALU_DEP_1)
	v_rndne_f64_e32 v[8:9], v[8:9]
	v_fmamk_f64 v[10:11], v[8:9], 0xbfe62e42fefa39ef, v[4:5]
	v_cvt_i32_f64_e32 v1, v[8:9]
	s_delay_alu instid0(VALU_DEP_2) | instskip(NEXT) | instid1(VALU_DEP_1)
	v_fmamk_f64 v[10:11], v[8:9], 0xbc7abc9e3b39803f, v[10:11]
	v_fmaak_f64 v[12:13], s[40:41], v[10:11], 0x3e928af3fca7ab0c
	s_delay_alu instid0(VALU_DEP_1) | instskip(NEXT) | instid1(VALU_DEP_1)
	v_fmaak_f64 v[12:13], v[10:11], v[12:13], 0x3ec71dee623fde64
	v_fmaak_f64 v[12:13], v[10:11], v[12:13], 0x3efa01997c89e6b0
	s_delay_alu instid0(VALU_DEP_1) | instskip(NEXT) | instid1(VALU_DEP_1)
	v_fmaak_f64 v[12:13], v[10:11], v[12:13], 0x3f2a01a014761f6e
	;; [unrolled: 3-line block ×4, first 2 shown]
	v_fmaak_f64 v[12:13], v[10:11], v[12:13], 0x3fe000000000000b
	s_delay_alu instid0(VALU_DEP_1) | instskip(NEXT) | instid1(VALU_DEP_1)
	v_fma_f64 v[12:13], v[10:11], v[12:13], 1.0
	v_fma_f64 v[8:9], v[10:11], v[12:13], 1.0
	s_delay_alu instid0(VALU_DEP_1) | instskip(NEXT) | instid1(VALU_DEP_1)
	v_ldexp_f64 v[8:9], v[8:9], v1
	v_cndmask_b32_e32 v1, 0x7ff00000, v9, vcc_lo
	s_and_b32 vcc_lo, s0, vcc_lo
	s_delay_alu instid0(VALU_DEP_1) | instid1(SALU_CYCLE_1)
	v_dual_cndmask_b32 v4, 0, v8, vcc_lo :: v_dual_cndmask_b32 v5, 0, v1, s0
	s_wait_loadcnt 0x0
	s_delay_alu instid0(VALU_DEP_1) | instskip(SKIP_1) | instid1(VALU_DEP_1)
	v_mul_f64_e32 v[2:3], v[2:3], v[4:5]
	v_add_f64_e32 v[4:5], 1.0, v[4:5]
	v_div_scale_f64 v[8:9], null, v[4:5], v[4:5], v[2:3]
	s_delay_alu instid0(VALU_DEP_1) | instskip(SKIP_1) | instid1(TRANS32_DEP_1)
	v_rcp_f64_e32 v[10:11], v[8:9]
	v_nop
	v_fma_f64 v[12:13], -v[8:9], v[10:11], 1.0
	s_delay_alu instid0(VALU_DEP_1) | instskip(NEXT) | instid1(VALU_DEP_1)
	v_fmac_f64_e32 v[10:11], v[10:11], v[12:13]
	v_fma_f64 v[12:13], -v[8:9], v[10:11], 1.0
	s_delay_alu instid0(VALU_DEP_1) | instskip(SKIP_1) | instid1(VALU_DEP_1)
	v_fmac_f64_e32 v[10:11], v[10:11], v[12:13]
	v_div_scale_f64 v[12:13], vcc_lo, v[2:3], v[4:5], v[2:3]
	v_mul_f64_e32 v[14:15], v[12:13], v[10:11]
	s_delay_alu instid0(VALU_DEP_1) | instskip(NEXT) | instid1(VALU_DEP_1)
	v_fma_f64 v[8:9], -v[8:9], v[14:15], v[12:13]
	v_div_fmas_f64 v[8:9], v[8:9], v[10:11], v[14:15]
	s_delay_alu instid0(VALU_DEP_1)
	v_div_fixup_f64 v[2:3], v[8:9], v[4:5], v[2:3]
.LBB41_18:
	s_or_b32 exec_lo, exec_lo, s28
	v_add_nc_u32_e32 v0, 0x80, v0
	s_wait_loadcnt 0x0
	global_store_b64 v6, v[2:3], s[4:5]
	s_wait_xcnt 0x0
	s_or_b32 exec_lo, exec_lo, s13
	s_delay_alu instid0(SALU_CYCLE_1)
	s_mov_b32 s13, exec_lo
	v_cmpx_gt_i32_e64 s37, v0
	s_cbranch_execz .LBB41_3
.LBB41_19:
	s_and_not1_b32 vcc_lo, exec_lo, s33
	s_cbranch_vccnz .LBB41_25
; %bb.20:
	s_and_not1_b32 vcc_lo, exec_lo, s38
	s_cbranch_vccnz .LBB41_26
; %bb.21:
	v_dual_mov_b32 v6, 0 :: v_dual_mov_b32 v1, v0
	v_dual_mov_b32 v5, 0 :: v_dual_mov_b32 v4, 0
	s_add_co_i32 s0, s36, 1
	s_mov_b64 s[28:29], 0xffffffffffffffe8
	s_and_b32 s0, s0, 30
	s_add_nc_u64 s[28:29], s[2:3], s[28:29]
.LBB41_22:                              ; =>This Inner Loop Header: Depth=1
	s_clause 0x1
	s_load_b128 s[40:43], s[28:29], 0x1c
	s_load_b64 s[48:49], s[28:29], 0x2c
	s_add_co_i32 s0, s0, -2
	s_delay_alu instid0(SALU_CYCLE_1) | instskip(SKIP_2) | instid1(VALU_DEP_1)
	s_cmp_eq_u32 s0, 0
	s_wait_kmcnt 0x0
	v_mul_hi_u32 v2, s41, v1
	v_add_nc_u32_e32 v2, v1, v2
	s_delay_alu instid0(VALU_DEP_1) | instskip(NEXT) | instid1(VALU_DEP_1)
	v_lshrrev_b32_e32 v2, s42, v2
	v_mul_hi_u32 v3, s48, v2
	v_mul_lo_u32 v7, v2, s40
	s_clause 0x1
	s_load_b128 s[44:47], s[28:29], 0xdc
	s_load_b64 s[40:41], s[28:29], 0xec
	s_wait_xcnt 0x0
	s_add_nc_u64 s[28:29], s[28:29], 24
	s_delay_alu instid0(VALU_DEP_2) | instskip(NEXT) | instid1(VALU_DEP_2)
	v_add_nc_u32_e32 v3, v2, v3
	v_sub_nc_u32_e32 v7, v1, v7
	s_delay_alu instid0(VALU_DEP_2) | instskip(SKIP_1) | instid1(VALU_DEP_2)
	v_lshrrev_b32_e32 v1, s49, v3
	s_wait_kmcnt 0x0
	v_mad_u32 v6, v7, s44, v6
	s_delay_alu instid0(VALU_DEP_2) | instskip(SKIP_2) | instid1(VALU_DEP_3)
	v_mul_lo_u32 v3, v1, s43
	v_mad_u32 v4, v7, s46, v4
	v_mad_u32 v5, v7, s45, v5
	v_sub_nc_u32_e32 v2, v2, v3
	s_delay_alu instid0(VALU_DEP_1) | instskip(NEXT) | instid1(VALU_DEP_4)
	v_mad_u32 v6, v2, s47, v6
	v_mad_u32 v4, v2, s41, v4
	s_delay_alu instid0(VALU_DEP_4)
	v_mad_u32 v5, v2, s40, v5
	s_cbranch_scc0 .LBB41_22
; %bb.23:
	s_bitcmp1_b32 s36, 0
	s_cselect_b32 s0, -1, 0
	s_delay_alu instid0(SALU_CYCLE_1)
	s_and_b32 vcc_lo, exec_lo, s0
	s_cbranch_vccnz .LBB41_27
; %bb.24:
	s_clause 0x1
	s_load_b96 s[40:42], s[28:29], 0x1c
	s_load_b96 s[44:46], s[28:29], 0xdc
	s_wait_kmcnt 0x0
	v_mul_hi_u32 v2, s41, v1
	s_delay_alu instid0(VALU_DEP_1) | instskip(NEXT) | instid1(VALU_DEP_1)
	v_add_nc_u32_e32 v2, v1, v2
	v_lshrrev_b32_e32 v2, s42, v2
	s_delay_alu instid0(VALU_DEP_1) | instskip(NEXT) | instid1(VALU_DEP_1)
	v_mul_lo_u32 v2, v2, s40
	v_sub_nc_u32_e32 v1, v1, v2
	s_delay_alu instid0(VALU_DEP_1)
	v_mad_u32 v6, v1, s44, v6
	v_mad_u32 v5, v1, s45, v5
	;; [unrolled: 1-line block ×3, first 2 shown]
	s_branch .LBB41_27
.LBB41_25:
                                        ; implicit-def: $vgpr4
                                        ; implicit-def: $vgpr5
                                        ; implicit-def: $vgpr6
	s_branch .LBB41_28
.LBB41_26:
	v_dual_mov_b32 v4, 0 :: v_dual_mov_b32 v5, 0
	v_mov_b32_e32 v6, 0
.LBB41_27:
	s_cbranch_execnz .LBB41_30
.LBB41_28:
	v_mov_b32_e32 v1, 0
	s_and_not1_b32 vcc_lo, exec_lo, s35
	s_delay_alu instid0(VALU_DEP_1) | instskip(NEXT) | instid1(VALU_DEP_1)
	v_mul_u64_e32 v[2:3], s[24:25], v[0:1]
	v_add_nc_u32_e32 v2, v0, v3
	s_delay_alu instid0(VALU_DEP_1) | instskip(NEXT) | instid1(VALU_DEP_1)
	v_lshrrev_b32_e32 v2, s14, v2
	v_mul_lo_u32 v3, v2, s12
	s_delay_alu instid0(VALU_DEP_1) | instskip(NEXT) | instid1(VALU_DEP_1)
	v_sub_nc_u32_e32 v3, v0, v3
	v_mul_lo_u32 v6, v3, s16
	v_mul_lo_u32 v4, v3, s18
	;; [unrolled: 1-line block ×3, first 2 shown]
	s_cbranch_vccnz .LBB41_30
; %bb.29:
	v_mov_b32_e32 v3, v1
	s_delay_alu instid0(VALU_DEP_1) | instskip(NEXT) | instid1(VALU_DEP_1)
	v_mul_u64_e32 v[8:9], s[26:27], v[2:3]
	v_add_nc_u32_e32 v1, v2, v9
	s_delay_alu instid0(VALU_DEP_1) | instskip(NEXT) | instid1(VALU_DEP_1)
	v_lshrrev_b32_e32 v1, s1, v1
	v_mul_lo_u32 v1, v1, s15
	s_delay_alu instid0(VALU_DEP_1) | instskip(NEXT) | instid1(VALU_DEP_1)
	v_sub_nc_u32_e32 v1, v2, v1
	v_mad_u32 v6, v1, s19, v6
	v_mad_u32 v5, v1, s22, v5
	v_mad_u32 v4, v1, s23, v4
.LBB41_30:
	global_load_b64 v[8:9], v4, s[8:9]
	global_load_b64 v[2:3], v5, s[6:7]
	s_mov_b32 s28, exec_lo
	s_wait_loadcnt 0x1
	s_wait_xcnt 0x0
	v_mul_f64_e32 v[4:5], s[10:11], v[8:9]
	s_delay_alu instid0(VALU_DEP_1)
	v_cmpx_nlt_f64_e32 s[20:21], v[4:5]
	s_cbranch_execz .LBB41_32
; %bb.31:
	v_mul_f64_e32 v[8:9], 0x3ff71547652b82fe, v[4:5]
	s_mov_b64 s[40:41], 0x3e5ade156a5dcb37
	v_cmp_nlt_f64_e32 vcc_lo, 0x40900000, v[4:5]
	v_cmp_ngt_f64_e64 s0, 0xc090cc00, v[4:5]
	s_delay_alu instid0(VALU_DEP_3) | instskip(NEXT) | instid1(VALU_DEP_1)
	v_rndne_f64_e32 v[8:9], v[8:9]
	v_fmamk_f64 v[10:11], v[8:9], 0xbfe62e42fefa39ef, v[4:5]
	v_cvt_i32_f64_e32 v1, v[8:9]
	s_delay_alu instid0(VALU_DEP_2) | instskip(NEXT) | instid1(VALU_DEP_1)
	v_fmamk_f64 v[10:11], v[8:9], 0xbc7abc9e3b39803f, v[10:11]
	v_fmaak_f64 v[12:13], s[40:41], v[10:11], 0x3e928af3fca7ab0c
	s_delay_alu instid0(VALU_DEP_1) | instskip(NEXT) | instid1(VALU_DEP_1)
	v_fmaak_f64 v[12:13], v[10:11], v[12:13], 0x3ec71dee623fde64
	v_fmaak_f64 v[12:13], v[10:11], v[12:13], 0x3efa01997c89e6b0
	s_delay_alu instid0(VALU_DEP_1) | instskip(NEXT) | instid1(VALU_DEP_1)
	v_fmaak_f64 v[12:13], v[10:11], v[12:13], 0x3f2a01a014761f6e
	;; [unrolled: 3-line block ×4, first 2 shown]
	v_fmaak_f64 v[12:13], v[10:11], v[12:13], 0x3fe000000000000b
	s_delay_alu instid0(VALU_DEP_1) | instskip(NEXT) | instid1(VALU_DEP_1)
	v_fma_f64 v[12:13], v[10:11], v[12:13], 1.0
	v_fma_f64 v[8:9], v[10:11], v[12:13], 1.0
	s_delay_alu instid0(VALU_DEP_1) | instskip(NEXT) | instid1(VALU_DEP_1)
	v_ldexp_f64 v[8:9], v[8:9], v1
	v_cndmask_b32_e32 v1, 0x7ff00000, v9, vcc_lo
	s_and_b32 vcc_lo, s0, vcc_lo
	s_delay_alu instid0(VALU_DEP_1) | instid1(SALU_CYCLE_1)
	v_dual_cndmask_b32 v4, 0, v8, vcc_lo :: v_dual_cndmask_b32 v5, 0, v1, s0
	s_wait_loadcnt 0x0
	s_delay_alu instid0(VALU_DEP_1) | instskip(SKIP_1) | instid1(VALU_DEP_1)
	v_mul_f64_e32 v[2:3], v[2:3], v[4:5]
	v_add_f64_e32 v[4:5], 1.0, v[4:5]
	v_div_scale_f64 v[8:9], null, v[4:5], v[4:5], v[2:3]
	s_delay_alu instid0(VALU_DEP_1) | instskip(SKIP_1) | instid1(TRANS32_DEP_1)
	v_rcp_f64_e32 v[10:11], v[8:9]
	v_nop
	v_fma_f64 v[12:13], -v[8:9], v[10:11], 1.0
	s_delay_alu instid0(VALU_DEP_1) | instskip(NEXT) | instid1(VALU_DEP_1)
	v_fmac_f64_e32 v[10:11], v[10:11], v[12:13]
	v_fma_f64 v[12:13], -v[8:9], v[10:11], 1.0
	s_delay_alu instid0(VALU_DEP_1) | instskip(SKIP_1) | instid1(VALU_DEP_1)
	v_fmac_f64_e32 v[10:11], v[10:11], v[12:13]
	v_div_scale_f64 v[12:13], vcc_lo, v[2:3], v[4:5], v[2:3]
	v_mul_f64_e32 v[14:15], v[12:13], v[10:11]
	s_delay_alu instid0(VALU_DEP_1) | instskip(NEXT) | instid1(VALU_DEP_1)
	v_fma_f64 v[8:9], -v[8:9], v[14:15], v[12:13]
	v_div_fmas_f64 v[8:9], v[8:9], v[10:11], v[14:15]
	s_delay_alu instid0(VALU_DEP_1)
	v_div_fixup_f64 v[2:3], v[8:9], v[4:5], v[2:3]
.LBB41_32:
	s_or_b32 exec_lo, exec_lo, s28
	v_add_nc_u32_e32 v0, 0x80, v0
	s_wait_loadcnt 0x0
	global_store_b64 v6, v[2:3], s[4:5]
	s_wait_xcnt 0x0
	s_or_b32 exec_lo, exec_lo, s13
	s_delay_alu instid0(SALU_CYCLE_1)
	s_mov_b32 s13, exec_lo
	v_cmpx_gt_i32_e64 s37, v0
	s_cbranch_execz .LBB41_4
.LBB41_33:
	s_and_not1_b32 vcc_lo, exec_lo, s33
	s_cbranch_vccnz .LBB41_39
; %bb.34:
	s_and_not1_b32 vcc_lo, exec_lo, s38
	s_cbranch_vccnz .LBB41_40
; %bb.35:
	v_dual_mov_b32 v6, 0 :: v_dual_mov_b32 v1, v0
	v_dual_mov_b32 v5, 0 :: v_dual_mov_b32 v4, 0
	s_add_co_i32 s0, s36, 1
	s_mov_b64 s[28:29], 0xffffffffffffffe8
	s_and_b32 s0, s0, 30
	s_add_nc_u64 s[28:29], s[2:3], s[28:29]
.LBB41_36:                              ; =>This Inner Loop Header: Depth=1
	s_clause 0x1
	s_load_b128 s[40:43], s[28:29], 0x1c
	s_load_b64 s[48:49], s[28:29], 0x2c
	s_add_co_i32 s0, s0, -2
	s_delay_alu instid0(SALU_CYCLE_1) | instskip(SKIP_2) | instid1(VALU_DEP_1)
	s_cmp_eq_u32 s0, 0
	s_wait_kmcnt 0x0
	v_mul_hi_u32 v2, s41, v1
	v_add_nc_u32_e32 v2, v1, v2
	s_delay_alu instid0(VALU_DEP_1) | instskip(NEXT) | instid1(VALU_DEP_1)
	v_lshrrev_b32_e32 v2, s42, v2
	v_mul_hi_u32 v3, s48, v2
	v_mul_lo_u32 v7, v2, s40
	s_clause 0x1
	s_load_b128 s[44:47], s[28:29], 0xdc
	s_load_b64 s[40:41], s[28:29], 0xec
	s_wait_xcnt 0x0
	s_add_nc_u64 s[28:29], s[28:29], 24
	s_delay_alu instid0(VALU_DEP_2) | instskip(NEXT) | instid1(VALU_DEP_2)
	v_add_nc_u32_e32 v3, v2, v3
	v_sub_nc_u32_e32 v7, v1, v7
	s_delay_alu instid0(VALU_DEP_2) | instskip(SKIP_1) | instid1(VALU_DEP_2)
	v_lshrrev_b32_e32 v1, s49, v3
	s_wait_kmcnt 0x0
	v_mad_u32 v6, v7, s44, v6
	s_delay_alu instid0(VALU_DEP_2) | instskip(SKIP_2) | instid1(VALU_DEP_3)
	v_mul_lo_u32 v3, v1, s43
	v_mad_u32 v4, v7, s46, v4
	v_mad_u32 v5, v7, s45, v5
	v_sub_nc_u32_e32 v2, v2, v3
	s_delay_alu instid0(VALU_DEP_1) | instskip(NEXT) | instid1(VALU_DEP_4)
	v_mad_u32 v6, v2, s47, v6
	v_mad_u32 v4, v2, s41, v4
	s_delay_alu instid0(VALU_DEP_4)
	v_mad_u32 v5, v2, s40, v5
	s_cbranch_scc0 .LBB41_36
; %bb.37:
	s_bitcmp1_b32 s36, 0
	s_cselect_b32 s0, -1, 0
	s_delay_alu instid0(SALU_CYCLE_1)
	s_and_b32 vcc_lo, exec_lo, s0
	s_cbranch_vccnz .LBB41_41
; %bb.38:
	s_clause 0x1
	s_load_b96 s[40:42], s[28:29], 0x1c
	s_load_b96 s[44:46], s[28:29], 0xdc
	s_wait_kmcnt 0x0
	v_mul_hi_u32 v2, s41, v1
	s_delay_alu instid0(VALU_DEP_1) | instskip(NEXT) | instid1(VALU_DEP_1)
	v_add_nc_u32_e32 v2, v1, v2
	v_lshrrev_b32_e32 v2, s42, v2
	s_delay_alu instid0(VALU_DEP_1) | instskip(NEXT) | instid1(VALU_DEP_1)
	v_mul_lo_u32 v2, v2, s40
	v_sub_nc_u32_e32 v1, v1, v2
	s_delay_alu instid0(VALU_DEP_1)
	v_mad_u32 v6, v1, s44, v6
	v_mad_u32 v5, v1, s45, v5
	v_mad_u32 v4, v1, s46, v4
	s_branch .LBB41_41
.LBB41_39:
                                        ; implicit-def: $vgpr4
                                        ; implicit-def: $vgpr5
                                        ; implicit-def: $vgpr6
	s_branch .LBB41_42
.LBB41_40:
	v_dual_mov_b32 v4, 0 :: v_dual_mov_b32 v5, 0
	v_mov_b32_e32 v6, 0
.LBB41_41:
	s_cbranch_execnz .LBB41_44
.LBB41_42:
	v_mov_b32_e32 v1, 0
	s_and_not1_b32 vcc_lo, exec_lo, s35
	s_delay_alu instid0(VALU_DEP_1) | instskip(NEXT) | instid1(VALU_DEP_1)
	v_mul_u64_e32 v[2:3], s[24:25], v[0:1]
	v_add_nc_u32_e32 v2, v0, v3
	s_delay_alu instid0(VALU_DEP_1) | instskip(NEXT) | instid1(VALU_DEP_1)
	v_lshrrev_b32_e32 v2, s14, v2
	v_mul_lo_u32 v3, v2, s12
	s_delay_alu instid0(VALU_DEP_1) | instskip(NEXT) | instid1(VALU_DEP_1)
	v_sub_nc_u32_e32 v3, v0, v3
	v_mul_lo_u32 v6, v3, s16
	v_mul_lo_u32 v4, v3, s18
	;; [unrolled: 1-line block ×3, first 2 shown]
	s_cbranch_vccnz .LBB41_44
; %bb.43:
	v_mov_b32_e32 v3, v1
	s_delay_alu instid0(VALU_DEP_1) | instskip(NEXT) | instid1(VALU_DEP_1)
	v_mul_u64_e32 v[8:9], s[26:27], v[2:3]
	v_add_nc_u32_e32 v1, v2, v9
	s_delay_alu instid0(VALU_DEP_1) | instskip(NEXT) | instid1(VALU_DEP_1)
	v_lshrrev_b32_e32 v1, s1, v1
	v_mul_lo_u32 v1, v1, s15
	s_delay_alu instid0(VALU_DEP_1) | instskip(NEXT) | instid1(VALU_DEP_1)
	v_sub_nc_u32_e32 v1, v2, v1
	v_mad_u32 v6, v1, s19, v6
	v_mad_u32 v5, v1, s22, v5
	;; [unrolled: 1-line block ×3, first 2 shown]
.LBB41_44:
	global_load_b64 v[8:9], v4, s[8:9]
	global_load_b64 v[2:3], v5, s[6:7]
	s_mov_b32 s28, exec_lo
	s_wait_loadcnt 0x1
	s_wait_xcnt 0x0
	v_mul_f64_e32 v[4:5], s[10:11], v[8:9]
	s_delay_alu instid0(VALU_DEP_1)
	v_cmpx_nlt_f64_e32 s[20:21], v[4:5]
	s_cbranch_execz .LBB41_46
; %bb.45:
	v_mul_f64_e32 v[8:9], 0x3ff71547652b82fe, v[4:5]
	s_mov_b64 s[40:41], 0x3e5ade156a5dcb37
	v_cmp_nlt_f64_e32 vcc_lo, 0x40900000, v[4:5]
	v_cmp_ngt_f64_e64 s0, 0xc090cc00, v[4:5]
	s_delay_alu instid0(VALU_DEP_3) | instskip(NEXT) | instid1(VALU_DEP_1)
	v_rndne_f64_e32 v[8:9], v[8:9]
	v_fmamk_f64 v[10:11], v[8:9], 0xbfe62e42fefa39ef, v[4:5]
	v_cvt_i32_f64_e32 v1, v[8:9]
	s_delay_alu instid0(VALU_DEP_2) | instskip(NEXT) | instid1(VALU_DEP_1)
	v_fmamk_f64 v[10:11], v[8:9], 0xbc7abc9e3b39803f, v[10:11]
	v_fmaak_f64 v[12:13], s[40:41], v[10:11], 0x3e928af3fca7ab0c
	s_delay_alu instid0(VALU_DEP_1) | instskip(NEXT) | instid1(VALU_DEP_1)
	v_fmaak_f64 v[12:13], v[10:11], v[12:13], 0x3ec71dee623fde64
	v_fmaak_f64 v[12:13], v[10:11], v[12:13], 0x3efa01997c89e6b0
	s_delay_alu instid0(VALU_DEP_1) | instskip(NEXT) | instid1(VALU_DEP_1)
	v_fmaak_f64 v[12:13], v[10:11], v[12:13], 0x3f2a01a014761f6e
	;; [unrolled: 3-line block ×4, first 2 shown]
	v_fmaak_f64 v[12:13], v[10:11], v[12:13], 0x3fe000000000000b
	s_delay_alu instid0(VALU_DEP_1) | instskip(NEXT) | instid1(VALU_DEP_1)
	v_fma_f64 v[12:13], v[10:11], v[12:13], 1.0
	v_fma_f64 v[8:9], v[10:11], v[12:13], 1.0
	s_delay_alu instid0(VALU_DEP_1) | instskip(NEXT) | instid1(VALU_DEP_1)
	v_ldexp_f64 v[8:9], v[8:9], v1
	v_cndmask_b32_e32 v1, 0x7ff00000, v9, vcc_lo
	s_and_b32 vcc_lo, s0, vcc_lo
	s_delay_alu instid0(VALU_DEP_1) | instid1(SALU_CYCLE_1)
	v_dual_cndmask_b32 v4, 0, v8, vcc_lo :: v_dual_cndmask_b32 v5, 0, v1, s0
	s_wait_loadcnt 0x0
	s_delay_alu instid0(VALU_DEP_1) | instskip(SKIP_1) | instid1(VALU_DEP_1)
	v_mul_f64_e32 v[2:3], v[2:3], v[4:5]
	v_add_f64_e32 v[4:5], 1.0, v[4:5]
	v_div_scale_f64 v[8:9], null, v[4:5], v[4:5], v[2:3]
	s_delay_alu instid0(VALU_DEP_1) | instskip(SKIP_1) | instid1(TRANS32_DEP_1)
	v_rcp_f64_e32 v[10:11], v[8:9]
	v_nop
	v_fma_f64 v[12:13], -v[8:9], v[10:11], 1.0
	s_delay_alu instid0(VALU_DEP_1) | instskip(NEXT) | instid1(VALU_DEP_1)
	v_fmac_f64_e32 v[10:11], v[10:11], v[12:13]
	v_fma_f64 v[12:13], -v[8:9], v[10:11], 1.0
	s_delay_alu instid0(VALU_DEP_1) | instskip(SKIP_1) | instid1(VALU_DEP_1)
	v_fmac_f64_e32 v[10:11], v[10:11], v[12:13]
	v_div_scale_f64 v[12:13], vcc_lo, v[2:3], v[4:5], v[2:3]
	v_mul_f64_e32 v[14:15], v[12:13], v[10:11]
	s_delay_alu instid0(VALU_DEP_1) | instskip(NEXT) | instid1(VALU_DEP_1)
	v_fma_f64 v[8:9], -v[8:9], v[14:15], v[12:13]
	v_div_fmas_f64 v[8:9], v[8:9], v[10:11], v[14:15]
	s_delay_alu instid0(VALU_DEP_1)
	v_div_fixup_f64 v[2:3], v[8:9], v[4:5], v[2:3]
.LBB41_46:
	s_or_b32 exec_lo, exec_lo, s28
	v_add_nc_u32_e32 v0, 0x80, v0
	s_wait_loadcnt 0x0
	global_store_b64 v6, v[2:3], s[4:5]
	s_wait_xcnt 0x0
	s_or_b32 exec_lo, exec_lo, s13
	s_delay_alu instid0(SALU_CYCLE_1)
	s_mov_b32 s13, exec_lo
	v_cmpx_gt_i32_e64 s37, v0
	s_cbranch_execz .LBB41_61
.LBB41_47:
	s_and_not1_b32 vcc_lo, exec_lo, s33
	s_cbranch_vccnz .LBB41_53
; %bb.48:
	s_and_not1_b32 vcc_lo, exec_lo, s38
	s_cbranch_vccnz .LBB41_54
; %bb.49:
	v_dual_mov_b32 v4, 0 :: v_dual_mov_b32 v1, v0
	v_dual_mov_b32 v6, 0 :: v_dual_mov_b32 v5, 0
	s_add_co_i32 s0, s36, 1
	s_mov_b64 s[28:29], 0xffffffffffffffe8
	s_and_b32 s0, s0, 30
	s_add_nc_u64 s[28:29], s[2:3], s[28:29]
.LBB41_50:                              ; =>This Inner Loop Header: Depth=1
	s_clause 0x1
	s_load_b128 s[40:43], s[28:29], 0x1c
	s_load_b64 s[38:39], s[28:29], 0x2c
	s_add_co_i32 s0, s0, -2
	s_delay_alu instid0(SALU_CYCLE_1) | instskip(SKIP_2) | instid1(VALU_DEP_1)
	s_cmp_eq_u32 s0, 0
	s_wait_kmcnt 0x0
	v_mul_hi_u32 v2, s41, v1
	v_add_nc_u32_e32 v2, v1, v2
	s_delay_alu instid0(VALU_DEP_1) | instskip(NEXT) | instid1(VALU_DEP_1)
	v_lshrrev_b32_e32 v2, s42, v2
	v_mul_hi_u32 v3, s38, v2
	v_mul_lo_u32 v7, v2, s40
	s_clause 0x1
	s_load_b128 s[44:47], s[28:29], 0xdc
	s_load_b64 s[40:41], s[28:29], 0xec
	s_wait_xcnt 0x0
	s_add_nc_u64 s[28:29], s[28:29], 24
	s_delay_alu instid0(VALU_DEP_2) | instskip(NEXT) | instid1(VALU_DEP_2)
	v_add_nc_u32_e32 v3, v2, v3
	v_sub_nc_u32_e32 v7, v1, v7
	s_delay_alu instid0(VALU_DEP_2) | instskip(SKIP_1) | instid1(VALU_DEP_2)
	v_lshrrev_b32_e32 v1, s39, v3
	s_wait_kmcnt 0x0
	v_mad_u32 v4, v7, s44, v4
	s_delay_alu instid0(VALU_DEP_2) | instskip(SKIP_2) | instid1(VALU_DEP_3)
	v_mul_lo_u32 v3, v1, s43
	v_mad_u32 v5, v7, s46, v5
	v_mad_u32 v6, v7, s45, v6
	v_sub_nc_u32_e32 v2, v2, v3
	s_delay_alu instid0(VALU_DEP_1) | instskip(NEXT) | instid1(VALU_DEP_4)
	v_mad_u32 v4, v2, s47, v4
	v_mad_u32 v5, v2, s41, v5
	s_delay_alu instid0(VALU_DEP_4)
	v_mad_u32 v6, v2, s40, v6
	s_cbranch_scc0 .LBB41_50
; %bb.51:
	s_bitcmp1_b32 s36, 0
	s_cselect_b32 s0, -1, 0
	s_delay_alu instid0(SALU_CYCLE_1)
	s_and_b32 vcc_lo, exec_lo, s0
	s_cbranch_vccnz .LBB41_55
; %bb.52:
	s_clause 0x1
	s_load_b96 s[36:38], s[28:29], 0x1c
	s_load_b96 s[40:42], s[28:29], 0xdc
	s_wait_kmcnt 0x0
	v_mul_hi_u32 v2, s37, v1
	s_delay_alu instid0(VALU_DEP_1) | instskip(NEXT) | instid1(VALU_DEP_1)
	v_add_nc_u32_e32 v2, v1, v2
	v_lshrrev_b32_e32 v2, s38, v2
	s_delay_alu instid0(VALU_DEP_1) | instskip(NEXT) | instid1(VALU_DEP_1)
	v_mul_lo_u32 v2, v2, s36
	v_sub_nc_u32_e32 v1, v1, v2
	s_delay_alu instid0(VALU_DEP_1)
	v_mad_u32 v4, v1, s40, v4
	v_mad_u32 v6, v1, s41, v6
	;; [unrolled: 1-line block ×3, first 2 shown]
	s_branch .LBB41_55
.LBB41_53:
                                        ; implicit-def: $vgpr5
                                        ; implicit-def: $vgpr6
                                        ; implicit-def: $vgpr4
	s_branch .LBB41_56
.LBB41_54:
	v_dual_mov_b32 v5, 0 :: v_dual_mov_b32 v6, 0
	v_mov_b32_e32 v4, 0
.LBB41_55:
	s_cbranch_execnz .LBB41_58
.LBB41_56:
	v_mov_b32_e32 v1, 0
	s_and_not1_b32 vcc_lo, exec_lo, s35
	s_delay_alu instid0(VALU_DEP_1) | instskip(NEXT) | instid1(VALU_DEP_1)
	v_mul_u64_e32 v[2:3], s[24:25], v[0:1]
	v_add_nc_u32_e32 v2, v0, v3
	s_delay_alu instid0(VALU_DEP_1) | instskip(NEXT) | instid1(VALU_DEP_1)
	v_lshrrev_b32_e32 v2, s14, v2
	v_mul_lo_u32 v3, v2, s12
	s_delay_alu instid0(VALU_DEP_1) | instskip(NEXT) | instid1(VALU_DEP_1)
	v_sub_nc_u32_e32 v0, v0, v3
	v_mul_lo_u32 v4, v0, s16
	v_mul_lo_u32 v5, v0, s18
	;; [unrolled: 1-line block ×3, first 2 shown]
	s_cbranch_vccnz .LBB41_58
; %bb.57:
	v_mov_b32_e32 v3, v1
	s_delay_alu instid0(VALU_DEP_1) | instskip(NEXT) | instid1(VALU_DEP_1)
	v_mul_u64_e32 v[0:1], s[26:27], v[2:3]
	v_add_nc_u32_e32 v0, v2, v1
	s_delay_alu instid0(VALU_DEP_1) | instskip(NEXT) | instid1(VALU_DEP_1)
	v_lshrrev_b32_e32 v0, s1, v0
	v_mul_lo_u32 v0, v0, s15
	s_delay_alu instid0(VALU_DEP_1) | instskip(NEXT) | instid1(VALU_DEP_1)
	v_sub_nc_u32_e32 v0, v2, v0
	v_mad_u32 v4, v0, s19, v4
	v_mad_u32 v6, v0, s22, v6
	;; [unrolled: 1-line block ×3, first 2 shown]
.LBB41_58:
	global_load_b64 v[2:3], v5, s[8:9]
	global_load_b64 v[0:1], v6, s[6:7]
	s_mov_b32 s1, exec_lo
	s_wait_loadcnt 0x1
	v_mul_f64_e32 v[2:3], s[10:11], v[2:3]
	s_wait_xcnt 0x0
	s_delay_alu instid0(VALU_DEP_1)
	v_cmpx_nlt_f64_e32 s[20:21], v[2:3]
	s_cbranch_execz .LBB41_60
; %bb.59:
	v_mul_f64_e32 v[6:7], 0x3ff71547652b82fe, v[2:3]
	s_mov_b64 s[6:7], 0x3e5ade156a5dcb37
	v_cmp_nlt_f64_e32 vcc_lo, 0x40900000, v[2:3]
	v_cmp_ngt_f64_e64 s0, 0xc090cc00, v[2:3]
	s_delay_alu instid0(VALU_DEP_3) | instskip(NEXT) | instid1(VALU_DEP_1)
	v_rndne_f64_e32 v[6:7], v[6:7]
	v_fmamk_f64 v[8:9], v[6:7], 0xbfe62e42fefa39ef, v[2:3]
	v_cvt_i32_f64_e32 v5, v[6:7]
	s_delay_alu instid0(VALU_DEP_2) | instskip(NEXT) | instid1(VALU_DEP_1)
	v_fmamk_f64 v[8:9], v[6:7], 0xbc7abc9e3b39803f, v[8:9]
	v_fmaak_f64 v[10:11], s[6:7], v[8:9], 0x3e928af3fca7ab0c
	s_delay_alu instid0(VALU_DEP_1) | instskip(NEXT) | instid1(VALU_DEP_1)
	v_fmaak_f64 v[10:11], v[8:9], v[10:11], 0x3ec71dee623fde64
	v_fmaak_f64 v[10:11], v[8:9], v[10:11], 0x3efa01997c89e6b0
	s_delay_alu instid0(VALU_DEP_1) | instskip(NEXT) | instid1(VALU_DEP_1)
	v_fmaak_f64 v[10:11], v[8:9], v[10:11], 0x3f2a01a014761f6e
	;; [unrolled: 3-line block ×4, first 2 shown]
	v_fmaak_f64 v[10:11], v[8:9], v[10:11], 0x3fe000000000000b
	s_delay_alu instid0(VALU_DEP_1) | instskip(NEXT) | instid1(VALU_DEP_1)
	v_fma_f64 v[10:11], v[8:9], v[10:11], 1.0
	v_fma_f64 v[6:7], v[8:9], v[10:11], 1.0
	s_delay_alu instid0(VALU_DEP_1) | instskip(NEXT) | instid1(VALU_DEP_1)
	v_ldexp_f64 v[6:7], v[6:7], v5
	v_cndmask_b32_e32 v5, 0x7ff00000, v7, vcc_lo
	s_and_b32 vcc_lo, s0, vcc_lo
	s_delay_alu instid0(VALU_DEP_1) | instid1(SALU_CYCLE_1)
	v_dual_cndmask_b32 v2, 0, v6, vcc_lo :: v_dual_cndmask_b32 v3, 0, v5, s0
	s_wait_loadcnt 0x0
	s_delay_alu instid0(VALU_DEP_1) | instskip(SKIP_1) | instid1(VALU_DEP_1)
	v_mul_f64_e32 v[0:1], v[0:1], v[2:3]
	v_add_f64_e32 v[2:3], 1.0, v[2:3]
	v_div_scale_f64 v[6:7], null, v[2:3], v[2:3], v[0:1]
	s_delay_alu instid0(VALU_DEP_1) | instskip(SKIP_1) | instid1(TRANS32_DEP_1)
	v_rcp_f64_e32 v[8:9], v[6:7]
	v_nop
	v_fma_f64 v[10:11], -v[6:7], v[8:9], 1.0
	s_delay_alu instid0(VALU_DEP_1) | instskip(NEXT) | instid1(VALU_DEP_1)
	v_fmac_f64_e32 v[8:9], v[8:9], v[10:11]
	v_fma_f64 v[10:11], -v[6:7], v[8:9], 1.0
	s_delay_alu instid0(VALU_DEP_1) | instskip(SKIP_1) | instid1(VALU_DEP_1)
	v_fmac_f64_e32 v[8:9], v[8:9], v[10:11]
	v_div_scale_f64 v[10:11], vcc_lo, v[0:1], v[2:3], v[0:1]
	v_mul_f64_e32 v[12:13], v[10:11], v[8:9]
	s_delay_alu instid0(VALU_DEP_1) | instskip(NEXT) | instid1(VALU_DEP_1)
	v_fma_f64 v[6:7], -v[6:7], v[12:13], v[10:11]
	v_div_fmas_f64 v[6:7], v[6:7], v[8:9], v[12:13]
	s_delay_alu instid0(VALU_DEP_1)
	v_div_fixup_f64 v[0:1], v[6:7], v[2:3], v[0:1]
.LBB41_60:
	s_or_b32 exec_lo, exec_lo, s1
	s_wait_loadcnt 0x0
	global_store_b64 v4, v[0:1], s[4:5]
.LBB41_61:
	s_wait_xcnt 0x0
	s_or_b32 exec_lo, exec_lo, s13
                                        ; implicit-def: $vgpr1
                                        ; implicit-def: $vgpr0
.LBB41_62:
	s_and_not1_saveexec_b32 s0, s34
	s_cbranch_execz .LBB41_69
; %bb.63:
	v_cndmask_b32_e64 v6, 0, 1, s33
	s_and_not1_b32 vcc_lo, exec_lo, s33
	s_cbranch_vccnz .LBB41_70
; %bb.64:
	s_cmp_lg_u32 s30, 0
	s_mov_b32 s4, 0
	s_cbranch_scc0 .LBB41_74
; %bb.65:
	s_min_u32 s5, s31, 15
	v_dual_mov_b32 v10, 0 :: v_dual_mov_b32 v4, v0
	v_dual_mov_b32 v3, 0 :: v_dual_mov_b32 v2, 0
	s_add_co_i32 s6, s5, 1
	s_mov_b64 s[0:1], 0xffffffffffffffe8
	s_and_b32 s6, s6, 30
	s_add_nc_u64 s[0:1], s[2:3], s[0:1]
.LBB41_66:                              ; =>This Inner Loop Header: Depth=1
	s_clause 0x1
	s_load_b128 s[8:11], s[0:1], 0x1c
	s_load_b64 s[16:17], s[0:1], 0x2c
	s_add_co_i32 s6, s6, -2
	s_delay_alu instid0(SALU_CYCLE_1) | instskip(SKIP_2) | instid1(VALU_DEP_1)
	s_cmp_lg_u32 s6, 0
	s_wait_kmcnt 0x0
	v_mul_hi_u32 v5, s9, v4
	v_add_nc_u32_e32 v5, v4, v5
	s_delay_alu instid0(VALU_DEP_1) | instskip(NEXT) | instid1(VALU_DEP_1)
	v_lshrrev_b32_e32 v5, s10, v5
	v_mul_hi_u32 v7, s16, v5
	v_mul_lo_u32 v8, v5, s8
	s_clause 0x1
	s_load_b128 s[12:15], s[0:1], 0xdc
	s_load_b64 s[8:9], s[0:1], 0xec
	s_wait_xcnt 0x0
	s_add_nc_u64 s[0:1], s[0:1], 24
	s_delay_alu instid0(VALU_DEP_1) | instskip(NEXT) | instid1(VALU_DEP_1)
	v_dual_add_nc_u32 v7, v5, v7 :: v_dual_sub_nc_u32 v8, v4, v8
	v_lshrrev_b32_e32 v4, s17, v7
	s_wait_kmcnt 0x0
	s_delay_alu instid0(VALU_DEP_2) | instskip(NEXT) | instid1(VALU_DEP_2)
	v_mad_u32 v9, v8, s12, v10
	v_mul_lo_u32 v7, v4, s11
	v_mad_u32 v2, v8, s14, v2
	v_mad_u32 v3, v8, s13, v3
	s_delay_alu instid0(VALU_DEP_3) | instskip(NEXT) | instid1(VALU_DEP_1)
	v_sub_nc_u32_e32 v5, v5, v7
	v_mad_u32 v10, v5, s15, v9
	s_delay_alu instid0(VALU_DEP_4) | instskip(NEXT) | instid1(VALU_DEP_4)
	v_mad_u32 v2, v5, s9, v2
	v_mad_u32 v3, v5, s8, v3
	s_cbranch_scc1 .LBB41_66
; %bb.67:
	s_bitcmp1_b32 s5, 0
	s_cselect_b32 s5, -1, 0
	s_delay_alu instid0(SALU_CYCLE_1)
	s_and_b32 vcc_lo, exec_lo, s5
	s_cbranch_vccnz .LBB41_71
; %bb.68:
	s_clause 0x1
	s_load_b96 s[8:10], s[0:1], 0x1c
	s_load_b96 s[12:14], s[0:1], 0xdc
	s_wait_kmcnt 0x0
	v_mul_hi_u32 v5, s9, v4
	s_delay_alu instid0(VALU_DEP_1) | instskip(NEXT) | instid1(VALU_DEP_1)
	v_add_nc_u32_e32 v5, v4, v5
	v_lshrrev_b32_e32 v5, s10, v5
	s_delay_alu instid0(VALU_DEP_1) | instskip(NEXT) | instid1(VALU_DEP_1)
	v_mul_lo_u32 v5, v5, s8
	v_sub_nc_u32_e32 v4, v4, v5
	s_delay_alu instid0(VALU_DEP_1)
	v_mad_u32 v10, v4, s12, v10
	v_mad_u32 v3, v4, s13, v3
	;; [unrolled: 1-line block ×3, first 2 shown]
	s_and_not1_b32 vcc_lo, exec_lo, s4
	s_cbranch_vccz .LBB41_72
	s_branch .LBB41_75
.LBB41_69:
	s_endpgm
.LBB41_70:
	s_mov_b32 s4, -1
                                        ; implicit-def: $vgpr2
                                        ; implicit-def: $vgpr3
                                        ; implicit-def: $vgpr10
.LBB41_71:
	s_delay_alu instid0(SALU_CYCLE_1)
	s_and_not1_b32 vcc_lo, exec_lo, s4
	s_cbranch_vccnz .LBB41_75
.LBB41_72:
	s_clause 0x1
	s_load_b96 s[4:6], s[2:3], 0x4
	s_load_b96 s[8:10], s[2:3], 0xc4
	s_cmp_lt_u32 s30, 2
	s_wait_kmcnt 0x0
	v_mul_hi_u32 v2, s5, v0
	s_delay_alu instid0(VALU_DEP_1) | instskip(NEXT) | instid1(VALU_DEP_1)
	v_add_nc_u32_e32 v2, v0, v2
	v_lshrrev_b32_e32 v4, s6, v2
	s_delay_alu instid0(VALU_DEP_1) | instskip(NEXT) | instid1(VALU_DEP_1)
	v_mul_lo_u32 v2, v4, s4
	v_sub_nc_u32_e32 v3, v0, v2
	s_delay_alu instid0(VALU_DEP_1)
	v_mul_lo_u32 v10, v3, s8
	v_mul_lo_u32 v2, v3, s10
	;; [unrolled: 1-line block ×3, first 2 shown]
	s_cbranch_scc1 .LBB41_75
; %bb.73:
	s_clause 0x1
	s_load_b96 s[4:6], s[2:3], 0x10
	s_load_b96 s[8:10], s[2:3], 0xd0
	s_wait_kmcnt 0x0
	v_mul_hi_u32 v5, s5, v4
	s_delay_alu instid0(VALU_DEP_1) | instskip(NEXT) | instid1(VALU_DEP_1)
	v_add_nc_u32_e32 v5, v4, v5
	v_lshrrev_b32_e32 v5, s6, v5
	s_delay_alu instid0(VALU_DEP_1) | instskip(NEXT) | instid1(VALU_DEP_1)
	v_mul_lo_u32 v5, v5, s4
	v_sub_nc_u32_e32 v4, v4, v5
	s_delay_alu instid0(VALU_DEP_1)
	v_mad_u32 v10, v4, s8, v10
	v_mad_u32 v3, v4, s9, v3
	;; [unrolled: 1-line block ×3, first 2 shown]
	s_branch .LBB41_75
.LBB41_74:
	v_dual_mov_b32 v2, 0 :: v_dual_mov_b32 v3, 0
	v_mov_b32_e32 v10, 0
	s_and_not1_b32 vcc_lo, exec_lo, s4
	s_cbranch_vccz .LBB41_72
.LBB41_75:
	v_cmp_ne_u32_e32 vcc_lo, 1, v6
	v_add_nc_u32_e32 v7, 0x80, v0
	s_cbranch_vccnz .LBB41_81
; %bb.76:
	s_cmp_lg_u32 s30, 0
	s_mov_b32 s4, 0
	s_cbranch_scc0 .LBB41_85
; %bb.77:
	s_min_u32 s5, s31, 15
	v_dual_mov_b32 v11, 0 :: v_dual_mov_b32 v8, v7
	v_dual_mov_b32 v5, 0 :: v_dual_mov_b32 v4, 0
	s_add_co_i32 s6, s5, 1
	s_mov_b64 s[0:1], 0xffffffffffffffe8
	s_and_b32 s6, s6, 30
	s_add_nc_u64 s[0:1], s[2:3], s[0:1]
.LBB41_78:                              ; =>This Inner Loop Header: Depth=1
	s_clause 0x1
	s_load_b128 s[8:11], s[0:1], 0x1c
	s_load_b64 s[16:17], s[0:1], 0x2c
	s_add_co_i32 s6, s6, -2
	s_delay_alu instid0(SALU_CYCLE_1) | instskip(SKIP_2) | instid1(VALU_DEP_1)
	s_cmp_lg_u32 s6, 0
	s_wait_kmcnt 0x0
	v_mul_hi_u32 v9, s9, v8
	v_add_nc_u32_e32 v9, v8, v9
	s_delay_alu instid0(VALU_DEP_1) | instskip(NEXT) | instid1(VALU_DEP_1)
	v_lshrrev_b32_e32 v9, s10, v9
	v_mul_hi_u32 v12, s16, v9
	v_mul_lo_u32 v13, v9, s8
	s_clause 0x1
	s_load_b128 s[12:15], s[0:1], 0xdc
	s_load_b64 s[8:9], s[0:1], 0xec
	s_wait_xcnt 0x0
	s_add_nc_u64 s[0:1], s[0:1], 24
	s_delay_alu instid0(VALU_DEP_1) | instskip(NEXT) | instid1(VALU_DEP_1)
	v_dual_add_nc_u32 v12, v9, v12 :: v_dual_sub_nc_u32 v13, v8, v13
	v_lshrrev_b32_e32 v8, s17, v12
	s_wait_kmcnt 0x0
	s_delay_alu instid0(VALU_DEP_2) | instskip(NEXT) | instid1(VALU_DEP_2)
	v_mad_u32 v11, v13, s12, v11
	v_mul_lo_u32 v12, v8, s11
	v_mad_u32 v4, v13, s14, v4
	v_mad_u32 v5, v13, s13, v5
	s_delay_alu instid0(VALU_DEP_3) | instskip(NEXT) | instid1(VALU_DEP_1)
	v_sub_nc_u32_e32 v9, v9, v12
	v_mad_u32 v11, v9, s15, v11
	s_delay_alu instid0(VALU_DEP_4) | instskip(NEXT) | instid1(VALU_DEP_4)
	v_mad_u32 v4, v9, s9, v4
	v_mad_u32 v5, v9, s8, v5
	s_cbranch_scc1 .LBB41_78
; %bb.79:
	s_bitcmp1_b32 s5, 0
	s_cselect_b32 s5, -1, 0
	s_delay_alu instid0(SALU_CYCLE_1)
	s_and_b32 vcc_lo, exec_lo, s5
	s_cbranch_vccnz .LBB41_82
; %bb.80:
	s_clause 0x1
	s_load_b96 s[8:10], s[0:1], 0x1c
	s_load_b96 s[12:14], s[0:1], 0xdc
	s_wait_kmcnt 0x0
	v_mul_hi_u32 v9, s9, v8
	s_delay_alu instid0(VALU_DEP_1) | instskip(NEXT) | instid1(VALU_DEP_1)
	v_add_nc_u32_e32 v9, v8, v9
	v_lshrrev_b32_e32 v9, s10, v9
	s_delay_alu instid0(VALU_DEP_1) | instskip(NEXT) | instid1(VALU_DEP_1)
	v_mul_lo_u32 v9, v9, s8
	v_sub_nc_u32_e32 v8, v8, v9
	s_delay_alu instid0(VALU_DEP_1)
	v_mad_u32 v11, v8, s12, v11
	v_mad_u32 v5, v8, s13, v5
	;; [unrolled: 1-line block ×3, first 2 shown]
	s_and_not1_b32 vcc_lo, exec_lo, s4
	s_cbranch_vccz .LBB41_83
	s_branch .LBB41_86
.LBB41_81:
	s_mov_b32 s4, -1
                                        ; implicit-def: $vgpr4
                                        ; implicit-def: $vgpr5
                                        ; implicit-def: $vgpr11
.LBB41_82:
	s_delay_alu instid0(SALU_CYCLE_1)
	s_and_not1_b32 vcc_lo, exec_lo, s4
	s_cbranch_vccnz .LBB41_86
.LBB41_83:
	s_clause 0x1
	s_load_b96 s[4:6], s[2:3], 0x4
	s_load_b96 s[8:10], s[2:3], 0xc4
	s_cmp_lt_u32 s30, 2
	s_wait_kmcnt 0x0
	v_mul_hi_u32 v4, s5, v7
	s_delay_alu instid0(VALU_DEP_1) | instskip(NEXT) | instid1(VALU_DEP_1)
	v_add_nc_u32_e32 v4, v7, v4
	v_lshrrev_b32_e32 v8, s6, v4
	s_delay_alu instid0(VALU_DEP_1) | instskip(NEXT) | instid1(VALU_DEP_1)
	v_mul_lo_u32 v4, v8, s4
	v_sub_nc_u32_e32 v5, v7, v4
	s_delay_alu instid0(VALU_DEP_1)
	v_mul_lo_u32 v11, v5, s8
	v_mul_lo_u32 v4, v5, s10
	;; [unrolled: 1-line block ×3, first 2 shown]
	s_cbranch_scc1 .LBB41_86
; %bb.84:
	s_clause 0x1
	s_load_b96 s[4:6], s[2:3], 0x10
	s_load_b96 s[8:10], s[2:3], 0xd0
	s_wait_kmcnt 0x0
	v_mul_hi_u32 v7, s5, v8
	s_delay_alu instid0(VALU_DEP_1) | instskip(NEXT) | instid1(VALU_DEP_1)
	v_add_nc_u32_e32 v7, v8, v7
	v_lshrrev_b32_e32 v7, s6, v7
	s_delay_alu instid0(VALU_DEP_1) | instskip(NEXT) | instid1(VALU_DEP_1)
	v_mul_lo_u32 v7, v7, s4
	v_sub_nc_u32_e32 v7, v8, v7
	s_delay_alu instid0(VALU_DEP_1)
	v_mad_u32 v11, v7, s8, v11
	v_mad_u32 v5, v7, s9, v5
	;; [unrolled: 1-line block ×3, first 2 shown]
	s_branch .LBB41_86
.LBB41_85:
	v_dual_mov_b32 v4, 0 :: v_dual_mov_b32 v5, 0
	v_mov_b32_e32 v11, 0
	s_and_not1_b32 vcc_lo, exec_lo, s4
	s_cbranch_vccz .LBB41_83
.LBB41_86:
	v_cmp_ne_u32_e32 vcc_lo, 1, v6
	v_add_nc_u32_e32 v0, 0x100, v0
	s_cbranch_vccnz .LBB41_92
; %bb.87:
	s_cmp_lg_u32 s30, 0
	s_mov_b32 s4, 0
	s_cbranch_scc0 .LBB41_96
; %bb.88:
	s_min_u32 s5, s31, 15
	v_dual_mov_b32 v12, 0 :: v_dual_mov_b32 v9, v0
	v_dual_mov_b32 v8, 0 :: v_dual_mov_b32 v7, 0
	s_add_co_i32 s6, s5, 1
	s_mov_b64 s[0:1], 0xffffffffffffffe8
	s_and_b32 s6, s6, 30
	s_add_nc_u64 s[0:1], s[2:3], s[0:1]
.LBB41_89:                              ; =>This Inner Loop Header: Depth=1
	s_clause 0x1
	s_load_b128 s[8:11], s[0:1], 0x1c
	s_load_b64 s[16:17], s[0:1], 0x2c
	s_add_co_i32 s6, s6, -2
	s_delay_alu instid0(SALU_CYCLE_1) | instskip(SKIP_2) | instid1(VALU_DEP_1)
	s_cmp_lg_u32 s6, 0
	s_wait_kmcnt 0x0
	v_mul_hi_u32 v13, s9, v9
	v_add_nc_u32_e32 v13, v9, v13
	s_delay_alu instid0(VALU_DEP_1) | instskip(NEXT) | instid1(VALU_DEP_1)
	v_lshrrev_b32_e32 v13, s10, v13
	v_mul_hi_u32 v14, s16, v13
	v_mul_lo_u32 v15, v13, s8
	s_clause 0x1
	s_load_b128 s[12:15], s[0:1], 0xdc
	s_load_b64 s[8:9], s[0:1], 0xec
	s_wait_xcnt 0x0
	s_add_nc_u64 s[0:1], s[0:1], 24
	s_delay_alu instid0(VALU_DEP_2) | instskip(NEXT) | instid1(VALU_DEP_1)
	v_add_nc_u32_e32 v14, v13, v14
	v_dual_sub_nc_u32 v15, v9, v15 :: v_dual_lshrrev_b32 v9, s17, v14
	s_wait_kmcnt 0x0
	s_delay_alu instid0(VALU_DEP_1) | instskip(NEXT) | instid1(VALU_DEP_2)
	v_mad_u32 v12, v15, s12, v12
	v_mul_lo_u32 v14, v9, s11
	v_mad_u32 v7, v15, s14, v7
	v_mad_u32 v8, v15, s13, v8
	s_delay_alu instid0(VALU_DEP_3) | instskip(NEXT) | instid1(VALU_DEP_1)
	v_sub_nc_u32_e32 v13, v13, v14
	v_mad_u32 v12, v13, s15, v12
	s_delay_alu instid0(VALU_DEP_4) | instskip(NEXT) | instid1(VALU_DEP_4)
	v_mad_u32 v7, v13, s9, v7
	v_mad_u32 v8, v13, s8, v8
	s_cbranch_scc1 .LBB41_89
; %bb.90:
	s_bitcmp1_b32 s5, 0
	s_cselect_b32 s5, -1, 0
	s_delay_alu instid0(SALU_CYCLE_1)
	s_and_b32 vcc_lo, exec_lo, s5
	s_cbranch_vccnz .LBB41_93
; %bb.91:
	s_clause 0x1
	s_load_b96 s[8:10], s[0:1], 0x1c
	s_load_b96 s[12:14], s[0:1], 0xdc
	s_wait_kmcnt 0x0
	v_mul_hi_u32 v13, s9, v9
	s_delay_alu instid0(VALU_DEP_1) | instskip(NEXT) | instid1(VALU_DEP_1)
	v_add_nc_u32_e32 v13, v9, v13
	v_lshrrev_b32_e32 v13, s10, v13
	s_delay_alu instid0(VALU_DEP_1) | instskip(NEXT) | instid1(VALU_DEP_1)
	v_mul_lo_u32 v13, v13, s8
	v_sub_nc_u32_e32 v9, v9, v13
	s_delay_alu instid0(VALU_DEP_1)
	v_mad_u32 v12, v9, s12, v12
	v_mad_u32 v8, v9, s13, v8
	;; [unrolled: 1-line block ×3, first 2 shown]
	s_and_not1_b32 vcc_lo, exec_lo, s4
	s_cbranch_vccz .LBB41_94
	s_branch .LBB41_97
.LBB41_92:
	s_mov_b32 s4, -1
                                        ; implicit-def: $vgpr7
                                        ; implicit-def: $vgpr8
                                        ; implicit-def: $vgpr12
.LBB41_93:
	s_delay_alu instid0(SALU_CYCLE_1)
	s_and_not1_b32 vcc_lo, exec_lo, s4
	s_cbranch_vccnz .LBB41_97
.LBB41_94:
	s_clause 0x1
	s_load_b96 s[4:6], s[2:3], 0x4
	s_load_b96 s[8:10], s[2:3], 0xc4
	s_cmp_lt_u32 s30, 2
	s_wait_kmcnt 0x0
	v_mul_hi_u32 v7, s5, v0
	s_delay_alu instid0(VALU_DEP_1) | instskip(NEXT) | instid1(VALU_DEP_1)
	v_add_nc_u32_e32 v7, v0, v7
	v_lshrrev_b32_e32 v9, s6, v7
	s_delay_alu instid0(VALU_DEP_1) | instskip(NEXT) | instid1(VALU_DEP_1)
	v_mul_lo_u32 v7, v9, s4
	v_sub_nc_u32_e32 v0, v0, v7
	s_delay_alu instid0(VALU_DEP_1)
	v_mul_lo_u32 v12, v0, s8
	v_mul_lo_u32 v7, v0, s10
	;; [unrolled: 1-line block ×3, first 2 shown]
	s_cbranch_scc1 .LBB41_97
; %bb.95:
	s_clause 0x1
	s_load_b96 s[4:6], s[2:3], 0x10
	s_load_b96 s[8:10], s[2:3], 0xd0
	s_wait_kmcnt 0x0
	v_mul_hi_u32 v0, s5, v9
	s_delay_alu instid0(VALU_DEP_1) | instskip(NEXT) | instid1(VALU_DEP_1)
	v_add_nc_u32_e32 v0, v9, v0
	v_lshrrev_b32_e32 v0, s6, v0
	s_delay_alu instid0(VALU_DEP_1) | instskip(NEXT) | instid1(VALU_DEP_1)
	v_mul_lo_u32 v0, v0, s4
	v_sub_nc_u32_e32 v0, v9, v0
	s_delay_alu instid0(VALU_DEP_1)
	v_mad_u32 v12, v0, s8, v12
	v_mad_u32 v8, v0, s9, v8
	;; [unrolled: 1-line block ×3, first 2 shown]
	s_branch .LBB41_97
.LBB41_96:
	v_dual_mov_b32 v7, 0 :: v_dual_mov_b32 v8, 0
	v_mov_b32_e32 v12, 0
	s_and_not1_b32 vcc_lo, exec_lo, s4
	s_cbranch_vccz .LBB41_94
.LBB41_97:
	v_cmp_ne_u32_e32 vcc_lo, 1, v6
	s_cbranch_vccnz .LBB41_103
; %bb.98:
	s_cmp_lg_u32 s30, 0
	s_mov_b32 s4, 0
	s_cbranch_scc0 .LBB41_107
; %bb.99:
	s_min_u32 s5, s31, 15
	v_dual_mov_b32 v13, 0 :: v_dual_mov_b32 v0, v1
	v_dual_mov_b32 v14, 0 :: v_dual_mov_b32 v9, 0
	s_add_co_i32 s6, s5, 1
	s_mov_b64 s[0:1], 0xffffffffffffffe8
	s_and_b32 s6, s6, 30
	s_add_nc_u64 s[0:1], s[2:3], s[0:1]
.LBB41_100:                             ; =>This Inner Loop Header: Depth=1
	s_clause 0x1
	s_load_b128 s[8:11], s[0:1], 0x1c
	s_load_b64 s[16:17], s[0:1], 0x2c
	s_add_co_i32 s6, s6, -2
	s_delay_alu instid0(SALU_CYCLE_1) | instskip(SKIP_2) | instid1(VALU_DEP_1)
	s_cmp_lg_u32 s6, 0
	s_wait_kmcnt 0x0
	v_mul_hi_u32 v6, s9, v0
	v_add_nc_u32_e32 v6, v0, v6
	s_delay_alu instid0(VALU_DEP_1) | instskip(NEXT) | instid1(VALU_DEP_1)
	v_lshrrev_b32_e32 v6, s10, v6
	v_mul_hi_u32 v15, s16, v6
	v_mul_lo_u32 v16, v6, s8
	s_clause 0x1
	s_load_b128 s[12:15], s[0:1], 0xdc
	s_load_b64 s[8:9], s[0:1], 0xec
	s_wait_xcnt 0x0
	s_add_nc_u64 s[0:1], s[0:1], 24
	s_delay_alu instid0(VALU_DEP_1) | instskip(NEXT) | instid1(VALU_DEP_1)
	v_dual_add_nc_u32 v15, v6, v15 :: v_dual_sub_nc_u32 v16, v0, v16
	v_lshrrev_b32_e32 v0, s17, v15
	s_wait_kmcnt 0x0
	s_delay_alu instid0(VALU_DEP_2) | instskip(NEXT) | instid1(VALU_DEP_2)
	v_mad_u32 v13, v16, s12, v13
	v_mul_lo_u32 v15, v0, s11
	v_mad_u32 v9, v16, s14, v9
	v_mad_u32 v14, v16, s13, v14
	s_delay_alu instid0(VALU_DEP_3) | instskip(NEXT) | instid1(VALU_DEP_1)
	v_sub_nc_u32_e32 v6, v6, v15
	v_mad_u32 v13, v6, s15, v13
	s_delay_alu instid0(VALU_DEP_4) | instskip(NEXT) | instid1(VALU_DEP_4)
	v_mad_u32 v9, v6, s9, v9
	v_mad_u32 v14, v6, s8, v14
	s_cbranch_scc1 .LBB41_100
; %bb.101:
	s_bitcmp1_b32 s5, 0
	s_cselect_b32 s5, -1, 0
	s_delay_alu instid0(SALU_CYCLE_1)
	s_and_b32 vcc_lo, exec_lo, s5
	s_cbranch_vccnz .LBB41_104
; %bb.102:
	s_clause 0x1
	s_load_b96 s[8:10], s[0:1], 0x1c
	s_load_b96 s[12:14], s[0:1], 0xdc
	s_wait_kmcnt 0x0
	v_mul_hi_u32 v6, s9, v0
	s_delay_alu instid0(VALU_DEP_1) | instskip(NEXT) | instid1(VALU_DEP_1)
	v_add_nc_u32_e32 v6, v0, v6
	v_lshrrev_b32_e32 v6, s10, v6
	s_delay_alu instid0(VALU_DEP_1) | instskip(NEXT) | instid1(VALU_DEP_1)
	v_mul_lo_u32 v6, v6, s8
	v_sub_nc_u32_e32 v0, v0, v6
	s_delay_alu instid0(VALU_DEP_1)
	v_mad_u32 v13, v0, s12, v13
	v_mad_u32 v14, v0, s13, v14
	;; [unrolled: 1-line block ×3, first 2 shown]
	s_and_not1_b32 vcc_lo, exec_lo, s4
	s_cbranch_vccz .LBB41_105
	s_branch .LBB41_108
.LBB41_103:
	s_mov_b32 s4, -1
                                        ; implicit-def: $vgpr9
                                        ; implicit-def: $vgpr14
                                        ; implicit-def: $vgpr13
.LBB41_104:
	s_delay_alu instid0(SALU_CYCLE_1)
	s_and_not1_b32 vcc_lo, exec_lo, s4
	s_cbranch_vccnz .LBB41_108
.LBB41_105:
	s_clause 0x1
	s_load_b96 s[4:6], s[2:3], 0x4
	s_load_b96 s[8:10], s[2:3], 0xc4
	s_cmp_lt_u32 s30, 2
	s_wait_kmcnt 0x0
	v_mul_hi_u32 v0, s5, v1
	s_delay_alu instid0(VALU_DEP_1) | instskip(NEXT) | instid1(VALU_DEP_1)
	v_add_nc_u32_e32 v0, v1, v0
	v_lshrrev_b32_e32 v0, s6, v0
	s_delay_alu instid0(VALU_DEP_1) | instskip(NEXT) | instid1(VALU_DEP_1)
	v_mul_lo_u32 v6, v0, s4
	v_sub_nc_u32_e32 v1, v1, v6
	s_delay_alu instid0(VALU_DEP_1)
	v_mul_lo_u32 v13, v1, s8
	v_mul_lo_u32 v9, v1, s10
	;; [unrolled: 1-line block ×3, first 2 shown]
	s_cbranch_scc1 .LBB41_108
; %bb.106:
	s_clause 0x1
	s_load_b96 s[4:6], s[2:3], 0x10
	s_load_b96 s[8:10], s[2:3], 0xd0
	s_wait_kmcnt 0x0
	v_mul_hi_u32 v1, s5, v0
	s_delay_alu instid0(VALU_DEP_1) | instskip(NEXT) | instid1(VALU_DEP_1)
	v_add_nc_u32_e32 v1, v0, v1
	v_lshrrev_b32_e32 v1, s6, v1
	s_delay_alu instid0(VALU_DEP_1) | instskip(NEXT) | instid1(VALU_DEP_1)
	v_mul_lo_u32 v1, v1, s4
	v_sub_nc_u32_e32 v0, v0, v1
	s_delay_alu instid0(VALU_DEP_1)
	v_mad_u32 v13, v0, s8, v13
	v_mad_u32 v14, v0, s9, v14
	v_mad_u32 v9, v0, s10, v9
	s_branch .LBB41_108
.LBB41_107:
	v_dual_mov_b32 v9, 0 :: v_dual_mov_b32 v14, 0
	v_mov_b32_e32 v13, 0
	s_and_not1_b32 vcc_lo, exec_lo, s4
	s_cbranch_vccz .LBB41_105
.LBB41_108:
	s_load_b256 s[4:11], s[2:3], 0x188
	s_mov_b32 s1, exec_lo
	s_wait_xcnt 0x0
	s_load_b64 s[2:3], s[2:3], 0x1a8
	s_wait_kmcnt 0x0
	global_load_b64 v[16:17], v2, s[8:9]
	global_load_b64 v[0:1], v3, s[6:7]
	s_wait_loadcnt 0x1
	s_wait_xcnt 0x0
	v_mul_f64_e32 v[2:3], s[10:11], v[16:17]
	s_delay_alu instid0(VALU_DEP_1)
	v_cmpx_nlt_f64_e32 s[2:3], v[2:3]
	s_cbranch_execz .LBB41_110
; %bb.109:
	v_mul_f64_e32 v[16:17], 0x3ff71547652b82fe, v[2:3]
	s_mov_b64 s[12:13], 0x3e5ade156a5dcb37
	v_cmp_nlt_f64_e32 vcc_lo, 0x40900000, v[2:3]
	v_cmp_ngt_f64_e64 s0, 0xc090cc00, v[2:3]
	s_delay_alu instid0(VALU_DEP_3) | instskip(NEXT) | instid1(VALU_DEP_1)
	v_rndne_f64_e32 v[16:17], v[16:17]
	v_fmamk_f64 v[18:19], v[16:17], 0xbfe62e42fefa39ef, v[2:3]
	v_cvt_i32_f64_e32 v6, v[16:17]
	s_delay_alu instid0(VALU_DEP_2) | instskip(NEXT) | instid1(VALU_DEP_1)
	v_fmamk_f64 v[18:19], v[16:17], 0xbc7abc9e3b39803f, v[18:19]
	v_fmaak_f64 v[20:21], s[12:13], v[18:19], 0x3e928af3fca7ab0c
	s_delay_alu instid0(VALU_DEP_1) | instskip(NEXT) | instid1(VALU_DEP_1)
	v_fmaak_f64 v[20:21], v[18:19], v[20:21], 0x3ec71dee623fde64
	v_fmaak_f64 v[20:21], v[18:19], v[20:21], 0x3efa01997c89e6b0
	s_delay_alu instid0(VALU_DEP_1) | instskip(NEXT) | instid1(VALU_DEP_1)
	v_fmaak_f64 v[20:21], v[18:19], v[20:21], 0x3f2a01a014761f6e
	;; [unrolled: 3-line block ×4, first 2 shown]
	v_fmaak_f64 v[20:21], v[18:19], v[20:21], 0x3fe000000000000b
	s_delay_alu instid0(VALU_DEP_1) | instskip(NEXT) | instid1(VALU_DEP_1)
	v_fma_f64 v[20:21], v[18:19], v[20:21], 1.0
	v_fma_f64 v[16:17], v[18:19], v[20:21], 1.0
	s_delay_alu instid0(VALU_DEP_1) | instskip(NEXT) | instid1(VALU_DEP_1)
	v_ldexp_f64 v[16:17], v[16:17], v6
	v_cndmask_b32_e32 v6, 0x7ff00000, v17, vcc_lo
	s_and_b32 vcc_lo, s0, vcc_lo
	s_delay_alu instid0(VALU_DEP_1) | instid1(SALU_CYCLE_1)
	v_dual_cndmask_b32 v2, 0, v16, vcc_lo :: v_dual_cndmask_b32 v3, 0, v6, s0
	s_wait_loadcnt 0x0
	s_delay_alu instid0(VALU_DEP_1) | instskip(SKIP_1) | instid1(VALU_DEP_1)
	v_mul_f64_e32 v[0:1], v[0:1], v[2:3]
	v_add_f64_e32 v[2:3], 1.0, v[2:3]
	v_div_scale_f64 v[16:17], null, v[2:3], v[2:3], v[0:1]
	s_delay_alu instid0(VALU_DEP_1) | instskip(SKIP_1) | instid1(TRANS32_DEP_1)
	v_rcp_f64_e32 v[18:19], v[16:17]
	v_nop
	v_fma_f64 v[20:21], -v[16:17], v[18:19], 1.0
	s_delay_alu instid0(VALU_DEP_1) | instskip(NEXT) | instid1(VALU_DEP_1)
	v_fmac_f64_e32 v[18:19], v[18:19], v[20:21]
	v_fma_f64 v[20:21], -v[16:17], v[18:19], 1.0
	s_delay_alu instid0(VALU_DEP_1) | instskip(SKIP_1) | instid1(VALU_DEP_1)
	v_fmac_f64_e32 v[18:19], v[18:19], v[20:21]
	v_div_scale_f64 v[20:21], vcc_lo, v[0:1], v[2:3], v[0:1]
	v_mul_f64_e32 v[22:23], v[20:21], v[18:19]
	s_delay_alu instid0(VALU_DEP_1) | instskip(NEXT) | instid1(VALU_DEP_1)
	v_fma_f64 v[16:17], -v[16:17], v[22:23], v[20:21]
	v_div_fmas_f64 v[16:17], v[16:17], v[18:19], v[22:23]
	s_delay_alu instid0(VALU_DEP_1)
	v_div_fixup_f64 v[0:1], v[16:17], v[2:3], v[0:1]
.LBB41_110:
	s_or_b32 exec_lo, exec_lo, s1
	global_load_b64 v[16:17], v4, s[8:9]
	global_load_b64 v[2:3], v5, s[6:7]
	s_mov_b32 s1, exec_lo
	s_wait_loadcnt 0x1
	s_wait_xcnt 0x0
	v_mul_f64_e32 v[4:5], s[10:11], v[16:17]
	s_delay_alu instid0(VALU_DEP_1)
	v_cmpx_nlt_f64_e32 s[2:3], v[4:5]
	s_cbranch_execz .LBB41_112
; %bb.111:
	v_mul_f64_e32 v[16:17], 0x3ff71547652b82fe, v[4:5]
	s_mov_b64 s[12:13], 0x3e5ade156a5dcb37
	v_cmp_nlt_f64_e32 vcc_lo, 0x40900000, v[4:5]
	v_cmp_ngt_f64_e64 s0, 0xc090cc00, v[4:5]
	s_delay_alu instid0(VALU_DEP_3) | instskip(NEXT) | instid1(VALU_DEP_1)
	v_rndne_f64_e32 v[16:17], v[16:17]
	v_fmamk_f64 v[18:19], v[16:17], 0xbfe62e42fefa39ef, v[4:5]
	v_cvt_i32_f64_e32 v6, v[16:17]
	s_delay_alu instid0(VALU_DEP_2) | instskip(NEXT) | instid1(VALU_DEP_1)
	v_fmamk_f64 v[18:19], v[16:17], 0xbc7abc9e3b39803f, v[18:19]
	v_fmaak_f64 v[20:21], s[12:13], v[18:19], 0x3e928af3fca7ab0c
	s_delay_alu instid0(VALU_DEP_1) | instskip(NEXT) | instid1(VALU_DEP_1)
	v_fmaak_f64 v[20:21], v[18:19], v[20:21], 0x3ec71dee623fde64
	v_fmaak_f64 v[20:21], v[18:19], v[20:21], 0x3efa01997c89e6b0
	s_delay_alu instid0(VALU_DEP_1) | instskip(NEXT) | instid1(VALU_DEP_1)
	v_fmaak_f64 v[20:21], v[18:19], v[20:21], 0x3f2a01a014761f6e
	v_fmaak_f64 v[20:21], v[18:19], v[20:21], 0x3f56c16c1852b7b0
	s_delay_alu instid0(VALU_DEP_1) | instskip(NEXT) | instid1(VALU_DEP_1)
	v_fmaak_f64 v[20:21], v[18:19], v[20:21], 0x3f81111111122322
	v_fmaak_f64 v[20:21], v[18:19], v[20:21], 0x3fa55555555502a1
	s_delay_alu instid0(VALU_DEP_1) | instskip(NEXT) | instid1(VALU_DEP_1)
	v_fmaak_f64 v[20:21], v[18:19], v[20:21], 0x3fc5555555555511
	v_fmaak_f64 v[20:21], v[18:19], v[20:21], 0x3fe000000000000b
	s_delay_alu instid0(VALU_DEP_1) | instskip(NEXT) | instid1(VALU_DEP_1)
	v_fma_f64 v[20:21], v[18:19], v[20:21], 1.0
	v_fma_f64 v[16:17], v[18:19], v[20:21], 1.0
	s_delay_alu instid0(VALU_DEP_1) | instskip(NEXT) | instid1(VALU_DEP_1)
	v_ldexp_f64 v[16:17], v[16:17], v6
	v_cndmask_b32_e32 v6, 0x7ff00000, v17, vcc_lo
	s_and_b32 vcc_lo, s0, vcc_lo
	s_delay_alu instid0(VALU_DEP_1) | instid1(SALU_CYCLE_1)
	v_dual_cndmask_b32 v4, 0, v16, vcc_lo :: v_dual_cndmask_b32 v5, 0, v6, s0
	s_wait_loadcnt 0x0
	s_delay_alu instid0(VALU_DEP_1) | instskip(SKIP_1) | instid1(VALU_DEP_1)
	v_mul_f64_e32 v[2:3], v[2:3], v[4:5]
	v_add_f64_e32 v[4:5], 1.0, v[4:5]
	v_div_scale_f64 v[16:17], null, v[4:5], v[4:5], v[2:3]
	s_delay_alu instid0(VALU_DEP_1) | instskip(SKIP_1) | instid1(TRANS32_DEP_1)
	v_rcp_f64_e32 v[18:19], v[16:17]
	v_nop
	v_fma_f64 v[20:21], -v[16:17], v[18:19], 1.0
	s_delay_alu instid0(VALU_DEP_1) | instskip(NEXT) | instid1(VALU_DEP_1)
	v_fmac_f64_e32 v[18:19], v[18:19], v[20:21]
	v_fma_f64 v[20:21], -v[16:17], v[18:19], 1.0
	s_delay_alu instid0(VALU_DEP_1) | instskip(SKIP_1) | instid1(VALU_DEP_1)
	v_fmac_f64_e32 v[18:19], v[18:19], v[20:21]
	v_div_scale_f64 v[20:21], vcc_lo, v[2:3], v[4:5], v[2:3]
	v_mul_f64_e32 v[22:23], v[20:21], v[18:19]
	s_delay_alu instid0(VALU_DEP_1) | instskip(NEXT) | instid1(VALU_DEP_1)
	v_fma_f64 v[16:17], -v[16:17], v[22:23], v[20:21]
	v_div_fmas_f64 v[16:17], v[16:17], v[18:19], v[22:23]
	s_delay_alu instid0(VALU_DEP_1)
	v_div_fixup_f64 v[2:3], v[16:17], v[4:5], v[2:3]
.LBB41_112:
	s_or_b32 exec_lo, exec_lo, s1
	global_load_b64 v[16:17], v7, s[8:9]
	global_load_b64 v[4:5], v8, s[6:7]
	s_mov_b32 s1, exec_lo
	s_wait_loadcnt 0x1
	s_wait_xcnt 0x1
	v_mul_f64_e32 v[6:7], s[10:11], v[16:17]
	s_wait_xcnt 0x0
	s_delay_alu instid0(VALU_DEP_1)
	v_cmpx_nlt_f64_e32 s[2:3], v[6:7]
	s_cbranch_execz .LBB41_114
; %bb.113:
	v_mul_f64_e32 v[16:17], 0x3ff71547652b82fe, v[6:7]
	s_mov_b64 s[12:13], 0x3e5ade156a5dcb37
	v_cmp_nlt_f64_e32 vcc_lo, 0x40900000, v[6:7]
	v_cmp_ngt_f64_e64 s0, 0xc090cc00, v[6:7]
	s_delay_alu instid0(VALU_DEP_3) | instskip(NEXT) | instid1(VALU_DEP_1)
	v_rndne_f64_e32 v[16:17], v[16:17]
	v_fmamk_f64 v[18:19], v[16:17], 0xbfe62e42fefa39ef, v[6:7]
	v_cvt_i32_f64_e32 v8, v[16:17]
	s_delay_alu instid0(VALU_DEP_2) | instskip(NEXT) | instid1(VALU_DEP_1)
	v_fmamk_f64 v[18:19], v[16:17], 0xbc7abc9e3b39803f, v[18:19]
	v_fmaak_f64 v[20:21], s[12:13], v[18:19], 0x3e928af3fca7ab0c
	s_delay_alu instid0(VALU_DEP_1) | instskip(NEXT) | instid1(VALU_DEP_1)
	v_fmaak_f64 v[20:21], v[18:19], v[20:21], 0x3ec71dee623fde64
	v_fmaak_f64 v[20:21], v[18:19], v[20:21], 0x3efa01997c89e6b0
	s_delay_alu instid0(VALU_DEP_1) | instskip(NEXT) | instid1(VALU_DEP_1)
	v_fmaak_f64 v[20:21], v[18:19], v[20:21], 0x3f2a01a014761f6e
	;; [unrolled: 3-line block ×4, first 2 shown]
	v_fmaak_f64 v[20:21], v[18:19], v[20:21], 0x3fe000000000000b
	s_delay_alu instid0(VALU_DEP_1) | instskip(NEXT) | instid1(VALU_DEP_1)
	v_fma_f64 v[20:21], v[18:19], v[20:21], 1.0
	v_fma_f64 v[16:17], v[18:19], v[20:21], 1.0
	s_delay_alu instid0(VALU_DEP_1) | instskip(NEXT) | instid1(VALU_DEP_1)
	v_ldexp_f64 v[16:17], v[16:17], v8
	v_cndmask_b32_e32 v8, 0x7ff00000, v17, vcc_lo
	s_and_b32 vcc_lo, s0, vcc_lo
	s_delay_alu instid0(VALU_DEP_2) | instskip(NEXT) | instid1(VALU_DEP_2)
	v_cndmask_b32_e32 v6, 0, v16, vcc_lo
	v_cndmask_b32_e64 v7, 0, v8, s0
	s_wait_loadcnt 0x0
	s_delay_alu instid0(VALU_DEP_1) | instskip(SKIP_1) | instid1(VALU_DEP_1)
	v_mul_f64_e32 v[4:5], v[4:5], v[6:7]
	v_add_f64_e32 v[6:7], 1.0, v[6:7]
	v_div_scale_f64 v[16:17], null, v[6:7], v[6:7], v[4:5]
	s_delay_alu instid0(VALU_DEP_1) | instskip(SKIP_1) | instid1(TRANS32_DEP_1)
	v_rcp_f64_e32 v[18:19], v[16:17]
	v_nop
	v_fma_f64 v[20:21], -v[16:17], v[18:19], 1.0
	s_delay_alu instid0(VALU_DEP_1) | instskip(NEXT) | instid1(VALU_DEP_1)
	v_fmac_f64_e32 v[18:19], v[18:19], v[20:21]
	v_fma_f64 v[20:21], -v[16:17], v[18:19], 1.0
	s_delay_alu instid0(VALU_DEP_1) | instskip(SKIP_1) | instid1(VALU_DEP_1)
	v_fmac_f64_e32 v[18:19], v[18:19], v[20:21]
	v_div_scale_f64 v[20:21], vcc_lo, v[4:5], v[6:7], v[4:5]
	v_mul_f64_e32 v[22:23], v[20:21], v[18:19]
	s_delay_alu instid0(VALU_DEP_1) | instskip(NEXT) | instid1(VALU_DEP_1)
	v_fma_f64 v[16:17], -v[16:17], v[22:23], v[20:21]
	v_div_fmas_f64 v[16:17], v[16:17], v[18:19], v[22:23]
	s_delay_alu instid0(VALU_DEP_1)
	v_div_fixup_f64 v[4:5], v[16:17], v[6:7], v[4:5]
.LBB41_114:
	s_or_b32 exec_lo, exec_lo, s1
	global_load_b64 v[16:17], v9, s[8:9]
	global_load_b64 v[6:7], v14, s[6:7]
	s_mov_b32 s1, exec_lo
	s_wait_loadcnt 0x1
	s_wait_xcnt 0x1
	v_mul_f64_e32 v[8:9], s[10:11], v[16:17]
	s_wait_xcnt 0x0
	s_delay_alu instid0(VALU_DEP_1)
	v_cmpx_nlt_f64_e32 s[2:3], v[8:9]
	s_cbranch_execz .LBB41_116
; %bb.115:
	v_mul_f64_e32 v[14:15], 0x3ff71547652b82fe, v[8:9]
	s_mov_b64 s[2:3], 0x3e5ade156a5dcb37
	v_cmp_nlt_f64_e32 vcc_lo, 0x40900000, v[8:9]
	v_cmp_ngt_f64_e64 s0, 0xc090cc00, v[8:9]
	s_delay_alu instid0(VALU_DEP_3) | instskip(NEXT) | instid1(VALU_DEP_1)
	v_rndne_f64_e32 v[14:15], v[14:15]
	v_fmamk_f64 v[16:17], v[14:15], 0xbfe62e42fefa39ef, v[8:9]
	v_cvt_i32_f64_e32 v20, v[14:15]
	s_delay_alu instid0(VALU_DEP_2) | instskip(NEXT) | instid1(VALU_DEP_1)
	v_fmamk_f64 v[16:17], v[14:15], 0xbc7abc9e3b39803f, v[16:17]
	v_fmaak_f64 v[18:19], s[2:3], v[16:17], 0x3e928af3fca7ab0c
	s_delay_alu instid0(VALU_DEP_1) | instskip(NEXT) | instid1(VALU_DEP_1)
	v_fmaak_f64 v[18:19], v[16:17], v[18:19], 0x3ec71dee623fde64
	v_fmaak_f64 v[18:19], v[16:17], v[18:19], 0x3efa01997c89e6b0
	s_delay_alu instid0(VALU_DEP_1) | instskip(NEXT) | instid1(VALU_DEP_1)
	v_fmaak_f64 v[18:19], v[16:17], v[18:19], 0x3f2a01a014761f6e
	;; [unrolled: 3-line block ×4, first 2 shown]
	v_fmaak_f64 v[18:19], v[16:17], v[18:19], 0x3fe000000000000b
	s_delay_alu instid0(VALU_DEP_1) | instskip(NEXT) | instid1(VALU_DEP_1)
	v_fma_f64 v[18:19], v[16:17], v[18:19], 1.0
	v_fma_f64 v[14:15], v[16:17], v[18:19], 1.0
	s_delay_alu instid0(VALU_DEP_1) | instskip(NEXT) | instid1(VALU_DEP_1)
	v_ldexp_f64 v[14:15], v[14:15], v20
	v_cndmask_b32_e32 v15, 0x7ff00000, v15, vcc_lo
	s_and_b32 vcc_lo, s0, vcc_lo
	s_delay_alu instid0(VALU_DEP_1) | instid1(SALU_CYCLE_1)
	v_dual_cndmask_b32 v8, 0, v14, vcc_lo :: v_dual_cndmask_b32 v9, 0, v15, s0
	s_wait_loadcnt 0x0
	s_delay_alu instid0(VALU_DEP_1) | instskip(SKIP_1) | instid1(VALU_DEP_1)
	v_mul_f64_e32 v[6:7], v[6:7], v[8:9]
	v_add_f64_e32 v[8:9], 1.0, v[8:9]
	v_div_scale_f64 v[14:15], null, v[8:9], v[8:9], v[6:7]
	s_delay_alu instid0(VALU_DEP_1) | instskip(SKIP_1) | instid1(TRANS32_DEP_1)
	v_rcp_f64_e32 v[16:17], v[14:15]
	v_nop
	v_fma_f64 v[18:19], -v[14:15], v[16:17], 1.0
	s_delay_alu instid0(VALU_DEP_1) | instskip(NEXT) | instid1(VALU_DEP_1)
	v_fmac_f64_e32 v[16:17], v[16:17], v[18:19]
	v_fma_f64 v[18:19], -v[14:15], v[16:17], 1.0
	s_delay_alu instid0(VALU_DEP_1) | instskip(SKIP_1) | instid1(VALU_DEP_1)
	v_fmac_f64_e32 v[16:17], v[16:17], v[18:19]
	v_div_scale_f64 v[18:19], vcc_lo, v[6:7], v[8:9], v[6:7]
	v_mul_f64_e32 v[20:21], v[18:19], v[16:17]
	s_delay_alu instid0(VALU_DEP_1) | instskip(NEXT) | instid1(VALU_DEP_1)
	v_fma_f64 v[14:15], -v[14:15], v[20:21], v[18:19]
	v_div_fmas_f64 v[14:15], v[14:15], v[16:17], v[20:21]
	s_delay_alu instid0(VALU_DEP_1)
	v_div_fixup_f64 v[6:7], v[14:15], v[8:9], v[6:7]
.LBB41_116:
	s_or_b32 exec_lo, exec_lo, s1
	s_clause 0x2
	global_store_b64 v10, v[0:1], s[4:5]
	global_store_b64 v11, v[2:3], s[4:5]
	;; [unrolled: 1-line block ×3, first 2 shown]
	s_wait_loadcnt 0x0
	global_store_b64 v13, v[6:7], s[4:5]
	s_endpgm
	.section	.rodata,"a",@progbits
	.p2align	6, 0x0
	.amdhsa_kernel _ZN2at6native32elementwise_kernel_manual_unrollILi128ELi4EZNS0_22gpu_kernel_impl_nocastIZZZNS0_12_GLOBAL__N_124softplus_backward_kernelERNS_18TensorIteratorBaseERKN3c106ScalarES9_ENKUlvE_clEvENKUlvE_clEvEUlddE_EEvS5_RKT_EUlibE_EEviT1_
		.amdhsa_group_segment_fixed_size 0
		.amdhsa_private_segment_fixed_size 0
		.amdhsa_kernarg_size 440
		.amdhsa_user_sgpr_count 2
		.amdhsa_user_sgpr_dispatch_ptr 0
		.amdhsa_user_sgpr_queue_ptr 0
		.amdhsa_user_sgpr_kernarg_segment_ptr 1
		.amdhsa_user_sgpr_dispatch_id 0
		.amdhsa_user_sgpr_kernarg_preload_length 0
		.amdhsa_user_sgpr_kernarg_preload_offset 0
		.amdhsa_user_sgpr_private_segment_size 0
		.amdhsa_wavefront_size32 1
		.amdhsa_uses_dynamic_stack 0
		.amdhsa_enable_private_segment 0
		.amdhsa_system_sgpr_workgroup_id_x 1
		.amdhsa_system_sgpr_workgroup_id_y 0
		.amdhsa_system_sgpr_workgroup_id_z 0
		.amdhsa_system_sgpr_workgroup_info 0
		.amdhsa_system_vgpr_workitem_id 0
		.amdhsa_next_free_vgpr 24
		.amdhsa_next_free_sgpr 50
		.amdhsa_named_barrier_count 0
		.amdhsa_reserve_vcc 1
		.amdhsa_float_round_mode_32 0
		.amdhsa_float_round_mode_16_64 0
		.amdhsa_float_denorm_mode_32 3
		.amdhsa_float_denorm_mode_16_64 3
		.amdhsa_fp16_overflow 0
		.amdhsa_memory_ordered 1
		.amdhsa_forward_progress 1
		.amdhsa_inst_pref_size 68
		.amdhsa_round_robin_scheduling 0
		.amdhsa_exception_fp_ieee_invalid_op 0
		.amdhsa_exception_fp_denorm_src 0
		.amdhsa_exception_fp_ieee_div_zero 0
		.amdhsa_exception_fp_ieee_overflow 0
		.amdhsa_exception_fp_ieee_underflow 0
		.amdhsa_exception_fp_ieee_inexact 0
		.amdhsa_exception_int_div_zero 0
	.end_amdhsa_kernel
	.section	.text._ZN2at6native32elementwise_kernel_manual_unrollILi128ELi4EZNS0_22gpu_kernel_impl_nocastIZZZNS0_12_GLOBAL__N_124softplus_backward_kernelERNS_18TensorIteratorBaseERKN3c106ScalarES9_ENKUlvE_clEvENKUlvE_clEvEUlddE_EEvS5_RKT_EUlibE_EEviT1_,"axG",@progbits,_ZN2at6native32elementwise_kernel_manual_unrollILi128ELi4EZNS0_22gpu_kernel_impl_nocastIZZZNS0_12_GLOBAL__N_124softplus_backward_kernelERNS_18TensorIteratorBaseERKN3c106ScalarES9_ENKUlvE_clEvENKUlvE_clEvEUlddE_EEvS5_RKT_EUlibE_EEviT1_,comdat
.Lfunc_end41:
	.size	_ZN2at6native32elementwise_kernel_manual_unrollILi128ELi4EZNS0_22gpu_kernel_impl_nocastIZZZNS0_12_GLOBAL__N_124softplus_backward_kernelERNS_18TensorIteratorBaseERKN3c106ScalarES9_ENKUlvE_clEvENKUlvE_clEvEUlddE_EEvS5_RKT_EUlibE_EEviT1_, .Lfunc_end41-_ZN2at6native32elementwise_kernel_manual_unrollILi128ELi4EZNS0_22gpu_kernel_impl_nocastIZZZNS0_12_GLOBAL__N_124softplus_backward_kernelERNS_18TensorIteratorBaseERKN3c106ScalarES9_ENKUlvE_clEvENKUlvE_clEvEUlddE_EEvS5_RKT_EUlibE_EEviT1_
                                        ; -- End function
	.set _ZN2at6native32elementwise_kernel_manual_unrollILi128ELi4EZNS0_22gpu_kernel_impl_nocastIZZZNS0_12_GLOBAL__N_124softplus_backward_kernelERNS_18TensorIteratorBaseERKN3c106ScalarES9_ENKUlvE_clEvENKUlvE_clEvEUlddE_EEvS5_RKT_EUlibE_EEviT1_.num_vgpr, 24
	.set _ZN2at6native32elementwise_kernel_manual_unrollILi128ELi4EZNS0_22gpu_kernel_impl_nocastIZZZNS0_12_GLOBAL__N_124softplus_backward_kernelERNS_18TensorIteratorBaseERKN3c106ScalarES9_ENKUlvE_clEvENKUlvE_clEvEUlddE_EEvS5_RKT_EUlibE_EEviT1_.num_agpr, 0
	.set _ZN2at6native32elementwise_kernel_manual_unrollILi128ELi4EZNS0_22gpu_kernel_impl_nocastIZZZNS0_12_GLOBAL__N_124softplus_backward_kernelERNS_18TensorIteratorBaseERKN3c106ScalarES9_ENKUlvE_clEvENKUlvE_clEvEUlddE_EEvS5_RKT_EUlibE_EEviT1_.numbered_sgpr, 50
	.set _ZN2at6native32elementwise_kernel_manual_unrollILi128ELi4EZNS0_22gpu_kernel_impl_nocastIZZZNS0_12_GLOBAL__N_124softplus_backward_kernelERNS_18TensorIteratorBaseERKN3c106ScalarES9_ENKUlvE_clEvENKUlvE_clEvEUlddE_EEvS5_RKT_EUlibE_EEviT1_.num_named_barrier, 0
	.set _ZN2at6native32elementwise_kernel_manual_unrollILi128ELi4EZNS0_22gpu_kernel_impl_nocastIZZZNS0_12_GLOBAL__N_124softplus_backward_kernelERNS_18TensorIteratorBaseERKN3c106ScalarES9_ENKUlvE_clEvENKUlvE_clEvEUlddE_EEvS5_RKT_EUlibE_EEviT1_.private_seg_size, 0
	.set _ZN2at6native32elementwise_kernel_manual_unrollILi128ELi4EZNS0_22gpu_kernel_impl_nocastIZZZNS0_12_GLOBAL__N_124softplus_backward_kernelERNS_18TensorIteratorBaseERKN3c106ScalarES9_ENKUlvE_clEvENKUlvE_clEvEUlddE_EEvS5_RKT_EUlibE_EEviT1_.uses_vcc, 1
	.set _ZN2at6native32elementwise_kernel_manual_unrollILi128ELi4EZNS0_22gpu_kernel_impl_nocastIZZZNS0_12_GLOBAL__N_124softplus_backward_kernelERNS_18TensorIteratorBaseERKN3c106ScalarES9_ENKUlvE_clEvENKUlvE_clEvEUlddE_EEvS5_RKT_EUlibE_EEviT1_.uses_flat_scratch, 0
	.set _ZN2at6native32elementwise_kernel_manual_unrollILi128ELi4EZNS0_22gpu_kernel_impl_nocastIZZZNS0_12_GLOBAL__N_124softplus_backward_kernelERNS_18TensorIteratorBaseERKN3c106ScalarES9_ENKUlvE_clEvENKUlvE_clEvEUlddE_EEvS5_RKT_EUlibE_EEviT1_.has_dyn_sized_stack, 0
	.set _ZN2at6native32elementwise_kernel_manual_unrollILi128ELi4EZNS0_22gpu_kernel_impl_nocastIZZZNS0_12_GLOBAL__N_124softplus_backward_kernelERNS_18TensorIteratorBaseERKN3c106ScalarES9_ENKUlvE_clEvENKUlvE_clEvEUlddE_EEvS5_RKT_EUlibE_EEviT1_.has_recursion, 0
	.set _ZN2at6native32elementwise_kernel_manual_unrollILi128ELi4EZNS0_22gpu_kernel_impl_nocastIZZZNS0_12_GLOBAL__N_124softplus_backward_kernelERNS_18TensorIteratorBaseERKN3c106ScalarES9_ENKUlvE_clEvENKUlvE_clEvEUlddE_EEvS5_RKT_EUlibE_EEviT1_.has_indirect_call, 0
	.section	.AMDGPU.csdata,"",@progbits
; Kernel info:
; codeLenInByte = 8608
; TotalNumSgprs: 52
; NumVgprs: 24
; ScratchSize: 0
; MemoryBound: 0
; FloatMode: 240
; IeeeMode: 1
; LDSByteSize: 0 bytes/workgroup (compile time only)
; SGPRBlocks: 0
; VGPRBlocks: 1
; NumSGPRsForWavesPerEU: 52
; NumVGPRsForWavesPerEU: 24
; NamedBarCnt: 0
; Occupancy: 16
; WaveLimiterHint : 1
; COMPUTE_PGM_RSRC2:SCRATCH_EN: 0
; COMPUTE_PGM_RSRC2:USER_SGPR: 2
; COMPUTE_PGM_RSRC2:TRAP_HANDLER: 0
; COMPUTE_PGM_RSRC2:TGID_X_EN: 1
; COMPUTE_PGM_RSRC2:TGID_Y_EN: 0
; COMPUTE_PGM_RSRC2:TGID_Z_EN: 0
; COMPUTE_PGM_RSRC2:TIDIG_COMP_CNT: 0
	.section	.text._ZN2at6native32elementwise_kernel_manual_unrollILi128ELi4EZNS0_15gpu_kernel_implIZZZNS0_12_GLOBAL__N_124softplus_backward_kernelERNS_18TensorIteratorBaseERKN3c106ScalarES9_ENKUlvE_clEvENKUlvE_clEvEUlddE_EEvS5_RKT_EUlibE_EEviT1_,"axG",@progbits,_ZN2at6native32elementwise_kernel_manual_unrollILi128ELi4EZNS0_15gpu_kernel_implIZZZNS0_12_GLOBAL__N_124softplus_backward_kernelERNS_18TensorIteratorBaseERKN3c106ScalarES9_ENKUlvE_clEvENKUlvE_clEvEUlddE_EEvS5_RKT_EUlibE_EEviT1_,comdat
	.globl	_ZN2at6native32elementwise_kernel_manual_unrollILi128ELi4EZNS0_15gpu_kernel_implIZZZNS0_12_GLOBAL__N_124softplus_backward_kernelERNS_18TensorIteratorBaseERKN3c106ScalarES9_ENKUlvE_clEvENKUlvE_clEvEUlddE_EEvS5_RKT_EUlibE_EEviT1_ ; -- Begin function _ZN2at6native32elementwise_kernel_manual_unrollILi128ELi4EZNS0_15gpu_kernel_implIZZZNS0_12_GLOBAL__N_124softplus_backward_kernelERNS_18TensorIteratorBaseERKN3c106ScalarES9_ENKUlvE_clEvENKUlvE_clEvEUlddE_EEvS5_RKT_EUlibE_EEviT1_
	.p2align	8
	.type	_ZN2at6native32elementwise_kernel_manual_unrollILi128ELi4EZNS0_15gpu_kernel_implIZZZNS0_12_GLOBAL__N_124softplus_backward_kernelERNS_18TensorIteratorBaseERKN3c106ScalarES9_ENKUlvE_clEvENKUlvE_clEvEUlddE_EEvS5_RKT_EUlibE_EEviT1_,@function
_ZN2at6native32elementwise_kernel_manual_unrollILi128ELi4EZNS0_15gpu_kernel_implIZZZNS0_12_GLOBAL__N_124softplus_backward_kernelERNS_18TensorIteratorBaseERKN3c106ScalarES9_ENKUlvE_clEvENKUlvE_clEvEUlddE_EEvS5_RKT_EUlibE_EEviT1_: ; @_ZN2at6native32elementwise_kernel_manual_unrollILi128ELi4EZNS0_15gpu_kernel_implIZZZNS0_12_GLOBAL__N_124softplus_backward_kernelERNS_18TensorIteratorBaseERKN3c106ScalarES9_ENKUlvE_clEvENKUlvE_clEvEUlddE_EEvS5_RKT_EUlibE_EEviT1_
; %bb.0:
	s_clause 0x1
	s_load_b32 s15, s[0:1], 0x40
	s_load_b128 s[8:11], s[0:1], 0x30
	s_bfe_u32 s2, ttmp6, 0x4000c
	s_clause 0x1
	s_load_b32 s20, s[0:1], 0x0
	s_load_b128 s[4:7], s[0:1], 0x8
	s_add_co_i32 s17, s2, 1
	s_clause 0x1
	s_load_b64 s[2:3], s[0:1], 0x18
	s_load_b96 s[12:14], s[0:1], 0x20
	s_and_b32 s16, ttmp6, 15
	s_wait_xcnt 0x0
	s_mul_i32 s0, ttmp9, s17
	s_getreg_b32 s18, hwreg(HW_REG_IB_STS2, 6, 4)
	s_add_co_i32 s16, s16, s0
	s_mov_b32 s19, 0
	s_wait_kmcnt 0x0
	s_lshr_b32 s17, s15, 8
	s_lshr_b32 s1, s15, 16
	s_cmp_eq_u32 s18, 0
	s_cselect_b32 s0, ttmp9, s16
	s_mov_b32 s16, 0
	v_lshl_or_b32 v14, s0, 9, v0
	s_mov_b32 s0, exec_lo
	s_delay_alu instid0(VALU_DEP_1) | instskip(NEXT) | instid1(VALU_DEP_1)
	v_or_b32_e32 v0, 0x180, v14
	v_cmpx_le_i32_e64 s20, v0
	s_xor_b32 s18, exec_lo, s0
	s_cbranch_execz .LBB42_1555
; %bb.1:
	s_mov_b32 s27, -1
	s_mov_b32 s24, 0
	s_mov_b32 s22, 0
	;; [unrolled: 1-line block ×3, first 2 shown]
	s_mov_b32 s23, exec_lo
	v_cmpx_gt_i32_e64 s20, v14
	s_cbranch_execz .LBB42_384
; %bb.2:
	v_mul_lo_u32 v0, v14, s13
	s_and_b32 s0, s17, 0xff
	s_delay_alu instid0(SALU_CYCLE_1) | instskip(NEXT) | instid1(VALU_DEP_1)
	s_cmp_lt_i32 s0, 11
	v_ashrrev_i32_e32 v1, 31, v0
	s_delay_alu instid0(VALU_DEP_1)
	v_add_nc_u64_e32 v[2:3], s[6:7], v[0:1]
	s_cbranch_scc1 .LBB42_9
; %bb.3:
	s_and_b32 s19, 0xffff, s0
	s_delay_alu instid0(SALU_CYCLE_1)
	s_cmp_gt_i32 s19, 25
	s_cbranch_scc0 .LBB42_18
; %bb.4:
	s_cmp_gt_i32 s19, 28
	s_cbranch_scc0 .LBB42_30
; %bb.5:
	;; [unrolled: 3-line block ×4, first 2 shown]
	s_cmp_eq_u32 s19, 46
	s_mov_b32 s25, 0
	s_cbranch_scc0 .LBB42_39
; %bb.8:
	global_load_b32 v0, v[2:3], off
	s_mov_b32 s21, -1
	s_wait_loadcnt 0x0
	v_lshlrev_b32_e32 v0, 16, v0
	s_delay_alu instid0(VALU_DEP_1)
	v_cvt_f64_f32_e32 v[0:1], v0
	s_branch .LBB42_41
.LBB42_9:
                                        ; implicit-def: $vgpr0_vgpr1
	s_cbranch_execnz .LBB42_107
.LBB42_10:
	s_and_not1_b32 vcc_lo, exec_lo, s21
	s_cbranch_vccnz .LBB42_154
.LBB42_11:
	s_wait_xcnt 0x0
	v_mul_lo_u32 v2, v14, s14
	s_and_b32 s0, s1, 0xff
	s_delay_alu instid0(SALU_CYCLE_1) | instskip(NEXT) | instid1(VALU_DEP_1)
	s_cmp_lt_i32 s0, 11
	v_ashrrev_i32_e32 v3, 31, v2
	s_delay_alu instid0(VALU_DEP_1)
	v_add_nc_u64_e32 v[2:3], s[2:3], v[2:3]
	s_cbranch_scc1 .LBB42_19
; %bb.12:
	s_and_b32 s19, 0xffff, s0
	s_delay_alu instid0(SALU_CYCLE_1)
	s_cmp_gt_i32 s19, 25
	s_cbranch_scc0 .LBB42_31
; %bb.13:
	s_cmp_gt_i32 s19, 28
	s_cbranch_scc0 .LBB42_34
; %bb.14:
	;; [unrolled: 3-line block ×4, first 2 shown]
	s_cmp_eq_u32 s19, 46
	s_mov_b32 s26, 0
	s_cbranch_scc0 .LBB42_155
; %bb.17:
	global_load_b32 v4, v[2:3], off
	s_mov_b32 s25, -1
	s_mov_b32 s21, 0
	s_wait_loadcnt 0x0
	v_lshlrev_b32_e32 v4, 16, v4
	s_delay_alu instid0(VALU_DEP_1)
	v_cvt_f64_f32_e32 v[4:5], v4
	s_branch .LBB42_157
.LBB42_18:
                                        ; implicit-def: $vgpr0_vgpr1
	s_cbranch_execnz .LBB42_72
	s_branch .LBB42_106
.LBB42_19:
	s_mov_b32 s21, 0
	s_mov_b32 s25, 0
                                        ; implicit-def: $vgpr4_vgpr5
	s_cbranch_execnz .LBB42_333
.LBB42_20:
	s_and_not1_b32 vcc_lo, exec_lo, s25
	s_cbranch_vccnz .LBB42_381
.LBB42_21:
	s_wait_loadcnt 0x0
	s_delay_alu instid0(VALU_DEP_1) | instskip(SKIP_1) | instid1(VALU_DEP_1)
	v_mul_f64_e32 v[2:3], s[8:9], v[4:5]
	s_mov_b32 s19, exec_lo
	v_cmpx_nlt_f64_e32 s[10:11], v[2:3]
	s_cbranch_execz .LBB42_23
; %bb.22:
	v_mul_f64_e32 v[4:5], 0x3ff71547652b82fe, v[2:3]
	s_mov_b64 s[26:27], 0x3e5ade156a5dcb37
	v_cmp_nlt_f64_e32 vcc_lo, 0x40900000, v[2:3]
	v_cmp_ngt_f64_e64 s0, 0xc090cc00, v[2:3]
	s_delay_alu instid0(VALU_DEP_3) | instskip(NEXT) | instid1(VALU_DEP_1)
	v_rndne_f64_e32 v[4:5], v[4:5]
	v_fmamk_f64 v[6:7], v[4:5], 0xbfe62e42fefa39ef, v[2:3]
	v_cvt_i32_f64_e32 v10, v[4:5]
	s_delay_alu instid0(VALU_DEP_2) | instskip(NEXT) | instid1(VALU_DEP_1)
	v_fmamk_f64 v[6:7], v[4:5], 0xbc7abc9e3b39803f, v[6:7]
	v_fmaak_f64 v[8:9], s[26:27], v[6:7], 0x3e928af3fca7ab0c
	s_delay_alu instid0(VALU_DEP_1) | instskip(NEXT) | instid1(VALU_DEP_1)
	v_fmaak_f64 v[8:9], v[6:7], v[8:9], 0x3ec71dee623fde64
	v_fmaak_f64 v[8:9], v[6:7], v[8:9], 0x3efa01997c89e6b0
	s_delay_alu instid0(VALU_DEP_1) | instskip(NEXT) | instid1(VALU_DEP_1)
	v_fmaak_f64 v[8:9], v[6:7], v[8:9], 0x3f2a01a014761f6e
	v_fmaak_f64 v[8:9], v[6:7], v[8:9], 0x3f56c16c1852b7b0
	s_delay_alu instid0(VALU_DEP_1) | instskip(NEXT) | instid1(VALU_DEP_1)
	v_fmaak_f64 v[8:9], v[6:7], v[8:9], 0x3f81111111122322
	v_fmaak_f64 v[8:9], v[6:7], v[8:9], 0x3fa55555555502a1
	s_delay_alu instid0(VALU_DEP_1) | instskip(NEXT) | instid1(VALU_DEP_1)
	v_fmaak_f64 v[8:9], v[6:7], v[8:9], 0x3fc5555555555511
	v_fmaak_f64 v[8:9], v[6:7], v[8:9], 0x3fe000000000000b
	s_delay_alu instid0(VALU_DEP_1) | instskip(NEXT) | instid1(VALU_DEP_1)
	v_fma_f64 v[8:9], v[6:7], v[8:9], 1.0
	v_fma_f64 v[4:5], v[6:7], v[8:9], 1.0
	s_delay_alu instid0(VALU_DEP_1) | instskip(NEXT) | instid1(VALU_DEP_1)
	v_ldexp_f64 v[4:5], v[4:5], v10
	v_cndmask_b32_e32 v5, 0x7ff00000, v5, vcc_lo
	s_and_b32 vcc_lo, s0, vcc_lo
	s_delay_alu instid0(VALU_DEP_1) | instid1(SALU_CYCLE_1)
	v_dual_cndmask_b32 v2, 0, v4, vcc_lo :: v_dual_cndmask_b32 v3, 0, v5, s0
	s_delay_alu instid0(VALU_DEP_1) | instskip(SKIP_1) | instid1(VALU_DEP_1)
	v_mul_f64_e32 v[0:1], v[0:1], v[2:3]
	v_add_f64_e32 v[2:3], 1.0, v[2:3]
	v_div_scale_f64 v[4:5], null, v[2:3], v[2:3], v[0:1]
	s_delay_alu instid0(VALU_DEP_1) | instskip(SKIP_1) | instid1(TRANS32_DEP_1)
	v_rcp_f64_e32 v[6:7], v[4:5]
	v_nop
	v_fma_f64 v[8:9], -v[4:5], v[6:7], 1.0
	s_delay_alu instid0(VALU_DEP_1) | instskip(NEXT) | instid1(VALU_DEP_1)
	v_fmac_f64_e32 v[6:7], v[6:7], v[8:9]
	v_fma_f64 v[8:9], -v[4:5], v[6:7], 1.0
	s_delay_alu instid0(VALU_DEP_1) | instskip(SKIP_1) | instid1(VALU_DEP_1)
	v_fmac_f64_e32 v[6:7], v[6:7], v[8:9]
	v_div_scale_f64 v[8:9], vcc_lo, v[0:1], v[2:3], v[0:1]
	v_mul_f64_e32 v[10:11], v[8:9], v[6:7]
	s_delay_alu instid0(VALU_DEP_1) | instskip(NEXT) | instid1(VALU_DEP_1)
	v_fma_f64 v[4:5], -v[4:5], v[10:11], v[8:9]
	v_div_fmas_f64 v[4:5], v[4:5], v[6:7], v[10:11]
	s_delay_alu instid0(VALU_DEP_1)
	v_div_fixup_f64 v[0:1], v[4:5], v[2:3], v[0:1]
.LBB42_23:
	s_or_b32 exec_lo, exec_lo, s19
	v_mul_lo_u32 v2, v14, s12
	s_and_b32 s19, s15, 0xff
	s_delay_alu instid0(SALU_CYCLE_1) | instskip(NEXT) | instid1(VALU_DEP_1)
	s_cmp_lt_i32 s19, 11
	v_ashrrev_i32_e32 v3, 31, v2
	s_delay_alu instid0(VALU_DEP_1)
	v_add_nc_u64_e32 v[4:5], s[4:5], v[2:3]
	s_cbranch_scc1 .LBB42_32
; %bb.24:
	s_and_b32 s25, 0xffff, s19
	s_delay_alu instid0(SALU_CYCLE_1)
	s_cmp_gt_i32 s25, 25
	s_cbranch_scc0 .LBB42_35
; %bb.25:
	s_cmp_gt_i32 s25, 28
	s_cbranch_scc0 .LBB42_38
; %bb.26:
	;; [unrolled: 3-line block ×4, first 2 shown]
	s_mov_b32 s27, 0
	s_mov_b32 s0, -1
	s_cmp_eq_u32 s25, 46
	s_mov_b32 s26, 0
	s_cbranch_scc0 .LBB42_161
; %bb.29:
	s_delay_alu instid0(VALU_DEP_4) | instskip(SKIP_2) | instid1(VALU_DEP_1)
	v_cvt_f32_f64_e32 v2, v[0:1]
	s_mov_b32 s26, -1
	s_mov_b32 s0, 0
	v_bfe_u32 v3, v2, 16, 1
	v_cmp_o_f32_e32 vcc_lo, v2, v2
	s_delay_alu instid0(VALU_DEP_2) | instskip(NEXT) | instid1(VALU_DEP_1)
	v_add3_u32 v3, v2, v3, 0x7fff
	v_lshrrev_b32_e32 v3, 16, v3
	s_delay_alu instid0(VALU_DEP_1)
	v_cndmask_b32_e32 v2, 0x7fc0, v3, vcc_lo
	global_store_b32 v[4:5], v2, off
	s_branch .LBB42_161
.LBB42_30:
	s_mov_b32 s25, -1
                                        ; implicit-def: $vgpr0_vgpr1
	s_branch .LBB42_53
.LBB42_31:
	s_mov_b32 s26, -1
	s_mov_b32 s21, 0
	s_mov_b32 s25, 0
                                        ; implicit-def: $vgpr4_vgpr5
	s_branch .LBB42_297
.LBB42_32:
	s_mov_b32 s25, -1
	s_mov_b32 s0, 0
	s_mov_b32 s26, 0
	s_branch .LBB42_230
.LBB42_33:
	s_mov_b32 s25, -1
                                        ; implicit-def: $vgpr0_vgpr1
	s_branch .LBB42_48
.LBB42_34:
	s_mov_b32 s26, -1
	s_mov_b32 s21, 0
	s_mov_b32 s25, 0
                                        ; implicit-def: $vgpr4_vgpr5
	s_branch .LBB42_278
.LBB42_35:
	s_mov_b32 s27, -1
	s_mov_b32 s0, 0
	s_mov_b32 s26, 0
	s_branch .LBB42_188
.LBB42_36:
	s_mov_b32 s25, -1
	s_branch .LBB42_40
.LBB42_37:
	s_mov_b32 s26, -1
	s_mov_b32 s21, 0
	s_mov_b32 s25, 0
                                        ; implicit-def: $vgpr4_vgpr5
	s_branch .LBB42_273
.LBB42_38:
	s_mov_b32 s27, -1
	s_mov_b32 s0, 0
	s_mov_b32 s26, 0
	s_branch .LBB42_171
.LBB42_39:
	s_mov_b32 s22, -1
.LBB42_40:
                                        ; implicit-def: $vgpr0_vgpr1
.LBB42_41:
	s_and_b32 vcc_lo, exec_lo, s25
	s_cbranch_vccz .LBB42_47
; %bb.42:
	s_cmp_eq_u32 s19, 44
	s_cbranch_scc0 .LBB42_46
; %bb.43:
	global_load_u8 v4, v[2:3], off
	s_mov_b32 s22, 0
	s_mov_b32 s21, -1
	s_wait_loadcnt 0x0
	v_cmp_ne_u32_e32 vcc_lo, 0xff, v4
	v_lshlrev_b32_e32 v0, 23, v4
	s_delay_alu instid0(VALU_DEP_1) | instskip(NEXT) | instid1(VALU_DEP_1)
	v_cvt_f64_f32_e32 v[0:1], v0
	v_cndmask_b32_e32 v0, 0x20000000, v0, vcc_lo
	s_delay_alu instid0(VALU_DEP_2) | instskip(SKIP_1) | instid1(VALU_DEP_2)
	v_cndmask_b32_e32 v1, 0x7ff80000, v1, vcc_lo
	v_cmp_ne_u32_e32 vcc_lo, 0, v4
	v_cndmask_b32_e32 v1, 0x38000000, v1, vcc_lo
	s_delay_alu instid0(VALU_DEP_4)
	v_cndmask_b32_e32 v0, 0, v0, vcc_lo
	s_branch .LBB42_47
.LBB42_44:
	s_mov_b32 s26, -1
	s_mov_b32 s21, 0
	s_branch .LBB42_156
.LBB42_45:
	s_mov_b32 s27, -1
	s_mov_b32 s0, 0
	s_mov_b32 s26, 0
	s_branch .LBB42_167
.LBB42_46:
	s_mov_b32 s22, -1
                                        ; implicit-def: $vgpr0_vgpr1
.LBB42_47:
	s_mov_b32 s25, 0
.LBB42_48:
	s_delay_alu instid0(SALU_CYCLE_1)
	s_and_b32 vcc_lo, exec_lo, s25
	s_cbranch_vccz .LBB42_52
; %bb.49:
	s_cmp_eq_u32 s19, 29
	s_cbranch_scc0 .LBB42_51
; %bb.50:
	global_load_b64 v[0:1], v[2:3], off
	s_mov_b32 s21, -1
	s_mov_b32 s22, 0
	s_mov_b32 s25, 0
	s_wait_loadcnt 0x0
	v_cvt_f64_u32_e32 v[4:5], v1
	v_cvt_f64_u32_e32 v[0:1], v0
	s_delay_alu instid0(VALU_DEP_2) | instskip(NEXT) | instid1(VALU_DEP_1)
	v_ldexp_f64 v[4:5], v[4:5], 32
	v_add_f64_e32 v[0:1], v[4:5], v[0:1]
	s_branch .LBB42_53
.LBB42_51:
	s_mov_b32 s22, -1
                                        ; implicit-def: $vgpr0_vgpr1
.LBB42_52:
	s_mov_b32 s25, 0
.LBB42_53:
	s_delay_alu instid0(SALU_CYCLE_1)
	s_and_b32 vcc_lo, exec_lo, s25
	s_cbranch_vccz .LBB42_71
; %bb.54:
	s_cmp_lt_i32 s19, 27
	s_cbranch_scc1 .LBB42_57
; %bb.55:
	s_cmp_gt_i32 s19, 27
	s_cbranch_scc0 .LBB42_58
; %bb.56:
	global_load_b32 v0, v[2:3], off
	s_mov_b32 s21, 0
	s_wait_loadcnt 0x0
	v_cvt_f64_u32_e32 v[0:1], v0
	s_branch .LBB42_59
.LBB42_57:
	s_mov_b32 s21, -1
                                        ; implicit-def: $vgpr0_vgpr1
	s_branch .LBB42_62
.LBB42_58:
	s_mov_b32 s21, -1
                                        ; implicit-def: $vgpr0_vgpr1
.LBB42_59:
	s_delay_alu instid0(SALU_CYCLE_1)
	s_and_not1_b32 vcc_lo, exec_lo, s21
	s_cbranch_vccnz .LBB42_61
; %bb.60:
	global_load_u16 v0, v[2:3], off
	s_wait_loadcnt 0x0
	v_cvt_f64_u32_e32 v[0:1], v0
.LBB42_61:
	s_mov_b32 s21, 0
.LBB42_62:
	s_delay_alu instid0(SALU_CYCLE_1)
	s_and_not1_b32 vcc_lo, exec_lo, s21
	s_cbranch_vccnz .LBB42_70
; %bb.63:
	global_load_u8 v4, v[2:3], off
	s_mov_b32 s21, 0
	s_mov_b32 s25, exec_lo
	s_wait_loadcnt 0x0
	v_cmpx_lt_i16_e32 0x7f, v4
	s_xor_b32 s25, exec_lo, s25
	s_cbranch_execz .LBB42_83
; %bb.64:
	s_mov_b32 s21, -1
	s_mov_b32 s26, exec_lo
	v_cmpx_eq_u16_e32 0x80, v4
; %bb.65:
	s_xor_b32 s21, exec_lo, -1
; %bb.66:
	s_or_b32 exec_lo, exec_lo, s26
	s_delay_alu instid0(SALU_CYCLE_1)
	s_and_b32 s21, s21, exec_lo
	s_or_saveexec_b32 s25, s25
	v_mov_b64_e32 v[0:1], 0x7ff8000020000000
	s_xor_b32 exec_lo, exec_lo, s25
	s_cbranch_execnz .LBB42_84
.LBB42_67:
	s_or_b32 exec_lo, exec_lo, s25
	s_and_saveexec_b32 s25, s21
	s_cbranch_execz .LBB42_69
.LBB42_68:
	v_and_b32_e32 v0, 0xffff, v4
	s_delay_alu instid0(VALU_DEP_1) | instskip(SKIP_1) | instid1(VALU_DEP_2)
	v_and_b32_e32 v1, 7, v0
	v_bfe_u32 v7, v0, 3, 4
	v_clz_i32_u32_e32 v5, v1
	s_delay_alu instid0(VALU_DEP_2) | instskip(NEXT) | instid1(VALU_DEP_2)
	v_cmp_eq_u32_e32 vcc_lo, 0, v7
	v_min_u32_e32 v5, 32, v5
	s_delay_alu instid0(VALU_DEP_1) | instskip(NEXT) | instid1(VALU_DEP_1)
	v_subrev_nc_u32_e32 v6, 28, v5
	v_dual_lshlrev_b32 v0, v6, v0 :: v_dual_sub_nc_u32 v5, 29, v5
	s_delay_alu instid0(VALU_DEP_1) | instskip(NEXT) | instid1(VALU_DEP_2)
	v_and_b32_e32 v0, 7, v0
	v_dual_cndmask_b32 v5, v7, v5 :: v_dual_lshlrev_b32 v4, 24, v4
	s_delay_alu instid0(VALU_DEP_2) | instskip(NEXT) | instid1(VALU_DEP_2)
	v_cndmask_b32_e32 v0, v1, v0, vcc_lo
	v_and_b32_e32 v1, 0x80000000, v4
	s_delay_alu instid0(VALU_DEP_3) | instskip(NEXT) | instid1(VALU_DEP_3)
	v_lshl_add_u32 v4, v5, 23, 0x3b800000
	v_lshlrev_b32_e32 v0, 20, v0
	s_delay_alu instid0(VALU_DEP_1) | instskip(NEXT) | instid1(VALU_DEP_1)
	v_or3_b32 v0, v1, v4, v0
	v_cvt_f64_f32_e32 v[0:1], v0
.LBB42_69:
	s_or_b32 exec_lo, exec_lo, s25
.LBB42_70:
	s_mov_b32 s21, -1
.LBB42_71:
	s_branch .LBB42_106
.LBB42_72:
	s_cmp_gt_i32 s19, 22
	s_cbranch_scc0 .LBB42_82
; %bb.73:
	s_cmp_lt_i32 s19, 24
	s_cbranch_scc1 .LBB42_85
; %bb.74:
	s_cmp_gt_i32 s19, 24
	s_cbranch_scc0 .LBB42_86
; %bb.75:
	global_load_u8 v4, v[2:3], off
	s_mov_b32 s21, 0
	s_mov_b32 s25, exec_lo
	s_wait_loadcnt 0x0
	v_cmpx_lt_i16_e32 0x7f, v4
	s_xor_b32 s25, exec_lo, s25
	s_cbranch_execz .LBB42_98
; %bb.76:
	s_mov_b32 s21, -1
	s_mov_b32 s26, exec_lo
	v_cmpx_eq_u16_e32 0x80, v4
; %bb.77:
	s_xor_b32 s21, exec_lo, -1
; %bb.78:
	s_or_b32 exec_lo, exec_lo, s26
	s_delay_alu instid0(SALU_CYCLE_1)
	s_and_b32 s21, s21, exec_lo
	s_or_saveexec_b32 s25, s25
	v_mov_b64_e32 v[0:1], 0x7ff8000020000000
	s_xor_b32 exec_lo, exec_lo, s25
	s_cbranch_execnz .LBB42_99
.LBB42_79:
	s_or_b32 exec_lo, exec_lo, s25
	s_and_saveexec_b32 s25, s21
	s_cbranch_execz .LBB42_81
.LBB42_80:
	v_and_b32_e32 v0, 0xffff, v4
	s_delay_alu instid0(VALU_DEP_1) | instskip(SKIP_1) | instid1(VALU_DEP_2)
	v_and_b32_e32 v1, 3, v0
	v_bfe_u32 v7, v0, 2, 5
	v_clz_i32_u32_e32 v5, v1
	s_delay_alu instid0(VALU_DEP_2) | instskip(NEXT) | instid1(VALU_DEP_2)
	v_cmp_eq_u32_e32 vcc_lo, 0, v7
	v_min_u32_e32 v5, 32, v5
	s_delay_alu instid0(VALU_DEP_1) | instskip(NEXT) | instid1(VALU_DEP_1)
	v_subrev_nc_u32_e32 v6, 29, v5
	v_dual_lshlrev_b32 v0, v6, v0 :: v_dual_sub_nc_u32 v5, 30, v5
	s_delay_alu instid0(VALU_DEP_1) | instskip(NEXT) | instid1(VALU_DEP_2)
	v_and_b32_e32 v0, 3, v0
	v_dual_cndmask_b32 v5, v7, v5 :: v_dual_lshlrev_b32 v4, 24, v4
	s_delay_alu instid0(VALU_DEP_2) | instskip(NEXT) | instid1(VALU_DEP_2)
	v_cndmask_b32_e32 v0, v1, v0, vcc_lo
	v_and_b32_e32 v1, 0x80000000, v4
	s_delay_alu instid0(VALU_DEP_3) | instskip(NEXT) | instid1(VALU_DEP_3)
	v_lshl_add_u32 v4, v5, 23, 0x37800000
	v_lshlrev_b32_e32 v0, 21, v0
	s_delay_alu instid0(VALU_DEP_1) | instskip(NEXT) | instid1(VALU_DEP_1)
	v_or3_b32 v0, v1, v4, v0
	v_cvt_f64_f32_e32 v[0:1], v0
.LBB42_81:
	s_or_b32 exec_lo, exec_lo, s25
	s_mov_b32 s21, 0
	s_branch .LBB42_87
.LBB42_82:
	s_mov_b32 s25, -1
                                        ; implicit-def: $vgpr0_vgpr1
	s_branch .LBB42_93
.LBB42_83:
	s_or_saveexec_b32 s25, s25
	v_mov_b64_e32 v[0:1], 0x7ff8000020000000
	s_xor_b32 exec_lo, exec_lo, s25
	s_cbranch_execz .LBB42_67
.LBB42_84:
	v_cmp_ne_u16_e32 vcc_lo, 0, v4
	v_mov_b64_e32 v[0:1], 0
	s_and_not1_b32 s21, s21, exec_lo
	s_and_b32 s26, vcc_lo, exec_lo
	s_delay_alu instid0(SALU_CYCLE_1)
	s_or_b32 s21, s21, s26
	s_or_b32 exec_lo, exec_lo, s25
	s_and_saveexec_b32 s25, s21
	s_cbranch_execnz .LBB42_68
	s_branch .LBB42_69
.LBB42_85:
	s_mov_b32 s21, -1
                                        ; implicit-def: $vgpr0_vgpr1
	s_branch .LBB42_90
.LBB42_86:
	s_mov_b32 s21, -1
                                        ; implicit-def: $vgpr0_vgpr1
.LBB42_87:
	s_delay_alu instid0(SALU_CYCLE_1)
	s_and_b32 vcc_lo, exec_lo, s21
	s_cbranch_vccz .LBB42_89
; %bb.88:
	global_load_u8 v0, v[2:3], off
	s_wait_loadcnt 0x0
	v_lshlrev_b32_e32 v0, 24, v0
	s_delay_alu instid0(VALU_DEP_1) | instskip(NEXT) | instid1(VALU_DEP_1)
	v_and_b32_e32 v1, 0x7f000000, v0
	v_clz_i32_u32_e32 v4, v1
	v_cmp_ne_u32_e32 vcc_lo, 0, v1
	v_add_nc_u32_e32 v6, 0x1000000, v1
	s_delay_alu instid0(VALU_DEP_3) | instskip(NEXT) | instid1(VALU_DEP_1)
	v_min_u32_e32 v4, 32, v4
	v_sub_nc_u32_e64 v4, v4, 4 clamp
	s_delay_alu instid0(VALU_DEP_1) | instskip(NEXT) | instid1(VALU_DEP_1)
	v_dual_lshlrev_b32 v5, v4, v1 :: v_dual_lshlrev_b32 v4, 23, v4
	v_lshrrev_b32_e32 v5, 4, v5
	s_delay_alu instid0(VALU_DEP_1) | instskip(NEXT) | instid1(VALU_DEP_1)
	v_dual_sub_nc_u32 v4, v5, v4 :: v_dual_ashrrev_i32 v5, 8, v6
	v_add_nc_u32_e32 v4, 0x3c000000, v4
	s_delay_alu instid0(VALU_DEP_1) | instskip(NEXT) | instid1(VALU_DEP_1)
	v_and_or_b32 v4, 0x7f800000, v5, v4
	v_cndmask_b32_e32 v1, 0, v4, vcc_lo
	s_delay_alu instid0(VALU_DEP_1) | instskip(NEXT) | instid1(VALU_DEP_1)
	v_and_or_b32 v0, 0x80000000, v0, v1
	v_cvt_f64_f32_e32 v[0:1], v0
.LBB42_89:
	s_mov_b32 s21, 0
.LBB42_90:
	s_delay_alu instid0(SALU_CYCLE_1)
	s_and_not1_b32 vcc_lo, exec_lo, s21
	s_cbranch_vccnz .LBB42_92
; %bb.91:
	global_load_u8 v0, v[2:3], off
	s_wait_loadcnt 0x0
	v_lshlrev_b32_e32 v1, 25, v0
	v_lshlrev_b16 v0, 8, v0
	s_delay_alu instid0(VALU_DEP_1) | instskip(SKIP_1) | instid1(VALU_DEP_2)
	v_and_or_b32 v5, 0x7f00, v0, 0.5
	v_bfe_i32 v0, v0, 0, 16
	v_add_f32_e32 v5, -0.5, v5
	v_lshrrev_b32_e32 v4, 4, v1
	v_cmp_gt_u32_e32 vcc_lo, 0x8000000, v1
	s_delay_alu instid0(VALU_DEP_2) | instskip(NEXT) | instid1(VALU_DEP_1)
	v_or_b32_e32 v4, 0x70000000, v4
	v_mul_f32_e32 v4, 0x7800000, v4
	s_delay_alu instid0(VALU_DEP_1) | instskip(NEXT) | instid1(VALU_DEP_1)
	v_cndmask_b32_e32 v1, v4, v5, vcc_lo
	v_and_or_b32 v0, 0x80000000, v0, v1
	s_delay_alu instid0(VALU_DEP_1)
	v_cvt_f64_f32_e32 v[0:1], v0
.LBB42_92:
	s_mov_b32 s25, 0
	s_mov_b32 s21, -1
.LBB42_93:
	s_and_not1_b32 vcc_lo, exec_lo, s25
	s_cbranch_vccnz .LBB42_106
; %bb.94:
	s_cmp_gt_i32 s19, 14
	s_cbranch_scc0 .LBB42_97
; %bb.95:
	s_cmp_eq_u32 s19, 15
	s_cbranch_scc0 .LBB42_100
; %bb.96:
	global_load_u16 v0, v[2:3], off
	s_mov_b32 s21, -1
	s_mov_b32 s22, 0
	s_wait_loadcnt 0x0
	v_lshlrev_b32_e32 v0, 16, v0
	s_delay_alu instid0(VALU_DEP_1)
	v_cvt_f64_f32_e32 v[0:1], v0
	s_branch .LBB42_101
.LBB42_97:
	s_mov_b32 s25, -1
                                        ; implicit-def: $vgpr0_vgpr1
	s_branch .LBB42_102
.LBB42_98:
	s_or_saveexec_b32 s25, s25
	v_mov_b64_e32 v[0:1], 0x7ff8000020000000
	s_xor_b32 exec_lo, exec_lo, s25
	s_cbranch_execz .LBB42_79
.LBB42_99:
	v_cmp_ne_u16_e32 vcc_lo, 0, v4
	v_mov_b64_e32 v[0:1], 0
	s_and_not1_b32 s21, s21, exec_lo
	s_and_b32 s26, vcc_lo, exec_lo
	s_delay_alu instid0(SALU_CYCLE_1)
	s_or_b32 s21, s21, s26
	s_or_b32 exec_lo, exec_lo, s25
	s_and_saveexec_b32 s25, s21
	s_cbranch_execnz .LBB42_80
	s_branch .LBB42_81
.LBB42_100:
	s_mov_b32 s22, -1
                                        ; implicit-def: $vgpr0_vgpr1
.LBB42_101:
	s_mov_b32 s25, 0
.LBB42_102:
	s_delay_alu instid0(SALU_CYCLE_1)
	s_and_b32 vcc_lo, exec_lo, s25
	s_cbranch_vccz .LBB42_106
; %bb.103:
	s_cmp_eq_u32 s19, 11
	s_cbranch_scc0 .LBB42_105
; %bb.104:
	global_load_u8 v0, v[2:3], off
	s_mov_b32 s22, 0
	s_mov_b32 s21, -1
	s_wait_loadcnt 0x0
	v_cmp_ne_u16_e32 vcc_lo, 0, v0
	v_mov_b32_e32 v0, 0
	v_cndmask_b32_e64 v1, 0, 0x3ff00000, vcc_lo
	s_branch .LBB42_106
.LBB42_105:
	s_mov_b32 s22, -1
                                        ; implicit-def: $vgpr0_vgpr1
.LBB42_106:
	s_branch .LBB42_10
.LBB42_107:
	s_and_b32 s0, 0xffff, s0
	s_delay_alu instid0(SALU_CYCLE_1)
	s_cmp_lt_i32 s0, 5
	s_cbranch_scc1 .LBB42_112
; %bb.108:
	s_cmp_lt_i32 s0, 8
	s_cbranch_scc1 .LBB42_113
; %bb.109:
	;; [unrolled: 3-line block ×3, first 2 shown]
	s_cmp_gt_i32 s0, 9
	s_cbranch_scc0 .LBB42_115
; %bb.111:
	global_load_b64 v[0:1], v[2:3], off
	s_mov_b32 s19, 0
	s_branch .LBB42_116
.LBB42_112:
                                        ; implicit-def: $vgpr0_vgpr1
	s_branch .LBB42_134
.LBB42_113:
	s_mov_b32 s19, -1
                                        ; implicit-def: $vgpr0_vgpr1
	s_branch .LBB42_122
.LBB42_114:
	s_mov_b32 s19, -1
                                        ; implicit-def: $vgpr0_vgpr1
	s_branch .LBB42_119
.LBB42_115:
	s_mov_b32 s19, -1
                                        ; implicit-def: $vgpr0_vgpr1
.LBB42_116:
	s_delay_alu instid0(SALU_CYCLE_1)
	s_and_not1_b32 vcc_lo, exec_lo, s19
	s_cbranch_vccnz .LBB42_118
; %bb.117:
	s_wait_loadcnt 0x0
	global_load_b32 v0, v[2:3], off
	s_wait_loadcnt 0x0
	v_cvt_f64_f32_e32 v[0:1], v0
.LBB42_118:
	s_mov_b32 s19, 0
.LBB42_119:
	s_delay_alu instid0(SALU_CYCLE_1)
	s_and_not1_b32 vcc_lo, exec_lo, s19
	s_cbranch_vccnz .LBB42_121
; %bb.120:
	s_wait_loadcnt 0x0
	global_load_b32 v0, v[2:3], off
	s_wait_loadcnt 0x0
	v_cvt_f32_f16_e32 v0, v0
	s_delay_alu instid0(VALU_DEP_1)
	v_cvt_f64_f32_e32 v[0:1], v0
.LBB42_121:
	s_mov_b32 s19, 0
.LBB42_122:
	s_delay_alu instid0(SALU_CYCLE_1)
	s_and_not1_b32 vcc_lo, exec_lo, s19
	s_cbranch_vccnz .LBB42_133
; %bb.123:
	s_cmp_lt_i32 s0, 6
	s_cbranch_scc1 .LBB42_126
; %bb.124:
	s_cmp_gt_i32 s0, 6
	s_cbranch_scc0 .LBB42_127
; %bb.125:
	s_wait_loadcnt 0x0
	global_load_b64 v[0:1], v[2:3], off
	s_mov_b32 s19, 0
	s_branch .LBB42_128
.LBB42_126:
	s_mov_b32 s19, -1
                                        ; implicit-def: $vgpr0_vgpr1
	s_branch .LBB42_131
.LBB42_127:
	s_mov_b32 s19, -1
                                        ; implicit-def: $vgpr0_vgpr1
.LBB42_128:
	s_delay_alu instid0(SALU_CYCLE_1)
	s_and_not1_b32 vcc_lo, exec_lo, s19
	s_cbranch_vccnz .LBB42_130
; %bb.129:
	s_wait_loadcnt 0x0
	global_load_b32 v0, v[2:3], off
	s_wait_loadcnt 0x0
	v_cvt_f64_f32_e32 v[0:1], v0
.LBB42_130:
	s_mov_b32 s19, 0
.LBB42_131:
	s_delay_alu instid0(SALU_CYCLE_1)
	s_and_not1_b32 vcc_lo, exec_lo, s19
	s_cbranch_vccnz .LBB42_133
; %bb.132:
	s_wait_loadcnt 0x0
	global_load_u16 v0, v[2:3], off
	s_wait_loadcnt 0x0
	v_cvt_f32_f16_e32 v0, v0
	s_delay_alu instid0(VALU_DEP_1)
	v_cvt_f64_f32_e32 v[0:1], v0
.LBB42_133:
	s_cbranch_execnz .LBB42_153
.LBB42_134:
	s_cmp_lt_i32 s0, 2
	s_cbranch_scc1 .LBB42_138
; %bb.135:
	s_cmp_lt_i32 s0, 3
	s_cbranch_scc1 .LBB42_139
; %bb.136:
	s_cmp_gt_i32 s0, 3
	s_cbranch_scc0 .LBB42_140
; %bb.137:
	s_wait_loadcnt 0x0
	global_load_b64 v[0:1], v[2:3], off
	s_mov_b32 s19, 0
	s_wait_loadcnt 0x0
	v_cvt_f64_i32_e32 v[4:5], v1
	v_cvt_f64_u32_e32 v[0:1], v0
	s_delay_alu instid0(VALU_DEP_2) | instskip(NEXT) | instid1(VALU_DEP_1)
	v_ldexp_f64 v[4:5], v[4:5], 32
	v_add_f64_e32 v[0:1], v[4:5], v[0:1]
	s_branch .LBB42_141
.LBB42_138:
	s_mov_b32 s19, -1
                                        ; implicit-def: $vgpr0_vgpr1
	s_branch .LBB42_147
.LBB42_139:
	s_mov_b32 s19, -1
                                        ; implicit-def: $vgpr0_vgpr1
	s_branch .LBB42_144
.LBB42_140:
	s_mov_b32 s19, -1
                                        ; implicit-def: $vgpr0_vgpr1
.LBB42_141:
	s_delay_alu instid0(SALU_CYCLE_1)
	s_and_not1_b32 vcc_lo, exec_lo, s19
	s_cbranch_vccnz .LBB42_143
; %bb.142:
	s_wait_loadcnt 0x0
	global_load_b32 v0, v[2:3], off
	s_wait_loadcnt 0x0
	v_cvt_f64_i32_e32 v[0:1], v0
.LBB42_143:
	s_mov_b32 s19, 0
.LBB42_144:
	s_delay_alu instid0(SALU_CYCLE_1)
	s_and_not1_b32 vcc_lo, exec_lo, s19
	s_cbranch_vccnz .LBB42_146
; %bb.145:
	s_wait_loadcnt 0x0
	global_load_i16 v0, v[2:3], off
	s_wait_loadcnt 0x0
	v_cvt_f64_i32_e32 v[0:1], v0
.LBB42_146:
	s_mov_b32 s19, 0
.LBB42_147:
	s_delay_alu instid0(SALU_CYCLE_1)
	s_and_not1_b32 vcc_lo, exec_lo, s19
	s_cbranch_vccnz .LBB42_153
; %bb.148:
	s_cmp_gt_i32 s0, 0
	s_mov_b32 s0, 0
	s_cbranch_scc0 .LBB42_150
; %bb.149:
	s_wait_loadcnt 0x0
	global_load_i8 v0, v[2:3], off
	s_wait_loadcnt 0x0
	v_cvt_f64_i32_e32 v[0:1], v0
	s_branch .LBB42_151
.LBB42_150:
	s_mov_b32 s0, -1
                                        ; implicit-def: $vgpr0_vgpr1
.LBB42_151:
	s_delay_alu instid0(SALU_CYCLE_1)
	s_and_not1_b32 vcc_lo, exec_lo, s0
	s_cbranch_vccnz .LBB42_153
; %bb.152:
	s_wait_loadcnt 0x0
	global_load_u8 v0, v[2:3], off
	s_wait_loadcnt 0x0
	v_cvt_f64_u32_e32 v[0:1], v0
.LBB42_153:
	s_branch .LBB42_11
.LBB42_154:
	s_mov_b32 s0, 0
	s_mov_b32 s21, 0
	s_branch .LBB42_382
.LBB42_155:
	s_mov_b32 s21, -1
.LBB42_156:
	s_mov_b32 s25, 0
                                        ; implicit-def: $vgpr4_vgpr5
.LBB42_157:
	s_and_b32 vcc_lo, exec_lo, s26
	s_cbranch_vccz .LBB42_272
; %bb.158:
	s_cmp_eq_u32 s19, 44
	s_cbranch_scc0 .LBB42_271
; %bb.159:
	global_load_u8 v6, v[2:3], off
	s_mov_b32 s21, 0
	s_mov_b32 s25, -1
	s_wait_loadcnt 0x0
	v_cmp_ne_u32_e32 vcc_lo, 0xff, v6
	v_lshlrev_b32_e32 v4, 23, v6
	s_delay_alu instid0(VALU_DEP_1) | instskip(NEXT) | instid1(VALU_DEP_1)
	v_cvt_f64_f32_e32 v[4:5], v4
	v_cndmask_b32_e32 v4, 0x20000000, v4, vcc_lo
	s_delay_alu instid0(VALU_DEP_2) | instskip(SKIP_1) | instid1(VALU_DEP_2)
	v_cndmask_b32_e32 v5, 0x7ff80000, v5, vcc_lo
	v_cmp_ne_u32_e32 vcc_lo, 0, v6
	v_cndmask_b32_e32 v5, 0x38000000, v5, vcc_lo
	s_delay_alu instid0(VALU_DEP_4)
	v_cndmask_b32_e32 v4, 0, v4, vcc_lo
	s_branch .LBB42_272
.LBB42_160:
	s_mov_b32 s27, -1
	s_mov_b32 s0, 0
	s_mov_b32 s26, 0
.LBB42_161:
	s_and_b32 vcc_lo, exec_lo, s27
	s_cbranch_vccz .LBB42_166
; %bb.162:
	s_cmp_eq_u32 s25, 44
	s_mov_b32 s0, -1
	s_cbranch_scc0 .LBB42_166
; %bb.163:
	s_wait_xcnt 0x0
	s_delay_alu instid0(VALU_DEP_4) | instskip(SKIP_2) | instid1(VALU_DEP_2)
	v_cvt_f32_f64_e32 v2, v[0:1]
	v_mov_b32_e32 v3, 0xff
	s_mov_b32 s26, exec_lo
	v_bfe_u32 v6, v2, 23, 8
	s_delay_alu instid0(VALU_DEP_1)
	v_cmpx_ne_u32_e32 0xff, v6
	s_cbranch_execz .LBB42_165
; %bb.164:
	v_and_b32_e32 v3, 0x400000, v2
	v_and_or_b32 v6, 0x3fffff, v2, v6
	v_lshrrev_b32_e32 v2, 23, v2
	s_delay_alu instid0(VALU_DEP_3) | instskip(NEXT) | instid1(VALU_DEP_3)
	v_cmp_ne_u32_e32 vcc_lo, 0, v3
	v_cmp_ne_u32_e64 s0, 0, v6
	s_and_b32 s0, vcc_lo, s0
	s_delay_alu instid0(SALU_CYCLE_1) | instskip(NEXT) | instid1(VALU_DEP_1)
	v_cndmask_b32_e64 v3, 0, 1, s0
	v_add_nc_u32_e32 v3, v2, v3
.LBB42_165:
	s_or_b32 exec_lo, exec_lo, s26
	s_mov_b32 s26, -1
	s_mov_b32 s0, 0
	global_store_b8 v[4:5], v3, off
.LBB42_166:
	s_mov_b32 s27, 0
.LBB42_167:
	s_delay_alu instid0(SALU_CYCLE_1)
	s_and_b32 vcc_lo, exec_lo, s27
	s_cbranch_vccz .LBB42_170
; %bb.168:
	s_cmp_eq_u32 s25, 29
	s_mov_b32 s0, -1
	s_cbranch_scc0 .LBB42_170
; %bb.169:
	s_wait_xcnt 0x0
	s_delay_alu instid0(VALU_DEP_4) | instskip(SKIP_3) | instid1(VALU_DEP_1)
	v_trunc_f64_e32 v[2:3], v[0:1]
	s_mov_b32 s26, -1
	s_mov_b32 s0, 0
	s_mov_b32 s27, 0
	v_ldexp_f64 v[6:7], v[2:3], 0xffffffe0
	s_delay_alu instid0(VALU_DEP_1) | instskip(NEXT) | instid1(VALU_DEP_1)
	v_floor_f64_e32 v[6:7], v[6:7]
	v_fmamk_f64 v[2:3], v[6:7], 0xc1f00000, v[2:3]
	v_cvt_u32_f64_e32 v7, v[6:7]
	s_delay_alu instid0(VALU_DEP_2)
	v_cvt_u32_f64_e32 v6, v[2:3]
	global_store_b64 v[4:5], v[6:7], off
	s_branch .LBB42_171
.LBB42_170:
	s_mov_b32 s27, 0
.LBB42_171:
	s_delay_alu instid0(SALU_CYCLE_1)
	s_and_b32 vcc_lo, exec_lo, s27
	s_cbranch_vccz .LBB42_187
; %bb.172:
	s_cmp_lt_i32 s25, 27
	s_mov_b32 s26, -1
	s_cbranch_scc1 .LBB42_178
; %bb.173:
	s_wait_xcnt 0x0
	s_delay_alu instid0(VALU_DEP_4)
	v_cvt_u32_f64_e32 v2, v[0:1]
	s_cmp_gt_i32 s25, 27
	s_cbranch_scc0 .LBB42_175
; %bb.174:
	s_mov_b32 s26, 0
	global_store_b32 v[4:5], v2, off
.LBB42_175:
	s_and_not1_b32 vcc_lo, exec_lo, s26
	s_cbranch_vccnz .LBB42_177
; %bb.176:
	global_store_b16 v[4:5], v2, off
.LBB42_177:
	s_mov_b32 s26, 0
.LBB42_178:
	s_delay_alu instid0(SALU_CYCLE_1)
	s_and_not1_b32 vcc_lo, exec_lo, s26
	s_cbranch_vccnz .LBB42_186
; %bb.179:
	s_wait_xcnt 0x0
	s_delay_alu instid0(VALU_DEP_4) | instskip(SKIP_2) | instid1(VALU_DEP_2)
	v_cvt_f32_f64_e32 v2, v[0:1]
	v_mov_b32_e32 v6, 0x80
	s_mov_b32 s26, exec_lo
	v_and_b32_e32 v3, 0x7fffffff, v2
	s_delay_alu instid0(VALU_DEP_1)
	v_cmpx_gt_u32_e32 0x43800000, v3
	s_cbranch_execz .LBB42_185
; %bb.180:
	v_cmp_lt_u32_e32 vcc_lo, 0x3bffffff, v3
	s_mov_b32 s27, 0
                                        ; implicit-def: $vgpr3
	s_and_saveexec_b32 s28, vcc_lo
	s_delay_alu instid0(SALU_CYCLE_1)
	s_xor_b32 s28, exec_lo, s28
	s_cbranch_execz .LBB42_413
; %bb.181:
	v_bfe_u32 v3, v2, 20, 1
	s_mov_b32 s27, exec_lo
	s_delay_alu instid0(VALU_DEP_1) | instskip(NEXT) | instid1(VALU_DEP_1)
	v_add3_u32 v3, v2, v3, 0x487ffff
	v_lshrrev_b32_e32 v3, 20, v3
	s_and_not1_saveexec_b32 s28, s28
	s_cbranch_execnz .LBB42_414
.LBB42_182:
	s_or_b32 exec_lo, exec_lo, s28
	v_mov_b32_e32 v6, 0
	s_and_saveexec_b32 s28, s27
.LBB42_183:
	v_lshrrev_b32_e32 v2, 24, v2
	s_delay_alu instid0(VALU_DEP_1)
	v_and_or_b32 v6, 0x80, v2, v3
.LBB42_184:
	s_or_b32 exec_lo, exec_lo, s28
.LBB42_185:
	s_delay_alu instid0(SALU_CYCLE_1)
	s_or_b32 exec_lo, exec_lo, s26
	global_store_b8 v[4:5], v6, off
.LBB42_186:
	s_mov_b32 s26, -1
.LBB42_187:
	s_mov_b32 s27, 0
.LBB42_188:
	s_delay_alu instid0(SALU_CYCLE_1)
	s_and_b32 vcc_lo, exec_lo, s27
	s_cbranch_vccz .LBB42_229
; %bb.189:
	s_cmp_gt_i32 s25, 22
	s_mov_b32 s27, -1
	s_cbranch_scc0 .LBB42_221
; %bb.190:
	s_cmp_lt_i32 s25, 24
	s_mov_b32 s26, -1
	s_cbranch_scc1 .LBB42_210
; %bb.191:
	s_cmp_gt_i32 s25, 24
	s_cbranch_scc0 .LBB42_199
; %bb.192:
	s_wait_xcnt 0x0
	s_delay_alu instid0(VALU_DEP_4) | instskip(SKIP_2) | instid1(VALU_DEP_2)
	v_cvt_f32_f64_e32 v2, v[0:1]
	v_mov_b32_e32 v6, 0x80
	s_mov_b32 s26, exec_lo
	v_and_b32_e32 v3, 0x7fffffff, v2
	s_delay_alu instid0(VALU_DEP_1)
	v_cmpx_gt_u32_e32 0x47800000, v3
	s_cbranch_execz .LBB42_198
; %bb.193:
	v_cmp_lt_u32_e32 vcc_lo, 0x37ffffff, v3
	s_mov_b32 s27, 0
                                        ; implicit-def: $vgpr3
	s_and_saveexec_b32 s28, vcc_lo
	s_delay_alu instid0(SALU_CYCLE_1)
	s_xor_b32 s28, exec_lo, s28
	s_cbranch_execz .LBB42_532
; %bb.194:
	v_bfe_u32 v3, v2, 21, 1
	s_mov_b32 s27, exec_lo
	s_delay_alu instid0(VALU_DEP_1) | instskip(NEXT) | instid1(VALU_DEP_1)
	v_add3_u32 v3, v2, v3, 0x88fffff
	v_lshrrev_b32_e32 v3, 21, v3
	s_and_not1_saveexec_b32 s28, s28
	s_cbranch_execnz .LBB42_533
.LBB42_195:
	s_or_b32 exec_lo, exec_lo, s28
	v_mov_b32_e32 v6, 0
	s_and_saveexec_b32 s28, s27
.LBB42_196:
	v_lshrrev_b32_e32 v2, 24, v2
	s_delay_alu instid0(VALU_DEP_1)
	v_and_or_b32 v6, 0x80, v2, v3
.LBB42_197:
	s_or_b32 exec_lo, exec_lo, s28
.LBB42_198:
	s_delay_alu instid0(SALU_CYCLE_1)
	s_or_b32 exec_lo, exec_lo, s26
	s_mov_b32 s26, 0
	global_store_b8 v[4:5], v6, off
.LBB42_199:
	s_and_b32 vcc_lo, exec_lo, s26
	s_cbranch_vccz .LBB42_209
; %bb.200:
	s_wait_xcnt 0x0
	s_delay_alu instid0(VALU_DEP_4) | instskip(SKIP_1) | instid1(VALU_DEP_1)
	v_cvt_f32_f64_e32 v2, v[0:1]
	s_mov_b32 s26, exec_lo
                                        ; implicit-def: $vgpr3
	v_and_b32_e32 v6, 0x7fffffff, v2
	s_delay_alu instid0(VALU_DEP_1)
	v_cmpx_gt_u32_e32 0x43f00000, v6
	s_xor_b32 s26, exec_lo, s26
	s_cbranch_execz .LBB42_206
; %bb.201:
	s_mov_b32 s27, exec_lo
                                        ; implicit-def: $vgpr3
	v_cmpx_lt_u32_e32 0x3c7fffff, v6
	s_xor_b32 s27, exec_lo, s27
; %bb.202:
	v_bfe_u32 v3, v2, 20, 1
	s_delay_alu instid0(VALU_DEP_1) | instskip(NEXT) | instid1(VALU_DEP_1)
	v_add3_u32 v3, v2, v3, 0x407ffff
	v_and_b32_e32 v6, 0xff00000, v3
	v_lshrrev_b32_e32 v3, 20, v3
	s_delay_alu instid0(VALU_DEP_2) | instskip(NEXT) | instid1(VALU_DEP_2)
	v_cmp_ne_u32_e32 vcc_lo, 0x7f00000, v6
	v_cndmask_b32_e32 v3, 0x7e, v3, vcc_lo
; %bb.203:
	s_and_not1_saveexec_b32 s27, s27
; %bb.204:
	v_add_f32_e64 v3, 0x46800000, |v2|
; %bb.205:
	s_or_b32 exec_lo, exec_lo, s27
                                        ; implicit-def: $vgpr6
.LBB42_206:
	s_and_not1_saveexec_b32 s26, s26
; %bb.207:
	v_mov_b32_e32 v3, 0x7f
	v_cmp_lt_u32_e32 vcc_lo, 0x7f800000, v6
	s_delay_alu instid0(VALU_DEP_2)
	v_cndmask_b32_e32 v3, 0x7e, v3, vcc_lo
; %bb.208:
	s_or_b32 exec_lo, exec_lo, s26
	v_lshrrev_b32_e32 v2, 24, v2
	s_delay_alu instid0(VALU_DEP_1)
	v_and_or_b32 v2, 0x80, v2, v3
	global_store_b8 v[4:5], v2, off
.LBB42_209:
	s_mov_b32 s26, 0
.LBB42_210:
	s_delay_alu instid0(SALU_CYCLE_1)
	s_and_not1_b32 vcc_lo, exec_lo, s26
	s_cbranch_vccnz .LBB42_220
; %bb.211:
	s_wait_xcnt 0x0
	s_delay_alu instid0(VALU_DEP_4) | instskip(SKIP_1) | instid1(VALU_DEP_1)
	v_cvt_f32_f64_e32 v2, v[0:1]
	s_mov_b32 s26, exec_lo
                                        ; implicit-def: $vgpr3
	v_and_b32_e32 v6, 0x7fffffff, v2
	s_delay_alu instid0(VALU_DEP_1)
	v_cmpx_gt_u32_e32 0x47800000, v6
	s_xor_b32 s26, exec_lo, s26
	s_cbranch_execz .LBB42_217
; %bb.212:
	s_mov_b32 s27, exec_lo
                                        ; implicit-def: $vgpr3
	v_cmpx_lt_u32_e32 0x387fffff, v6
	s_xor_b32 s27, exec_lo, s27
; %bb.213:
	v_bfe_u32 v3, v2, 21, 1
	s_delay_alu instid0(VALU_DEP_1) | instskip(NEXT) | instid1(VALU_DEP_1)
	v_add3_u32 v3, v2, v3, 0x80fffff
	v_lshrrev_b32_e32 v3, 21, v3
; %bb.214:
	s_and_not1_saveexec_b32 s27, s27
; %bb.215:
	v_add_f32_e64 v3, 0x43000000, |v2|
; %bb.216:
	s_or_b32 exec_lo, exec_lo, s27
                                        ; implicit-def: $vgpr6
.LBB42_217:
	s_and_not1_saveexec_b32 s26, s26
; %bb.218:
	v_mov_b32_e32 v3, 0x7f
	v_cmp_lt_u32_e32 vcc_lo, 0x7f800000, v6
	s_delay_alu instid0(VALU_DEP_2)
	v_cndmask_b32_e32 v3, 0x7c, v3, vcc_lo
; %bb.219:
	s_or_b32 exec_lo, exec_lo, s26
	v_lshrrev_b32_e32 v2, 24, v2
	s_delay_alu instid0(VALU_DEP_1)
	v_and_or_b32 v2, 0x80, v2, v3
	global_store_b8 v[4:5], v2, off
.LBB42_220:
	s_mov_b32 s27, 0
	s_mov_b32 s26, -1
.LBB42_221:
	s_and_not1_b32 vcc_lo, exec_lo, s27
	s_cbranch_vccnz .LBB42_229
; %bb.222:
	s_cmp_gt_i32 s25, 14
	s_mov_b32 s27, -1
	s_cbranch_scc0 .LBB42_226
; %bb.223:
	s_cmp_eq_u32 s25, 15
	s_mov_b32 s0, -1
	s_cbranch_scc0 .LBB42_225
; %bb.224:
	s_wait_xcnt 0x0
	s_delay_alu instid0(VALU_DEP_4) | instskip(SKIP_2) | instid1(VALU_DEP_1)
	v_cvt_f32_f64_e32 v2, v[0:1]
	s_mov_b32 s26, -1
	s_mov_b32 s0, 0
	v_bfe_u32 v3, v2, 16, 1
	v_cmp_o_f32_e32 vcc_lo, v2, v2
	s_delay_alu instid0(VALU_DEP_2) | instskip(NEXT) | instid1(VALU_DEP_1)
	v_add3_u32 v3, v2, v3, 0x7fff
	v_lshrrev_b32_e32 v3, 16, v3
	s_delay_alu instid0(VALU_DEP_1)
	v_cndmask_b32_e32 v2, 0x7fc0, v3, vcc_lo
	global_store_b16 v[4:5], v2, off
.LBB42_225:
	s_mov_b32 s27, 0
.LBB42_226:
	s_delay_alu instid0(SALU_CYCLE_1)
	s_and_b32 vcc_lo, exec_lo, s27
	s_cbranch_vccz .LBB42_229
; %bb.227:
	s_cmp_eq_u32 s25, 11
	s_mov_b32 s0, -1
	s_cbranch_scc0 .LBB42_229
; %bb.228:
	s_delay_alu instid0(VALU_DEP_4)
	v_cmp_neq_f64_e32 vcc_lo, 0, v[0:1]
	s_mov_b32 s26, -1
	s_mov_b32 s0, 0
	s_wait_xcnt 0x0
	v_cndmask_b32_e64 v2, 0, 1, vcc_lo
	global_store_b8 v[4:5], v2, off
.LBB42_229:
	s_mov_b32 s25, 0
.LBB42_230:
	s_delay_alu instid0(SALU_CYCLE_1)
	s_and_b32 vcc_lo, exec_lo, s25
	s_cbranch_vccz .LBB42_269
; %bb.231:
	s_and_b32 s19, 0xffff, s19
	s_mov_b32 s25, -1
	s_cmp_lt_i32 s19, 5
	s_cbranch_scc1 .LBB42_252
; %bb.232:
	s_cmp_lt_i32 s19, 8
	s_cbranch_scc1 .LBB42_242
; %bb.233:
	;; [unrolled: 3-line block ×3, first 2 shown]
	s_cmp_gt_i32 s19, 9
	s_cbranch_scc0 .LBB42_236
; %bb.235:
	s_wait_xcnt 0x0
	v_mov_b32_e32 v2, 0
	s_mov_b32 s25, 0
	s_delay_alu instid0(VALU_DEP_1)
	v_mov_b32_e32 v3, v2
	global_store_b128 v[4:5], v[0:3], off
.LBB42_236:
	s_and_not1_b32 vcc_lo, exec_lo, s25
	s_cbranch_vccnz .LBB42_238
; %bb.237:
	s_wait_xcnt 0x0
	s_delay_alu instid0(VALU_DEP_4)
	v_cvt_f32_f64_e32 v2, v[0:1]
	v_mov_b32_e32 v3, 0
	global_store_b64 v[4:5], v[2:3], off
.LBB42_238:
	s_mov_b32 s25, 0
.LBB42_239:
	s_delay_alu instid0(SALU_CYCLE_1)
	s_and_not1_b32 vcc_lo, exec_lo, s25
	s_cbranch_vccnz .LBB42_241
; %bb.240:
	s_wait_xcnt 0x0
	s_delay_alu instid0(VALU_DEP_4) | instskip(SKIP_2) | instid1(VALU_DEP_3)
	v_and_or_b32 v2, 0x1ff, v1, v0
	v_lshrrev_b32_e32 v3, 8, v1
	v_bfe_u32 v6, v1, 20, 11
	v_cmp_ne_u32_e32 vcc_lo, 0, v2
	s_delay_alu instid0(VALU_DEP_2) | instskip(SKIP_1) | instid1(VALU_DEP_1)
	v_sub_nc_u32_e32 v7, 0x3f1, v6
	v_cndmask_b32_e64 v2, 0, 1, vcc_lo
	v_and_or_b32 v2, 0xffe, v3, v2
	s_delay_alu instid0(VALU_DEP_3) | instskip(NEXT) | instid1(VALU_DEP_2)
	v_med3_i32 v3, v7, 0, 13
	v_or_b32_e32 v7, 0x1000, v2
	s_delay_alu instid0(VALU_DEP_1) | instskip(NEXT) | instid1(VALU_DEP_1)
	v_lshrrev_b32_e32 v8, v3, v7
	v_lshlrev_b32_e32 v3, v3, v8
	s_delay_alu instid0(VALU_DEP_1) | instskip(SKIP_1) | instid1(VALU_DEP_1)
	v_cmp_ne_u32_e32 vcc_lo, v3, v7
	v_cndmask_b32_e64 v3, 0, 1, vcc_lo
	v_or_b32_e32 v3, v8, v3
	v_add_nc_u32_e32 v6, 0xfffffc10, v6
	s_delay_alu instid0(VALU_DEP_1) | instskip(SKIP_1) | instid1(VALU_DEP_2)
	v_lshl_or_b32 v7, v6, 12, v2
	v_cmp_gt_i32_e32 vcc_lo, 1, v6
	v_cndmask_b32_e32 v3, v7, v3, vcc_lo
	s_delay_alu instid0(VALU_DEP_1) | instskip(NEXT) | instid1(VALU_DEP_1)
	v_dual_lshrrev_b32 v3, 2, v3 :: v_dual_bitop2_b32 v7, 7, v3 bitop3:0x40
	v_cmp_lt_i32_e32 vcc_lo, 5, v7
	v_cndmask_b32_e64 v8, 0, 1, vcc_lo
	v_cmp_eq_u32_e32 vcc_lo, 3, v7
	v_cndmask_b32_e64 v7, 0, 1, vcc_lo
	v_cmp_ne_u32_e32 vcc_lo, 0, v2
	s_delay_alu instid0(VALU_DEP_2) | instskip(NEXT) | instid1(VALU_DEP_1)
	v_or_b32_e32 v7, v7, v8
	v_dual_mov_b32 v8, 0x7e00 :: v_dual_add_nc_u32 v3, v3, v7
	s_delay_alu instid0(VALU_DEP_1) | instskip(SKIP_2) | instid1(VALU_DEP_4)
	v_cndmask_b32_e32 v2, 0x7c00, v8, vcc_lo
	v_cmp_gt_i32_e32 vcc_lo, 31, v6
	v_lshrrev_b32_e32 v7, 16, v1
	v_cndmask_b32_e32 v3, 0x7c00, v3, vcc_lo
	v_cmp_eq_u32_e32 vcc_lo, 0x40f, v6
	s_delay_alu instid0(VALU_DEP_2) | instskip(NEXT) | instid1(VALU_DEP_4)
	v_cndmask_b32_e32 v2, v3, v2, vcc_lo
	v_and_b32_e32 v3, 0x8000, v7
	s_delay_alu instid0(VALU_DEP_1)
	v_bitop3_b32 v2, v3, 0xffff, v2 bitop3:0xc8
	global_store_b32 v[4:5], v2, off
.LBB42_241:
	s_mov_b32 s25, 0
.LBB42_242:
	s_delay_alu instid0(SALU_CYCLE_1)
	s_and_not1_b32 vcc_lo, exec_lo, s25
	s_cbranch_vccnz .LBB42_251
; %bb.243:
	s_cmp_lt_i32 s19, 6
	s_mov_b32 s25, -1
	s_cbranch_scc1 .LBB42_249
; %bb.244:
	s_cmp_gt_i32 s19, 6
	s_cbranch_scc0 .LBB42_246
; %bb.245:
	s_mov_b32 s25, 0
	global_store_b64 v[4:5], v[0:1], off
.LBB42_246:
	s_and_not1_b32 vcc_lo, exec_lo, s25
	s_cbranch_vccnz .LBB42_248
; %bb.247:
	s_wait_xcnt 0x0
	s_delay_alu instid0(VALU_DEP_4)
	v_cvt_f32_f64_e32 v2, v[0:1]
	global_store_b32 v[4:5], v2, off
.LBB42_248:
	s_mov_b32 s25, 0
.LBB42_249:
	s_delay_alu instid0(SALU_CYCLE_1)
	s_and_not1_b32 vcc_lo, exec_lo, s25
	s_cbranch_vccnz .LBB42_251
; %bb.250:
	s_wait_xcnt 0x0
	s_delay_alu instid0(VALU_DEP_4) | instskip(SKIP_2) | instid1(VALU_DEP_3)
	v_and_or_b32 v2, 0x1ff, v1, v0
	v_lshrrev_b32_e32 v3, 8, v1
	v_bfe_u32 v6, v1, 20, 11
	v_cmp_ne_u32_e32 vcc_lo, 0, v2
	s_delay_alu instid0(VALU_DEP_2) | instskip(SKIP_1) | instid1(VALU_DEP_1)
	v_sub_nc_u32_e32 v7, 0x3f1, v6
	v_cndmask_b32_e64 v2, 0, 1, vcc_lo
	v_and_or_b32 v2, 0xffe, v3, v2
	s_delay_alu instid0(VALU_DEP_3) | instskip(NEXT) | instid1(VALU_DEP_2)
	v_med3_i32 v3, v7, 0, 13
	v_or_b32_e32 v7, 0x1000, v2
	s_delay_alu instid0(VALU_DEP_1) | instskip(NEXT) | instid1(VALU_DEP_1)
	v_lshrrev_b32_e32 v8, v3, v7
	v_lshlrev_b32_e32 v3, v3, v8
	s_delay_alu instid0(VALU_DEP_1) | instskip(SKIP_1) | instid1(VALU_DEP_1)
	v_cmp_ne_u32_e32 vcc_lo, v3, v7
	v_cndmask_b32_e64 v3, 0, 1, vcc_lo
	v_or_b32_e32 v3, v8, v3
	v_add_nc_u32_e32 v6, 0xfffffc10, v6
	s_delay_alu instid0(VALU_DEP_1) | instskip(SKIP_1) | instid1(VALU_DEP_2)
	v_lshl_or_b32 v7, v6, 12, v2
	v_cmp_gt_i32_e32 vcc_lo, 1, v6
	v_cndmask_b32_e32 v3, v7, v3, vcc_lo
	s_delay_alu instid0(VALU_DEP_1) | instskip(NEXT) | instid1(VALU_DEP_1)
	v_dual_lshrrev_b32 v3, 2, v3 :: v_dual_bitop2_b32 v7, 7, v3 bitop3:0x40
	v_cmp_lt_i32_e32 vcc_lo, 5, v7
	v_cndmask_b32_e64 v8, 0, 1, vcc_lo
	v_cmp_eq_u32_e32 vcc_lo, 3, v7
	v_cndmask_b32_e64 v7, 0, 1, vcc_lo
	v_cmp_ne_u32_e32 vcc_lo, 0, v2
	s_delay_alu instid0(VALU_DEP_2) | instskip(NEXT) | instid1(VALU_DEP_1)
	v_or_b32_e32 v7, v7, v8
	v_dual_mov_b32 v8, 0x7e00 :: v_dual_add_nc_u32 v3, v3, v7
	s_delay_alu instid0(VALU_DEP_1) | instskip(SKIP_1) | instid1(VALU_DEP_3)
	v_cndmask_b32_e32 v2, 0x7c00, v8, vcc_lo
	v_cmp_gt_i32_e32 vcc_lo, 31, v6
	v_cndmask_b32_e32 v3, 0x7c00, v3, vcc_lo
	v_cmp_eq_u32_e32 vcc_lo, 0x40f, v6
	s_delay_alu instid0(VALU_DEP_2) | instskip(NEXT) | instid1(VALU_DEP_1)
	v_dual_cndmask_b32 v2, v3, v2 :: v_dual_lshrrev_b32 v3, 16, v1
	v_and_or_b32 v2, 0x8000, v3, v2
	global_store_b16 v[4:5], v2, off
.LBB42_251:
	s_mov_b32 s25, 0
.LBB42_252:
	s_delay_alu instid0(SALU_CYCLE_1)
	s_and_not1_b32 vcc_lo, exec_lo, s25
	s_cbranch_vccnz .LBB42_268
; %bb.253:
	s_cmp_lt_i32 s19, 2
	s_mov_b32 s25, -1
	s_cbranch_scc1 .LBB42_263
; %bb.254:
	s_cmp_lt_i32 s19, 3
	s_cbranch_scc1 .LBB42_260
; %bb.255:
	s_cmp_gt_i32 s19, 3
	s_cbranch_scc0 .LBB42_257
; %bb.256:
	s_wait_xcnt 0x0
	s_delay_alu instid0(VALU_DEP_4) | instskip(SKIP_1) | instid1(VALU_DEP_1)
	v_trunc_f64_e32 v[2:3], v[0:1]
	s_mov_b32 s25, 0
	v_ldexp_f64 v[6:7], v[2:3], 0xffffffe0
	s_delay_alu instid0(VALU_DEP_1) | instskip(NEXT) | instid1(VALU_DEP_1)
	v_floor_f64_e32 v[6:7], v[6:7]
	v_fmamk_f64 v[2:3], v[6:7], 0xc1f00000, v[2:3]
	v_cvt_i32_f64_e32 v7, v[6:7]
	s_delay_alu instid0(VALU_DEP_2)
	v_cvt_u32_f64_e32 v6, v[2:3]
	global_store_b64 v[4:5], v[6:7], off
.LBB42_257:
	s_and_not1_b32 vcc_lo, exec_lo, s25
	s_cbranch_vccnz .LBB42_259
; %bb.258:
	s_wait_xcnt 0x0
	s_delay_alu instid0(VALU_DEP_4)
	v_cvt_i32_f64_e32 v2, v[0:1]
	global_store_b32 v[4:5], v2, off
.LBB42_259:
	s_mov_b32 s25, 0
.LBB42_260:
	s_delay_alu instid0(SALU_CYCLE_1)
	s_and_not1_b32 vcc_lo, exec_lo, s25
	s_cbranch_vccnz .LBB42_262
; %bb.261:
	s_wait_xcnt 0x0
	s_delay_alu instid0(VALU_DEP_4)
	v_cvt_i32_f64_e32 v2, v[0:1]
	global_store_b16 v[4:5], v2, off
.LBB42_262:
	s_mov_b32 s25, 0
.LBB42_263:
	s_delay_alu instid0(SALU_CYCLE_1)
	s_and_not1_b32 vcc_lo, exec_lo, s25
	s_cbranch_vccnz .LBB42_268
; %bb.264:
	s_cmp_gt_i32 s19, 0
	s_mov_b32 s19, -1
	s_cbranch_scc0 .LBB42_266
; %bb.265:
	s_wait_xcnt 0x0
	s_delay_alu instid0(VALU_DEP_4)
	v_cvt_i32_f64_e32 v2, v[0:1]
	s_mov_b32 s19, 0
	global_store_b8 v[4:5], v2, off
.LBB42_266:
	s_and_not1_b32 vcc_lo, exec_lo, s19
	s_cbranch_vccnz .LBB42_268
; %bb.267:
	s_wait_xcnt 0x0
	s_delay_alu instid0(VALU_DEP_4) | instskip(NEXT) | instid1(VALU_DEP_1)
	v_trunc_f64_e32 v[0:1], v[0:1]
	v_ldexp_f64 v[2:3], v[0:1], 0xffffffe0
	s_delay_alu instid0(VALU_DEP_1) | instskip(NEXT) | instid1(VALU_DEP_1)
	v_floor_f64_e32 v[2:3], v[2:3]
	v_fmamk_f64 v[0:1], v[2:3], 0xc1f00000, v[0:1]
	s_delay_alu instid0(VALU_DEP_1)
	v_cvt_u32_f64_e32 v0, v[0:1]
	global_store_b8 v[4:5], v0, off
.LBB42_268:
	s_mov_b32 s26, -1
.LBB42_269:
	s_delay_alu instid0(SALU_CYCLE_1)
	s_and_not1_b32 vcc_lo, exec_lo, s26
	s_cbranch_vccnz .LBB42_382
; %bb.270:
	v_add_nc_u32_e32 v14, 0x80, v14
	s_mov_b32 s25, -1
	s_branch .LBB42_383
.LBB42_271:
	s_mov_b32 s21, -1
                                        ; implicit-def: $vgpr4_vgpr5
.LBB42_272:
	s_mov_b32 s26, 0
.LBB42_273:
	s_delay_alu instid0(SALU_CYCLE_1)
	s_and_b32 vcc_lo, exec_lo, s26
	s_cbranch_vccz .LBB42_277
; %bb.274:
	s_cmp_eq_u32 s19, 29
	s_cbranch_scc0 .LBB42_276
; %bb.275:
	global_load_b64 v[4:5], v[2:3], off
	s_mov_b32 s25, -1
	s_mov_b32 s21, 0
	s_mov_b32 s26, 0
	s_wait_loadcnt 0x0
	v_cvt_f64_u32_e32 v[6:7], v5
	v_cvt_f64_u32_e32 v[4:5], v4
	s_delay_alu instid0(VALU_DEP_2) | instskip(NEXT) | instid1(VALU_DEP_1)
	v_ldexp_f64 v[6:7], v[6:7], 32
	v_add_f64_e32 v[4:5], v[6:7], v[4:5]
	s_branch .LBB42_278
.LBB42_276:
	s_mov_b32 s21, -1
                                        ; implicit-def: $vgpr4_vgpr5
.LBB42_277:
	s_mov_b32 s26, 0
.LBB42_278:
	s_delay_alu instid0(SALU_CYCLE_1)
	s_and_b32 vcc_lo, exec_lo, s26
	s_cbranch_vccz .LBB42_296
; %bb.279:
	s_cmp_lt_i32 s19, 27
	s_cbranch_scc1 .LBB42_282
; %bb.280:
	s_cmp_gt_i32 s19, 27
	s_cbranch_scc0 .LBB42_283
; %bb.281:
	global_load_b32 v4, v[2:3], off
	s_mov_b32 s25, 0
	s_wait_loadcnt 0x0
	v_cvt_f64_u32_e32 v[4:5], v4
	s_branch .LBB42_284
.LBB42_282:
	s_mov_b32 s25, -1
                                        ; implicit-def: $vgpr4_vgpr5
	s_branch .LBB42_287
.LBB42_283:
	s_mov_b32 s25, -1
                                        ; implicit-def: $vgpr4_vgpr5
.LBB42_284:
	s_delay_alu instid0(SALU_CYCLE_1)
	s_and_not1_b32 vcc_lo, exec_lo, s25
	s_cbranch_vccnz .LBB42_286
; %bb.285:
	global_load_u16 v4, v[2:3], off
	s_wait_loadcnt 0x0
	v_cvt_f64_u32_e32 v[4:5], v4
.LBB42_286:
	s_mov_b32 s25, 0
.LBB42_287:
	s_delay_alu instid0(SALU_CYCLE_1)
	s_and_not1_b32 vcc_lo, exec_lo, s25
	s_cbranch_vccnz .LBB42_295
; %bb.288:
	global_load_u8 v6, v[2:3], off
	s_mov_b32 s25, 0
	s_mov_b32 s26, exec_lo
	s_wait_loadcnt 0x0
	v_cmpx_lt_i16_e32 0x7f, v6
	s_xor_b32 s26, exec_lo, s26
	s_cbranch_execz .LBB42_309
; %bb.289:
	s_mov_b32 s25, -1
	s_mov_b32 s27, exec_lo
	v_cmpx_eq_u16_e32 0x80, v6
; %bb.290:
	s_xor_b32 s25, exec_lo, -1
; %bb.291:
	s_or_b32 exec_lo, exec_lo, s27
	s_delay_alu instid0(SALU_CYCLE_1)
	s_and_b32 s25, s25, exec_lo
	s_or_saveexec_b32 s26, s26
	v_mov_b64_e32 v[4:5], 0x7ff8000020000000
	s_xor_b32 exec_lo, exec_lo, s26
	s_cbranch_execnz .LBB42_310
.LBB42_292:
	s_or_b32 exec_lo, exec_lo, s26
	s_and_saveexec_b32 s26, s25
	s_cbranch_execz .LBB42_294
.LBB42_293:
	v_and_b32_e32 v4, 0xffff, v6
	s_delay_alu instid0(VALU_DEP_1) | instskip(SKIP_1) | instid1(VALU_DEP_2)
	v_and_b32_e32 v5, 7, v4
	v_bfe_u32 v9, v4, 3, 4
	v_clz_i32_u32_e32 v7, v5
	s_delay_alu instid0(VALU_DEP_2) | instskip(NEXT) | instid1(VALU_DEP_2)
	v_cmp_eq_u32_e32 vcc_lo, 0, v9
	v_min_u32_e32 v7, 32, v7
	s_delay_alu instid0(VALU_DEP_1) | instskip(NEXT) | instid1(VALU_DEP_1)
	v_subrev_nc_u32_e32 v8, 28, v7
	v_dual_lshlrev_b32 v4, v8, v4 :: v_dual_sub_nc_u32 v7, 29, v7
	s_delay_alu instid0(VALU_DEP_1) | instskip(NEXT) | instid1(VALU_DEP_2)
	v_dual_lshlrev_b32 v6, 24, v6 :: v_dual_bitop2_b32 v4, 7, v4 bitop3:0x40
	v_cndmask_b32_e32 v7, v9, v7, vcc_lo
	s_delay_alu instid0(VALU_DEP_2) | instskip(NEXT) | instid1(VALU_DEP_3)
	v_cndmask_b32_e32 v4, v5, v4, vcc_lo
	v_and_b32_e32 v5, 0x80000000, v6
	s_delay_alu instid0(VALU_DEP_3) | instskip(NEXT) | instid1(VALU_DEP_3)
	v_lshl_add_u32 v6, v7, 23, 0x3b800000
	v_lshlrev_b32_e32 v4, 20, v4
	s_delay_alu instid0(VALU_DEP_1) | instskip(NEXT) | instid1(VALU_DEP_1)
	v_or3_b32 v4, v5, v6, v4
	v_cvt_f64_f32_e32 v[4:5], v4
.LBB42_294:
	s_or_b32 exec_lo, exec_lo, s26
.LBB42_295:
	s_mov_b32 s25, -1
.LBB42_296:
	s_mov_b32 s26, 0
.LBB42_297:
	s_delay_alu instid0(SALU_CYCLE_1)
	s_and_b32 vcc_lo, exec_lo, s26
	s_cbranch_vccz .LBB42_332
; %bb.298:
	s_cmp_gt_i32 s19, 22
	s_cbranch_scc0 .LBB42_308
; %bb.299:
	s_cmp_lt_i32 s19, 24
	s_cbranch_scc1 .LBB42_311
; %bb.300:
	s_cmp_gt_i32 s19, 24
	s_cbranch_scc0 .LBB42_312
; %bb.301:
	global_load_u8 v6, v[2:3], off
	s_mov_b32 s25, 0
	s_mov_b32 s26, exec_lo
	s_wait_loadcnt 0x0
	v_cmpx_lt_i16_e32 0x7f, v6
	s_xor_b32 s26, exec_lo, s26
	s_cbranch_execz .LBB42_324
; %bb.302:
	s_mov_b32 s25, -1
	s_mov_b32 s27, exec_lo
	v_cmpx_eq_u16_e32 0x80, v6
; %bb.303:
	s_xor_b32 s25, exec_lo, -1
; %bb.304:
	s_or_b32 exec_lo, exec_lo, s27
	s_delay_alu instid0(SALU_CYCLE_1)
	s_and_b32 s25, s25, exec_lo
	s_or_saveexec_b32 s26, s26
	v_mov_b64_e32 v[4:5], 0x7ff8000020000000
	s_xor_b32 exec_lo, exec_lo, s26
	s_cbranch_execnz .LBB42_325
.LBB42_305:
	s_or_b32 exec_lo, exec_lo, s26
	s_and_saveexec_b32 s26, s25
	s_cbranch_execz .LBB42_307
.LBB42_306:
	v_and_b32_e32 v4, 0xffff, v6
	s_delay_alu instid0(VALU_DEP_1) | instskip(SKIP_1) | instid1(VALU_DEP_2)
	v_and_b32_e32 v5, 3, v4
	v_bfe_u32 v9, v4, 2, 5
	v_clz_i32_u32_e32 v7, v5
	s_delay_alu instid0(VALU_DEP_2) | instskip(NEXT) | instid1(VALU_DEP_2)
	v_cmp_eq_u32_e32 vcc_lo, 0, v9
	v_min_u32_e32 v7, 32, v7
	s_delay_alu instid0(VALU_DEP_1) | instskip(NEXT) | instid1(VALU_DEP_1)
	v_subrev_nc_u32_e32 v8, 29, v7
	v_dual_lshlrev_b32 v4, v8, v4 :: v_dual_sub_nc_u32 v7, 30, v7
	s_delay_alu instid0(VALU_DEP_1) | instskip(NEXT) | instid1(VALU_DEP_2)
	v_dual_lshlrev_b32 v6, 24, v6 :: v_dual_bitop2_b32 v4, 3, v4 bitop3:0x40
	v_cndmask_b32_e32 v7, v9, v7, vcc_lo
	s_delay_alu instid0(VALU_DEP_2) | instskip(NEXT) | instid1(VALU_DEP_3)
	v_cndmask_b32_e32 v4, v5, v4, vcc_lo
	v_and_b32_e32 v5, 0x80000000, v6
	s_delay_alu instid0(VALU_DEP_3) | instskip(NEXT) | instid1(VALU_DEP_3)
	v_lshl_add_u32 v6, v7, 23, 0x37800000
	v_lshlrev_b32_e32 v4, 21, v4
	s_delay_alu instid0(VALU_DEP_1) | instskip(NEXT) | instid1(VALU_DEP_1)
	v_or3_b32 v4, v5, v6, v4
	v_cvt_f64_f32_e32 v[4:5], v4
.LBB42_307:
	s_or_b32 exec_lo, exec_lo, s26
	s_mov_b32 s25, 0
	s_branch .LBB42_313
.LBB42_308:
	s_mov_b32 s26, -1
                                        ; implicit-def: $vgpr4_vgpr5
	s_branch .LBB42_319
.LBB42_309:
	s_or_saveexec_b32 s26, s26
	v_mov_b64_e32 v[4:5], 0x7ff8000020000000
	s_xor_b32 exec_lo, exec_lo, s26
	s_cbranch_execz .LBB42_292
.LBB42_310:
	v_cmp_ne_u16_e32 vcc_lo, 0, v6
	v_mov_b64_e32 v[4:5], 0
	s_and_not1_b32 s25, s25, exec_lo
	s_and_b32 s27, vcc_lo, exec_lo
	s_delay_alu instid0(SALU_CYCLE_1)
	s_or_b32 s25, s25, s27
	s_or_b32 exec_lo, exec_lo, s26
	s_and_saveexec_b32 s26, s25
	s_cbranch_execnz .LBB42_293
	s_branch .LBB42_294
.LBB42_311:
	s_mov_b32 s25, -1
                                        ; implicit-def: $vgpr4_vgpr5
	s_branch .LBB42_316
.LBB42_312:
	s_mov_b32 s25, -1
                                        ; implicit-def: $vgpr4_vgpr5
.LBB42_313:
	s_delay_alu instid0(SALU_CYCLE_1)
	s_and_b32 vcc_lo, exec_lo, s25
	s_cbranch_vccz .LBB42_315
; %bb.314:
	global_load_u8 v4, v[2:3], off
	s_wait_loadcnt 0x0
	v_lshlrev_b32_e32 v4, 24, v4
	s_delay_alu instid0(VALU_DEP_1) | instskip(NEXT) | instid1(VALU_DEP_1)
	v_and_b32_e32 v5, 0x7f000000, v4
	v_clz_i32_u32_e32 v6, v5
	v_cmp_ne_u32_e32 vcc_lo, 0, v5
	v_add_nc_u32_e32 v8, 0x1000000, v5
	s_delay_alu instid0(VALU_DEP_3) | instskip(NEXT) | instid1(VALU_DEP_1)
	v_min_u32_e32 v6, 32, v6
	v_sub_nc_u32_e64 v6, v6, 4 clamp
	s_delay_alu instid0(VALU_DEP_1) | instskip(NEXT) | instid1(VALU_DEP_1)
	v_dual_lshlrev_b32 v7, v6, v5 :: v_dual_lshlrev_b32 v6, 23, v6
	v_lshrrev_b32_e32 v7, 4, v7
	s_delay_alu instid0(VALU_DEP_1) | instskip(NEXT) | instid1(VALU_DEP_1)
	v_dual_sub_nc_u32 v6, v7, v6 :: v_dual_ashrrev_i32 v7, 8, v8
	v_add_nc_u32_e32 v6, 0x3c000000, v6
	s_delay_alu instid0(VALU_DEP_1) | instskip(NEXT) | instid1(VALU_DEP_1)
	v_and_or_b32 v6, 0x7f800000, v7, v6
	v_cndmask_b32_e32 v5, 0, v6, vcc_lo
	s_delay_alu instid0(VALU_DEP_1) | instskip(NEXT) | instid1(VALU_DEP_1)
	v_and_or_b32 v4, 0x80000000, v4, v5
	v_cvt_f64_f32_e32 v[4:5], v4
.LBB42_315:
	s_mov_b32 s25, 0
.LBB42_316:
	s_delay_alu instid0(SALU_CYCLE_1)
	s_and_not1_b32 vcc_lo, exec_lo, s25
	s_cbranch_vccnz .LBB42_318
; %bb.317:
	global_load_u8 v4, v[2:3], off
	s_wait_loadcnt 0x0
	v_lshlrev_b32_e32 v5, 25, v4
	v_lshlrev_b16 v4, 8, v4
	s_delay_alu instid0(VALU_DEP_1) | instskip(SKIP_1) | instid1(VALU_DEP_2)
	v_and_or_b32 v7, 0x7f00, v4, 0.5
	v_bfe_i32 v4, v4, 0, 16
	v_dual_add_f32 v7, -0.5, v7 :: v_dual_lshrrev_b32 v6, 4, v5
	v_cmp_gt_u32_e32 vcc_lo, 0x8000000, v5
	s_delay_alu instid0(VALU_DEP_2) | instskip(NEXT) | instid1(VALU_DEP_1)
	v_or_b32_e32 v6, 0x70000000, v6
	v_mul_f32_e32 v6, 0x7800000, v6
	s_delay_alu instid0(VALU_DEP_1) | instskip(NEXT) | instid1(VALU_DEP_1)
	v_cndmask_b32_e32 v5, v6, v7, vcc_lo
	v_and_or_b32 v4, 0x80000000, v4, v5
	s_delay_alu instid0(VALU_DEP_1)
	v_cvt_f64_f32_e32 v[4:5], v4
.LBB42_318:
	s_mov_b32 s26, 0
	s_mov_b32 s25, -1
.LBB42_319:
	s_and_not1_b32 vcc_lo, exec_lo, s26
	s_cbranch_vccnz .LBB42_332
; %bb.320:
	s_cmp_gt_i32 s19, 14
	s_cbranch_scc0 .LBB42_323
; %bb.321:
	s_cmp_eq_u32 s19, 15
	s_cbranch_scc0 .LBB42_326
; %bb.322:
	global_load_u16 v4, v[2:3], off
	s_mov_b32 s25, -1
	s_mov_b32 s21, 0
	s_wait_loadcnt 0x0
	v_lshlrev_b32_e32 v4, 16, v4
	s_delay_alu instid0(VALU_DEP_1)
	v_cvt_f64_f32_e32 v[4:5], v4
	s_branch .LBB42_327
.LBB42_323:
	s_mov_b32 s26, -1
                                        ; implicit-def: $vgpr4_vgpr5
	s_branch .LBB42_328
.LBB42_324:
	s_or_saveexec_b32 s26, s26
	v_mov_b64_e32 v[4:5], 0x7ff8000020000000
	s_xor_b32 exec_lo, exec_lo, s26
	s_cbranch_execz .LBB42_305
.LBB42_325:
	v_cmp_ne_u16_e32 vcc_lo, 0, v6
	v_mov_b64_e32 v[4:5], 0
	s_and_not1_b32 s25, s25, exec_lo
	s_and_b32 s27, vcc_lo, exec_lo
	s_delay_alu instid0(SALU_CYCLE_1)
	s_or_b32 s25, s25, s27
	s_or_b32 exec_lo, exec_lo, s26
	s_and_saveexec_b32 s26, s25
	s_cbranch_execnz .LBB42_306
	s_branch .LBB42_307
.LBB42_326:
	s_mov_b32 s21, -1
                                        ; implicit-def: $vgpr4_vgpr5
.LBB42_327:
	s_mov_b32 s26, 0
.LBB42_328:
	s_delay_alu instid0(SALU_CYCLE_1)
	s_and_b32 vcc_lo, exec_lo, s26
	s_cbranch_vccz .LBB42_332
; %bb.329:
	s_cmp_eq_u32 s19, 11
	s_cbranch_scc0 .LBB42_331
; %bb.330:
	global_load_u8 v4, v[2:3], off
	s_mov_b32 s21, 0
	s_mov_b32 s25, -1
	s_wait_loadcnt 0x0
	v_cmp_ne_u16_e32 vcc_lo, 0, v4
	v_mov_b32_e32 v4, 0
	v_cndmask_b32_e64 v5, 0, 0x3ff00000, vcc_lo
	s_branch .LBB42_332
.LBB42_331:
	s_mov_b32 s21, -1
                                        ; implicit-def: $vgpr4_vgpr5
.LBB42_332:
	s_branch .LBB42_20
.LBB42_333:
	s_and_b32 s0, 0xffff, s0
	s_delay_alu instid0(SALU_CYCLE_1)
	s_cmp_lt_i32 s0, 5
	s_cbranch_scc1 .LBB42_338
; %bb.334:
	s_cmp_lt_i32 s0, 8
	s_cbranch_scc1 .LBB42_339
; %bb.335:
	;; [unrolled: 3-line block ×3, first 2 shown]
	s_cmp_gt_i32 s0, 9
	s_cbranch_scc0 .LBB42_341
; %bb.337:
	global_load_b64 v[4:5], v[2:3], off
	s_mov_b32 s19, 0
	s_branch .LBB42_342
.LBB42_338:
	s_mov_b32 s19, -1
                                        ; implicit-def: $vgpr4_vgpr5
	s_branch .LBB42_360
.LBB42_339:
	s_mov_b32 s19, -1
                                        ; implicit-def: $vgpr4_vgpr5
	s_branch .LBB42_348
.LBB42_340:
	s_mov_b32 s19, -1
                                        ; implicit-def: $vgpr4_vgpr5
	s_branch .LBB42_345
.LBB42_341:
	s_mov_b32 s19, -1
                                        ; implicit-def: $vgpr4_vgpr5
.LBB42_342:
	s_delay_alu instid0(SALU_CYCLE_1)
	s_and_not1_b32 vcc_lo, exec_lo, s19
	s_cbranch_vccnz .LBB42_344
; %bb.343:
	s_wait_loadcnt 0x0
	global_load_b32 v4, v[2:3], off
	s_wait_loadcnt 0x0
	v_cvt_f64_f32_e32 v[4:5], v4
.LBB42_344:
	s_mov_b32 s19, 0
.LBB42_345:
	s_delay_alu instid0(SALU_CYCLE_1)
	s_and_not1_b32 vcc_lo, exec_lo, s19
	s_cbranch_vccnz .LBB42_347
; %bb.346:
	s_wait_loadcnt 0x0
	global_load_b32 v4, v[2:3], off
	s_wait_loadcnt 0x0
	v_cvt_f32_f16_e32 v4, v4
	s_delay_alu instid0(VALU_DEP_1)
	v_cvt_f64_f32_e32 v[4:5], v4
.LBB42_347:
	s_mov_b32 s19, 0
.LBB42_348:
	s_delay_alu instid0(SALU_CYCLE_1)
	s_and_not1_b32 vcc_lo, exec_lo, s19
	s_cbranch_vccnz .LBB42_359
; %bb.349:
	s_cmp_lt_i32 s0, 6
	s_cbranch_scc1 .LBB42_352
; %bb.350:
	s_cmp_gt_i32 s0, 6
	s_cbranch_scc0 .LBB42_353
; %bb.351:
	s_wait_loadcnt 0x0
	global_load_b64 v[4:5], v[2:3], off
	s_mov_b32 s19, 0
	s_branch .LBB42_354
.LBB42_352:
	s_mov_b32 s19, -1
                                        ; implicit-def: $vgpr4_vgpr5
	s_branch .LBB42_357
.LBB42_353:
	s_mov_b32 s19, -1
                                        ; implicit-def: $vgpr4_vgpr5
.LBB42_354:
	s_delay_alu instid0(SALU_CYCLE_1)
	s_and_not1_b32 vcc_lo, exec_lo, s19
	s_cbranch_vccnz .LBB42_356
; %bb.355:
	s_wait_loadcnt 0x0
	global_load_b32 v4, v[2:3], off
	s_wait_loadcnt 0x0
	v_cvt_f64_f32_e32 v[4:5], v4
.LBB42_356:
	s_mov_b32 s19, 0
.LBB42_357:
	s_delay_alu instid0(SALU_CYCLE_1)
	s_and_not1_b32 vcc_lo, exec_lo, s19
	s_cbranch_vccnz .LBB42_359
; %bb.358:
	s_wait_loadcnt 0x0
	global_load_u16 v4, v[2:3], off
	s_wait_loadcnt 0x0
	v_cvt_f32_f16_e32 v4, v4
	s_delay_alu instid0(VALU_DEP_1)
	v_cvt_f64_f32_e32 v[4:5], v4
.LBB42_359:
	s_mov_b32 s19, 0
.LBB42_360:
	s_delay_alu instid0(SALU_CYCLE_1)
	s_and_not1_b32 vcc_lo, exec_lo, s19
	s_cbranch_vccnz .LBB42_380
; %bb.361:
	s_cmp_lt_i32 s0, 2
	s_cbranch_scc1 .LBB42_365
; %bb.362:
	s_cmp_lt_i32 s0, 3
	s_cbranch_scc1 .LBB42_366
; %bb.363:
	s_cmp_gt_i32 s0, 3
	s_cbranch_scc0 .LBB42_367
; %bb.364:
	s_wait_loadcnt 0x0
	global_load_b64 v[4:5], v[2:3], off
	s_mov_b32 s19, 0
	s_wait_loadcnt 0x0
	v_cvt_f64_i32_e32 v[6:7], v5
	v_cvt_f64_u32_e32 v[4:5], v4
	s_delay_alu instid0(VALU_DEP_2) | instskip(NEXT) | instid1(VALU_DEP_1)
	v_ldexp_f64 v[6:7], v[6:7], 32
	v_add_f64_e32 v[4:5], v[6:7], v[4:5]
	s_branch .LBB42_368
.LBB42_365:
	s_mov_b32 s19, -1
                                        ; implicit-def: $vgpr4_vgpr5
	s_branch .LBB42_374
.LBB42_366:
	s_mov_b32 s19, -1
                                        ; implicit-def: $vgpr4_vgpr5
	s_branch .LBB42_371
.LBB42_367:
	s_mov_b32 s19, -1
                                        ; implicit-def: $vgpr4_vgpr5
.LBB42_368:
	s_delay_alu instid0(SALU_CYCLE_1)
	s_and_not1_b32 vcc_lo, exec_lo, s19
	s_cbranch_vccnz .LBB42_370
; %bb.369:
	s_wait_loadcnt 0x0
	global_load_b32 v4, v[2:3], off
	s_wait_loadcnt 0x0
	v_cvt_f64_i32_e32 v[4:5], v4
.LBB42_370:
	s_mov_b32 s19, 0
.LBB42_371:
	s_delay_alu instid0(SALU_CYCLE_1)
	s_and_not1_b32 vcc_lo, exec_lo, s19
	s_cbranch_vccnz .LBB42_373
; %bb.372:
	s_wait_loadcnt 0x0
	global_load_i16 v4, v[2:3], off
	s_wait_loadcnt 0x0
	v_cvt_f64_i32_e32 v[4:5], v4
.LBB42_373:
	s_mov_b32 s19, 0
.LBB42_374:
	s_delay_alu instid0(SALU_CYCLE_1)
	s_and_not1_b32 vcc_lo, exec_lo, s19
	s_cbranch_vccnz .LBB42_380
; %bb.375:
	s_cmp_gt_i32 s0, 0
	s_mov_b32 s0, 0
	s_cbranch_scc0 .LBB42_377
; %bb.376:
	s_wait_loadcnt 0x0
	global_load_i8 v4, v[2:3], off
	s_wait_loadcnt 0x0
	v_cvt_f64_i32_e32 v[4:5], v4
	s_branch .LBB42_378
.LBB42_377:
	s_mov_b32 s0, -1
                                        ; implicit-def: $vgpr4_vgpr5
.LBB42_378:
	s_delay_alu instid0(SALU_CYCLE_1)
	s_and_not1_b32 vcc_lo, exec_lo, s0
	s_cbranch_vccnz .LBB42_380
; %bb.379:
	global_load_u8 v2, v[2:3], off
	s_wait_loadcnt 0x0
	v_cvt_f64_u32_e32 v[4:5], v2
.LBB42_380:
	s_branch .LBB42_21
.LBB42_381:
	s_mov_b32 s0, 0
.LBB42_382:
	s_mov_b32 s25, 0
                                        ; implicit-def: $vgpr14
.LBB42_383:
	s_and_b32 s19, s0, exec_lo
	s_and_b32 s21, s21, exec_lo
	;; [unrolled: 1-line block ×3, first 2 shown]
	s_or_not1_b32 s27, s25, exec_lo
.LBB42_384:
	s_wait_xcnt 0x0
	s_or_b32 exec_lo, exec_lo, s23
	s_mov_b32 s26, 0
	s_mov_b32 s25, 0
                                        ; implicit-def: $sgpr0
                                        ; implicit-def: $vgpr2_vgpr3
                                        ; implicit-def: $vgpr0_vgpr1
	s_and_saveexec_b32 s23, s27
	s_cbranch_execz .LBB42_393
; %bb.385:
	s_mov_b32 s29, -1
	s_mov_b32 s24, s22
	s_mov_b32 s26, s21
	;; [unrolled: 1-line block ×3, first 2 shown]
	s_mov_b32 s27, exec_lo
	v_cmpx_gt_i32_e64 s20, v14
	s_cbranch_execz .LBB42_779
; %bb.386:
	s_wait_loadcnt 0x0
	v_mul_lo_u32 v0, v14, s13
	s_and_b32 s0, s17, 0xff
	s_delay_alu instid0(SALU_CYCLE_1) | instskip(NEXT) | instid1(VALU_DEP_1)
	s_cmp_lt_i32 s0, 11
	v_ashrrev_i32_e32 v1, 31, v0
	s_delay_alu instid0(VALU_DEP_1)
	v_add_nc_u64_e32 v[2:3], s[6:7], v[0:1]
	s_cbranch_scc1 .LBB42_396
; %bb.387:
	s_and_b32 s25, 0xffff, s0
	s_delay_alu instid0(SALU_CYCLE_1)
	s_cmp_gt_i32 s25, 25
	s_cbranch_scc0 .LBB42_405
; %bb.388:
	s_cmp_gt_i32 s25, 28
	s_cbranch_scc0 .LBB42_407
; %bb.389:
	;; [unrolled: 3-line block ×4, first 2 shown]
	s_cmp_eq_u32 s25, 46
	s_mov_b32 s28, 0
	s_cbranch_scc0 .LBB42_415
; %bb.392:
	global_load_b32 v0, v[2:3], off
	s_mov_b32 s26, -1
	s_mov_b32 s24, 0
	s_wait_loadcnt 0x0
	v_lshlrev_b32_e32 v0, 16, v0
	s_delay_alu instid0(VALU_DEP_1)
	v_cvt_f64_f32_e32 v[0:1], v0
	s_branch .LBB42_417
.LBB42_393:
	s_or_b32 exec_lo, exec_lo, s23
	s_mov_b32 s20, 0
	s_and_saveexec_b32 s23, s22
	s_cbranch_execnz .LBB42_1257
.LBB42_394:
	s_or_b32 exec_lo, exec_lo, s23
	s_and_saveexec_b32 s22, s24
	s_delay_alu instid0(SALU_CYCLE_1)
	s_xor_b32 s22, exec_lo, s22
	s_cbranch_execz .LBB42_1258
.LBB42_395:
	s_wait_loadcnt 0x0
	global_load_u8 v0, v[2:3], off
	s_or_b32 s25, s25, exec_lo
	s_wait_loadcnt 0x0
	v_cmp_ne_u16_e32 vcc_lo, 0, v0
	v_mov_b32_e32 v0, 0
	v_cndmask_b32_e64 v1, 0, 0x3ff00000, vcc_lo
	s_wait_xcnt 0x0
	s_or_b32 exec_lo, exec_lo, s22
	s_and_saveexec_b32 s22, s26
	s_cbranch_execz .LBB42_1304
	s_branch .LBB42_1259
.LBB42_396:
	s_mov_b32 s26, 0
	s_mov_b32 s24, s22
                                        ; implicit-def: $vgpr0_vgpr1
	s_cbranch_execnz .LBB42_483
.LBB42_397:
	s_and_not1_b32 vcc_lo, exec_lo, s26
	s_cbranch_vccnz .LBB42_531
.LBB42_398:
	s_wait_xcnt 0x0
	v_mul_lo_u32 v2, v14, s14
	s_and_b32 s0, s1, 0xff
	s_delay_alu instid0(SALU_CYCLE_1) | instskip(NEXT) | instid1(VALU_DEP_1)
	s_cmp_lt_i32 s0, 11
	v_ashrrev_i32_e32 v3, 31, v2
	s_delay_alu instid0(VALU_DEP_1)
	v_add_nc_u64_e32 v[2:3], s[2:3], v[2:3]
	s_cbranch_scc1 .LBB42_406
; %bb.399:
	s_and_b32 s25, 0xffff, s0
	s_delay_alu instid0(SALU_CYCLE_1)
	s_cmp_gt_i32 s25, 25
	s_cbranch_scc0 .LBB42_408
; %bb.400:
	s_cmp_gt_i32 s25, 28
	s_cbranch_scc0 .LBB42_410
; %bb.401:
	s_cmp_gt_i32 s25, 43
	s_cbranch_scc0 .LBB42_412
; %bb.402:
	s_cmp_gt_i32 s25, 45
	s_cbranch_scc0 .LBB42_420
; %bb.403:
	s_cmp_eq_u32 s25, 46
	s_mov_b32 s29, 0
	s_cbranch_scc0 .LBB42_534
; %bb.404:
	global_load_b32 v4, v[2:3], off
	s_mov_b32 s28, -1
	s_mov_b32 s26, 0
	s_wait_loadcnt 0x0
	v_lshlrev_b32_e32 v4, 16, v4
	s_delay_alu instid0(VALU_DEP_1)
	v_cvt_f64_f32_e32 v[4:5], v4
	s_branch .LBB42_536
.LBB42_405:
	s_mov_b32 s28, -1
	s_mov_b32 s26, 0
	s_mov_b32 s24, s22
                                        ; implicit-def: $vgpr0_vgpr1
	s_branch .LBB42_447
.LBB42_406:
	s_mov_b32 s25, -1
	s_mov_b32 s28, 0
	s_mov_b32 s26, s21
                                        ; implicit-def: $vgpr4_vgpr5
	s_branch .LBB42_601
.LBB42_407:
	s_mov_b32 s28, -1
	s_mov_b32 s26, 0
	s_mov_b32 s24, s22
                                        ; implicit-def: $vgpr0_vgpr1
	s_branch .LBB42_428
.LBB42_408:
	s_mov_b32 s29, -1
	s_mov_b32 s28, 0
	s_mov_b32 s26, s21
                                        ; implicit-def: $vgpr4_vgpr5
	s_branch .LBB42_565
.LBB42_409:
	s_mov_b32 s28, -1
	s_mov_b32 s26, 0
	s_mov_b32 s24, s22
                                        ; implicit-def: $vgpr0_vgpr1
	s_branch .LBB42_423
.LBB42_410:
	s_mov_b32 s29, -1
	s_mov_b32 s28, 0
	s_mov_b32 s26, s21
                                        ; implicit-def: $vgpr4_vgpr5
	s_branch .LBB42_546
.LBB42_411:
	s_mov_b32 s28, -1
	s_mov_b32 s26, 0
	s_mov_b32 s24, s22
	s_branch .LBB42_416
.LBB42_412:
	s_mov_b32 s29, -1
	s_mov_b32 s28, 0
	s_mov_b32 s26, s21
                                        ; implicit-def: $vgpr4_vgpr5
	s_branch .LBB42_541
.LBB42_413:
	s_and_not1_saveexec_b32 s28, s28
	s_cbranch_execz .LBB42_182
.LBB42_414:
	v_add_f32_e64 v3, 0x46000000, |v2|
	s_and_not1_b32 s27, s27, exec_lo
	s_delay_alu instid0(VALU_DEP_1) | instskip(NEXT) | instid1(VALU_DEP_1)
	v_and_b32_e32 v3, 0xff, v3
	v_cmp_ne_u32_e32 vcc_lo, 0, v3
	s_and_b32 s29, vcc_lo, exec_lo
	s_delay_alu instid0(SALU_CYCLE_1)
	s_or_b32 s27, s27, s29
	s_or_b32 exec_lo, exec_lo, s28
	v_mov_b32_e32 v6, 0
	s_and_saveexec_b32 s28, s27
	s_cbranch_execnz .LBB42_183
	s_branch .LBB42_184
.LBB42_415:
	s_mov_b32 s24, -1
	s_mov_b32 s26, 0
.LBB42_416:
                                        ; implicit-def: $vgpr0_vgpr1
.LBB42_417:
	s_and_b32 vcc_lo, exec_lo, s28
	s_cbranch_vccz .LBB42_422
; %bb.418:
	s_cmp_eq_u32 s25, 44
	s_cbranch_scc0 .LBB42_421
; %bb.419:
	global_load_u8 v4, v[2:3], off
	s_mov_b32 s24, 0
	s_mov_b32 s26, -1
	s_wait_loadcnt 0x0
	v_cmp_ne_u32_e32 vcc_lo, 0xff, v4
	v_lshlrev_b32_e32 v0, 23, v4
	s_delay_alu instid0(VALU_DEP_1) | instskip(NEXT) | instid1(VALU_DEP_1)
	v_cvt_f64_f32_e32 v[0:1], v0
	v_cndmask_b32_e32 v0, 0x20000000, v0, vcc_lo
	s_delay_alu instid0(VALU_DEP_2) | instskip(SKIP_1) | instid1(VALU_DEP_2)
	v_cndmask_b32_e32 v1, 0x7ff80000, v1, vcc_lo
	v_cmp_ne_u32_e32 vcc_lo, 0, v4
	v_cndmask_b32_e32 v1, 0x38000000, v1, vcc_lo
	s_delay_alu instid0(VALU_DEP_4)
	v_cndmask_b32_e32 v0, 0, v0, vcc_lo
	s_branch .LBB42_422
.LBB42_420:
	s_mov_b32 s29, -1
	s_mov_b32 s28, 0
	s_mov_b32 s26, s21
	s_branch .LBB42_535
.LBB42_421:
	s_mov_b32 s24, -1
                                        ; implicit-def: $vgpr0_vgpr1
.LBB42_422:
	s_mov_b32 s28, 0
.LBB42_423:
	s_delay_alu instid0(SALU_CYCLE_1)
	s_and_b32 vcc_lo, exec_lo, s28
	s_cbranch_vccz .LBB42_427
; %bb.424:
	s_cmp_eq_u32 s25, 29
	s_cbranch_scc0 .LBB42_426
; %bb.425:
	global_load_b64 v[0:1], v[2:3], off
	s_mov_b32 s26, -1
	s_mov_b32 s24, 0
	s_mov_b32 s28, 0
	s_wait_loadcnt 0x0
	v_cvt_f64_u32_e32 v[4:5], v1
	v_cvt_f64_u32_e32 v[0:1], v0
	s_delay_alu instid0(VALU_DEP_2) | instskip(NEXT) | instid1(VALU_DEP_1)
	v_ldexp_f64 v[4:5], v[4:5], 32
	v_add_f64_e32 v[0:1], v[4:5], v[0:1]
	s_branch .LBB42_428
.LBB42_426:
	s_mov_b32 s24, -1
                                        ; implicit-def: $vgpr0_vgpr1
.LBB42_427:
	s_mov_b32 s28, 0
.LBB42_428:
	s_delay_alu instid0(SALU_CYCLE_1)
	s_and_b32 vcc_lo, exec_lo, s28
	s_cbranch_vccz .LBB42_446
; %bb.429:
	s_cmp_lt_i32 s25, 27
	s_cbranch_scc1 .LBB42_432
; %bb.430:
	s_cmp_gt_i32 s25, 27
	s_cbranch_scc0 .LBB42_433
; %bb.431:
	global_load_b32 v0, v[2:3], off
	s_mov_b32 s26, 0
	s_wait_loadcnt 0x0
	v_cvt_f64_u32_e32 v[0:1], v0
	s_branch .LBB42_434
.LBB42_432:
	s_mov_b32 s26, -1
                                        ; implicit-def: $vgpr0_vgpr1
	s_branch .LBB42_437
.LBB42_433:
	s_mov_b32 s26, -1
                                        ; implicit-def: $vgpr0_vgpr1
.LBB42_434:
	s_delay_alu instid0(SALU_CYCLE_1)
	s_and_not1_b32 vcc_lo, exec_lo, s26
	s_cbranch_vccnz .LBB42_436
; %bb.435:
	global_load_u16 v0, v[2:3], off
	s_wait_loadcnt 0x0
	v_cvt_f64_u32_e32 v[0:1], v0
.LBB42_436:
	s_mov_b32 s26, 0
.LBB42_437:
	s_delay_alu instid0(SALU_CYCLE_1)
	s_and_not1_b32 vcc_lo, exec_lo, s26
	s_cbranch_vccnz .LBB42_445
; %bb.438:
	global_load_u8 v4, v[2:3], off
	s_mov_b32 s26, 0
	s_mov_b32 s28, exec_lo
	s_wait_loadcnt 0x0
	v_cmpx_lt_i16_e32 0x7f, v4
	s_xor_b32 s28, exec_lo, s28
	s_cbranch_execz .LBB42_459
; %bb.439:
	s_mov_b32 s26, -1
	s_mov_b32 s29, exec_lo
	v_cmpx_eq_u16_e32 0x80, v4
; %bb.440:
	s_xor_b32 s26, exec_lo, -1
; %bb.441:
	s_or_b32 exec_lo, exec_lo, s29
	s_delay_alu instid0(SALU_CYCLE_1)
	s_and_b32 s26, s26, exec_lo
	s_or_saveexec_b32 s28, s28
	v_mov_b64_e32 v[0:1], 0x7ff8000020000000
	s_xor_b32 exec_lo, exec_lo, s28
	s_cbranch_execnz .LBB42_460
.LBB42_442:
	s_or_b32 exec_lo, exec_lo, s28
	s_and_saveexec_b32 s28, s26
	s_cbranch_execz .LBB42_444
.LBB42_443:
	v_and_b32_e32 v0, 0xffff, v4
	s_delay_alu instid0(VALU_DEP_1) | instskip(SKIP_1) | instid1(VALU_DEP_2)
	v_and_b32_e32 v1, 7, v0
	v_bfe_u32 v7, v0, 3, 4
	v_clz_i32_u32_e32 v5, v1
	s_delay_alu instid0(VALU_DEP_2) | instskip(NEXT) | instid1(VALU_DEP_2)
	v_cmp_eq_u32_e32 vcc_lo, 0, v7
	v_min_u32_e32 v5, 32, v5
	s_delay_alu instid0(VALU_DEP_1) | instskip(NEXT) | instid1(VALU_DEP_1)
	v_subrev_nc_u32_e32 v6, 28, v5
	v_dual_lshlrev_b32 v0, v6, v0 :: v_dual_sub_nc_u32 v5, 29, v5
	s_delay_alu instid0(VALU_DEP_1) | instskip(NEXT) | instid1(VALU_DEP_2)
	v_and_b32_e32 v0, 7, v0
	v_dual_cndmask_b32 v5, v7, v5 :: v_dual_lshlrev_b32 v4, 24, v4
	s_delay_alu instid0(VALU_DEP_2) | instskip(NEXT) | instid1(VALU_DEP_2)
	v_cndmask_b32_e32 v0, v1, v0, vcc_lo
	v_and_b32_e32 v1, 0x80000000, v4
	s_delay_alu instid0(VALU_DEP_3) | instskip(NEXT) | instid1(VALU_DEP_3)
	v_lshl_add_u32 v4, v5, 23, 0x3b800000
	v_lshlrev_b32_e32 v0, 20, v0
	s_delay_alu instid0(VALU_DEP_1) | instskip(NEXT) | instid1(VALU_DEP_1)
	v_or3_b32 v0, v1, v4, v0
	v_cvt_f64_f32_e32 v[0:1], v0
.LBB42_444:
	s_or_b32 exec_lo, exec_lo, s28
.LBB42_445:
	s_mov_b32 s26, -1
.LBB42_446:
	s_mov_b32 s28, 0
.LBB42_447:
	s_delay_alu instid0(SALU_CYCLE_1)
	s_and_b32 vcc_lo, exec_lo, s28
	s_cbranch_vccz .LBB42_482
; %bb.448:
	s_cmp_gt_i32 s25, 22
	s_cbranch_scc0 .LBB42_458
; %bb.449:
	s_cmp_lt_i32 s25, 24
	s_cbranch_scc1 .LBB42_461
; %bb.450:
	s_cmp_gt_i32 s25, 24
	s_cbranch_scc0 .LBB42_462
; %bb.451:
	global_load_u8 v4, v[2:3], off
	s_mov_b32 s26, 0
	s_mov_b32 s28, exec_lo
	s_wait_loadcnt 0x0
	v_cmpx_lt_i16_e32 0x7f, v4
	s_xor_b32 s28, exec_lo, s28
	s_cbranch_execz .LBB42_474
; %bb.452:
	s_mov_b32 s26, -1
	s_mov_b32 s29, exec_lo
	v_cmpx_eq_u16_e32 0x80, v4
; %bb.453:
	s_xor_b32 s26, exec_lo, -1
; %bb.454:
	s_or_b32 exec_lo, exec_lo, s29
	s_delay_alu instid0(SALU_CYCLE_1)
	s_and_b32 s26, s26, exec_lo
	s_or_saveexec_b32 s28, s28
	v_mov_b64_e32 v[0:1], 0x7ff8000020000000
	s_xor_b32 exec_lo, exec_lo, s28
	s_cbranch_execnz .LBB42_475
.LBB42_455:
	s_or_b32 exec_lo, exec_lo, s28
	s_and_saveexec_b32 s28, s26
	s_cbranch_execz .LBB42_457
.LBB42_456:
	v_and_b32_e32 v0, 0xffff, v4
	s_delay_alu instid0(VALU_DEP_1) | instskip(SKIP_1) | instid1(VALU_DEP_2)
	v_and_b32_e32 v1, 3, v0
	v_bfe_u32 v7, v0, 2, 5
	v_clz_i32_u32_e32 v5, v1
	s_delay_alu instid0(VALU_DEP_2) | instskip(NEXT) | instid1(VALU_DEP_2)
	v_cmp_eq_u32_e32 vcc_lo, 0, v7
	v_min_u32_e32 v5, 32, v5
	s_delay_alu instid0(VALU_DEP_1) | instskip(NEXT) | instid1(VALU_DEP_1)
	v_subrev_nc_u32_e32 v6, 29, v5
	v_dual_lshlrev_b32 v0, v6, v0 :: v_dual_sub_nc_u32 v5, 30, v5
	s_delay_alu instid0(VALU_DEP_1) | instskip(NEXT) | instid1(VALU_DEP_2)
	v_and_b32_e32 v0, 3, v0
	v_dual_cndmask_b32 v5, v7, v5 :: v_dual_lshlrev_b32 v4, 24, v4
	s_delay_alu instid0(VALU_DEP_2) | instskip(NEXT) | instid1(VALU_DEP_2)
	v_cndmask_b32_e32 v0, v1, v0, vcc_lo
	v_and_b32_e32 v1, 0x80000000, v4
	s_delay_alu instid0(VALU_DEP_3) | instskip(NEXT) | instid1(VALU_DEP_3)
	v_lshl_add_u32 v4, v5, 23, 0x37800000
	v_lshlrev_b32_e32 v0, 21, v0
	s_delay_alu instid0(VALU_DEP_1) | instskip(NEXT) | instid1(VALU_DEP_1)
	v_or3_b32 v0, v1, v4, v0
	v_cvt_f64_f32_e32 v[0:1], v0
.LBB42_457:
	s_or_b32 exec_lo, exec_lo, s28
	s_mov_b32 s26, 0
	s_branch .LBB42_463
.LBB42_458:
	s_mov_b32 s28, -1
                                        ; implicit-def: $vgpr0_vgpr1
	s_branch .LBB42_469
.LBB42_459:
	s_or_saveexec_b32 s28, s28
	v_mov_b64_e32 v[0:1], 0x7ff8000020000000
	s_xor_b32 exec_lo, exec_lo, s28
	s_cbranch_execz .LBB42_442
.LBB42_460:
	v_cmp_ne_u16_e32 vcc_lo, 0, v4
	v_mov_b64_e32 v[0:1], 0
	s_and_not1_b32 s26, s26, exec_lo
	s_and_b32 s29, vcc_lo, exec_lo
	s_delay_alu instid0(SALU_CYCLE_1)
	s_or_b32 s26, s26, s29
	s_or_b32 exec_lo, exec_lo, s28
	s_and_saveexec_b32 s28, s26
	s_cbranch_execnz .LBB42_443
	s_branch .LBB42_444
.LBB42_461:
	s_mov_b32 s26, -1
                                        ; implicit-def: $vgpr0_vgpr1
	s_branch .LBB42_466
.LBB42_462:
	s_mov_b32 s26, -1
                                        ; implicit-def: $vgpr0_vgpr1
.LBB42_463:
	s_delay_alu instid0(SALU_CYCLE_1)
	s_and_b32 vcc_lo, exec_lo, s26
	s_cbranch_vccz .LBB42_465
; %bb.464:
	global_load_u8 v0, v[2:3], off
	s_wait_loadcnt 0x0
	v_lshlrev_b32_e32 v0, 24, v0
	s_delay_alu instid0(VALU_DEP_1) | instskip(NEXT) | instid1(VALU_DEP_1)
	v_and_b32_e32 v1, 0x7f000000, v0
	v_clz_i32_u32_e32 v4, v1
	v_cmp_ne_u32_e32 vcc_lo, 0, v1
	v_add_nc_u32_e32 v6, 0x1000000, v1
	s_delay_alu instid0(VALU_DEP_3) | instskip(NEXT) | instid1(VALU_DEP_1)
	v_min_u32_e32 v4, 32, v4
	v_sub_nc_u32_e64 v4, v4, 4 clamp
	s_delay_alu instid0(VALU_DEP_1) | instskip(NEXT) | instid1(VALU_DEP_1)
	v_dual_lshlrev_b32 v5, v4, v1 :: v_dual_lshlrev_b32 v4, 23, v4
	v_lshrrev_b32_e32 v5, 4, v5
	s_delay_alu instid0(VALU_DEP_1) | instskip(NEXT) | instid1(VALU_DEP_1)
	v_dual_sub_nc_u32 v4, v5, v4 :: v_dual_ashrrev_i32 v5, 8, v6
	v_add_nc_u32_e32 v4, 0x3c000000, v4
	s_delay_alu instid0(VALU_DEP_1) | instskip(NEXT) | instid1(VALU_DEP_1)
	v_and_or_b32 v4, 0x7f800000, v5, v4
	v_cndmask_b32_e32 v1, 0, v4, vcc_lo
	s_delay_alu instid0(VALU_DEP_1) | instskip(NEXT) | instid1(VALU_DEP_1)
	v_and_or_b32 v0, 0x80000000, v0, v1
	v_cvt_f64_f32_e32 v[0:1], v0
.LBB42_465:
	s_mov_b32 s26, 0
.LBB42_466:
	s_delay_alu instid0(SALU_CYCLE_1)
	s_and_not1_b32 vcc_lo, exec_lo, s26
	s_cbranch_vccnz .LBB42_468
; %bb.467:
	global_load_u8 v0, v[2:3], off
	s_wait_loadcnt 0x0
	v_lshlrev_b32_e32 v1, 25, v0
	v_lshlrev_b16 v0, 8, v0
	s_delay_alu instid0(VALU_DEP_1) | instskip(SKIP_1) | instid1(VALU_DEP_2)
	v_and_or_b32 v5, 0x7f00, v0, 0.5
	v_bfe_i32 v0, v0, 0, 16
	v_add_f32_e32 v5, -0.5, v5
	v_lshrrev_b32_e32 v4, 4, v1
	v_cmp_gt_u32_e32 vcc_lo, 0x8000000, v1
	s_delay_alu instid0(VALU_DEP_2) | instskip(NEXT) | instid1(VALU_DEP_1)
	v_or_b32_e32 v4, 0x70000000, v4
	v_mul_f32_e32 v4, 0x7800000, v4
	s_delay_alu instid0(VALU_DEP_1) | instskip(NEXT) | instid1(VALU_DEP_1)
	v_cndmask_b32_e32 v1, v4, v5, vcc_lo
	v_and_or_b32 v0, 0x80000000, v0, v1
	s_delay_alu instid0(VALU_DEP_1)
	v_cvt_f64_f32_e32 v[0:1], v0
.LBB42_468:
	s_mov_b32 s28, 0
	s_mov_b32 s26, -1
.LBB42_469:
	s_and_not1_b32 vcc_lo, exec_lo, s28
	s_cbranch_vccnz .LBB42_482
; %bb.470:
	s_cmp_gt_i32 s25, 14
	s_cbranch_scc0 .LBB42_473
; %bb.471:
	s_cmp_eq_u32 s25, 15
	s_cbranch_scc0 .LBB42_476
; %bb.472:
	global_load_u16 v0, v[2:3], off
	s_mov_b32 s26, -1
	s_mov_b32 s24, 0
	s_wait_loadcnt 0x0
	v_lshlrev_b32_e32 v0, 16, v0
	s_delay_alu instid0(VALU_DEP_1)
	v_cvt_f64_f32_e32 v[0:1], v0
	s_branch .LBB42_477
.LBB42_473:
	s_mov_b32 s28, -1
                                        ; implicit-def: $vgpr0_vgpr1
	s_branch .LBB42_478
.LBB42_474:
	s_or_saveexec_b32 s28, s28
	v_mov_b64_e32 v[0:1], 0x7ff8000020000000
	s_xor_b32 exec_lo, exec_lo, s28
	s_cbranch_execz .LBB42_455
.LBB42_475:
	v_cmp_ne_u16_e32 vcc_lo, 0, v4
	v_mov_b64_e32 v[0:1], 0
	s_and_not1_b32 s26, s26, exec_lo
	s_and_b32 s29, vcc_lo, exec_lo
	s_delay_alu instid0(SALU_CYCLE_1)
	s_or_b32 s26, s26, s29
	s_or_b32 exec_lo, exec_lo, s28
	s_and_saveexec_b32 s28, s26
	s_cbranch_execnz .LBB42_456
	s_branch .LBB42_457
.LBB42_476:
	s_mov_b32 s24, -1
                                        ; implicit-def: $vgpr0_vgpr1
.LBB42_477:
	s_mov_b32 s28, 0
.LBB42_478:
	s_delay_alu instid0(SALU_CYCLE_1)
	s_and_b32 vcc_lo, exec_lo, s28
	s_cbranch_vccz .LBB42_482
; %bb.479:
	s_cmp_eq_u32 s25, 11
	s_cbranch_scc0 .LBB42_481
; %bb.480:
	global_load_u8 v0, v[2:3], off
	s_mov_b32 s24, 0
	s_mov_b32 s26, -1
	s_wait_loadcnt 0x0
	v_cmp_ne_u16_e32 vcc_lo, 0, v0
	v_mov_b32_e32 v0, 0
	v_cndmask_b32_e64 v1, 0, 0x3ff00000, vcc_lo
	s_branch .LBB42_482
.LBB42_481:
	s_mov_b32 s24, -1
                                        ; implicit-def: $vgpr0_vgpr1
.LBB42_482:
	s_branch .LBB42_397
.LBB42_483:
	s_and_b32 s0, 0xffff, s0
	s_delay_alu instid0(SALU_CYCLE_1)
	s_cmp_lt_i32 s0, 5
	s_cbranch_scc1 .LBB42_488
; %bb.484:
	s_cmp_lt_i32 s0, 8
	s_cbranch_scc1 .LBB42_489
; %bb.485:
	;; [unrolled: 3-line block ×3, first 2 shown]
	s_cmp_gt_i32 s0, 9
	s_cbranch_scc0 .LBB42_491
; %bb.487:
	global_load_b64 v[0:1], v[2:3], off
	s_mov_b32 s25, 0
	s_branch .LBB42_492
.LBB42_488:
	s_mov_b32 s25, -1
                                        ; implicit-def: $vgpr0_vgpr1
	s_branch .LBB42_510
.LBB42_489:
	s_mov_b32 s25, -1
                                        ; implicit-def: $vgpr0_vgpr1
	s_branch .LBB42_498
.LBB42_490:
	s_mov_b32 s25, -1
                                        ; implicit-def: $vgpr0_vgpr1
	s_branch .LBB42_495
.LBB42_491:
	s_mov_b32 s25, -1
                                        ; implicit-def: $vgpr0_vgpr1
.LBB42_492:
	s_delay_alu instid0(SALU_CYCLE_1)
	s_and_not1_b32 vcc_lo, exec_lo, s25
	s_cbranch_vccnz .LBB42_494
; %bb.493:
	s_wait_loadcnt 0x0
	global_load_b32 v0, v[2:3], off
	s_wait_loadcnt 0x0
	v_cvt_f64_f32_e32 v[0:1], v0
.LBB42_494:
	s_mov_b32 s25, 0
.LBB42_495:
	s_delay_alu instid0(SALU_CYCLE_1)
	s_and_not1_b32 vcc_lo, exec_lo, s25
	s_cbranch_vccnz .LBB42_497
; %bb.496:
	s_wait_loadcnt 0x0
	global_load_b32 v0, v[2:3], off
	s_wait_loadcnt 0x0
	v_cvt_f32_f16_e32 v0, v0
	s_delay_alu instid0(VALU_DEP_1)
	v_cvt_f64_f32_e32 v[0:1], v0
.LBB42_497:
	s_mov_b32 s25, 0
.LBB42_498:
	s_delay_alu instid0(SALU_CYCLE_1)
	s_and_not1_b32 vcc_lo, exec_lo, s25
	s_cbranch_vccnz .LBB42_509
; %bb.499:
	s_cmp_lt_i32 s0, 6
	s_cbranch_scc1 .LBB42_502
; %bb.500:
	s_cmp_gt_i32 s0, 6
	s_cbranch_scc0 .LBB42_503
; %bb.501:
	s_wait_loadcnt 0x0
	global_load_b64 v[0:1], v[2:3], off
	s_mov_b32 s25, 0
	s_branch .LBB42_504
.LBB42_502:
	s_mov_b32 s25, -1
                                        ; implicit-def: $vgpr0_vgpr1
	s_branch .LBB42_507
.LBB42_503:
	s_mov_b32 s25, -1
                                        ; implicit-def: $vgpr0_vgpr1
.LBB42_504:
	s_delay_alu instid0(SALU_CYCLE_1)
	s_and_not1_b32 vcc_lo, exec_lo, s25
	s_cbranch_vccnz .LBB42_506
; %bb.505:
	s_wait_loadcnt 0x0
	global_load_b32 v0, v[2:3], off
	s_wait_loadcnt 0x0
	v_cvt_f64_f32_e32 v[0:1], v0
.LBB42_506:
	s_mov_b32 s25, 0
.LBB42_507:
	s_delay_alu instid0(SALU_CYCLE_1)
	s_and_not1_b32 vcc_lo, exec_lo, s25
	s_cbranch_vccnz .LBB42_509
; %bb.508:
	s_wait_loadcnt 0x0
	global_load_u16 v0, v[2:3], off
	s_wait_loadcnt 0x0
	v_cvt_f32_f16_e32 v0, v0
	s_delay_alu instid0(VALU_DEP_1)
	v_cvt_f64_f32_e32 v[0:1], v0
.LBB42_509:
	s_mov_b32 s25, 0
.LBB42_510:
	s_delay_alu instid0(SALU_CYCLE_1)
	s_and_not1_b32 vcc_lo, exec_lo, s25
	s_cbranch_vccnz .LBB42_530
; %bb.511:
	s_cmp_lt_i32 s0, 2
	s_cbranch_scc1 .LBB42_515
; %bb.512:
	s_cmp_lt_i32 s0, 3
	s_cbranch_scc1 .LBB42_516
; %bb.513:
	s_cmp_gt_i32 s0, 3
	s_cbranch_scc0 .LBB42_517
; %bb.514:
	s_wait_loadcnt 0x0
	global_load_b64 v[0:1], v[2:3], off
	s_mov_b32 s25, 0
	s_wait_loadcnt 0x0
	v_cvt_f64_i32_e32 v[4:5], v1
	v_cvt_f64_u32_e32 v[0:1], v0
	s_delay_alu instid0(VALU_DEP_2) | instskip(NEXT) | instid1(VALU_DEP_1)
	v_ldexp_f64 v[4:5], v[4:5], 32
	v_add_f64_e32 v[0:1], v[4:5], v[0:1]
	s_branch .LBB42_518
.LBB42_515:
	s_mov_b32 s25, -1
                                        ; implicit-def: $vgpr0_vgpr1
	s_branch .LBB42_524
.LBB42_516:
	s_mov_b32 s25, -1
                                        ; implicit-def: $vgpr0_vgpr1
	s_branch .LBB42_521
.LBB42_517:
	s_mov_b32 s25, -1
                                        ; implicit-def: $vgpr0_vgpr1
.LBB42_518:
	s_delay_alu instid0(SALU_CYCLE_1)
	s_and_not1_b32 vcc_lo, exec_lo, s25
	s_cbranch_vccnz .LBB42_520
; %bb.519:
	s_wait_loadcnt 0x0
	global_load_b32 v0, v[2:3], off
	s_wait_loadcnt 0x0
	v_cvt_f64_i32_e32 v[0:1], v0
.LBB42_520:
	s_mov_b32 s25, 0
.LBB42_521:
	s_delay_alu instid0(SALU_CYCLE_1)
	s_and_not1_b32 vcc_lo, exec_lo, s25
	s_cbranch_vccnz .LBB42_523
; %bb.522:
	s_wait_loadcnt 0x0
	global_load_i16 v0, v[2:3], off
	s_wait_loadcnt 0x0
	v_cvt_f64_i32_e32 v[0:1], v0
.LBB42_523:
	s_mov_b32 s25, 0
.LBB42_524:
	s_delay_alu instid0(SALU_CYCLE_1)
	s_and_not1_b32 vcc_lo, exec_lo, s25
	s_cbranch_vccnz .LBB42_530
; %bb.525:
	s_cmp_gt_i32 s0, 0
	s_mov_b32 s0, 0
	s_cbranch_scc0 .LBB42_527
; %bb.526:
	s_wait_loadcnt 0x0
	global_load_i8 v0, v[2:3], off
	s_wait_loadcnt 0x0
	v_cvt_f64_i32_e32 v[0:1], v0
	s_branch .LBB42_528
.LBB42_527:
	s_mov_b32 s0, -1
                                        ; implicit-def: $vgpr0_vgpr1
.LBB42_528:
	s_delay_alu instid0(SALU_CYCLE_1)
	s_and_not1_b32 vcc_lo, exec_lo, s0
	s_cbranch_vccnz .LBB42_530
; %bb.529:
	s_wait_loadcnt 0x0
	global_load_u8 v0, v[2:3], off
	s_wait_loadcnt 0x0
	v_cvt_f64_u32_e32 v[0:1], v0
.LBB42_530:
	s_branch .LBB42_398
.LBB42_531:
	s_mov_b32 s28, 0
	s_mov_b32 s0, s19
	;; [unrolled: 1-line block ×3, first 2 shown]
	s_branch .LBB42_777
.LBB42_532:
	s_and_not1_saveexec_b32 s28, s28
	s_cbranch_execz .LBB42_195
.LBB42_533:
	v_add_f32_e64 v3, 0x42800000, |v2|
	s_and_not1_b32 s27, s27, exec_lo
	s_delay_alu instid0(VALU_DEP_1) | instskip(NEXT) | instid1(VALU_DEP_1)
	v_and_b32_e32 v3, 0xff, v3
	v_cmp_ne_u32_e32 vcc_lo, 0, v3
	s_and_b32 s29, vcc_lo, exec_lo
	s_delay_alu instid0(SALU_CYCLE_1)
	s_or_b32 s27, s27, s29
	s_or_b32 exec_lo, exec_lo, s28
	v_mov_b32_e32 v6, 0
	s_and_saveexec_b32 s28, s27
	s_cbranch_execnz .LBB42_196
	s_branch .LBB42_197
.LBB42_534:
	s_mov_b32 s26, -1
	s_mov_b32 s28, 0
.LBB42_535:
                                        ; implicit-def: $vgpr4_vgpr5
.LBB42_536:
	s_and_b32 vcc_lo, exec_lo, s29
	s_cbranch_vccz .LBB42_540
; %bb.537:
	s_cmp_eq_u32 s25, 44
	s_cbranch_scc0 .LBB42_539
; %bb.538:
	global_load_u8 v6, v[2:3], off
	s_mov_b32 s26, 0
	s_mov_b32 s28, -1
	s_wait_loadcnt 0x0
	v_cmp_ne_u32_e32 vcc_lo, 0xff, v6
	v_lshlrev_b32_e32 v4, 23, v6
	s_delay_alu instid0(VALU_DEP_1) | instskip(NEXT) | instid1(VALU_DEP_1)
	v_cvt_f64_f32_e32 v[4:5], v4
	v_cndmask_b32_e32 v4, 0x20000000, v4, vcc_lo
	s_delay_alu instid0(VALU_DEP_2) | instskip(SKIP_1) | instid1(VALU_DEP_2)
	v_cndmask_b32_e32 v5, 0x7ff80000, v5, vcc_lo
	v_cmp_ne_u32_e32 vcc_lo, 0, v6
	v_cndmask_b32_e32 v5, 0x38000000, v5, vcc_lo
	s_delay_alu instid0(VALU_DEP_4)
	v_cndmask_b32_e32 v4, 0, v4, vcc_lo
	s_branch .LBB42_540
.LBB42_539:
	s_mov_b32 s26, -1
                                        ; implicit-def: $vgpr4_vgpr5
.LBB42_540:
	s_mov_b32 s29, 0
.LBB42_541:
	s_delay_alu instid0(SALU_CYCLE_1)
	s_and_b32 vcc_lo, exec_lo, s29
	s_cbranch_vccz .LBB42_545
; %bb.542:
	s_cmp_eq_u32 s25, 29
	s_cbranch_scc0 .LBB42_544
; %bb.543:
	global_load_b64 v[4:5], v[2:3], off
	s_mov_b32 s28, -1
	s_mov_b32 s26, 0
	s_mov_b32 s29, 0
	s_wait_loadcnt 0x0
	v_cvt_f64_u32_e32 v[6:7], v5
	v_cvt_f64_u32_e32 v[4:5], v4
	s_delay_alu instid0(VALU_DEP_2) | instskip(NEXT) | instid1(VALU_DEP_1)
	v_ldexp_f64 v[6:7], v[6:7], 32
	v_add_f64_e32 v[4:5], v[6:7], v[4:5]
	s_branch .LBB42_546
.LBB42_544:
	s_mov_b32 s26, -1
                                        ; implicit-def: $vgpr4_vgpr5
.LBB42_545:
	s_mov_b32 s29, 0
.LBB42_546:
	s_delay_alu instid0(SALU_CYCLE_1)
	s_and_b32 vcc_lo, exec_lo, s29
	s_cbranch_vccz .LBB42_564
; %bb.547:
	s_cmp_lt_i32 s25, 27
	s_cbranch_scc1 .LBB42_550
; %bb.548:
	s_cmp_gt_i32 s25, 27
	s_cbranch_scc0 .LBB42_551
; %bb.549:
	global_load_b32 v4, v[2:3], off
	s_mov_b32 s28, 0
	s_wait_loadcnt 0x0
	v_cvt_f64_u32_e32 v[4:5], v4
	s_branch .LBB42_552
.LBB42_550:
	s_mov_b32 s28, -1
                                        ; implicit-def: $vgpr4_vgpr5
	s_branch .LBB42_555
.LBB42_551:
	s_mov_b32 s28, -1
                                        ; implicit-def: $vgpr4_vgpr5
.LBB42_552:
	s_delay_alu instid0(SALU_CYCLE_1)
	s_and_not1_b32 vcc_lo, exec_lo, s28
	s_cbranch_vccnz .LBB42_554
; %bb.553:
	global_load_u16 v4, v[2:3], off
	s_wait_loadcnt 0x0
	v_cvt_f64_u32_e32 v[4:5], v4
.LBB42_554:
	s_mov_b32 s28, 0
.LBB42_555:
	s_delay_alu instid0(SALU_CYCLE_1)
	s_and_not1_b32 vcc_lo, exec_lo, s28
	s_cbranch_vccnz .LBB42_563
; %bb.556:
	global_load_u8 v6, v[2:3], off
	s_mov_b32 s28, 0
	s_mov_b32 s29, exec_lo
	s_wait_loadcnt 0x0
	v_cmpx_lt_i16_e32 0x7f, v6
	s_xor_b32 s29, exec_lo, s29
	s_cbranch_execz .LBB42_577
; %bb.557:
	s_mov_b32 s28, -1
	s_mov_b32 s30, exec_lo
	v_cmpx_eq_u16_e32 0x80, v6
; %bb.558:
	s_xor_b32 s28, exec_lo, -1
; %bb.559:
	s_or_b32 exec_lo, exec_lo, s30
	s_delay_alu instid0(SALU_CYCLE_1)
	s_and_b32 s28, s28, exec_lo
	s_or_saveexec_b32 s29, s29
	v_mov_b64_e32 v[4:5], 0x7ff8000020000000
	s_xor_b32 exec_lo, exec_lo, s29
	s_cbranch_execnz .LBB42_578
.LBB42_560:
	s_or_b32 exec_lo, exec_lo, s29
	s_and_saveexec_b32 s29, s28
	s_cbranch_execz .LBB42_562
.LBB42_561:
	v_and_b32_e32 v4, 0xffff, v6
	s_delay_alu instid0(VALU_DEP_1) | instskip(SKIP_1) | instid1(VALU_DEP_2)
	v_and_b32_e32 v5, 7, v4
	v_bfe_u32 v9, v4, 3, 4
	v_clz_i32_u32_e32 v7, v5
	s_delay_alu instid0(VALU_DEP_2) | instskip(NEXT) | instid1(VALU_DEP_2)
	v_cmp_eq_u32_e32 vcc_lo, 0, v9
	v_min_u32_e32 v7, 32, v7
	s_delay_alu instid0(VALU_DEP_1) | instskip(NEXT) | instid1(VALU_DEP_1)
	v_subrev_nc_u32_e32 v8, 28, v7
	v_dual_lshlrev_b32 v4, v8, v4 :: v_dual_sub_nc_u32 v7, 29, v7
	s_delay_alu instid0(VALU_DEP_1) | instskip(NEXT) | instid1(VALU_DEP_2)
	v_dual_lshlrev_b32 v6, 24, v6 :: v_dual_bitop2_b32 v4, 7, v4 bitop3:0x40
	v_cndmask_b32_e32 v7, v9, v7, vcc_lo
	s_delay_alu instid0(VALU_DEP_2) | instskip(NEXT) | instid1(VALU_DEP_3)
	v_cndmask_b32_e32 v4, v5, v4, vcc_lo
	v_and_b32_e32 v5, 0x80000000, v6
	s_delay_alu instid0(VALU_DEP_3) | instskip(NEXT) | instid1(VALU_DEP_3)
	v_lshl_add_u32 v6, v7, 23, 0x3b800000
	v_lshlrev_b32_e32 v4, 20, v4
	s_delay_alu instid0(VALU_DEP_1) | instskip(NEXT) | instid1(VALU_DEP_1)
	v_or3_b32 v4, v5, v6, v4
	v_cvt_f64_f32_e32 v[4:5], v4
.LBB42_562:
	s_or_b32 exec_lo, exec_lo, s29
.LBB42_563:
	s_mov_b32 s28, -1
.LBB42_564:
	s_mov_b32 s29, 0
.LBB42_565:
	s_delay_alu instid0(SALU_CYCLE_1)
	s_and_b32 vcc_lo, exec_lo, s29
	s_cbranch_vccz .LBB42_600
; %bb.566:
	s_cmp_gt_i32 s25, 22
	s_cbranch_scc0 .LBB42_576
; %bb.567:
	s_cmp_lt_i32 s25, 24
	s_cbranch_scc1 .LBB42_579
; %bb.568:
	s_cmp_gt_i32 s25, 24
	s_cbranch_scc0 .LBB42_580
; %bb.569:
	global_load_u8 v6, v[2:3], off
	s_mov_b32 s28, 0
	s_mov_b32 s29, exec_lo
	s_wait_loadcnt 0x0
	v_cmpx_lt_i16_e32 0x7f, v6
	s_xor_b32 s29, exec_lo, s29
	s_cbranch_execz .LBB42_592
; %bb.570:
	s_mov_b32 s28, -1
	s_mov_b32 s30, exec_lo
	v_cmpx_eq_u16_e32 0x80, v6
; %bb.571:
	s_xor_b32 s28, exec_lo, -1
; %bb.572:
	s_or_b32 exec_lo, exec_lo, s30
	s_delay_alu instid0(SALU_CYCLE_1)
	s_and_b32 s28, s28, exec_lo
	s_or_saveexec_b32 s29, s29
	v_mov_b64_e32 v[4:5], 0x7ff8000020000000
	s_xor_b32 exec_lo, exec_lo, s29
	s_cbranch_execnz .LBB42_593
.LBB42_573:
	s_or_b32 exec_lo, exec_lo, s29
	s_and_saveexec_b32 s29, s28
	s_cbranch_execz .LBB42_575
.LBB42_574:
	v_and_b32_e32 v4, 0xffff, v6
	s_delay_alu instid0(VALU_DEP_1) | instskip(SKIP_1) | instid1(VALU_DEP_2)
	v_and_b32_e32 v5, 3, v4
	v_bfe_u32 v9, v4, 2, 5
	v_clz_i32_u32_e32 v7, v5
	s_delay_alu instid0(VALU_DEP_2) | instskip(NEXT) | instid1(VALU_DEP_2)
	v_cmp_eq_u32_e32 vcc_lo, 0, v9
	v_min_u32_e32 v7, 32, v7
	s_delay_alu instid0(VALU_DEP_1) | instskip(NEXT) | instid1(VALU_DEP_1)
	v_subrev_nc_u32_e32 v8, 29, v7
	v_dual_lshlrev_b32 v4, v8, v4 :: v_dual_sub_nc_u32 v7, 30, v7
	s_delay_alu instid0(VALU_DEP_1) | instskip(NEXT) | instid1(VALU_DEP_2)
	v_dual_lshlrev_b32 v6, 24, v6 :: v_dual_bitop2_b32 v4, 3, v4 bitop3:0x40
	v_cndmask_b32_e32 v7, v9, v7, vcc_lo
	s_delay_alu instid0(VALU_DEP_2) | instskip(NEXT) | instid1(VALU_DEP_3)
	v_cndmask_b32_e32 v4, v5, v4, vcc_lo
	v_and_b32_e32 v5, 0x80000000, v6
	s_delay_alu instid0(VALU_DEP_3) | instskip(NEXT) | instid1(VALU_DEP_3)
	v_lshl_add_u32 v6, v7, 23, 0x37800000
	v_lshlrev_b32_e32 v4, 21, v4
	s_delay_alu instid0(VALU_DEP_1) | instskip(NEXT) | instid1(VALU_DEP_1)
	v_or3_b32 v4, v5, v6, v4
	v_cvt_f64_f32_e32 v[4:5], v4
.LBB42_575:
	s_or_b32 exec_lo, exec_lo, s29
	s_mov_b32 s28, 0
	s_branch .LBB42_581
.LBB42_576:
	s_mov_b32 s29, -1
                                        ; implicit-def: $vgpr4_vgpr5
	s_branch .LBB42_587
.LBB42_577:
	s_or_saveexec_b32 s29, s29
	v_mov_b64_e32 v[4:5], 0x7ff8000020000000
	s_xor_b32 exec_lo, exec_lo, s29
	s_cbranch_execz .LBB42_560
.LBB42_578:
	v_cmp_ne_u16_e32 vcc_lo, 0, v6
	v_mov_b64_e32 v[4:5], 0
	s_and_not1_b32 s28, s28, exec_lo
	s_and_b32 s30, vcc_lo, exec_lo
	s_delay_alu instid0(SALU_CYCLE_1)
	s_or_b32 s28, s28, s30
	s_or_b32 exec_lo, exec_lo, s29
	s_and_saveexec_b32 s29, s28
	s_cbranch_execnz .LBB42_561
	s_branch .LBB42_562
.LBB42_579:
	s_mov_b32 s28, -1
                                        ; implicit-def: $vgpr4_vgpr5
	s_branch .LBB42_584
.LBB42_580:
	s_mov_b32 s28, -1
                                        ; implicit-def: $vgpr4_vgpr5
.LBB42_581:
	s_delay_alu instid0(SALU_CYCLE_1)
	s_and_b32 vcc_lo, exec_lo, s28
	s_cbranch_vccz .LBB42_583
; %bb.582:
	global_load_u8 v4, v[2:3], off
	s_wait_loadcnt 0x0
	v_lshlrev_b32_e32 v4, 24, v4
	s_delay_alu instid0(VALU_DEP_1) | instskip(NEXT) | instid1(VALU_DEP_1)
	v_and_b32_e32 v5, 0x7f000000, v4
	v_clz_i32_u32_e32 v6, v5
	v_cmp_ne_u32_e32 vcc_lo, 0, v5
	v_add_nc_u32_e32 v8, 0x1000000, v5
	s_delay_alu instid0(VALU_DEP_3) | instskip(NEXT) | instid1(VALU_DEP_1)
	v_min_u32_e32 v6, 32, v6
	v_sub_nc_u32_e64 v6, v6, 4 clamp
	s_delay_alu instid0(VALU_DEP_1) | instskip(NEXT) | instid1(VALU_DEP_1)
	v_dual_lshlrev_b32 v7, v6, v5 :: v_dual_lshlrev_b32 v6, 23, v6
	v_lshrrev_b32_e32 v7, 4, v7
	s_delay_alu instid0(VALU_DEP_1) | instskip(NEXT) | instid1(VALU_DEP_1)
	v_dual_sub_nc_u32 v6, v7, v6 :: v_dual_ashrrev_i32 v7, 8, v8
	v_add_nc_u32_e32 v6, 0x3c000000, v6
	s_delay_alu instid0(VALU_DEP_1) | instskip(NEXT) | instid1(VALU_DEP_1)
	v_and_or_b32 v6, 0x7f800000, v7, v6
	v_cndmask_b32_e32 v5, 0, v6, vcc_lo
	s_delay_alu instid0(VALU_DEP_1) | instskip(NEXT) | instid1(VALU_DEP_1)
	v_and_or_b32 v4, 0x80000000, v4, v5
	v_cvt_f64_f32_e32 v[4:5], v4
.LBB42_583:
	s_mov_b32 s28, 0
.LBB42_584:
	s_delay_alu instid0(SALU_CYCLE_1)
	s_and_not1_b32 vcc_lo, exec_lo, s28
	s_cbranch_vccnz .LBB42_586
; %bb.585:
	global_load_u8 v4, v[2:3], off
	s_wait_loadcnt 0x0
	v_lshlrev_b32_e32 v5, 25, v4
	v_lshlrev_b16 v4, 8, v4
	s_delay_alu instid0(VALU_DEP_1) | instskip(SKIP_1) | instid1(VALU_DEP_2)
	v_and_or_b32 v7, 0x7f00, v4, 0.5
	v_bfe_i32 v4, v4, 0, 16
	v_dual_add_f32 v7, -0.5, v7 :: v_dual_lshrrev_b32 v6, 4, v5
	v_cmp_gt_u32_e32 vcc_lo, 0x8000000, v5
	s_delay_alu instid0(VALU_DEP_2) | instskip(NEXT) | instid1(VALU_DEP_1)
	v_or_b32_e32 v6, 0x70000000, v6
	v_mul_f32_e32 v6, 0x7800000, v6
	s_delay_alu instid0(VALU_DEP_1) | instskip(NEXT) | instid1(VALU_DEP_1)
	v_cndmask_b32_e32 v5, v6, v7, vcc_lo
	v_and_or_b32 v4, 0x80000000, v4, v5
	s_delay_alu instid0(VALU_DEP_1)
	v_cvt_f64_f32_e32 v[4:5], v4
.LBB42_586:
	s_mov_b32 s29, 0
	s_mov_b32 s28, -1
.LBB42_587:
	s_and_not1_b32 vcc_lo, exec_lo, s29
	s_cbranch_vccnz .LBB42_600
; %bb.588:
	s_cmp_gt_i32 s25, 14
	s_cbranch_scc0 .LBB42_591
; %bb.589:
	s_cmp_eq_u32 s25, 15
	s_cbranch_scc0 .LBB42_594
; %bb.590:
	global_load_u16 v4, v[2:3], off
	s_mov_b32 s28, -1
	s_mov_b32 s26, 0
	s_wait_loadcnt 0x0
	v_lshlrev_b32_e32 v4, 16, v4
	s_delay_alu instid0(VALU_DEP_1)
	v_cvt_f64_f32_e32 v[4:5], v4
	s_branch .LBB42_595
.LBB42_591:
	s_mov_b32 s29, -1
                                        ; implicit-def: $vgpr4_vgpr5
	s_branch .LBB42_596
.LBB42_592:
	s_or_saveexec_b32 s29, s29
	v_mov_b64_e32 v[4:5], 0x7ff8000020000000
	s_xor_b32 exec_lo, exec_lo, s29
	s_cbranch_execz .LBB42_573
.LBB42_593:
	v_cmp_ne_u16_e32 vcc_lo, 0, v6
	v_mov_b64_e32 v[4:5], 0
	s_and_not1_b32 s28, s28, exec_lo
	s_and_b32 s30, vcc_lo, exec_lo
	s_delay_alu instid0(SALU_CYCLE_1)
	s_or_b32 s28, s28, s30
	s_or_b32 exec_lo, exec_lo, s29
	s_and_saveexec_b32 s29, s28
	s_cbranch_execnz .LBB42_574
	s_branch .LBB42_575
.LBB42_594:
	s_mov_b32 s26, -1
                                        ; implicit-def: $vgpr4_vgpr5
.LBB42_595:
	s_mov_b32 s29, 0
.LBB42_596:
	s_delay_alu instid0(SALU_CYCLE_1)
	s_and_b32 vcc_lo, exec_lo, s29
	s_cbranch_vccz .LBB42_600
; %bb.597:
	s_cmp_eq_u32 s25, 11
	s_cbranch_scc0 .LBB42_599
; %bb.598:
	global_load_u8 v4, v[2:3], off
	s_mov_b32 s26, 0
	s_mov_b32 s28, -1
	s_wait_loadcnt 0x0
	v_cmp_ne_u16_e32 vcc_lo, 0, v4
	v_mov_b32_e32 v4, 0
	v_cndmask_b32_e64 v5, 0, 0x3ff00000, vcc_lo
	s_branch .LBB42_600
.LBB42_599:
	s_mov_b32 s26, -1
                                        ; implicit-def: $vgpr4_vgpr5
.LBB42_600:
	s_mov_b32 s25, 0
.LBB42_601:
	s_delay_alu instid0(SALU_CYCLE_1)
	s_and_b32 vcc_lo, exec_lo, s25
	s_cbranch_vccz .LBB42_650
; %bb.602:
	s_and_b32 s0, 0xffff, s0
	s_delay_alu instid0(SALU_CYCLE_1)
	s_cmp_lt_i32 s0, 5
	s_cbranch_scc1 .LBB42_607
; %bb.603:
	s_cmp_lt_i32 s0, 8
	s_cbranch_scc1 .LBB42_608
; %bb.604:
	;; [unrolled: 3-line block ×3, first 2 shown]
	s_cmp_gt_i32 s0, 9
	s_cbranch_scc0 .LBB42_610
; %bb.606:
	global_load_b64 v[4:5], v[2:3], off
	s_mov_b32 s25, 0
	s_branch .LBB42_611
.LBB42_607:
	s_mov_b32 s25, -1
                                        ; implicit-def: $vgpr4_vgpr5
	s_branch .LBB42_629
.LBB42_608:
	s_mov_b32 s25, -1
                                        ; implicit-def: $vgpr4_vgpr5
	s_branch .LBB42_617
.LBB42_609:
	s_mov_b32 s25, -1
                                        ; implicit-def: $vgpr4_vgpr5
	s_branch .LBB42_614
.LBB42_610:
	s_mov_b32 s25, -1
                                        ; implicit-def: $vgpr4_vgpr5
.LBB42_611:
	s_delay_alu instid0(SALU_CYCLE_1)
	s_and_not1_b32 vcc_lo, exec_lo, s25
	s_cbranch_vccnz .LBB42_613
; %bb.612:
	s_wait_loadcnt 0x0
	global_load_b32 v4, v[2:3], off
	s_wait_loadcnt 0x0
	v_cvt_f64_f32_e32 v[4:5], v4
.LBB42_613:
	s_mov_b32 s25, 0
.LBB42_614:
	s_delay_alu instid0(SALU_CYCLE_1)
	s_and_not1_b32 vcc_lo, exec_lo, s25
	s_cbranch_vccnz .LBB42_616
; %bb.615:
	s_wait_loadcnt 0x0
	global_load_b32 v4, v[2:3], off
	s_wait_loadcnt 0x0
	v_cvt_f32_f16_e32 v4, v4
	s_delay_alu instid0(VALU_DEP_1)
	v_cvt_f64_f32_e32 v[4:5], v4
.LBB42_616:
	s_mov_b32 s25, 0
.LBB42_617:
	s_delay_alu instid0(SALU_CYCLE_1)
	s_and_not1_b32 vcc_lo, exec_lo, s25
	s_cbranch_vccnz .LBB42_628
; %bb.618:
	s_cmp_lt_i32 s0, 6
	s_cbranch_scc1 .LBB42_621
; %bb.619:
	s_cmp_gt_i32 s0, 6
	s_cbranch_scc0 .LBB42_622
; %bb.620:
	s_wait_loadcnt 0x0
	global_load_b64 v[4:5], v[2:3], off
	s_mov_b32 s25, 0
	s_branch .LBB42_623
.LBB42_621:
	s_mov_b32 s25, -1
                                        ; implicit-def: $vgpr4_vgpr5
	s_branch .LBB42_626
.LBB42_622:
	s_mov_b32 s25, -1
                                        ; implicit-def: $vgpr4_vgpr5
.LBB42_623:
	s_delay_alu instid0(SALU_CYCLE_1)
	s_and_not1_b32 vcc_lo, exec_lo, s25
	s_cbranch_vccnz .LBB42_625
; %bb.624:
	s_wait_loadcnt 0x0
	global_load_b32 v4, v[2:3], off
	s_wait_loadcnt 0x0
	v_cvt_f64_f32_e32 v[4:5], v4
.LBB42_625:
	s_mov_b32 s25, 0
.LBB42_626:
	s_delay_alu instid0(SALU_CYCLE_1)
	s_and_not1_b32 vcc_lo, exec_lo, s25
	s_cbranch_vccnz .LBB42_628
; %bb.627:
	s_wait_loadcnt 0x0
	global_load_u16 v4, v[2:3], off
	s_wait_loadcnt 0x0
	v_cvt_f32_f16_e32 v4, v4
	s_delay_alu instid0(VALU_DEP_1)
	v_cvt_f64_f32_e32 v[4:5], v4
.LBB42_628:
	s_mov_b32 s25, 0
.LBB42_629:
	s_delay_alu instid0(SALU_CYCLE_1)
	s_and_not1_b32 vcc_lo, exec_lo, s25
	s_cbranch_vccnz .LBB42_649
; %bb.630:
	s_cmp_lt_i32 s0, 2
	s_cbranch_scc1 .LBB42_634
; %bb.631:
	s_cmp_lt_i32 s0, 3
	s_cbranch_scc1 .LBB42_635
; %bb.632:
	s_cmp_gt_i32 s0, 3
	s_cbranch_scc0 .LBB42_636
; %bb.633:
	s_wait_loadcnt 0x0
	global_load_b64 v[4:5], v[2:3], off
	s_mov_b32 s25, 0
	s_wait_loadcnt 0x0
	v_cvt_f64_i32_e32 v[6:7], v5
	v_cvt_f64_u32_e32 v[4:5], v4
	s_delay_alu instid0(VALU_DEP_2) | instskip(NEXT) | instid1(VALU_DEP_1)
	v_ldexp_f64 v[6:7], v[6:7], 32
	v_add_f64_e32 v[4:5], v[6:7], v[4:5]
	s_branch .LBB42_637
.LBB42_634:
	s_mov_b32 s25, -1
                                        ; implicit-def: $vgpr4_vgpr5
	s_branch .LBB42_643
.LBB42_635:
	s_mov_b32 s25, -1
                                        ; implicit-def: $vgpr4_vgpr5
	s_branch .LBB42_640
.LBB42_636:
	s_mov_b32 s25, -1
                                        ; implicit-def: $vgpr4_vgpr5
.LBB42_637:
	s_delay_alu instid0(SALU_CYCLE_1)
	s_and_not1_b32 vcc_lo, exec_lo, s25
	s_cbranch_vccnz .LBB42_639
; %bb.638:
	s_wait_loadcnt 0x0
	global_load_b32 v4, v[2:3], off
	s_wait_loadcnt 0x0
	v_cvt_f64_i32_e32 v[4:5], v4
.LBB42_639:
	s_mov_b32 s25, 0
.LBB42_640:
	s_delay_alu instid0(SALU_CYCLE_1)
	s_and_not1_b32 vcc_lo, exec_lo, s25
	s_cbranch_vccnz .LBB42_642
; %bb.641:
	s_wait_loadcnt 0x0
	global_load_i16 v4, v[2:3], off
	s_wait_loadcnt 0x0
	v_cvt_f64_i32_e32 v[4:5], v4
.LBB42_642:
	s_mov_b32 s25, 0
.LBB42_643:
	s_delay_alu instid0(SALU_CYCLE_1)
	s_and_not1_b32 vcc_lo, exec_lo, s25
	s_cbranch_vccnz .LBB42_649
; %bb.644:
	s_cmp_gt_i32 s0, 0
	s_mov_b32 s0, 0
	s_cbranch_scc0 .LBB42_646
; %bb.645:
	s_wait_loadcnt 0x0
	global_load_i8 v4, v[2:3], off
	s_wait_loadcnt 0x0
	v_cvt_f64_i32_e32 v[4:5], v4
	s_branch .LBB42_647
.LBB42_646:
	s_mov_b32 s0, -1
                                        ; implicit-def: $vgpr4_vgpr5
.LBB42_647:
	s_delay_alu instid0(SALU_CYCLE_1)
	s_and_not1_b32 vcc_lo, exec_lo, s0
	s_cbranch_vccnz .LBB42_649
; %bb.648:
	global_load_u8 v2, v[2:3], off
	s_wait_loadcnt 0x0
	v_cvt_f64_u32_e32 v[4:5], v2
.LBB42_649:
	s_mov_b32 s28, -1
.LBB42_650:
	s_delay_alu instid0(SALU_CYCLE_1)
	s_and_not1_b32 vcc_lo, exec_lo, s28
	s_cbranch_vccnz .LBB42_660
; %bb.651:
	s_wait_loadcnt 0x0
	s_delay_alu instid0(VALU_DEP_1) | instskip(SKIP_1) | instid1(VALU_DEP_1)
	v_mul_f64_e32 v[2:3], s[8:9], v[4:5]
	s_mov_b32 s25, exec_lo
	v_cmpx_nlt_f64_e32 s[10:11], v[2:3]
	s_cbranch_execz .LBB42_653
; %bb.652:
	v_mul_f64_e32 v[4:5], 0x3ff71547652b82fe, v[2:3]
	s_mov_b64 s[28:29], 0x3e5ade156a5dcb37
	v_cmp_nlt_f64_e32 vcc_lo, 0x40900000, v[2:3]
	v_cmp_ngt_f64_e64 s0, 0xc090cc00, v[2:3]
	s_delay_alu instid0(VALU_DEP_3) | instskip(NEXT) | instid1(VALU_DEP_1)
	v_rndne_f64_e32 v[4:5], v[4:5]
	v_fmamk_f64 v[6:7], v[4:5], 0xbfe62e42fefa39ef, v[2:3]
	v_cvt_i32_f64_e32 v10, v[4:5]
	s_delay_alu instid0(VALU_DEP_2) | instskip(NEXT) | instid1(VALU_DEP_1)
	v_fmamk_f64 v[6:7], v[4:5], 0xbc7abc9e3b39803f, v[6:7]
	v_fmaak_f64 v[8:9], s[28:29], v[6:7], 0x3e928af3fca7ab0c
	s_delay_alu instid0(VALU_DEP_1) | instskip(NEXT) | instid1(VALU_DEP_1)
	v_fmaak_f64 v[8:9], v[6:7], v[8:9], 0x3ec71dee623fde64
	v_fmaak_f64 v[8:9], v[6:7], v[8:9], 0x3efa01997c89e6b0
	s_delay_alu instid0(VALU_DEP_1) | instskip(NEXT) | instid1(VALU_DEP_1)
	v_fmaak_f64 v[8:9], v[6:7], v[8:9], 0x3f2a01a014761f6e
	;; [unrolled: 3-line block ×4, first 2 shown]
	v_fmaak_f64 v[8:9], v[6:7], v[8:9], 0x3fe000000000000b
	s_delay_alu instid0(VALU_DEP_1) | instskip(NEXT) | instid1(VALU_DEP_1)
	v_fma_f64 v[8:9], v[6:7], v[8:9], 1.0
	v_fma_f64 v[4:5], v[6:7], v[8:9], 1.0
	s_delay_alu instid0(VALU_DEP_1) | instskip(NEXT) | instid1(VALU_DEP_1)
	v_ldexp_f64 v[4:5], v[4:5], v10
	v_cndmask_b32_e32 v5, 0x7ff00000, v5, vcc_lo
	s_and_b32 vcc_lo, s0, vcc_lo
	s_delay_alu instid0(VALU_DEP_1) | instid1(SALU_CYCLE_1)
	v_dual_cndmask_b32 v2, 0, v4, vcc_lo :: v_dual_cndmask_b32 v3, 0, v5, s0
	s_delay_alu instid0(VALU_DEP_1) | instskip(SKIP_1) | instid1(VALU_DEP_1)
	v_mul_f64_e32 v[0:1], v[0:1], v[2:3]
	v_add_f64_e32 v[2:3], 1.0, v[2:3]
	v_div_scale_f64 v[4:5], null, v[2:3], v[2:3], v[0:1]
	s_delay_alu instid0(VALU_DEP_1) | instskip(SKIP_1) | instid1(TRANS32_DEP_1)
	v_rcp_f64_e32 v[6:7], v[4:5]
	v_nop
	v_fma_f64 v[8:9], -v[4:5], v[6:7], 1.0
	s_delay_alu instid0(VALU_DEP_1) | instskip(NEXT) | instid1(VALU_DEP_1)
	v_fmac_f64_e32 v[6:7], v[6:7], v[8:9]
	v_fma_f64 v[8:9], -v[4:5], v[6:7], 1.0
	s_delay_alu instid0(VALU_DEP_1) | instskip(SKIP_1) | instid1(VALU_DEP_1)
	v_fmac_f64_e32 v[6:7], v[6:7], v[8:9]
	v_div_scale_f64 v[8:9], vcc_lo, v[0:1], v[2:3], v[0:1]
	v_mul_f64_e32 v[10:11], v[8:9], v[6:7]
	s_delay_alu instid0(VALU_DEP_1) | instskip(NEXT) | instid1(VALU_DEP_1)
	v_fma_f64 v[4:5], -v[4:5], v[10:11], v[8:9]
	v_div_fmas_f64 v[4:5], v[4:5], v[6:7], v[10:11]
	s_delay_alu instid0(VALU_DEP_1)
	v_div_fixup_f64 v[0:1], v[4:5], v[2:3], v[0:1]
.LBB42_653:
	s_or_b32 exec_lo, exec_lo, s25
	v_mul_lo_u32 v2, v14, s12
	s_and_b32 s25, s15, 0xff
	s_delay_alu instid0(SALU_CYCLE_1) | instskip(NEXT) | instid1(VALU_DEP_1)
	s_cmp_lt_i32 s25, 11
	v_ashrrev_i32_e32 v3, 31, v2
	s_delay_alu instid0(VALU_DEP_1)
	v_add_nc_u64_e32 v[4:5], s[4:5], v[2:3]
	s_cbranch_scc1 .LBB42_661
; %bb.654:
	s_and_b32 s28, 0xffff, s25
	s_delay_alu instid0(SALU_CYCLE_1)
	s_cmp_gt_i32 s28, 25
	s_cbranch_scc0 .LBB42_662
; %bb.655:
	s_cmp_gt_i32 s28, 28
	s_cbranch_scc0 .LBB42_663
; %bb.656:
	;; [unrolled: 3-line block ×4, first 2 shown]
	s_mov_b32 s30, 0
	s_mov_b32 s0, -1
	s_cmp_eq_u32 s28, 46
	s_mov_b32 s29, 0
	s_cbranch_scc0 .LBB42_666
; %bb.659:
	s_delay_alu instid0(VALU_DEP_4) | instskip(SKIP_2) | instid1(VALU_DEP_1)
	v_cvt_f32_f64_e32 v2, v[0:1]
	s_mov_b32 s29, -1
	s_mov_b32 s0, 0
	v_bfe_u32 v3, v2, 16, 1
	v_cmp_o_f32_e32 vcc_lo, v2, v2
	s_delay_alu instid0(VALU_DEP_2) | instskip(NEXT) | instid1(VALU_DEP_1)
	v_add3_u32 v3, v2, v3, 0x7fff
	v_lshrrev_b32_e32 v3, 16, v3
	s_delay_alu instid0(VALU_DEP_1)
	v_cndmask_b32_e32 v2, 0x7fc0, v3, vcc_lo
	global_store_b32 v[4:5], v2, off
	s_branch .LBB42_666
.LBB42_660:
	s_mov_b32 s28, 0
	s_mov_b32 s0, s19
	s_branch .LBB42_777
.LBB42_661:
	s_mov_b32 s28, -1
	s_mov_b32 s29, 0
	s_mov_b32 s0, s19
	s_branch .LBB42_735
.LBB42_662:
	s_mov_b32 s30, -1
	s_mov_b32 s29, 0
	s_mov_b32 s0, s19
	s_branch .LBB42_693
.LBB42_663:
	s_mov_b32 s30, -1
	s_mov_b32 s29, 0
	s_mov_b32 s0, s19
	s_branch .LBB42_676
.LBB42_664:
	s_mov_b32 s30, -1
	s_mov_b32 s29, 0
	s_mov_b32 s0, s19
	s_branch .LBB42_672
.LBB42_665:
	s_mov_b32 s30, -1
	s_mov_b32 s29, 0
	s_mov_b32 s0, s19
.LBB42_666:
	s_and_b32 vcc_lo, exec_lo, s30
	s_cbranch_vccz .LBB42_671
; %bb.667:
	s_cmp_eq_u32 s28, 44
	s_mov_b32 s0, -1
	s_cbranch_scc0 .LBB42_671
; %bb.668:
	s_wait_xcnt 0x0
	s_delay_alu instid0(VALU_DEP_4) | instskip(SKIP_2) | instid1(VALU_DEP_2)
	v_cvt_f32_f64_e32 v2, v[0:1]
	v_mov_b32_e32 v3, 0xff
	s_mov_b32 s29, exec_lo
	v_bfe_u32 v6, v2, 23, 8
	s_delay_alu instid0(VALU_DEP_1)
	v_cmpx_ne_u32_e32 0xff, v6
	s_cbranch_execz .LBB42_670
; %bb.669:
	v_and_b32_e32 v3, 0x400000, v2
	v_and_or_b32 v6, 0x3fffff, v2, v6
	v_lshrrev_b32_e32 v2, 23, v2
	s_delay_alu instid0(VALU_DEP_3) | instskip(NEXT) | instid1(VALU_DEP_3)
	v_cmp_ne_u32_e32 vcc_lo, 0, v3
	v_cmp_ne_u32_e64 s0, 0, v6
	s_and_b32 s0, vcc_lo, s0
	s_delay_alu instid0(SALU_CYCLE_1) | instskip(NEXT) | instid1(VALU_DEP_1)
	v_cndmask_b32_e64 v3, 0, 1, s0
	v_add_nc_u32_e32 v3, v2, v3
.LBB42_670:
	s_or_b32 exec_lo, exec_lo, s29
	s_mov_b32 s29, -1
	s_mov_b32 s0, 0
	global_store_b8 v[4:5], v3, off
.LBB42_671:
	s_mov_b32 s30, 0
.LBB42_672:
	s_delay_alu instid0(SALU_CYCLE_1)
	s_and_b32 vcc_lo, exec_lo, s30
	s_cbranch_vccz .LBB42_675
; %bb.673:
	s_cmp_eq_u32 s28, 29
	s_mov_b32 s0, -1
	s_cbranch_scc0 .LBB42_675
; %bb.674:
	s_wait_xcnt 0x0
	s_delay_alu instid0(VALU_DEP_4) | instskip(SKIP_3) | instid1(VALU_DEP_1)
	v_trunc_f64_e32 v[2:3], v[0:1]
	s_mov_b32 s29, -1
	s_mov_b32 s0, 0
	s_mov_b32 s30, 0
	v_ldexp_f64 v[6:7], v[2:3], 0xffffffe0
	s_delay_alu instid0(VALU_DEP_1) | instskip(NEXT) | instid1(VALU_DEP_1)
	v_floor_f64_e32 v[6:7], v[6:7]
	v_fmamk_f64 v[2:3], v[6:7], 0xc1f00000, v[2:3]
	v_cvt_u32_f64_e32 v7, v[6:7]
	s_delay_alu instid0(VALU_DEP_2)
	v_cvt_u32_f64_e32 v6, v[2:3]
	global_store_b64 v[4:5], v[6:7], off
	s_branch .LBB42_676
.LBB42_675:
	s_mov_b32 s30, 0
.LBB42_676:
	s_delay_alu instid0(SALU_CYCLE_1)
	s_and_b32 vcc_lo, exec_lo, s30
	s_cbranch_vccz .LBB42_692
; %bb.677:
	s_cmp_lt_i32 s28, 27
	s_mov_b32 s29, -1
	s_cbranch_scc1 .LBB42_683
; %bb.678:
	s_wait_xcnt 0x0
	s_delay_alu instid0(VALU_DEP_4)
	v_cvt_u32_f64_e32 v2, v[0:1]
	s_cmp_gt_i32 s28, 27
	s_cbranch_scc0 .LBB42_680
; %bb.679:
	s_mov_b32 s29, 0
	global_store_b32 v[4:5], v2, off
.LBB42_680:
	s_and_not1_b32 vcc_lo, exec_lo, s29
	s_cbranch_vccnz .LBB42_682
; %bb.681:
	global_store_b16 v[4:5], v2, off
.LBB42_682:
	s_mov_b32 s29, 0
.LBB42_683:
	s_delay_alu instid0(SALU_CYCLE_1)
	s_and_not1_b32 vcc_lo, exec_lo, s29
	s_cbranch_vccnz .LBB42_691
; %bb.684:
	s_wait_xcnt 0x0
	s_delay_alu instid0(VALU_DEP_4) | instskip(SKIP_2) | instid1(VALU_DEP_2)
	v_cvt_f32_f64_e32 v2, v[0:1]
	v_mov_b32_e32 v6, 0x80
	s_mov_b32 s29, exec_lo
	v_and_b32_e32 v3, 0x7fffffff, v2
	s_delay_alu instid0(VALU_DEP_1)
	v_cmpx_gt_u32_e32 0x43800000, v3
	s_cbranch_execz .LBB42_690
; %bb.685:
	v_cmp_lt_u32_e32 vcc_lo, 0x3bffffff, v3
	s_mov_b32 s30, 0
                                        ; implicit-def: $vgpr3
	s_and_saveexec_b32 s31, vcc_lo
	s_delay_alu instid0(SALU_CYCLE_1)
	s_xor_b32 s31, exec_lo, s31
	s_cbranch_execz .LBB42_793
; %bb.686:
	v_bfe_u32 v3, v2, 20, 1
	s_mov_b32 s30, exec_lo
	s_delay_alu instid0(VALU_DEP_1) | instskip(NEXT) | instid1(VALU_DEP_1)
	v_add3_u32 v3, v2, v3, 0x487ffff
	v_lshrrev_b32_e32 v3, 20, v3
	s_and_not1_saveexec_b32 s31, s31
	s_cbranch_execnz .LBB42_794
.LBB42_687:
	s_or_b32 exec_lo, exec_lo, s31
	v_mov_b32_e32 v6, 0
	s_and_saveexec_b32 s31, s30
.LBB42_688:
	v_lshrrev_b32_e32 v2, 24, v2
	s_delay_alu instid0(VALU_DEP_1)
	v_and_or_b32 v6, 0x80, v2, v3
.LBB42_689:
	s_or_b32 exec_lo, exec_lo, s31
.LBB42_690:
	s_delay_alu instid0(SALU_CYCLE_1)
	s_or_b32 exec_lo, exec_lo, s29
	global_store_b8 v[4:5], v6, off
.LBB42_691:
	s_mov_b32 s29, -1
.LBB42_692:
	s_mov_b32 s30, 0
.LBB42_693:
	s_delay_alu instid0(SALU_CYCLE_1)
	s_and_b32 vcc_lo, exec_lo, s30
	s_cbranch_vccz .LBB42_734
; %bb.694:
	s_cmp_gt_i32 s28, 22
	s_mov_b32 s30, -1
	s_cbranch_scc0 .LBB42_726
; %bb.695:
	s_cmp_lt_i32 s28, 24
	s_mov_b32 s29, -1
	s_cbranch_scc1 .LBB42_715
; %bb.696:
	s_cmp_gt_i32 s28, 24
	s_cbranch_scc0 .LBB42_704
; %bb.697:
	s_wait_xcnt 0x0
	s_delay_alu instid0(VALU_DEP_4) | instskip(SKIP_2) | instid1(VALU_DEP_2)
	v_cvt_f32_f64_e32 v2, v[0:1]
	v_mov_b32_e32 v6, 0x80
	s_mov_b32 s29, exec_lo
	v_and_b32_e32 v3, 0x7fffffff, v2
	s_delay_alu instid0(VALU_DEP_1)
	v_cmpx_gt_u32_e32 0x47800000, v3
	s_cbranch_execz .LBB42_703
; %bb.698:
	v_cmp_lt_u32_e32 vcc_lo, 0x37ffffff, v3
	s_mov_b32 s30, 0
                                        ; implicit-def: $vgpr3
	s_and_saveexec_b32 s31, vcc_lo
	s_delay_alu instid0(SALU_CYCLE_1)
	s_xor_b32 s31, exec_lo, s31
	s_cbranch_execz .LBB42_925
; %bb.699:
	v_bfe_u32 v3, v2, 21, 1
	s_mov_b32 s30, exec_lo
	s_delay_alu instid0(VALU_DEP_1) | instskip(NEXT) | instid1(VALU_DEP_1)
	v_add3_u32 v3, v2, v3, 0x88fffff
	v_lshrrev_b32_e32 v3, 21, v3
	s_and_not1_saveexec_b32 s31, s31
	s_cbranch_execnz .LBB42_926
.LBB42_700:
	s_or_b32 exec_lo, exec_lo, s31
	v_mov_b32_e32 v6, 0
	s_and_saveexec_b32 s31, s30
.LBB42_701:
	v_lshrrev_b32_e32 v2, 24, v2
	s_delay_alu instid0(VALU_DEP_1)
	v_and_or_b32 v6, 0x80, v2, v3
.LBB42_702:
	s_or_b32 exec_lo, exec_lo, s31
.LBB42_703:
	s_delay_alu instid0(SALU_CYCLE_1)
	s_or_b32 exec_lo, exec_lo, s29
	s_mov_b32 s29, 0
	global_store_b8 v[4:5], v6, off
.LBB42_704:
	s_and_b32 vcc_lo, exec_lo, s29
	s_cbranch_vccz .LBB42_714
; %bb.705:
	s_wait_xcnt 0x0
	s_delay_alu instid0(VALU_DEP_4) | instskip(SKIP_1) | instid1(VALU_DEP_1)
	v_cvt_f32_f64_e32 v2, v[0:1]
	s_mov_b32 s29, exec_lo
                                        ; implicit-def: $vgpr3
	v_and_b32_e32 v6, 0x7fffffff, v2
	s_delay_alu instid0(VALU_DEP_1)
	v_cmpx_gt_u32_e32 0x43f00000, v6
	s_xor_b32 s29, exec_lo, s29
	s_cbranch_execz .LBB42_711
; %bb.706:
	s_mov_b32 s30, exec_lo
                                        ; implicit-def: $vgpr3
	v_cmpx_lt_u32_e32 0x3c7fffff, v6
	s_xor_b32 s30, exec_lo, s30
; %bb.707:
	v_bfe_u32 v3, v2, 20, 1
	s_delay_alu instid0(VALU_DEP_1) | instskip(NEXT) | instid1(VALU_DEP_1)
	v_add3_u32 v3, v2, v3, 0x407ffff
	v_and_b32_e32 v6, 0xff00000, v3
	v_lshrrev_b32_e32 v3, 20, v3
	s_delay_alu instid0(VALU_DEP_2) | instskip(NEXT) | instid1(VALU_DEP_2)
	v_cmp_ne_u32_e32 vcc_lo, 0x7f00000, v6
	v_cndmask_b32_e32 v3, 0x7e, v3, vcc_lo
; %bb.708:
	s_and_not1_saveexec_b32 s30, s30
; %bb.709:
	v_add_f32_e64 v3, 0x46800000, |v2|
; %bb.710:
	s_or_b32 exec_lo, exec_lo, s30
                                        ; implicit-def: $vgpr6
.LBB42_711:
	s_and_not1_saveexec_b32 s29, s29
; %bb.712:
	v_mov_b32_e32 v3, 0x7f
	v_cmp_lt_u32_e32 vcc_lo, 0x7f800000, v6
	s_delay_alu instid0(VALU_DEP_2)
	v_cndmask_b32_e32 v3, 0x7e, v3, vcc_lo
; %bb.713:
	s_or_b32 exec_lo, exec_lo, s29
	v_lshrrev_b32_e32 v2, 24, v2
	s_delay_alu instid0(VALU_DEP_1)
	v_and_or_b32 v2, 0x80, v2, v3
	global_store_b8 v[4:5], v2, off
.LBB42_714:
	s_mov_b32 s29, 0
.LBB42_715:
	s_delay_alu instid0(SALU_CYCLE_1)
	s_and_not1_b32 vcc_lo, exec_lo, s29
	s_cbranch_vccnz .LBB42_725
; %bb.716:
	s_wait_xcnt 0x0
	s_delay_alu instid0(VALU_DEP_4) | instskip(SKIP_1) | instid1(VALU_DEP_1)
	v_cvt_f32_f64_e32 v2, v[0:1]
	s_mov_b32 s29, exec_lo
                                        ; implicit-def: $vgpr3
	v_and_b32_e32 v6, 0x7fffffff, v2
	s_delay_alu instid0(VALU_DEP_1)
	v_cmpx_gt_u32_e32 0x47800000, v6
	s_xor_b32 s29, exec_lo, s29
	s_cbranch_execz .LBB42_722
; %bb.717:
	s_mov_b32 s30, exec_lo
                                        ; implicit-def: $vgpr3
	v_cmpx_lt_u32_e32 0x387fffff, v6
	s_xor_b32 s30, exec_lo, s30
; %bb.718:
	v_bfe_u32 v3, v2, 21, 1
	s_delay_alu instid0(VALU_DEP_1) | instskip(NEXT) | instid1(VALU_DEP_1)
	v_add3_u32 v3, v2, v3, 0x80fffff
	v_lshrrev_b32_e32 v3, 21, v3
; %bb.719:
	s_and_not1_saveexec_b32 s30, s30
; %bb.720:
	v_add_f32_e64 v3, 0x43000000, |v2|
; %bb.721:
	s_or_b32 exec_lo, exec_lo, s30
                                        ; implicit-def: $vgpr6
.LBB42_722:
	s_and_not1_saveexec_b32 s29, s29
; %bb.723:
	v_mov_b32_e32 v3, 0x7f
	v_cmp_lt_u32_e32 vcc_lo, 0x7f800000, v6
	s_delay_alu instid0(VALU_DEP_2)
	v_cndmask_b32_e32 v3, 0x7c, v3, vcc_lo
; %bb.724:
	s_or_b32 exec_lo, exec_lo, s29
	v_lshrrev_b32_e32 v2, 24, v2
	s_delay_alu instid0(VALU_DEP_1)
	v_and_or_b32 v2, 0x80, v2, v3
	global_store_b8 v[4:5], v2, off
.LBB42_725:
	s_mov_b32 s30, 0
	s_mov_b32 s29, -1
.LBB42_726:
	s_and_not1_b32 vcc_lo, exec_lo, s30
	s_cbranch_vccnz .LBB42_734
; %bb.727:
	s_cmp_gt_i32 s28, 14
	s_mov_b32 s30, -1
	s_cbranch_scc0 .LBB42_731
; %bb.728:
	s_cmp_eq_u32 s28, 15
	s_mov_b32 s0, -1
	s_cbranch_scc0 .LBB42_730
; %bb.729:
	s_wait_xcnt 0x0
	s_delay_alu instid0(VALU_DEP_4) | instskip(SKIP_2) | instid1(VALU_DEP_1)
	v_cvt_f32_f64_e32 v2, v[0:1]
	s_mov_b32 s29, -1
	s_mov_b32 s0, 0
	v_bfe_u32 v3, v2, 16, 1
	v_cmp_o_f32_e32 vcc_lo, v2, v2
	s_delay_alu instid0(VALU_DEP_2) | instskip(NEXT) | instid1(VALU_DEP_1)
	v_add3_u32 v3, v2, v3, 0x7fff
	v_lshrrev_b32_e32 v3, 16, v3
	s_delay_alu instid0(VALU_DEP_1)
	v_cndmask_b32_e32 v2, 0x7fc0, v3, vcc_lo
	global_store_b16 v[4:5], v2, off
.LBB42_730:
	s_mov_b32 s30, 0
.LBB42_731:
	s_delay_alu instid0(SALU_CYCLE_1)
	s_and_b32 vcc_lo, exec_lo, s30
	s_cbranch_vccz .LBB42_734
; %bb.732:
	s_cmp_eq_u32 s28, 11
	s_mov_b32 s0, -1
	s_cbranch_scc0 .LBB42_734
; %bb.733:
	s_delay_alu instid0(VALU_DEP_4)
	v_cmp_neq_f64_e32 vcc_lo, 0, v[0:1]
	s_mov_b32 s29, -1
	s_mov_b32 s0, 0
	s_wait_xcnt 0x0
	v_cndmask_b32_e64 v2, 0, 1, vcc_lo
	global_store_b8 v[4:5], v2, off
.LBB42_734:
	s_mov_b32 s28, 0
.LBB42_735:
	s_delay_alu instid0(SALU_CYCLE_1)
	s_and_b32 vcc_lo, exec_lo, s28
	s_cbranch_vccz .LBB42_774
; %bb.736:
	s_and_b32 s25, 0xffff, s25
	s_mov_b32 s28, -1
	s_cmp_lt_i32 s25, 5
	s_cbranch_scc1 .LBB42_757
; %bb.737:
	s_cmp_lt_i32 s25, 8
	s_cbranch_scc1 .LBB42_747
; %bb.738:
	;; [unrolled: 3-line block ×3, first 2 shown]
	s_cmp_gt_i32 s25, 9
	s_cbranch_scc0 .LBB42_741
; %bb.740:
	s_wait_xcnt 0x0
	v_mov_b32_e32 v2, 0
	s_mov_b32 s28, 0
	s_delay_alu instid0(VALU_DEP_1)
	v_mov_b32_e32 v3, v2
	global_store_b128 v[4:5], v[0:3], off
.LBB42_741:
	s_and_not1_b32 vcc_lo, exec_lo, s28
	s_cbranch_vccnz .LBB42_743
; %bb.742:
	s_wait_xcnt 0x0
	s_delay_alu instid0(VALU_DEP_4)
	v_cvt_f32_f64_e32 v2, v[0:1]
	v_mov_b32_e32 v3, 0
	global_store_b64 v[4:5], v[2:3], off
.LBB42_743:
	s_mov_b32 s28, 0
.LBB42_744:
	s_delay_alu instid0(SALU_CYCLE_1)
	s_and_not1_b32 vcc_lo, exec_lo, s28
	s_cbranch_vccnz .LBB42_746
; %bb.745:
	s_wait_xcnt 0x0
	s_delay_alu instid0(VALU_DEP_4) | instskip(SKIP_2) | instid1(VALU_DEP_3)
	v_and_or_b32 v2, 0x1ff, v1, v0
	v_lshrrev_b32_e32 v3, 8, v1
	v_bfe_u32 v6, v1, 20, 11
	v_cmp_ne_u32_e32 vcc_lo, 0, v2
	s_delay_alu instid0(VALU_DEP_2) | instskip(SKIP_1) | instid1(VALU_DEP_1)
	v_sub_nc_u32_e32 v7, 0x3f1, v6
	v_cndmask_b32_e64 v2, 0, 1, vcc_lo
	v_and_or_b32 v2, 0xffe, v3, v2
	s_delay_alu instid0(VALU_DEP_3) | instskip(NEXT) | instid1(VALU_DEP_2)
	v_med3_i32 v3, v7, 0, 13
	v_or_b32_e32 v7, 0x1000, v2
	s_delay_alu instid0(VALU_DEP_1) | instskip(NEXT) | instid1(VALU_DEP_1)
	v_lshrrev_b32_e32 v8, v3, v7
	v_lshlrev_b32_e32 v3, v3, v8
	s_delay_alu instid0(VALU_DEP_1) | instskip(SKIP_1) | instid1(VALU_DEP_1)
	v_cmp_ne_u32_e32 vcc_lo, v3, v7
	v_cndmask_b32_e64 v3, 0, 1, vcc_lo
	v_or_b32_e32 v3, v8, v3
	v_add_nc_u32_e32 v6, 0xfffffc10, v6
	s_delay_alu instid0(VALU_DEP_1) | instskip(SKIP_1) | instid1(VALU_DEP_2)
	v_lshl_or_b32 v7, v6, 12, v2
	v_cmp_gt_i32_e32 vcc_lo, 1, v6
	v_cndmask_b32_e32 v3, v7, v3, vcc_lo
	s_delay_alu instid0(VALU_DEP_1) | instskip(NEXT) | instid1(VALU_DEP_1)
	v_dual_lshrrev_b32 v3, 2, v3 :: v_dual_bitop2_b32 v7, 7, v3 bitop3:0x40
	v_cmp_lt_i32_e32 vcc_lo, 5, v7
	v_cndmask_b32_e64 v8, 0, 1, vcc_lo
	v_cmp_eq_u32_e32 vcc_lo, 3, v7
	v_cndmask_b32_e64 v7, 0, 1, vcc_lo
	v_cmp_ne_u32_e32 vcc_lo, 0, v2
	s_delay_alu instid0(VALU_DEP_2) | instskip(NEXT) | instid1(VALU_DEP_1)
	v_or_b32_e32 v7, v7, v8
	v_dual_mov_b32 v8, 0x7e00 :: v_dual_add_nc_u32 v3, v3, v7
	s_delay_alu instid0(VALU_DEP_1) | instskip(SKIP_2) | instid1(VALU_DEP_4)
	v_cndmask_b32_e32 v2, 0x7c00, v8, vcc_lo
	v_cmp_gt_i32_e32 vcc_lo, 31, v6
	v_lshrrev_b32_e32 v7, 16, v1
	v_cndmask_b32_e32 v3, 0x7c00, v3, vcc_lo
	v_cmp_eq_u32_e32 vcc_lo, 0x40f, v6
	s_delay_alu instid0(VALU_DEP_2) | instskip(NEXT) | instid1(VALU_DEP_4)
	v_cndmask_b32_e32 v2, v3, v2, vcc_lo
	v_and_b32_e32 v3, 0x8000, v7
	s_delay_alu instid0(VALU_DEP_1)
	v_bitop3_b32 v2, v3, 0xffff, v2 bitop3:0xc8
	global_store_b32 v[4:5], v2, off
.LBB42_746:
	s_mov_b32 s28, 0
.LBB42_747:
	s_delay_alu instid0(SALU_CYCLE_1)
	s_and_not1_b32 vcc_lo, exec_lo, s28
	s_cbranch_vccnz .LBB42_756
; %bb.748:
	s_cmp_lt_i32 s25, 6
	s_mov_b32 s28, -1
	s_cbranch_scc1 .LBB42_754
; %bb.749:
	s_cmp_gt_i32 s25, 6
	s_cbranch_scc0 .LBB42_751
; %bb.750:
	s_mov_b32 s28, 0
	global_store_b64 v[4:5], v[0:1], off
.LBB42_751:
	s_and_not1_b32 vcc_lo, exec_lo, s28
	s_cbranch_vccnz .LBB42_753
; %bb.752:
	s_wait_xcnt 0x0
	s_delay_alu instid0(VALU_DEP_4)
	v_cvt_f32_f64_e32 v2, v[0:1]
	global_store_b32 v[4:5], v2, off
.LBB42_753:
	s_mov_b32 s28, 0
.LBB42_754:
	s_delay_alu instid0(SALU_CYCLE_1)
	s_and_not1_b32 vcc_lo, exec_lo, s28
	s_cbranch_vccnz .LBB42_756
; %bb.755:
	s_wait_xcnt 0x0
	s_delay_alu instid0(VALU_DEP_4) | instskip(SKIP_2) | instid1(VALU_DEP_3)
	v_and_or_b32 v2, 0x1ff, v1, v0
	v_lshrrev_b32_e32 v3, 8, v1
	v_bfe_u32 v6, v1, 20, 11
	v_cmp_ne_u32_e32 vcc_lo, 0, v2
	s_delay_alu instid0(VALU_DEP_2) | instskip(SKIP_1) | instid1(VALU_DEP_1)
	v_sub_nc_u32_e32 v7, 0x3f1, v6
	v_cndmask_b32_e64 v2, 0, 1, vcc_lo
	v_and_or_b32 v2, 0xffe, v3, v2
	s_delay_alu instid0(VALU_DEP_3) | instskip(NEXT) | instid1(VALU_DEP_2)
	v_med3_i32 v3, v7, 0, 13
	v_or_b32_e32 v7, 0x1000, v2
	s_delay_alu instid0(VALU_DEP_1) | instskip(NEXT) | instid1(VALU_DEP_1)
	v_lshrrev_b32_e32 v8, v3, v7
	v_lshlrev_b32_e32 v3, v3, v8
	s_delay_alu instid0(VALU_DEP_1) | instskip(SKIP_1) | instid1(VALU_DEP_1)
	v_cmp_ne_u32_e32 vcc_lo, v3, v7
	v_cndmask_b32_e64 v3, 0, 1, vcc_lo
	v_or_b32_e32 v3, v8, v3
	v_add_nc_u32_e32 v6, 0xfffffc10, v6
	s_delay_alu instid0(VALU_DEP_1) | instskip(SKIP_1) | instid1(VALU_DEP_2)
	v_lshl_or_b32 v7, v6, 12, v2
	v_cmp_gt_i32_e32 vcc_lo, 1, v6
	v_cndmask_b32_e32 v3, v7, v3, vcc_lo
	s_delay_alu instid0(VALU_DEP_1) | instskip(NEXT) | instid1(VALU_DEP_1)
	v_dual_lshrrev_b32 v3, 2, v3 :: v_dual_bitop2_b32 v7, 7, v3 bitop3:0x40
	v_cmp_lt_i32_e32 vcc_lo, 5, v7
	v_cndmask_b32_e64 v8, 0, 1, vcc_lo
	v_cmp_eq_u32_e32 vcc_lo, 3, v7
	v_cndmask_b32_e64 v7, 0, 1, vcc_lo
	v_cmp_ne_u32_e32 vcc_lo, 0, v2
	s_delay_alu instid0(VALU_DEP_2) | instskip(NEXT) | instid1(VALU_DEP_1)
	v_or_b32_e32 v7, v7, v8
	v_dual_mov_b32 v8, 0x7e00 :: v_dual_add_nc_u32 v3, v3, v7
	s_delay_alu instid0(VALU_DEP_1) | instskip(SKIP_1) | instid1(VALU_DEP_3)
	v_cndmask_b32_e32 v2, 0x7c00, v8, vcc_lo
	v_cmp_gt_i32_e32 vcc_lo, 31, v6
	v_cndmask_b32_e32 v3, 0x7c00, v3, vcc_lo
	v_cmp_eq_u32_e32 vcc_lo, 0x40f, v6
	s_delay_alu instid0(VALU_DEP_2) | instskip(NEXT) | instid1(VALU_DEP_1)
	v_dual_cndmask_b32 v2, v3, v2 :: v_dual_lshrrev_b32 v3, 16, v1
	v_and_or_b32 v2, 0x8000, v3, v2
	global_store_b16 v[4:5], v2, off
.LBB42_756:
	s_mov_b32 s28, 0
.LBB42_757:
	s_delay_alu instid0(SALU_CYCLE_1)
	s_and_not1_b32 vcc_lo, exec_lo, s28
	s_cbranch_vccnz .LBB42_773
; %bb.758:
	s_cmp_lt_i32 s25, 2
	s_mov_b32 s28, -1
	s_cbranch_scc1 .LBB42_768
; %bb.759:
	s_cmp_lt_i32 s25, 3
	s_cbranch_scc1 .LBB42_765
; %bb.760:
	s_cmp_gt_i32 s25, 3
	s_cbranch_scc0 .LBB42_762
; %bb.761:
	s_wait_xcnt 0x0
	s_delay_alu instid0(VALU_DEP_4) | instskip(SKIP_1) | instid1(VALU_DEP_1)
	v_trunc_f64_e32 v[2:3], v[0:1]
	s_mov_b32 s28, 0
	v_ldexp_f64 v[6:7], v[2:3], 0xffffffe0
	s_delay_alu instid0(VALU_DEP_1) | instskip(NEXT) | instid1(VALU_DEP_1)
	v_floor_f64_e32 v[6:7], v[6:7]
	v_fmamk_f64 v[2:3], v[6:7], 0xc1f00000, v[2:3]
	v_cvt_i32_f64_e32 v7, v[6:7]
	s_delay_alu instid0(VALU_DEP_2)
	v_cvt_u32_f64_e32 v6, v[2:3]
	global_store_b64 v[4:5], v[6:7], off
.LBB42_762:
	s_and_not1_b32 vcc_lo, exec_lo, s28
	s_cbranch_vccnz .LBB42_764
; %bb.763:
	s_wait_xcnt 0x0
	s_delay_alu instid0(VALU_DEP_4)
	v_cvt_i32_f64_e32 v2, v[0:1]
	global_store_b32 v[4:5], v2, off
.LBB42_764:
	s_mov_b32 s28, 0
.LBB42_765:
	s_delay_alu instid0(SALU_CYCLE_1)
	s_and_not1_b32 vcc_lo, exec_lo, s28
	s_cbranch_vccnz .LBB42_767
; %bb.766:
	s_wait_xcnt 0x0
	s_delay_alu instid0(VALU_DEP_4)
	v_cvt_i32_f64_e32 v2, v[0:1]
	global_store_b16 v[4:5], v2, off
.LBB42_767:
	s_mov_b32 s28, 0
.LBB42_768:
	s_delay_alu instid0(SALU_CYCLE_1)
	s_and_not1_b32 vcc_lo, exec_lo, s28
	s_cbranch_vccnz .LBB42_773
; %bb.769:
	s_cmp_gt_i32 s25, 0
	s_mov_b32 s25, -1
	s_cbranch_scc0 .LBB42_771
; %bb.770:
	s_wait_xcnt 0x0
	s_delay_alu instid0(VALU_DEP_4)
	v_cvt_i32_f64_e32 v2, v[0:1]
	s_mov_b32 s25, 0
	global_store_b8 v[4:5], v2, off
.LBB42_771:
	s_and_not1_b32 vcc_lo, exec_lo, s25
	s_cbranch_vccnz .LBB42_773
; %bb.772:
	s_wait_xcnt 0x0
	s_delay_alu instid0(VALU_DEP_4) | instskip(NEXT) | instid1(VALU_DEP_1)
	v_trunc_f64_e32 v[0:1], v[0:1]
	v_ldexp_f64 v[2:3], v[0:1], 0xffffffe0
	s_delay_alu instid0(VALU_DEP_1) | instskip(NEXT) | instid1(VALU_DEP_1)
	v_floor_f64_e32 v[2:3], v[2:3]
	v_fmamk_f64 v[0:1], v[2:3], 0xc1f00000, v[0:1]
	s_delay_alu instid0(VALU_DEP_1)
	v_cvt_u32_f64_e32 v0, v[0:1]
	global_store_b8 v[4:5], v0, off
.LBB42_773:
	s_mov_b32 s29, -1
.LBB42_774:
	s_delay_alu instid0(SALU_CYCLE_1)
	s_and_not1_b32 vcc_lo, exec_lo, s29
	s_cbranch_vccnz .LBB42_776
; %bb.775:
	v_add_nc_u32_e32 v14, 0x80, v14
	s_mov_b32 s28, -1
	s_branch .LBB42_778
.LBB42_776:
	s_mov_b32 s28, 0
.LBB42_777:
                                        ; implicit-def: $vgpr14
.LBB42_778:
	s_and_not1_b32 s25, s19, exec_lo
	s_and_b32 s0, s0, exec_lo
	s_and_b32 s26, s26, exec_lo
	s_or_b32 s25, s25, s0
	s_and_not1_b32 s0, s21, exec_lo
	s_and_not1_b32 s29, s22, exec_lo
	s_and_b32 s24, s24, exec_lo
	s_or_b32 s26, s0, s26
	s_or_b32 s24, s29, s24
	s_or_not1_b32 s29, s28, exec_lo
.LBB42_779:
	s_wait_xcnt 0x0
	s_or_b32 exec_lo, exec_lo, s27
	s_mov_b32 s28, 0
	s_mov_b32 s30, 0
	;; [unrolled: 1-line block ×3, first 2 shown]
                                        ; implicit-def: $sgpr0
                                        ; implicit-def: $vgpr2_vgpr3
                                        ; implicit-def: $vgpr0_vgpr1
	s_and_saveexec_b32 s27, s29
	s_cbranch_execz .LBB42_1256
; %bb.780:
	s_mov_b32 s36, -1
	s_mov_b32 s29, s24
	s_mov_b32 s30, s26
	;; [unrolled: 1-line block ×3, first 2 shown]
	s_mov_b32 s28, exec_lo
	v_cmpx_gt_i32_e64 s20, v14
	s_cbranch_execz .LBB42_1172
; %bb.781:
	s_wait_loadcnt 0x0
	v_mul_lo_u32 v0, v14, s13
	s_and_b32 s0, s17, 0xff
	s_delay_alu instid0(SALU_CYCLE_1) | instskip(NEXT) | instid1(VALU_DEP_1)
	s_cmp_lt_i32 s0, 11
	v_ashrrev_i32_e32 v1, 31, v0
	s_delay_alu instid0(VALU_DEP_1)
	v_add_nc_u64_e32 v[2:3], s[6:7], v[0:1]
	s_cbranch_scc1 .LBB42_788
; %bb.782:
	s_and_b32 s30, 0xffff, s0
	s_delay_alu instid0(SALU_CYCLE_1)
	s_cmp_gt_i32 s30, 25
	s_cbranch_scc0 .LBB42_789
; %bb.783:
	s_cmp_gt_i32 s30, 28
	s_cbranch_scc0 .LBB42_790
; %bb.784:
	;; [unrolled: 3-line block ×4, first 2 shown]
	s_cmp_eq_u32 s30, 46
	s_mov_b32 s33, 0
	s_cbranch_scc0 .LBB42_795
; %bb.787:
	global_load_b32 v0, v[2:3], off
	s_mov_b32 s31, -1
	s_mov_b32 s29, 0
	s_wait_loadcnt 0x0
	v_lshlrev_b32_e32 v0, 16, v0
	s_delay_alu instid0(VALU_DEP_1)
	v_cvt_f64_f32_e32 v[0:1], v0
	s_branch .LBB42_797
.LBB42_788:
	s_mov_b32 s30, -1
	s_mov_b32 s31, 0
	s_mov_b32 s29, s24
                                        ; implicit-def: $vgpr0_vgpr1
	s_branch .LBB42_862
.LBB42_789:
	s_mov_b32 s33, -1
	s_mov_b32 s31, 0
	s_mov_b32 s29, s24
                                        ; implicit-def: $vgpr0_vgpr1
	s_branch .LBB42_826
.LBB42_790:
	s_mov_b32 s33, -1
	s_mov_b32 s31, 0
	s_mov_b32 s29, s24
                                        ; implicit-def: $vgpr0_vgpr1
	s_branch .LBB42_807
.LBB42_791:
	s_mov_b32 s33, -1
	s_mov_b32 s31, 0
	s_mov_b32 s29, s24
                                        ; implicit-def: $vgpr0_vgpr1
	s_branch .LBB42_802
.LBB42_792:
	s_mov_b32 s33, -1
	s_mov_b32 s31, 0
	s_mov_b32 s29, s24
	s_branch .LBB42_796
.LBB42_793:
	s_and_not1_saveexec_b32 s31, s31
	s_cbranch_execz .LBB42_687
.LBB42_794:
	v_add_f32_e64 v3, 0x46000000, |v2|
	s_and_not1_b32 s30, s30, exec_lo
	s_delay_alu instid0(VALU_DEP_1) | instskip(NEXT) | instid1(VALU_DEP_1)
	v_and_b32_e32 v3, 0xff, v3
	v_cmp_ne_u32_e32 vcc_lo, 0, v3
	s_and_b32 s33, vcc_lo, exec_lo
	s_delay_alu instid0(SALU_CYCLE_1)
	s_or_b32 s30, s30, s33
	s_or_b32 exec_lo, exec_lo, s31
	v_mov_b32_e32 v6, 0
	s_and_saveexec_b32 s31, s30
	s_cbranch_execnz .LBB42_688
	s_branch .LBB42_689
.LBB42_795:
	s_mov_b32 s29, -1
	s_mov_b32 s31, 0
.LBB42_796:
                                        ; implicit-def: $vgpr0_vgpr1
.LBB42_797:
	s_and_b32 vcc_lo, exec_lo, s33
	s_cbranch_vccz .LBB42_801
; %bb.798:
	s_cmp_eq_u32 s30, 44
	s_cbranch_scc0 .LBB42_800
; %bb.799:
	global_load_u8 v4, v[2:3], off
	s_mov_b32 s29, 0
	s_mov_b32 s31, -1
	s_wait_loadcnt 0x0
	v_cmp_ne_u32_e32 vcc_lo, 0xff, v4
	v_lshlrev_b32_e32 v0, 23, v4
	s_delay_alu instid0(VALU_DEP_1) | instskip(NEXT) | instid1(VALU_DEP_1)
	v_cvt_f64_f32_e32 v[0:1], v0
	v_cndmask_b32_e32 v0, 0x20000000, v0, vcc_lo
	s_delay_alu instid0(VALU_DEP_2) | instskip(SKIP_1) | instid1(VALU_DEP_2)
	v_cndmask_b32_e32 v1, 0x7ff80000, v1, vcc_lo
	v_cmp_ne_u32_e32 vcc_lo, 0, v4
	v_cndmask_b32_e32 v1, 0x38000000, v1, vcc_lo
	s_delay_alu instid0(VALU_DEP_4)
	v_cndmask_b32_e32 v0, 0, v0, vcc_lo
	s_branch .LBB42_801
.LBB42_800:
	s_mov_b32 s29, -1
                                        ; implicit-def: $vgpr0_vgpr1
.LBB42_801:
	s_mov_b32 s33, 0
.LBB42_802:
	s_delay_alu instid0(SALU_CYCLE_1)
	s_and_b32 vcc_lo, exec_lo, s33
	s_cbranch_vccz .LBB42_806
; %bb.803:
	s_cmp_eq_u32 s30, 29
	s_cbranch_scc0 .LBB42_805
; %bb.804:
	global_load_b64 v[0:1], v[2:3], off
	s_mov_b32 s31, -1
	s_mov_b32 s29, 0
	s_mov_b32 s33, 0
	s_wait_loadcnt 0x0
	v_cvt_f64_u32_e32 v[4:5], v1
	v_cvt_f64_u32_e32 v[0:1], v0
	s_delay_alu instid0(VALU_DEP_2) | instskip(NEXT) | instid1(VALU_DEP_1)
	v_ldexp_f64 v[4:5], v[4:5], 32
	v_add_f64_e32 v[0:1], v[4:5], v[0:1]
	s_branch .LBB42_807
.LBB42_805:
	s_mov_b32 s29, -1
                                        ; implicit-def: $vgpr0_vgpr1
.LBB42_806:
	s_mov_b32 s33, 0
.LBB42_807:
	s_delay_alu instid0(SALU_CYCLE_1)
	s_and_b32 vcc_lo, exec_lo, s33
	s_cbranch_vccz .LBB42_825
; %bb.808:
	s_cmp_lt_i32 s30, 27
	s_cbranch_scc1 .LBB42_811
; %bb.809:
	s_cmp_gt_i32 s30, 27
	s_cbranch_scc0 .LBB42_812
; %bb.810:
	global_load_b32 v0, v[2:3], off
	s_mov_b32 s31, 0
	s_wait_loadcnt 0x0
	v_cvt_f64_u32_e32 v[0:1], v0
	s_branch .LBB42_813
.LBB42_811:
	s_mov_b32 s31, -1
                                        ; implicit-def: $vgpr0_vgpr1
	s_branch .LBB42_816
.LBB42_812:
	s_mov_b32 s31, -1
                                        ; implicit-def: $vgpr0_vgpr1
.LBB42_813:
	s_delay_alu instid0(SALU_CYCLE_1)
	s_and_not1_b32 vcc_lo, exec_lo, s31
	s_cbranch_vccnz .LBB42_815
; %bb.814:
	global_load_u16 v0, v[2:3], off
	s_wait_loadcnt 0x0
	v_cvt_f64_u32_e32 v[0:1], v0
.LBB42_815:
	s_mov_b32 s31, 0
.LBB42_816:
	s_delay_alu instid0(SALU_CYCLE_1)
	s_and_not1_b32 vcc_lo, exec_lo, s31
	s_cbranch_vccnz .LBB42_824
; %bb.817:
	global_load_u8 v4, v[2:3], off
	s_mov_b32 s31, 0
	s_mov_b32 s33, exec_lo
	s_wait_loadcnt 0x0
	v_cmpx_lt_i16_e32 0x7f, v4
	s_xor_b32 s33, exec_lo, s33
	s_cbranch_execz .LBB42_838
; %bb.818:
	s_mov_b32 s31, -1
	s_mov_b32 s34, exec_lo
	v_cmpx_eq_u16_e32 0x80, v4
; %bb.819:
	s_xor_b32 s31, exec_lo, -1
; %bb.820:
	s_or_b32 exec_lo, exec_lo, s34
	s_delay_alu instid0(SALU_CYCLE_1)
	s_and_b32 s31, s31, exec_lo
	s_or_saveexec_b32 s33, s33
	v_mov_b64_e32 v[0:1], 0x7ff8000020000000
	s_xor_b32 exec_lo, exec_lo, s33
	s_cbranch_execnz .LBB42_839
.LBB42_821:
	s_or_b32 exec_lo, exec_lo, s33
	s_and_saveexec_b32 s33, s31
	s_cbranch_execz .LBB42_823
.LBB42_822:
	v_and_b32_e32 v0, 0xffff, v4
	s_delay_alu instid0(VALU_DEP_1) | instskip(SKIP_1) | instid1(VALU_DEP_2)
	v_and_b32_e32 v1, 7, v0
	v_bfe_u32 v7, v0, 3, 4
	v_clz_i32_u32_e32 v5, v1
	s_delay_alu instid0(VALU_DEP_2) | instskip(NEXT) | instid1(VALU_DEP_2)
	v_cmp_eq_u32_e32 vcc_lo, 0, v7
	v_min_u32_e32 v5, 32, v5
	s_delay_alu instid0(VALU_DEP_1) | instskip(NEXT) | instid1(VALU_DEP_1)
	v_subrev_nc_u32_e32 v6, 28, v5
	v_dual_lshlrev_b32 v0, v6, v0 :: v_dual_sub_nc_u32 v5, 29, v5
	s_delay_alu instid0(VALU_DEP_1) | instskip(NEXT) | instid1(VALU_DEP_2)
	v_and_b32_e32 v0, 7, v0
	v_dual_cndmask_b32 v5, v7, v5 :: v_dual_lshlrev_b32 v4, 24, v4
	s_delay_alu instid0(VALU_DEP_2) | instskip(NEXT) | instid1(VALU_DEP_2)
	v_cndmask_b32_e32 v0, v1, v0, vcc_lo
	v_and_b32_e32 v1, 0x80000000, v4
	s_delay_alu instid0(VALU_DEP_3) | instskip(NEXT) | instid1(VALU_DEP_3)
	v_lshl_add_u32 v4, v5, 23, 0x3b800000
	v_lshlrev_b32_e32 v0, 20, v0
	s_delay_alu instid0(VALU_DEP_1) | instskip(NEXT) | instid1(VALU_DEP_1)
	v_or3_b32 v0, v1, v4, v0
	v_cvt_f64_f32_e32 v[0:1], v0
.LBB42_823:
	s_or_b32 exec_lo, exec_lo, s33
.LBB42_824:
	s_mov_b32 s31, -1
.LBB42_825:
	s_mov_b32 s33, 0
.LBB42_826:
	s_delay_alu instid0(SALU_CYCLE_1)
	s_and_b32 vcc_lo, exec_lo, s33
	s_cbranch_vccz .LBB42_861
; %bb.827:
	s_cmp_gt_i32 s30, 22
	s_cbranch_scc0 .LBB42_837
; %bb.828:
	s_cmp_lt_i32 s30, 24
	s_cbranch_scc1 .LBB42_840
; %bb.829:
	s_cmp_gt_i32 s30, 24
	s_cbranch_scc0 .LBB42_841
; %bb.830:
	global_load_u8 v4, v[2:3], off
	s_mov_b32 s31, 0
	s_mov_b32 s33, exec_lo
	s_wait_loadcnt 0x0
	v_cmpx_lt_i16_e32 0x7f, v4
	s_xor_b32 s33, exec_lo, s33
	s_cbranch_execz .LBB42_853
; %bb.831:
	s_mov_b32 s31, -1
	s_mov_b32 s34, exec_lo
	v_cmpx_eq_u16_e32 0x80, v4
; %bb.832:
	s_xor_b32 s31, exec_lo, -1
; %bb.833:
	s_or_b32 exec_lo, exec_lo, s34
	s_delay_alu instid0(SALU_CYCLE_1)
	s_and_b32 s31, s31, exec_lo
	s_or_saveexec_b32 s33, s33
	v_mov_b64_e32 v[0:1], 0x7ff8000020000000
	s_xor_b32 exec_lo, exec_lo, s33
	s_cbranch_execnz .LBB42_854
.LBB42_834:
	s_or_b32 exec_lo, exec_lo, s33
	s_and_saveexec_b32 s33, s31
	s_cbranch_execz .LBB42_836
.LBB42_835:
	v_and_b32_e32 v0, 0xffff, v4
	s_delay_alu instid0(VALU_DEP_1) | instskip(SKIP_1) | instid1(VALU_DEP_2)
	v_and_b32_e32 v1, 3, v0
	v_bfe_u32 v7, v0, 2, 5
	v_clz_i32_u32_e32 v5, v1
	s_delay_alu instid0(VALU_DEP_2) | instskip(NEXT) | instid1(VALU_DEP_2)
	v_cmp_eq_u32_e32 vcc_lo, 0, v7
	v_min_u32_e32 v5, 32, v5
	s_delay_alu instid0(VALU_DEP_1) | instskip(NEXT) | instid1(VALU_DEP_1)
	v_subrev_nc_u32_e32 v6, 29, v5
	v_dual_lshlrev_b32 v0, v6, v0 :: v_dual_sub_nc_u32 v5, 30, v5
	s_delay_alu instid0(VALU_DEP_1) | instskip(NEXT) | instid1(VALU_DEP_2)
	v_and_b32_e32 v0, 3, v0
	v_dual_cndmask_b32 v5, v7, v5 :: v_dual_lshlrev_b32 v4, 24, v4
	s_delay_alu instid0(VALU_DEP_2) | instskip(NEXT) | instid1(VALU_DEP_2)
	v_cndmask_b32_e32 v0, v1, v0, vcc_lo
	v_and_b32_e32 v1, 0x80000000, v4
	s_delay_alu instid0(VALU_DEP_3) | instskip(NEXT) | instid1(VALU_DEP_3)
	v_lshl_add_u32 v4, v5, 23, 0x37800000
	v_lshlrev_b32_e32 v0, 21, v0
	s_delay_alu instid0(VALU_DEP_1) | instskip(NEXT) | instid1(VALU_DEP_1)
	v_or3_b32 v0, v1, v4, v0
	v_cvt_f64_f32_e32 v[0:1], v0
.LBB42_836:
	s_or_b32 exec_lo, exec_lo, s33
	s_mov_b32 s31, 0
	s_branch .LBB42_842
.LBB42_837:
	s_mov_b32 s33, -1
                                        ; implicit-def: $vgpr0_vgpr1
	s_branch .LBB42_848
.LBB42_838:
	s_or_saveexec_b32 s33, s33
	v_mov_b64_e32 v[0:1], 0x7ff8000020000000
	s_xor_b32 exec_lo, exec_lo, s33
	s_cbranch_execz .LBB42_821
.LBB42_839:
	v_cmp_ne_u16_e32 vcc_lo, 0, v4
	v_mov_b64_e32 v[0:1], 0
	s_and_not1_b32 s31, s31, exec_lo
	s_and_b32 s34, vcc_lo, exec_lo
	s_delay_alu instid0(SALU_CYCLE_1)
	s_or_b32 s31, s31, s34
	s_or_b32 exec_lo, exec_lo, s33
	s_and_saveexec_b32 s33, s31
	s_cbranch_execnz .LBB42_822
	s_branch .LBB42_823
.LBB42_840:
	s_mov_b32 s31, -1
                                        ; implicit-def: $vgpr0_vgpr1
	s_branch .LBB42_845
.LBB42_841:
	s_mov_b32 s31, -1
                                        ; implicit-def: $vgpr0_vgpr1
.LBB42_842:
	s_delay_alu instid0(SALU_CYCLE_1)
	s_and_b32 vcc_lo, exec_lo, s31
	s_cbranch_vccz .LBB42_844
; %bb.843:
	global_load_u8 v0, v[2:3], off
	s_wait_loadcnt 0x0
	v_lshlrev_b32_e32 v0, 24, v0
	s_delay_alu instid0(VALU_DEP_1) | instskip(NEXT) | instid1(VALU_DEP_1)
	v_and_b32_e32 v1, 0x7f000000, v0
	v_clz_i32_u32_e32 v4, v1
	v_cmp_ne_u32_e32 vcc_lo, 0, v1
	v_add_nc_u32_e32 v6, 0x1000000, v1
	s_delay_alu instid0(VALU_DEP_3) | instskip(NEXT) | instid1(VALU_DEP_1)
	v_min_u32_e32 v4, 32, v4
	v_sub_nc_u32_e64 v4, v4, 4 clamp
	s_delay_alu instid0(VALU_DEP_1) | instskip(NEXT) | instid1(VALU_DEP_1)
	v_dual_lshlrev_b32 v5, v4, v1 :: v_dual_lshlrev_b32 v4, 23, v4
	v_lshrrev_b32_e32 v5, 4, v5
	s_delay_alu instid0(VALU_DEP_1) | instskip(NEXT) | instid1(VALU_DEP_1)
	v_dual_sub_nc_u32 v4, v5, v4 :: v_dual_ashrrev_i32 v5, 8, v6
	v_add_nc_u32_e32 v4, 0x3c000000, v4
	s_delay_alu instid0(VALU_DEP_1) | instskip(NEXT) | instid1(VALU_DEP_1)
	v_and_or_b32 v4, 0x7f800000, v5, v4
	v_cndmask_b32_e32 v1, 0, v4, vcc_lo
	s_delay_alu instid0(VALU_DEP_1) | instskip(NEXT) | instid1(VALU_DEP_1)
	v_and_or_b32 v0, 0x80000000, v0, v1
	v_cvt_f64_f32_e32 v[0:1], v0
.LBB42_844:
	s_mov_b32 s31, 0
.LBB42_845:
	s_delay_alu instid0(SALU_CYCLE_1)
	s_and_not1_b32 vcc_lo, exec_lo, s31
	s_cbranch_vccnz .LBB42_847
; %bb.846:
	global_load_u8 v0, v[2:3], off
	s_wait_loadcnt 0x0
	v_lshlrev_b32_e32 v1, 25, v0
	v_lshlrev_b16 v0, 8, v0
	s_delay_alu instid0(VALU_DEP_1) | instskip(SKIP_1) | instid1(VALU_DEP_2)
	v_and_or_b32 v5, 0x7f00, v0, 0.5
	v_bfe_i32 v0, v0, 0, 16
	v_add_f32_e32 v5, -0.5, v5
	v_lshrrev_b32_e32 v4, 4, v1
	v_cmp_gt_u32_e32 vcc_lo, 0x8000000, v1
	s_delay_alu instid0(VALU_DEP_2) | instskip(NEXT) | instid1(VALU_DEP_1)
	v_or_b32_e32 v4, 0x70000000, v4
	v_mul_f32_e32 v4, 0x7800000, v4
	s_delay_alu instid0(VALU_DEP_1) | instskip(NEXT) | instid1(VALU_DEP_1)
	v_cndmask_b32_e32 v1, v4, v5, vcc_lo
	v_and_or_b32 v0, 0x80000000, v0, v1
	s_delay_alu instid0(VALU_DEP_1)
	v_cvt_f64_f32_e32 v[0:1], v0
.LBB42_847:
	s_mov_b32 s33, 0
	s_mov_b32 s31, -1
.LBB42_848:
	s_and_not1_b32 vcc_lo, exec_lo, s33
	s_cbranch_vccnz .LBB42_861
; %bb.849:
	s_cmp_gt_i32 s30, 14
	s_cbranch_scc0 .LBB42_852
; %bb.850:
	s_cmp_eq_u32 s30, 15
	s_cbranch_scc0 .LBB42_855
; %bb.851:
	global_load_u16 v0, v[2:3], off
	s_mov_b32 s31, -1
	s_mov_b32 s29, 0
	s_wait_loadcnt 0x0
	v_lshlrev_b32_e32 v0, 16, v0
	s_delay_alu instid0(VALU_DEP_1)
	v_cvt_f64_f32_e32 v[0:1], v0
	s_branch .LBB42_856
.LBB42_852:
	s_mov_b32 s33, -1
                                        ; implicit-def: $vgpr0_vgpr1
	s_branch .LBB42_857
.LBB42_853:
	s_or_saveexec_b32 s33, s33
	v_mov_b64_e32 v[0:1], 0x7ff8000020000000
	s_xor_b32 exec_lo, exec_lo, s33
	s_cbranch_execz .LBB42_834
.LBB42_854:
	v_cmp_ne_u16_e32 vcc_lo, 0, v4
	v_mov_b64_e32 v[0:1], 0
	s_and_not1_b32 s31, s31, exec_lo
	s_and_b32 s34, vcc_lo, exec_lo
	s_delay_alu instid0(SALU_CYCLE_1)
	s_or_b32 s31, s31, s34
	s_or_b32 exec_lo, exec_lo, s33
	s_and_saveexec_b32 s33, s31
	s_cbranch_execnz .LBB42_835
	s_branch .LBB42_836
.LBB42_855:
	s_mov_b32 s29, -1
                                        ; implicit-def: $vgpr0_vgpr1
.LBB42_856:
	s_mov_b32 s33, 0
.LBB42_857:
	s_delay_alu instid0(SALU_CYCLE_1)
	s_and_b32 vcc_lo, exec_lo, s33
	s_cbranch_vccz .LBB42_861
; %bb.858:
	s_cmp_eq_u32 s30, 11
	s_cbranch_scc0 .LBB42_860
; %bb.859:
	global_load_u8 v0, v[2:3], off
	s_mov_b32 s29, 0
	s_mov_b32 s31, -1
	s_wait_loadcnt 0x0
	v_cmp_ne_u16_e32 vcc_lo, 0, v0
	v_mov_b32_e32 v0, 0
	v_cndmask_b32_e64 v1, 0, 0x3ff00000, vcc_lo
	s_branch .LBB42_861
.LBB42_860:
	s_mov_b32 s29, -1
                                        ; implicit-def: $vgpr0_vgpr1
.LBB42_861:
	s_mov_b32 s30, 0
.LBB42_862:
	s_delay_alu instid0(SALU_CYCLE_1)
	s_and_b32 vcc_lo, exec_lo, s30
	s_cbranch_vccz .LBB42_911
; %bb.863:
	s_and_b32 s0, 0xffff, s0
	s_delay_alu instid0(SALU_CYCLE_1)
	s_cmp_lt_i32 s0, 5
	s_cbranch_scc1 .LBB42_868
; %bb.864:
	s_cmp_lt_i32 s0, 8
	s_cbranch_scc1 .LBB42_869
; %bb.865:
	;; [unrolled: 3-line block ×3, first 2 shown]
	s_cmp_gt_i32 s0, 9
	s_cbranch_scc0 .LBB42_871
; %bb.867:
	global_load_b64 v[0:1], v[2:3], off
	s_mov_b32 s30, 0
	s_branch .LBB42_872
.LBB42_868:
	s_mov_b32 s30, -1
                                        ; implicit-def: $vgpr0_vgpr1
	s_branch .LBB42_890
.LBB42_869:
	s_mov_b32 s30, -1
                                        ; implicit-def: $vgpr0_vgpr1
	s_branch .LBB42_878
.LBB42_870:
	s_mov_b32 s30, -1
                                        ; implicit-def: $vgpr0_vgpr1
	s_branch .LBB42_875
.LBB42_871:
	s_mov_b32 s30, -1
                                        ; implicit-def: $vgpr0_vgpr1
.LBB42_872:
	s_delay_alu instid0(SALU_CYCLE_1)
	s_and_not1_b32 vcc_lo, exec_lo, s30
	s_cbranch_vccnz .LBB42_874
; %bb.873:
	s_wait_loadcnt 0x0
	global_load_b32 v0, v[2:3], off
	s_wait_loadcnt 0x0
	v_cvt_f64_f32_e32 v[0:1], v0
.LBB42_874:
	s_mov_b32 s30, 0
.LBB42_875:
	s_delay_alu instid0(SALU_CYCLE_1)
	s_and_not1_b32 vcc_lo, exec_lo, s30
	s_cbranch_vccnz .LBB42_877
; %bb.876:
	s_wait_loadcnt 0x0
	global_load_b32 v0, v[2:3], off
	s_wait_loadcnt 0x0
	v_cvt_f32_f16_e32 v0, v0
	s_delay_alu instid0(VALU_DEP_1)
	v_cvt_f64_f32_e32 v[0:1], v0
.LBB42_877:
	s_mov_b32 s30, 0
.LBB42_878:
	s_delay_alu instid0(SALU_CYCLE_1)
	s_and_not1_b32 vcc_lo, exec_lo, s30
	s_cbranch_vccnz .LBB42_889
; %bb.879:
	s_cmp_lt_i32 s0, 6
	s_cbranch_scc1 .LBB42_882
; %bb.880:
	s_cmp_gt_i32 s0, 6
	s_cbranch_scc0 .LBB42_883
; %bb.881:
	s_wait_loadcnt 0x0
	global_load_b64 v[0:1], v[2:3], off
	s_mov_b32 s30, 0
	s_branch .LBB42_884
.LBB42_882:
	s_mov_b32 s30, -1
                                        ; implicit-def: $vgpr0_vgpr1
	s_branch .LBB42_887
.LBB42_883:
	s_mov_b32 s30, -1
                                        ; implicit-def: $vgpr0_vgpr1
.LBB42_884:
	s_delay_alu instid0(SALU_CYCLE_1)
	s_and_not1_b32 vcc_lo, exec_lo, s30
	s_cbranch_vccnz .LBB42_886
; %bb.885:
	s_wait_loadcnt 0x0
	global_load_b32 v0, v[2:3], off
	s_wait_loadcnt 0x0
	v_cvt_f64_f32_e32 v[0:1], v0
.LBB42_886:
	s_mov_b32 s30, 0
.LBB42_887:
	s_delay_alu instid0(SALU_CYCLE_1)
	s_and_not1_b32 vcc_lo, exec_lo, s30
	s_cbranch_vccnz .LBB42_889
; %bb.888:
	s_wait_loadcnt 0x0
	global_load_u16 v0, v[2:3], off
	s_wait_loadcnt 0x0
	v_cvt_f32_f16_e32 v0, v0
	s_delay_alu instid0(VALU_DEP_1)
	v_cvt_f64_f32_e32 v[0:1], v0
.LBB42_889:
	s_mov_b32 s30, 0
.LBB42_890:
	s_delay_alu instid0(SALU_CYCLE_1)
	s_and_not1_b32 vcc_lo, exec_lo, s30
	s_cbranch_vccnz .LBB42_910
; %bb.891:
	s_cmp_lt_i32 s0, 2
	s_cbranch_scc1 .LBB42_895
; %bb.892:
	s_cmp_lt_i32 s0, 3
	s_cbranch_scc1 .LBB42_896
; %bb.893:
	s_cmp_gt_i32 s0, 3
	s_cbranch_scc0 .LBB42_897
; %bb.894:
	s_wait_loadcnt 0x0
	global_load_b64 v[0:1], v[2:3], off
	s_mov_b32 s30, 0
	s_wait_loadcnt 0x0
	v_cvt_f64_i32_e32 v[4:5], v1
	v_cvt_f64_u32_e32 v[0:1], v0
	s_delay_alu instid0(VALU_DEP_2) | instskip(NEXT) | instid1(VALU_DEP_1)
	v_ldexp_f64 v[4:5], v[4:5], 32
	v_add_f64_e32 v[0:1], v[4:5], v[0:1]
	s_branch .LBB42_898
.LBB42_895:
	s_mov_b32 s30, -1
                                        ; implicit-def: $vgpr0_vgpr1
	s_branch .LBB42_904
.LBB42_896:
	s_mov_b32 s30, -1
                                        ; implicit-def: $vgpr0_vgpr1
	s_branch .LBB42_901
.LBB42_897:
	s_mov_b32 s30, -1
                                        ; implicit-def: $vgpr0_vgpr1
.LBB42_898:
	s_delay_alu instid0(SALU_CYCLE_1)
	s_and_not1_b32 vcc_lo, exec_lo, s30
	s_cbranch_vccnz .LBB42_900
; %bb.899:
	s_wait_loadcnt 0x0
	global_load_b32 v0, v[2:3], off
	s_wait_loadcnt 0x0
	v_cvt_f64_i32_e32 v[0:1], v0
.LBB42_900:
	s_mov_b32 s30, 0
.LBB42_901:
	s_delay_alu instid0(SALU_CYCLE_1)
	s_and_not1_b32 vcc_lo, exec_lo, s30
	s_cbranch_vccnz .LBB42_903
; %bb.902:
	s_wait_loadcnt 0x0
	global_load_i16 v0, v[2:3], off
	s_wait_loadcnt 0x0
	v_cvt_f64_i32_e32 v[0:1], v0
.LBB42_903:
	s_mov_b32 s30, 0
.LBB42_904:
	s_delay_alu instid0(SALU_CYCLE_1)
	s_and_not1_b32 vcc_lo, exec_lo, s30
	s_cbranch_vccnz .LBB42_910
; %bb.905:
	s_cmp_gt_i32 s0, 0
	s_mov_b32 s0, 0
	s_cbranch_scc0 .LBB42_907
; %bb.906:
	s_wait_loadcnt 0x0
	global_load_i8 v0, v[2:3], off
	s_wait_loadcnt 0x0
	v_cvt_f64_i32_e32 v[0:1], v0
	s_branch .LBB42_908
.LBB42_907:
	s_mov_b32 s0, -1
                                        ; implicit-def: $vgpr0_vgpr1
.LBB42_908:
	s_delay_alu instid0(SALU_CYCLE_1)
	s_and_not1_b32 vcc_lo, exec_lo, s0
	s_cbranch_vccnz .LBB42_910
; %bb.909:
	s_wait_loadcnt 0x0
	global_load_u8 v0, v[2:3], off
	s_wait_loadcnt 0x0
	v_cvt_f64_u32_e32 v[0:1], v0
.LBB42_910:
	s_mov_b32 s31, -1
.LBB42_911:
	s_delay_alu instid0(SALU_CYCLE_1)
	s_and_not1_b32 vcc_lo, exec_lo, s31
	s_cbranch_vccnz .LBB42_919
; %bb.912:
	s_wait_xcnt 0x0
	v_mul_lo_u32 v2, v14, s14
	s_and_b32 s0, s1, 0xff
	s_delay_alu instid0(SALU_CYCLE_1) | instskip(NEXT) | instid1(VALU_DEP_1)
	s_cmp_lt_i32 s0, 11
	v_ashrrev_i32_e32 v3, 31, v2
	s_delay_alu instid0(VALU_DEP_1)
	v_add_nc_u64_e32 v[2:3], s[2:3], v[2:3]
	s_cbranch_scc1 .LBB42_920
; %bb.913:
	s_and_b32 s31, 0xffff, s0
	s_delay_alu instid0(SALU_CYCLE_1)
	s_cmp_gt_i32 s31, 25
	s_cbranch_scc0 .LBB42_921
; %bb.914:
	s_cmp_gt_i32 s31, 28
	s_cbranch_scc0 .LBB42_922
; %bb.915:
	s_cmp_gt_i32 s31, 43
	s_cbranch_scc0 .LBB42_923
; %bb.916:
	s_cmp_gt_i32 s31, 45
	s_cbranch_scc0 .LBB42_924
; %bb.917:
	s_cmp_eq_u32 s31, 46
	s_mov_b32 s34, 0
	s_cbranch_scc0 .LBB42_927
; %bb.918:
	global_load_b32 v4, v[2:3], off
	s_mov_b32 s33, -1
	s_mov_b32 s30, 0
	s_wait_loadcnt 0x0
	v_lshlrev_b32_e32 v4, 16, v4
	s_delay_alu instid0(VALU_DEP_1)
	v_cvt_f64_f32_e32 v[4:5], v4
	s_branch .LBB42_929
.LBB42_919:
	s_mov_b32 s33, 0
	s_mov_b32 s0, s25
	;; [unrolled: 1-line block ×3, first 2 shown]
	s_branch .LBB42_1170
.LBB42_920:
	s_mov_b32 s31, -1
	s_mov_b32 s33, 0
	s_mov_b32 s30, s26
                                        ; implicit-def: $vgpr4_vgpr5
	s_branch .LBB42_994
.LBB42_921:
	s_mov_b32 s34, -1
	s_mov_b32 s33, 0
	s_mov_b32 s30, s26
                                        ; implicit-def: $vgpr4_vgpr5
	s_branch .LBB42_958
.LBB42_922:
	s_mov_b32 s34, -1
	s_mov_b32 s33, 0
	s_mov_b32 s30, s26
                                        ; implicit-def: $vgpr4_vgpr5
	s_branch .LBB42_939
.LBB42_923:
	s_mov_b32 s34, -1
	s_mov_b32 s33, 0
	s_mov_b32 s30, s26
                                        ; implicit-def: $vgpr4_vgpr5
	s_branch .LBB42_934
.LBB42_924:
	s_mov_b32 s34, -1
	s_mov_b32 s33, 0
	s_mov_b32 s30, s26
	s_branch .LBB42_928
.LBB42_925:
	s_and_not1_saveexec_b32 s31, s31
	s_cbranch_execz .LBB42_700
.LBB42_926:
	v_add_f32_e64 v3, 0x42800000, |v2|
	s_and_not1_b32 s30, s30, exec_lo
	s_delay_alu instid0(VALU_DEP_1) | instskip(NEXT) | instid1(VALU_DEP_1)
	v_and_b32_e32 v3, 0xff, v3
	v_cmp_ne_u32_e32 vcc_lo, 0, v3
	s_and_b32 s33, vcc_lo, exec_lo
	s_delay_alu instid0(SALU_CYCLE_1)
	s_or_b32 s30, s30, s33
	s_or_b32 exec_lo, exec_lo, s31
	v_mov_b32_e32 v6, 0
	s_and_saveexec_b32 s31, s30
	s_cbranch_execnz .LBB42_701
	s_branch .LBB42_702
.LBB42_927:
	s_mov_b32 s30, -1
	s_mov_b32 s33, 0
.LBB42_928:
                                        ; implicit-def: $vgpr4_vgpr5
.LBB42_929:
	s_and_b32 vcc_lo, exec_lo, s34
	s_cbranch_vccz .LBB42_933
; %bb.930:
	s_cmp_eq_u32 s31, 44
	s_cbranch_scc0 .LBB42_932
; %bb.931:
	global_load_u8 v6, v[2:3], off
	s_mov_b32 s30, 0
	s_mov_b32 s33, -1
	s_wait_loadcnt 0x0
	v_cmp_ne_u32_e32 vcc_lo, 0xff, v6
	v_lshlrev_b32_e32 v4, 23, v6
	s_delay_alu instid0(VALU_DEP_1) | instskip(NEXT) | instid1(VALU_DEP_1)
	v_cvt_f64_f32_e32 v[4:5], v4
	v_cndmask_b32_e32 v4, 0x20000000, v4, vcc_lo
	s_delay_alu instid0(VALU_DEP_2) | instskip(SKIP_1) | instid1(VALU_DEP_2)
	v_cndmask_b32_e32 v5, 0x7ff80000, v5, vcc_lo
	v_cmp_ne_u32_e32 vcc_lo, 0, v6
	v_cndmask_b32_e32 v5, 0x38000000, v5, vcc_lo
	s_delay_alu instid0(VALU_DEP_4)
	v_cndmask_b32_e32 v4, 0, v4, vcc_lo
	s_branch .LBB42_933
.LBB42_932:
	s_mov_b32 s30, -1
                                        ; implicit-def: $vgpr4_vgpr5
.LBB42_933:
	s_mov_b32 s34, 0
.LBB42_934:
	s_delay_alu instid0(SALU_CYCLE_1)
	s_and_b32 vcc_lo, exec_lo, s34
	s_cbranch_vccz .LBB42_938
; %bb.935:
	s_cmp_eq_u32 s31, 29
	s_cbranch_scc0 .LBB42_937
; %bb.936:
	global_load_b64 v[4:5], v[2:3], off
	s_mov_b32 s33, -1
	s_mov_b32 s30, 0
	s_mov_b32 s34, 0
	s_wait_loadcnt 0x0
	v_cvt_f64_u32_e32 v[6:7], v5
	v_cvt_f64_u32_e32 v[4:5], v4
	s_delay_alu instid0(VALU_DEP_2) | instskip(NEXT) | instid1(VALU_DEP_1)
	v_ldexp_f64 v[6:7], v[6:7], 32
	v_add_f64_e32 v[4:5], v[6:7], v[4:5]
	s_branch .LBB42_939
.LBB42_937:
	s_mov_b32 s30, -1
                                        ; implicit-def: $vgpr4_vgpr5
.LBB42_938:
	s_mov_b32 s34, 0
.LBB42_939:
	s_delay_alu instid0(SALU_CYCLE_1)
	s_and_b32 vcc_lo, exec_lo, s34
	s_cbranch_vccz .LBB42_957
; %bb.940:
	s_cmp_lt_i32 s31, 27
	s_cbranch_scc1 .LBB42_943
; %bb.941:
	s_cmp_gt_i32 s31, 27
	s_cbranch_scc0 .LBB42_944
; %bb.942:
	global_load_b32 v4, v[2:3], off
	s_mov_b32 s33, 0
	s_wait_loadcnt 0x0
	v_cvt_f64_u32_e32 v[4:5], v4
	s_branch .LBB42_945
.LBB42_943:
	s_mov_b32 s33, -1
                                        ; implicit-def: $vgpr4_vgpr5
	s_branch .LBB42_948
.LBB42_944:
	s_mov_b32 s33, -1
                                        ; implicit-def: $vgpr4_vgpr5
.LBB42_945:
	s_delay_alu instid0(SALU_CYCLE_1)
	s_and_not1_b32 vcc_lo, exec_lo, s33
	s_cbranch_vccnz .LBB42_947
; %bb.946:
	global_load_u16 v4, v[2:3], off
	s_wait_loadcnt 0x0
	v_cvt_f64_u32_e32 v[4:5], v4
.LBB42_947:
	s_mov_b32 s33, 0
.LBB42_948:
	s_delay_alu instid0(SALU_CYCLE_1)
	s_and_not1_b32 vcc_lo, exec_lo, s33
	s_cbranch_vccnz .LBB42_956
; %bb.949:
	global_load_u8 v6, v[2:3], off
	s_mov_b32 s33, 0
	s_mov_b32 s34, exec_lo
	s_wait_loadcnt 0x0
	v_cmpx_lt_i16_e32 0x7f, v6
	s_xor_b32 s34, exec_lo, s34
	s_cbranch_execz .LBB42_970
; %bb.950:
	s_mov_b32 s33, -1
	s_mov_b32 s35, exec_lo
	v_cmpx_eq_u16_e32 0x80, v6
; %bb.951:
	s_xor_b32 s33, exec_lo, -1
; %bb.952:
	s_or_b32 exec_lo, exec_lo, s35
	s_delay_alu instid0(SALU_CYCLE_1)
	s_and_b32 s33, s33, exec_lo
	s_or_saveexec_b32 s34, s34
	v_mov_b64_e32 v[4:5], 0x7ff8000020000000
	s_xor_b32 exec_lo, exec_lo, s34
	s_cbranch_execnz .LBB42_971
.LBB42_953:
	s_or_b32 exec_lo, exec_lo, s34
	s_and_saveexec_b32 s34, s33
	s_cbranch_execz .LBB42_955
.LBB42_954:
	v_and_b32_e32 v4, 0xffff, v6
	s_delay_alu instid0(VALU_DEP_1) | instskip(SKIP_1) | instid1(VALU_DEP_2)
	v_and_b32_e32 v5, 7, v4
	v_bfe_u32 v9, v4, 3, 4
	v_clz_i32_u32_e32 v7, v5
	s_delay_alu instid0(VALU_DEP_2) | instskip(NEXT) | instid1(VALU_DEP_2)
	v_cmp_eq_u32_e32 vcc_lo, 0, v9
	v_min_u32_e32 v7, 32, v7
	s_delay_alu instid0(VALU_DEP_1) | instskip(NEXT) | instid1(VALU_DEP_1)
	v_subrev_nc_u32_e32 v8, 28, v7
	v_dual_lshlrev_b32 v4, v8, v4 :: v_dual_sub_nc_u32 v7, 29, v7
	s_delay_alu instid0(VALU_DEP_1) | instskip(NEXT) | instid1(VALU_DEP_2)
	v_dual_lshlrev_b32 v6, 24, v6 :: v_dual_bitop2_b32 v4, 7, v4 bitop3:0x40
	v_cndmask_b32_e32 v7, v9, v7, vcc_lo
	s_delay_alu instid0(VALU_DEP_2) | instskip(NEXT) | instid1(VALU_DEP_3)
	v_cndmask_b32_e32 v4, v5, v4, vcc_lo
	v_and_b32_e32 v5, 0x80000000, v6
	s_delay_alu instid0(VALU_DEP_3) | instskip(NEXT) | instid1(VALU_DEP_3)
	v_lshl_add_u32 v6, v7, 23, 0x3b800000
	v_lshlrev_b32_e32 v4, 20, v4
	s_delay_alu instid0(VALU_DEP_1) | instskip(NEXT) | instid1(VALU_DEP_1)
	v_or3_b32 v4, v5, v6, v4
	v_cvt_f64_f32_e32 v[4:5], v4
.LBB42_955:
	s_or_b32 exec_lo, exec_lo, s34
.LBB42_956:
	s_mov_b32 s33, -1
.LBB42_957:
	s_mov_b32 s34, 0
.LBB42_958:
	s_delay_alu instid0(SALU_CYCLE_1)
	s_and_b32 vcc_lo, exec_lo, s34
	s_cbranch_vccz .LBB42_993
; %bb.959:
	s_cmp_gt_i32 s31, 22
	s_cbranch_scc0 .LBB42_969
; %bb.960:
	s_cmp_lt_i32 s31, 24
	s_cbranch_scc1 .LBB42_972
; %bb.961:
	s_cmp_gt_i32 s31, 24
	s_cbranch_scc0 .LBB42_973
; %bb.962:
	global_load_u8 v6, v[2:3], off
	s_mov_b32 s33, 0
	s_mov_b32 s34, exec_lo
	s_wait_loadcnt 0x0
	v_cmpx_lt_i16_e32 0x7f, v6
	s_xor_b32 s34, exec_lo, s34
	s_cbranch_execz .LBB42_985
; %bb.963:
	s_mov_b32 s33, -1
	s_mov_b32 s35, exec_lo
	v_cmpx_eq_u16_e32 0x80, v6
; %bb.964:
	s_xor_b32 s33, exec_lo, -1
; %bb.965:
	s_or_b32 exec_lo, exec_lo, s35
	s_delay_alu instid0(SALU_CYCLE_1)
	s_and_b32 s33, s33, exec_lo
	s_or_saveexec_b32 s34, s34
	v_mov_b64_e32 v[4:5], 0x7ff8000020000000
	s_xor_b32 exec_lo, exec_lo, s34
	s_cbranch_execnz .LBB42_986
.LBB42_966:
	s_or_b32 exec_lo, exec_lo, s34
	s_and_saveexec_b32 s34, s33
	s_cbranch_execz .LBB42_968
.LBB42_967:
	v_and_b32_e32 v4, 0xffff, v6
	s_delay_alu instid0(VALU_DEP_1) | instskip(SKIP_1) | instid1(VALU_DEP_2)
	v_and_b32_e32 v5, 3, v4
	v_bfe_u32 v9, v4, 2, 5
	v_clz_i32_u32_e32 v7, v5
	s_delay_alu instid0(VALU_DEP_2) | instskip(NEXT) | instid1(VALU_DEP_2)
	v_cmp_eq_u32_e32 vcc_lo, 0, v9
	v_min_u32_e32 v7, 32, v7
	s_delay_alu instid0(VALU_DEP_1) | instskip(NEXT) | instid1(VALU_DEP_1)
	v_subrev_nc_u32_e32 v8, 29, v7
	v_dual_lshlrev_b32 v4, v8, v4 :: v_dual_sub_nc_u32 v7, 30, v7
	s_delay_alu instid0(VALU_DEP_1) | instskip(NEXT) | instid1(VALU_DEP_2)
	v_dual_lshlrev_b32 v6, 24, v6 :: v_dual_bitop2_b32 v4, 3, v4 bitop3:0x40
	v_cndmask_b32_e32 v7, v9, v7, vcc_lo
	s_delay_alu instid0(VALU_DEP_2) | instskip(NEXT) | instid1(VALU_DEP_3)
	v_cndmask_b32_e32 v4, v5, v4, vcc_lo
	v_and_b32_e32 v5, 0x80000000, v6
	s_delay_alu instid0(VALU_DEP_3) | instskip(NEXT) | instid1(VALU_DEP_3)
	v_lshl_add_u32 v6, v7, 23, 0x37800000
	v_lshlrev_b32_e32 v4, 21, v4
	s_delay_alu instid0(VALU_DEP_1) | instskip(NEXT) | instid1(VALU_DEP_1)
	v_or3_b32 v4, v5, v6, v4
	v_cvt_f64_f32_e32 v[4:5], v4
.LBB42_968:
	s_or_b32 exec_lo, exec_lo, s34
	s_mov_b32 s33, 0
	s_branch .LBB42_974
.LBB42_969:
	s_mov_b32 s34, -1
                                        ; implicit-def: $vgpr4_vgpr5
	s_branch .LBB42_980
.LBB42_970:
	s_or_saveexec_b32 s34, s34
	v_mov_b64_e32 v[4:5], 0x7ff8000020000000
	s_xor_b32 exec_lo, exec_lo, s34
	s_cbranch_execz .LBB42_953
.LBB42_971:
	v_cmp_ne_u16_e32 vcc_lo, 0, v6
	v_mov_b64_e32 v[4:5], 0
	s_and_not1_b32 s33, s33, exec_lo
	s_and_b32 s35, vcc_lo, exec_lo
	s_delay_alu instid0(SALU_CYCLE_1)
	s_or_b32 s33, s33, s35
	s_or_b32 exec_lo, exec_lo, s34
	s_and_saveexec_b32 s34, s33
	s_cbranch_execnz .LBB42_954
	s_branch .LBB42_955
.LBB42_972:
	s_mov_b32 s33, -1
                                        ; implicit-def: $vgpr4_vgpr5
	s_branch .LBB42_977
.LBB42_973:
	s_mov_b32 s33, -1
                                        ; implicit-def: $vgpr4_vgpr5
.LBB42_974:
	s_delay_alu instid0(SALU_CYCLE_1)
	s_and_b32 vcc_lo, exec_lo, s33
	s_cbranch_vccz .LBB42_976
; %bb.975:
	global_load_u8 v4, v[2:3], off
	s_wait_loadcnt 0x0
	v_lshlrev_b32_e32 v4, 24, v4
	s_delay_alu instid0(VALU_DEP_1) | instskip(NEXT) | instid1(VALU_DEP_1)
	v_and_b32_e32 v5, 0x7f000000, v4
	v_clz_i32_u32_e32 v6, v5
	v_cmp_ne_u32_e32 vcc_lo, 0, v5
	v_add_nc_u32_e32 v8, 0x1000000, v5
	s_delay_alu instid0(VALU_DEP_3) | instskip(NEXT) | instid1(VALU_DEP_1)
	v_min_u32_e32 v6, 32, v6
	v_sub_nc_u32_e64 v6, v6, 4 clamp
	s_delay_alu instid0(VALU_DEP_1) | instskip(NEXT) | instid1(VALU_DEP_1)
	v_dual_lshlrev_b32 v7, v6, v5 :: v_dual_lshlrev_b32 v6, 23, v6
	v_lshrrev_b32_e32 v7, 4, v7
	s_delay_alu instid0(VALU_DEP_1) | instskip(NEXT) | instid1(VALU_DEP_1)
	v_dual_sub_nc_u32 v6, v7, v6 :: v_dual_ashrrev_i32 v7, 8, v8
	v_add_nc_u32_e32 v6, 0x3c000000, v6
	s_delay_alu instid0(VALU_DEP_1) | instskip(NEXT) | instid1(VALU_DEP_1)
	v_and_or_b32 v6, 0x7f800000, v7, v6
	v_cndmask_b32_e32 v5, 0, v6, vcc_lo
	s_delay_alu instid0(VALU_DEP_1) | instskip(NEXT) | instid1(VALU_DEP_1)
	v_and_or_b32 v4, 0x80000000, v4, v5
	v_cvt_f64_f32_e32 v[4:5], v4
.LBB42_976:
	s_mov_b32 s33, 0
.LBB42_977:
	s_delay_alu instid0(SALU_CYCLE_1)
	s_and_not1_b32 vcc_lo, exec_lo, s33
	s_cbranch_vccnz .LBB42_979
; %bb.978:
	global_load_u8 v4, v[2:3], off
	s_wait_loadcnt 0x0
	v_lshlrev_b32_e32 v5, 25, v4
	v_lshlrev_b16 v4, 8, v4
	s_delay_alu instid0(VALU_DEP_1) | instskip(SKIP_1) | instid1(VALU_DEP_2)
	v_and_or_b32 v7, 0x7f00, v4, 0.5
	v_bfe_i32 v4, v4, 0, 16
	v_dual_add_f32 v7, -0.5, v7 :: v_dual_lshrrev_b32 v6, 4, v5
	v_cmp_gt_u32_e32 vcc_lo, 0x8000000, v5
	s_delay_alu instid0(VALU_DEP_2) | instskip(NEXT) | instid1(VALU_DEP_1)
	v_or_b32_e32 v6, 0x70000000, v6
	v_mul_f32_e32 v6, 0x7800000, v6
	s_delay_alu instid0(VALU_DEP_1) | instskip(NEXT) | instid1(VALU_DEP_1)
	v_cndmask_b32_e32 v5, v6, v7, vcc_lo
	v_and_or_b32 v4, 0x80000000, v4, v5
	s_delay_alu instid0(VALU_DEP_1)
	v_cvt_f64_f32_e32 v[4:5], v4
.LBB42_979:
	s_mov_b32 s34, 0
	s_mov_b32 s33, -1
.LBB42_980:
	s_and_not1_b32 vcc_lo, exec_lo, s34
	s_cbranch_vccnz .LBB42_993
; %bb.981:
	s_cmp_gt_i32 s31, 14
	s_cbranch_scc0 .LBB42_984
; %bb.982:
	s_cmp_eq_u32 s31, 15
	s_cbranch_scc0 .LBB42_987
; %bb.983:
	global_load_u16 v4, v[2:3], off
	s_mov_b32 s33, -1
	s_mov_b32 s30, 0
	s_wait_loadcnt 0x0
	v_lshlrev_b32_e32 v4, 16, v4
	s_delay_alu instid0(VALU_DEP_1)
	v_cvt_f64_f32_e32 v[4:5], v4
	s_branch .LBB42_988
.LBB42_984:
	s_mov_b32 s34, -1
                                        ; implicit-def: $vgpr4_vgpr5
	s_branch .LBB42_989
.LBB42_985:
	s_or_saveexec_b32 s34, s34
	v_mov_b64_e32 v[4:5], 0x7ff8000020000000
	s_xor_b32 exec_lo, exec_lo, s34
	s_cbranch_execz .LBB42_966
.LBB42_986:
	v_cmp_ne_u16_e32 vcc_lo, 0, v6
	v_mov_b64_e32 v[4:5], 0
	s_and_not1_b32 s33, s33, exec_lo
	s_and_b32 s35, vcc_lo, exec_lo
	s_delay_alu instid0(SALU_CYCLE_1)
	s_or_b32 s33, s33, s35
	s_or_b32 exec_lo, exec_lo, s34
	s_and_saveexec_b32 s34, s33
	s_cbranch_execnz .LBB42_967
	s_branch .LBB42_968
.LBB42_987:
	s_mov_b32 s30, -1
                                        ; implicit-def: $vgpr4_vgpr5
.LBB42_988:
	s_mov_b32 s34, 0
.LBB42_989:
	s_delay_alu instid0(SALU_CYCLE_1)
	s_and_b32 vcc_lo, exec_lo, s34
	s_cbranch_vccz .LBB42_993
; %bb.990:
	s_cmp_eq_u32 s31, 11
	s_cbranch_scc0 .LBB42_992
; %bb.991:
	global_load_u8 v4, v[2:3], off
	s_mov_b32 s30, 0
	s_mov_b32 s33, -1
	s_wait_loadcnt 0x0
	v_cmp_ne_u16_e32 vcc_lo, 0, v4
	v_mov_b32_e32 v4, 0
	v_cndmask_b32_e64 v5, 0, 0x3ff00000, vcc_lo
	s_branch .LBB42_993
.LBB42_992:
	s_mov_b32 s30, -1
                                        ; implicit-def: $vgpr4_vgpr5
.LBB42_993:
	s_mov_b32 s31, 0
.LBB42_994:
	s_delay_alu instid0(SALU_CYCLE_1)
	s_and_b32 vcc_lo, exec_lo, s31
	s_cbranch_vccz .LBB42_1043
; %bb.995:
	s_and_b32 s0, 0xffff, s0
	s_delay_alu instid0(SALU_CYCLE_1)
	s_cmp_lt_i32 s0, 5
	s_cbranch_scc1 .LBB42_1000
; %bb.996:
	s_cmp_lt_i32 s0, 8
	s_cbranch_scc1 .LBB42_1001
; %bb.997:
	;; [unrolled: 3-line block ×3, first 2 shown]
	s_cmp_gt_i32 s0, 9
	s_cbranch_scc0 .LBB42_1003
; %bb.999:
	global_load_b64 v[4:5], v[2:3], off
	s_mov_b32 s31, 0
	s_branch .LBB42_1004
.LBB42_1000:
	s_mov_b32 s31, -1
                                        ; implicit-def: $vgpr4_vgpr5
	s_branch .LBB42_1022
.LBB42_1001:
	s_mov_b32 s31, -1
                                        ; implicit-def: $vgpr4_vgpr5
	s_branch .LBB42_1010
.LBB42_1002:
	s_mov_b32 s31, -1
                                        ; implicit-def: $vgpr4_vgpr5
	s_branch .LBB42_1007
.LBB42_1003:
	s_mov_b32 s31, -1
                                        ; implicit-def: $vgpr4_vgpr5
.LBB42_1004:
	s_delay_alu instid0(SALU_CYCLE_1)
	s_and_not1_b32 vcc_lo, exec_lo, s31
	s_cbranch_vccnz .LBB42_1006
; %bb.1005:
	s_wait_loadcnt 0x0
	global_load_b32 v4, v[2:3], off
	s_wait_loadcnt 0x0
	v_cvt_f64_f32_e32 v[4:5], v4
.LBB42_1006:
	s_mov_b32 s31, 0
.LBB42_1007:
	s_delay_alu instid0(SALU_CYCLE_1)
	s_and_not1_b32 vcc_lo, exec_lo, s31
	s_cbranch_vccnz .LBB42_1009
; %bb.1008:
	s_wait_loadcnt 0x0
	global_load_b32 v4, v[2:3], off
	s_wait_loadcnt 0x0
	v_cvt_f32_f16_e32 v4, v4
	s_delay_alu instid0(VALU_DEP_1)
	v_cvt_f64_f32_e32 v[4:5], v4
.LBB42_1009:
	s_mov_b32 s31, 0
.LBB42_1010:
	s_delay_alu instid0(SALU_CYCLE_1)
	s_and_not1_b32 vcc_lo, exec_lo, s31
	s_cbranch_vccnz .LBB42_1021
; %bb.1011:
	s_cmp_lt_i32 s0, 6
	s_cbranch_scc1 .LBB42_1014
; %bb.1012:
	s_cmp_gt_i32 s0, 6
	s_cbranch_scc0 .LBB42_1015
; %bb.1013:
	s_wait_loadcnt 0x0
	global_load_b64 v[4:5], v[2:3], off
	s_mov_b32 s31, 0
	s_branch .LBB42_1016
.LBB42_1014:
	s_mov_b32 s31, -1
                                        ; implicit-def: $vgpr4_vgpr5
	s_branch .LBB42_1019
.LBB42_1015:
	s_mov_b32 s31, -1
                                        ; implicit-def: $vgpr4_vgpr5
.LBB42_1016:
	s_delay_alu instid0(SALU_CYCLE_1)
	s_and_not1_b32 vcc_lo, exec_lo, s31
	s_cbranch_vccnz .LBB42_1018
; %bb.1017:
	s_wait_loadcnt 0x0
	global_load_b32 v4, v[2:3], off
	s_wait_loadcnt 0x0
	v_cvt_f64_f32_e32 v[4:5], v4
.LBB42_1018:
	s_mov_b32 s31, 0
.LBB42_1019:
	s_delay_alu instid0(SALU_CYCLE_1)
	s_and_not1_b32 vcc_lo, exec_lo, s31
	s_cbranch_vccnz .LBB42_1021
; %bb.1020:
	s_wait_loadcnt 0x0
	global_load_u16 v4, v[2:3], off
	s_wait_loadcnt 0x0
	v_cvt_f32_f16_e32 v4, v4
	s_delay_alu instid0(VALU_DEP_1)
	v_cvt_f64_f32_e32 v[4:5], v4
.LBB42_1021:
	s_mov_b32 s31, 0
.LBB42_1022:
	s_delay_alu instid0(SALU_CYCLE_1)
	s_and_not1_b32 vcc_lo, exec_lo, s31
	s_cbranch_vccnz .LBB42_1042
; %bb.1023:
	s_cmp_lt_i32 s0, 2
	s_cbranch_scc1 .LBB42_1027
; %bb.1024:
	s_cmp_lt_i32 s0, 3
	s_cbranch_scc1 .LBB42_1028
; %bb.1025:
	s_cmp_gt_i32 s0, 3
	s_cbranch_scc0 .LBB42_1029
; %bb.1026:
	s_wait_loadcnt 0x0
	global_load_b64 v[4:5], v[2:3], off
	s_mov_b32 s31, 0
	s_wait_loadcnt 0x0
	v_cvt_f64_i32_e32 v[6:7], v5
	v_cvt_f64_u32_e32 v[4:5], v4
	s_delay_alu instid0(VALU_DEP_2) | instskip(NEXT) | instid1(VALU_DEP_1)
	v_ldexp_f64 v[6:7], v[6:7], 32
	v_add_f64_e32 v[4:5], v[6:7], v[4:5]
	s_branch .LBB42_1030
.LBB42_1027:
	s_mov_b32 s31, -1
                                        ; implicit-def: $vgpr4_vgpr5
	s_branch .LBB42_1036
.LBB42_1028:
	s_mov_b32 s31, -1
                                        ; implicit-def: $vgpr4_vgpr5
	s_branch .LBB42_1033
.LBB42_1029:
	s_mov_b32 s31, -1
                                        ; implicit-def: $vgpr4_vgpr5
.LBB42_1030:
	s_delay_alu instid0(SALU_CYCLE_1)
	s_and_not1_b32 vcc_lo, exec_lo, s31
	s_cbranch_vccnz .LBB42_1032
; %bb.1031:
	s_wait_loadcnt 0x0
	global_load_b32 v4, v[2:3], off
	s_wait_loadcnt 0x0
	v_cvt_f64_i32_e32 v[4:5], v4
.LBB42_1032:
	s_mov_b32 s31, 0
.LBB42_1033:
	s_delay_alu instid0(SALU_CYCLE_1)
	s_and_not1_b32 vcc_lo, exec_lo, s31
	s_cbranch_vccnz .LBB42_1035
; %bb.1034:
	s_wait_loadcnt 0x0
	global_load_i16 v4, v[2:3], off
	s_wait_loadcnt 0x0
	v_cvt_f64_i32_e32 v[4:5], v4
.LBB42_1035:
	s_mov_b32 s31, 0
.LBB42_1036:
	s_delay_alu instid0(SALU_CYCLE_1)
	s_and_not1_b32 vcc_lo, exec_lo, s31
	s_cbranch_vccnz .LBB42_1042
; %bb.1037:
	s_cmp_gt_i32 s0, 0
	s_mov_b32 s0, 0
	s_cbranch_scc0 .LBB42_1039
; %bb.1038:
	s_wait_loadcnt 0x0
	global_load_i8 v4, v[2:3], off
	s_wait_loadcnt 0x0
	v_cvt_f64_i32_e32 v[4:5], v4
	s_branch .LBB42_1040
.LBB42_1039:
	s_mov_b32 s0, -1
                                        ; implicit-def: $vgpr4_vgpr5
.LBB42_1040:
	s_delay_alu instid0(SALU_CYCLE_1)
	s_and_not1_b32 vcc_lo, exec_lo, s0
	s_cbranch_vccnz .LBB42_1042
; %bb.1041:
	global_load_u8 v2, v[2:3], off
	s_wait_loadcnt 0x0
	v_cvt_f64_u32_e32 v[4:5], v2
.LBB42_1042:
	s_mov_b32 s33, -1
.LBB42_1043:
	s_delay_alu instid0(SALU_CYCLE_1)
	s_and_not1_b32 vcc_lo, exec_lo, s33
	s_cbranch_vccnz .LBB42_1053
; %bb.1044:
	s_wait_loadcnt 0x0
	s_delay_alu instid0(VALU_DEP_1) | instskip(SKIP_1) | instid1(VALU_DEP_1)
	v_mul_f64_e32 v[2:3], s[8:9], v[4:5]
	s_mov_b32 s31, exec_lo
	v_cmpx_nlt_f64_e32 s[10:11], v[2:3]
	s_cbranch_execz .LBB42_1046
; %bb.1045:
	v_mul_f64_e32 v[4:5], 0x3ff71547652b82fe, v[2:3]
	s_mov_b64 s[34:35], 0x3e5ade156a5dcb37
	v_cmp_nlt_f64_e32 vcc_lo, 0x40900000, v[2:3]
	v_cmp_ngt_f64_e64 s0, 0xc090cc00, v[2:3]
	s_delay_alu instid0(VALU_DEP_3) | instskip(NEXT) | instid1(VALU_DEP_1)
	v_rndne_f64_e32 v[4:5], v[4:5]
	v_fmamk_f64 v[6:7], v[4:5], 0xbfe62e42fefa39ef, v[2:3]
	v_cvt_i32_f64_e32 v10, v[4:5]
	s_delay_alu instid0(VALU_DEP_2) | instskip(NEXT) | instid1(VALU_DEP_1)
	v_fmamk_f64 v[6:7], v[4:5], 0xbc7abc9e3b39803f, v[6:7]
	v_fmaak_f64 v[8:9], s[34:35], v[6:7], 0x3e928af3fca7ab0c
	s_delay_alu instid0(VALU_DEP_1) | instskip(NEXT) | instid1(VALU_DEP_1)
	v_fmaak_f64 v[8:9], v[6:7], v[8:9], 0x3ec71dee623fde64
	v_fmaak_f64 v[8:9], v[6:7], v[8:9], 0x3efa01997c89e6b0
	s_delay_alu instid0(VALU_DEP_1) | instskip(NEXT) | instid1(VALU_DEP_1)
	v_fmaak_f64 v[8:9], v[6:7], v[8:9], 0x3f2a01a014761f6e
	;; [unrolled: 3-line block ×4, first 2 shown]
	v_fmaak_f64 v[8:9], v[6:7], v[8:9], 0x3fe000000000000b
	s_delay_alu instid0(VALU_DEP_1) | instskip(NEXT) | instid1(VALU_DEP_1)
	v_fma_f64 v[8:9], v[6:7], v[8:9], 1.0
	v_fma_f64 v[4:5], v[6:7], v[8:9], 1.0
	s_delay_alu instid0(VALU_DEP_1) | instskip(NEXT) | instid1(VALU_DEP_1)
	v_ldexp_f64 v[4:5], v[4:5], v10
	v_cndmask_b32_e32 v5, 0x7ff00000, v5, vcc_lo
	s_and_b32 vcc_lo, s0, vcc_lo
	s_delay_alu instid0(VALU_DEP_1) | instid1(SALU_CYCLE_1)
	v_dual_cndmask_b32 v2, 0, v4, vcc_lo :: v_dual_cndmask_b32 v3, 0, v5, s0
	s_delay_alu instid0(VALU_DEP_1) | instskip(SKIP_1) | instid1(VALU_DEP_1)
	v_mul_f64_e32 v[0:1], v[0:1], v[2:3]
	v_add_f64_e32 v[2:3], 1.0, v[2:3]
	v_div_scale_f64 v[4:5], null, v[2:3], v[2:3], v[0:1]
	s_delay_alu instid0(VALU_DEP_1) | instskip(SKIP_1) | instid1(TRANS32_DEP_1)
	v_rcp_f64_e32 v[6:7], v[4:5]
	v_nop
	v_fma_f64 v[8:9], -v[4:5], v[6:7], 1.0
	s_delay_alu instid0(VALU_DEP_1) | instskip(NEXT) | instid1(VALU_DEP_1)
	v_fmac_f64_e32 v[6:7], v[6:7], v[8:9]
	v_fma_f64 v[8:9], -v[4:5], v[6:7], 1.0
	s_delay_alu instid0(VALU_DEP_1) | instskip(SKIP_1) | instid1(VALU_DEP_1)
	v_fmac_f64_e32 v[6:7], v[6:7], v[8:9]
	v_div_scale_f64 v[8:9], vcc_lo, v[0:1], v[2:3], v[0:1]
	v_mul_f64_e32 v[10:11], v[8:9], v[6:7]
	s_delay_alu instid0(VALU_DEP_1) | instskip(NEXT) | instid1(VALU_DEP_1)
	v_fma_f64 v[4:5], -v[4:5], v[10:11], v[8:9]
	v_div_fmas_f64 v[4:5], v[4:5], v[6:7], v[10:11]
	s_delay_alu instid0(VALU_DEP_1)
	v_div_fixup_f64 v[0:1], v[4:5], v[2:3], v[0:1]
.LBB42_1046:
	s_or_b32 exec_lo, exec_lo, s31
	v_mul_lo_u32 v2, v14, s12
	s_and_b32 s31, s15, 0xff
	s_delay_alu instid0(SALU_CYCLE_1) | instskip(NEXT) | instid1(VALU_DEP_1)
	s_cmp_lt_i32 s31, 11
	v_ashrrev_i32_e32 v3, 31, v2
	s_delay_alu instid0(VALU_DEP_1)
	v_add_nc_u64_e32 v[4:5], s[4:5], v[2:3]
	s_cbranch_scc1 .LBB42_1054
; %bb.1047:
	s_and_b32 s33, 0xffff, s31
	s_delay_alu instid0(SALU_CYCLE_1)
	s_cmp_gt_i32 s33, 25
	s_cbranch_scc0 .LBB42_1055
; %bb.1048:
	s_cmp_gt_i32 s33, 28
	s_cbranch_scc0 .LBB42_1056
; %bb.1049:
	;; [unrolled: 3-line block ×4, first 2 shown]
	s_mov_b32 s35, 0
	s_mov_b32 s0, -1
	s_cmp_eq_u32 s33, 46
	s_mov_b32 s34, 0
	s_cbranch_scc0 .LBB42_1059
; %bb.1052:
	s_delay_alu instid0(VALU_DEP_4) | instskip(SKIP_2) | instid1(VALU_DEP_1)
	v_cvt_f32_f64_e32 v2, v[0:1]
	s_mov_b32 s34, -1
	s_mov_b32 s0, 0
	v_bfe_u32 v3, v2, 16, 1
	v_cmp_o_f32_e32 vcc_lo, v2, v2
	s_delay_alu instid0(VALU_DEP_2) | instskip(NEXT) | instid1(VALU_DEP_1)
	v_add3_u32 v3, v2, v3, 0x7fff
	v_lshrrev_b32_e32 v3, 16, v3
	s_delay_alu instid0(VALU_DEP_1)
	v_cndmask_b32_e32 v2, 0x7fc0, v3, vcc_lo
	global_store_b32 v[4:5], v2, off
	s_branch .LBB42_1059
.LBB42_1053:
	s_mov_b32 s33, 0
	s_mov_b32 s0, s25
	s_branch .LBB42_1170
.LBB42_1054:
	s_mov_b32 s33, -1
	s_mov_b32 s34, 0
	s_mov_b32 s0, s25
	s_branch .LBB42_1128
.LBB42_1055:
	s_mov_b32 s35, -1
	s_mov_b32 s34, 0
	s_mov_b32 s0, s25
	s_branch .LBB42_1086
.LBB42_1056:
	s_mov_b32 s35, -1
	s_mov_b32 s34, 0
	s_mov_b32 s0, s25
	s_branch .LBB42_1069
.LBB42_1057:
	s_mov_b32 s35, -1
	s_mov_b32 s34, 0
	s_mov_b32 s0, s25
	s_branch .LBB42_1065
.LBB42_1058:
	s_mov_b32 s35, -1
	s_mov_b32 s34, 0
	s_mov_b32 s0, s25
.LBB42_1059:
	s_and_b32 vcc_lo, exec_lo, s35
	s_cbranch_vccz .LBB42_1064
; %bb.1060:
	s_cmp_eq_u32 s33, 44
	s_mov_b32 s0, -1
	s_cbranch_scc0 .LBB42_1064
; %bb.1061:
	s_wait_xcnt 0x0
	s_delay_alu instid0(VALU_DEP_4) | instskip(SKIP_2) | instid1(VALU_DEP_2)
	v_cvt_f32_f64_e32 v2, v[0:1]
	v_mov_b32_e32 v3, 0xff
	s_mov_b32 s34, exec_lo
	v_bfe_u32 v6, v2, 23, 8
	s_delay_alu instid0(VALU_DEP_1)
	v_cmpx_ne_u32_e32 0xff, v6
	s_cbranch_execz .LBB42_1063
; %bb.1062:
	v_and_b32_e32 v3, 0x400000, v2
	v_and_or_b32 v6, 0x3fffff, v2, v6
	v_lshrrev_b32_e32 v2, 23, v2
	s_delay_alu instid0(VALU_DEP_3) | instskip(NEXT) | instid1(VALU_DEP_3)
	v_cmp_ne_u32_e32 vcc_lo, 0, v3
	v_cmp_ne_u32_e64 s0, 0, v6
	s_and_b32 s0, vcc_lo, s0
	s_delay_alu instid0(SALU_CYCLE_1) | instskip(NEXT) | instid1(VALU_DEP_1)
	v_cndmask_b32_e64 v3, 0, 1, s0
	v_add_nc_u32_e32 v3, v2, v3
.LBB42_1063:
	s_or_b32 exec_lo, exec_lo, s34
	s_mov_b32 s34, -1
	s_mov_b32 s0, 0
	global_store_b8 v[4:5], v3, off
.LBB42_1064:
	s_mov_b32 s35, 0
.LBB42_1065:
	s_delay_alu instid0(SALU_CYCLE_1)
	s_and_b32 vcc_lo, exec_lo, s35
	s_cbranch_vccz .LBB42_1068
; %bb.1066:
	s_cmp_eq_u32 s33, 29
	s_mov_b32 s0, -1
	s_cbranch_scc0 .LBB42_1068
; %bb.1067:
	s_wait_xcnt 0x0
	s_delay_alu instid0(VALU_DEP_4) | instskip(SKIP_3) | instid1(VALU_DEP_1)
	v_trunc_f64_e32 v[2:3], v[0:1]
	s_mov_b32 s34, -1
	s_mov_b32 s0, 0
	s_mov_b32 s35, 0
	v_ldexp_f64 v[6:7], v[2:3], 0xffffffe0
	s_delay_alu instid0(VALU_DEP_1) | instskip(NEXT) | instid1(VALU_DEP_1)
	v_floor_f64_e32 v[6:7], v[6:7]
	v_fmamk_f64 v[2:3], v[6:7], 0xc1f00000, v[2:3]
	v_cvt_u32_f64_e32 v7, v[6:7]
	s_delay_alu instid0(VALU_DEP_2)
	v_cvt_u32_f64_e32 v6, v[2:3]
	global_store_b64 v[4:5], v[6:7], off
	s_branch .LBB42_1069
.LBB42_1068:
	s_mov_b32 s35, 0
.LBB42_1069:
	s_delay_alu instid0(SALU_CYCLE_1)
	s_and_b32 vcc_lo, exec_lo, s35
	s_cbranch_vccz .LBB42_1085
; %bb.1070:
	s_cmp_lt_i32 s33, 27
	s_mov_b32 s34, -1
	s_cbranch_scc1 .LBB42_1076
; %bb.1071:
	s_wait_xcnt 0x0
	s_delay_alu instid0(VALU_DEP_4)
	v_cvt_u32_f64_e32 v2, v[0:1]
	s_cmp_gt_i32 s33, 27
	s_cbranch_scc0 .LBB42_1073
; %bb.1072:
	s_mov_b32 s34, 0
	global_store_b32 v[4:5], v2, off
.LBB42_1073:
	s_and_not1_b32 vcc_lo, exec_lo, s34
	s_cbranch_vccnz .LBB42_1075
; %bb.1074:
	global_store_b16 v[4:5], v2, off
.LBB42_1075:
	s_mov_b32 s34, 0
.LBB42_1076:
	s_delay_alu instid0(SALU_CYCLE_1)
	s_and_not1_b32 vcc_lo, exec_lo, s34
	s_cbranch_vccnz .LBB42_1084
; %bb.1077:
	s_wait_xcnt 0x0
	s_delay_alu instid0(VALU_DEP_4) | instskip(SKIP_2) | instid1(VALU_DEP_2)
	v_cvt_f32_f64_e32 v2, v[0:1]
	v_mov_b32_e32 v6, 0x80
	s_mov_b32 s34, exec_lo
	v_and_b32_e32 v3, 0x7fffffff, v2
	s_delay_alu instid0(VALU_DEP_1)
	v_cmpx_gt_u32_e32 0x43800000, v3
	s_cbranch_execz .LBB42_1083
; %bb.1078:
	v_cmp_lt_u32_e32 vcc_lo, 0x3bffffff, v3
	s_mov_b32 s35, 0
                                        ; implicit-def: $vgpr3
	s_and_saveexec_b32 s36, vcc_lo
	s_delay_alu instid0(SALU_CYCLE_1)
	s_xor_b32 s36, exec_lo, s36
	s_cbranch_execz .LBB42_1186
; %bb.1079:
	v_bfe_u32 v3, v2, 20, 1
	s_mov_b32 s35, exec_lo
	s_delay_alu instid0(VALU_DEP_1) | instskip(NEXT) | instid1(VALU_DEP_1)
	v_add3_u32 v3, v2, v3, 0x487ffff
	v_lshrrev_b32_e32 v3, 20, v3
	s_and_not1_saveexec_b32 s36, s36
	s_cbranch_execnz .LBB42_1187
.LBB42_1080:
	s_or_b32 exec_lo, exec_lo, s36
	v_mov_b32_e32 v6, 0
	s_and_saveexec_b32 s36, s35
.LBB42_1081:
	v_lshrrev_b32_e32 v2, 24, v2
	s_delay_alu instid0(VALU_DEP_1)
	v_and_or_b32 v6, 0x80, v2, v3
.LBB42_1082:
	s_or_b32 exec_lo, exec_lo, s36
.LBB42_1083:
	s_delay_alu instid0(SALU_CYCLE_1)
	s_or_b32 exec_lo, exec_lo, s34
	global_store_b8 v[4:5], v6, off
.LBB42_1084:
	s_mov_b32 s34, -1
.LBB42_1085:
	s_mov_b32 s35, 0
.LBB42_1086:
	s_delay_alu instid0(SALU_CYCLE_1)
	s_and_b32 vcc_lo, exec_lo, s35
	s_cbranch_vccz .LBB42_1127
; %bb.1087:
	s_cmp_gt_i32 s33, 22
	s_mov_b32 s35, -1
	s_cbranch_scc0 .LBB42_1119
; %bb.1088:
	s_cmp_lt_i32 s33, 24
	s_mov_b32 s34, -1
	s_cbranch_scc1 .LBB42_1108
; %bb.1089:
	s_cmp_gt_i32 s33, 24
	s_cbranch_scc0 .LBB42_1097
; %bb.1090:
	s_wait_xcnt 0x0
	s_delay_alu instid0(VALU_DEP_4) | instskip(SKIP_2) | instid1(VALU_DEP_2)
	v_cvt_f32_f64_e32 v2, v[0:1]
	v_mov_b32_e32 v6, 0x80
	s_mov_b32 s34, exec_lo
	v_and_b32_e32 v3, 0x7fffffff, v2
	s_delay_alu instid0(VALU_DEP_1)
	v_cmpx_gt_u32_e32 0x47800000, v3
	s_cbranch_execz .LBB42_1096
; %bb.1091:
	v_cmp_lt_u32_e32 vcc_lo, 0x37ffffff, v3
	s_mov_b32 s35, 0
                                        ; implicit-def: $vgpr3
	s_and_saveexec_b32 s36, vcc_lo
	s_delay_alu instid0(SALU_CYCLE_1)
	s_xor_b32 s36, exec_lo, s36
	s_cbranch_execz .LBB42_2220
; %bb.1092:
	v_bfe_u32 v3, v2, 21, 1
	s_mov_b32 s35, exec_lo
	s_delay_alu instid0(VALU_DEP_1) | instskip(NEXT) | instid1(VALU_DEP_1)
	v_add3_u32 v3, v2, v3, 0x88fffff
	v_lshrrev_b32_e32 v3, 21, v3
	s_and_not1_saveexec_b32 s36, s36
	s_cbranch_execnz .LBB42_2221
.LBB42_1093:
	s_or_b32 exec_lo, exec_lo, s36
	v_mov_b32_e32 v6, 0
	s_and_saveexec_b32 s36, s35
.LBB42_1094:
	v_lshrrev_b32_e32 v2, 24, v2
	s_delay_alu instid0(VALU_DEP_1)
	v_and_or_b32 v6, 0x80, v2, v3
.LBB42_1095:
	s_or_b32 exec_lo, exec_lo, s36
.LBB42_1096:
	s_delay_alu instid0(SALU_CYCLE_1)
	s_or_b32 exec_lo, exec_lo, s34
	s_mov_b32 s34, 0
	global_store_b8 v[4:5], v6, off
.LBB42_1097:
	s_and_b32 vcc_lo, exec_lo, s34
	s_cbranch_vccz .LBB42_1107
; %bb.1098:
	s_wait_xcnt 0x0
	s_delay_alu instid0(VALU_DEP_4) | instskip(SKIP_1) | instid1(VALU_DEP_1)
	v_cvt_f32_f64_e32 v2, v[0:1]
	s_mov_b32 s34, exec_lo
                                        ; implicit-def: $vgpr3
	v_and_b32_e32 v6, 0x7fffffff, v2
	s_delay_alu instid0(VALU_DEP_1)
	v_cmpx_gt_u32_e32 0x43f00000, v6
	s_xor_b32 s34, exec_lo, s34
	s_cbranch_execz .LBB42_1104
; %bb.1099:
	s_mov_b32 s35, exec_lo
                                        ; implicit-def: $vgpr3
	v_cmpx_lt_u32_e32 0x3c7fffff, v6
	s_xor_b32 s35, exec_lo, s35
; %bb.1100:
	v_bfe_u32 v3, v2, 20, 1
	s_delay_alu instid0(VALU_DEP_1) | instskip(NEXT) | instid1(VALU_DEP_1)
	v_add3_u32 v3, v2, v3, 0x407ffff
	v_and_b32_e32 v6, 0xff00000, v3
	v_lshrrev_b32_e32 v3, 20, v3
	s_delay_alu instid0(VALU_DEP_2) | instskip(NEXT) | instid1(VALU_DEP_2)
	v_cmp_ne_u32_e32 vcc_lo, 0x7f00000, v6
	v_cndmask_b32_e32 v3, 0x7e, v3, vcc_lo
; %bb.1101:
	s_and_not1_saveexec_b32 s35, s35
; %bb.1102:
	v_add_f32_e64 v3, 0x46800000, |v2|
; %bb.1103:
	s_or_b32 exec_lo, exec_lo, s35
                                        ; implicit-def: $vgpr6
.LBB42_1104:
	s_and_not1_saveexec_b32 s34, s34
; %bb.1105:
	v_mov_b32_e32 v3, 0x7f
	v_cmp_lt_u32_e32 vcc_lo, 0x7f800000, v6
	s_delay_alu instid0(VALU_DEP_2)
	v_cndmask_b32_e32 v3, 0x7e, v3, vcc_lo
; %bb.1106:
	s_or_b32 exec_lo, exec_lo, s34
	v_lshrrev_b32_e32 v2, 24, v2
	s_delay_alu instid0(VALU_DEP_1)
	v_and_or_b32 v2, 0x80, v2, v3
	global_store_b8 v[4:5], v2, off
.LBB42_1107:
	s_mov_b32 s34, 0
.LBB42_1108:
	s_delay_alu instid0(SALU_CYCLE_1)
	s_and_not1_b32 vcc_lo, exec_lo, s34
	s_cbranch_vccnz .LBB42_1118
; %bb.1109:
	s_wait_xcnt 0x0
	s_delay_alu instid0(VALU_DEP_4) | instskip(SKIP_1) | instid1(VALU_DEP_1)
	v_cvt_f32_f64_e32 v2, v[0:1]
	s_mov_b32 s34, exec_lo
                                        ; implicit-def: $vgpr3
	v_and_b32_e32 v6, 0x7fffffff, v2
	s_delay_alu instid0(VALU_DEP_1)
	v_cmpx_gt_u32_e32 0x47800000, v6
	s_xor_b32 s34, exec_lo, s34
	s_cbranch_execz .LBB42_1115
; %bb.1110:
	s_mov_b32 s35, exec_lo
                                        ; implicit-def: $vgpr3
	v_cmpx_lt_u32_e32 0x387fffff, v6
	s_xor_b32 s35, exec_lo, s35
; %bb.1111:
	v_bfe_u32 v3, v2, 21, 1
	s_delay_alu instid0(VALU_DEP_1) | instskip(NEXT) | instid1(VALU_DEP_1)
	v_add3_u32 v3, v2, v3, 0x80fffff
	v_lshrrev_b32_e32 v3, 21, v3
; %bb.1112:
	s_and_not1_saveexec_b32 s35, s35
; %bb.1113:
	v_add_f32_e64 v3, 0x43000000, |v2|
; %bb.1114:
	s_or_b32 exec_lo, exec_lo, s35
                                        ; implicit-def: $vgpr6
.LBB42_1115:
	s_and_not1_saveexec_b32 s34, s34
; %bb.1116:
	v_mov_b32_e32 v3, 0x7f
	v_cmp_lt_u32_e32 vcc_lo, 0x7f800000, v6
	s_delay_alu instid0(VALU_DEP_2)
	v_cndmask_b32_e32 v3, 0x7c, v3, vcc_lo
; %bb.1117:
	s_or_b32 exec_lo, exec_lo, s34
	v_lshrrev_b32_e32 v2, 24, v2
	s_delay_alu instid0(VALU_DEP_1)
	v_and_or_b32 v2, 0x80, v2, v3
	global_store_b8 v[4:5], v2, off
.LBB42_1118:
	s_mov_b32 s35, 0
	s_mov_b32 s34, -1
.LBB42_1119:
	s_and_not1_b32 vcc_lo, exec_lo, s35
	s_cbranch_vccnz .LBB42_1127
; %bb.1120:
	s_cmp_gt_i32 s33, 14
	s_mov_b32 s35, -1
	s_cbranch_scc0 .LBB42_1124
; %bb.1121:
	s_cmp_eq_u32 s33, 15
	s_mov_b32 s0, -1
	s_cbranch_scc0 .LBB42_1123
; %bb.1122:
	s_wait_xcnt 0x0
	s_delay_alu instid0(VALU_DEP_4) | instskip(SKIP_2) | instid1(VALU_DEP_1)
	v_cvt_f32_f64_e32 v2, v[0:1]
	s_mov_b32 s34, -1
	s_mov_b32 s0, 0
	v_bfe_u32 v3, v2, 16, 1
	v_cmp_o_f32_e32 vcc_lo, v2, v2
	s_delay_alu instid0(VALU_DEP_2) | instskip(NEXT) | instid1(VALU_DEP_1)
	v_add3_u32 v3, v2, v3, 0x7fff
	v_lshrrev_b32_e32 v3, 16, v3
	s_delay_alu instid0(VALU_DEP_1)
	v_cndmask_b32_e32 v2, 0x7fc0, v3, vcc_lo
	global_store_b16 v[4:5], v2, off
.LBB42_1123:
	s_mov_b32 s35, 0
.LBB42_1124:
	s_delay_alu instid0(SALU_CYCLE_1)
	s_and_b32 vcc_lo, exec_lo, s35
	s_cbranch_vccz .LBB42_1127
; %bb.1125:
	s_cmp_eq_u32 s33, 11
	s_mov_b32 s0, -1
	s_cbranch_scc0 .LBB42_1127
; %bb.1126:
	s_delay_alu instid0(VALU_DEP_4)
	v_cmp_neq_f64_e32 vcc_lo, 0, v[0:1]
	s_mov_b32 s34, -1
	s_mov_b32 s0, 0
	s_wait_xcnt 0x0
	v_cndmask_b32_e64 v2, 0, 1, vcc_lo
	global_store_b8 v[4:5], v2, off
.LBB42_1127:
	s_mov_b32 s33, 0
.LBB42_1128:
	s_delay_alu instid0(SALU_CYCLE_1)
	s_and_b32 vcc_lo, exec_lo, s33
	s_cbranch_vccz .LBB42_1167
; %bb.1129:
	s_and_b32 s31, 0xffff, s31
	s_mov_b32 s33, -1
	s_cmp_lt_i32 s31, 5
	s_cbranch_scc1 .LBB42_1150
; %bb.1130:
	s_cmp_lt_i32 s31, 8
	s_cbranch_scc1 .LBB42_1140
; %bb.1131:
	;; [unrolled: 3-line block ×3, first 2 shown]
	s_cmp_gt_i32 s31, 9
	s_cbranch_scc0 .LBB42_1134
; %bb.1133:
	s_wait_xcnt 0x0
	v_mov_b32_e32 v2, 0
	s_mov_b32 s33, 0
	s_delay_alu instid0(VALU_DEP_1)
	v_mov_b32_e32 v3, v2
	global_store_b128 v[4:5], v[0:3], off
.LBB42_1134:
	s_and_not1_b32 vcc_lo, exec_lo, s33
	s_cbranch_vccnz .LBB42_1136
; %bb.1135:
	s_wait_xcnt 0x0
	s_delay_alu instid0(VALU_DEP_4)
	v_cvt_f32_f64_e32 v2, v[0:1]
	v_mov_b32_e32 v3, 0
	global_store_b64 v[4:5], v[2:3], off
.LBB42_1136:
	s_mov_b32 s33, 0
.LBB42_1137:
	s_delay_alu instid0(SALU_CYCLE_1)
	s_and_not1_b32 vcc_lo, exec_lo, s33
	s_cbranch_vccnz .LBB42_1139
; %bb.1138:
	s_wait_xcnt 0x0
	s_delay_alu instid0(VALU_DEP_4) | instskip(SKIP_2) | instid1(VALU_DEP_3)
	v_and_or_b32 v2, 0x1ff, v1, v0
	v_lshrrev_b32_e32 v3, 8, v1
	v_bfe_u32 v6, v1, 20, 11
	v_cmp_ne_u32_e32 vcc_lo, 0, v2
	s_delay_alu instid0(VALU_DEP_2) | instskip(SKIP_1) | instid1(VALU_DEP_1)
	v_sub_nc_u32_e32 v7, 0x3f1, v6
	v_cndmask_b32_e64 v2, 0, 1, vcc_lo
	v_and_or_b32 v2, 0xffe, v3, v2
	s_delay_alu instid0(VALU_DEP_3) | instskip(NEXT) | instid1(VALU_DEP_2)
	v_med3_i32 v3, v7, 0, 13
	v_or_b32_e32 v7, 0x1000, v2
	s_delay_alu instid0(VALU_DEP_1) | instskip(NEXT) | instid1(VALU_DEP_1)
	v_lshrrev_b32_e32 v8, v3, v7
	v_lshlrev_b32_e32 v3, v3, v8
	s_delay_alu instid0(VALU_DEP_1) | instskip(SKIP_1) | instid1(VALU_DEP_1)
	v_cmp_ne_u32_e32 vcc_lo, v3, v7
	v_cndmask_b32_e64 v3, 0, 1, vcc_lo
	v_or_b32_e32 v3, v8, v3
	v_add_nc_u32_e32 v6, 0xfffffc10, v6
	s_delay_alu instid0(VALU_DEP_1) | instskip(SKIP_1) | instid1(VALU_DEP_2)
	v_lshl_or_b32 v7, v6, 12, v2
	v_cmp_gt_i32_e32 vcc_lo, 1, v6
	v_cndmask_b32_e32 v3, v7, v3, vcc_lo
	s_delay_alu instid0(VALU_DEP_1) | instskip(NEXT) | instid1(VALU_DEP_1)
	v_dual_lshrrev_b32 v3, 2, v3 :: v_dual_bitop2_b32 v7, 7, v3 bitop3:0x40
	v_cmp_lt_i32_e32 vcc_lo, 5, v7
	v_cndmask_b32_e64 v8, 0, 1, vcc_lo
	v_cmp_eq_u32_e32 vcc_lo, 3, v7
	v_cndmask_b32_e64 v7, 0, 1, vcc_lo
	v_cmp_ne_u32_e32 vcc_lo, 0, v2
	s_delay_alu instid0(VALU_DEP_2) | instskip(NEXT) | instid1(VALU_DEP_1)
	v_or_b32_e32 v7, v7, v8
	v_dual_mov_b32 v8, 0x7e00 :: v_dual_add_nc_u32 v3, v3, v7
	s_delay_alu instid0(VALU_DEP_1) | instskip(SKIP_2) | instid1(VALU_DEP_4)
	v_cndmask_b32_e32 v2, 0x7c00, v8, vcc_lo
	v_cmp_gt_i32_e32 vcc_lo, 31, v6
	v_lshrrev_b32_e32 v7, 16, v1
	v_cndmask_b32_e32 v3, 0x7c00, v3, vcc_lo
	v_cmp_eq_u32_e32 vcc_lo, 0x40f, v6
	s_delay_alu instid0(VALU_DEP_2) | instskip(NEXT) | instid1(VALU_DEP_4)
	v_cndmask_b32_e32 v2, v3, v2, vcc_lo
	v_and_b32_e32 v3, 0x8000, v7
	s_delay_alu instid0(VALU_DEP_1)
	v_bitop3_b32 v2, v3, 0xffff, v2 bitop3:0xc8
	global_store_b32 v[4:5], v2, off
.LBB42_1139:
	s_mov_b32 s33, 0
.LBB42_1140:
	s_delay_alu instid0(SALU_CYCLE_1)
	s_and_not1_b32 vcc_lo, exec_lo, s33
	s_cbranch_vccnz .LBB42_1149
; %bb.1141:
	s_cmp_lt_i32 s31, 6
	s_mov_b32 s33, -1
	s_cbranch_scc1 .LBB42_1147
; %bb.1142:
	s_cmp_gt_i32 s31, 6
	s_cbranch_scc0 .LBB42_1144
; %bb.1143:
	s_mov_b32 s33, 0
	global_store_b64 v[4:5], v[0:1], off
.LBB42_1144:
	s_and_not1_b32 vcc_lo, exec_lo, s33
	s_cbranch_vccnz .LBB42_1146
; %bb.1145:
	s_wait_xcnt 0x0
	s_delay_alu instid0(VALU_DEP_4)
	v_cvt_f32_f64_e32 v2, v[0:1]
	global_store_b32 v[4:5], v2, off
.LBB42_1146:
	s_mov_b32 s33, 0
.LBB42_1147:
	s_delay_alu instid0(SALU_CYCLE_1)
	s_and_not1_b32 vcc_lo, exec_lo, s33
	s_cbranch_vccnz .LBB42_1149
; %bb.1148:
	s_wait_xcnt 0x0
	s_delay_alu instid0(VALU_DEP_4) | instskip(SKIP_2) | instid1(VALU_DEP_3)
	v_and_or_b32 v2, 0x1ff, v1, v0
	v_lshrrev_b32_e32 v3, 8, v1
	v_bfe_u32 v6, v1, 20, 11
	v_cmp_ne_u32_e32 vcc_lo, 0, v2
	s_delay_alu instid0(VALU_DEP_2) | instskip(SKIP_1) | instid1(VALU_DEP_1)
	v_sub_nc_u32_e32 v7, 0x3f1, v6
	v_cndmask_b32_e64 v2, 0, 1, vcc_lo
	v_and_or_b32 v2, 0xffe, v3, v2
	s_delay_alu instid0(VALU_DEP_3) | instskip(NEXT) | instid1(VALU_DEP_2)
	v_med3_i32 v3, v7, 0, 13
	v_or_b32_e32 v7, 0x1000, v2
	s_delay_alu instid0(VALU_DEP_1) | instskip(NEXT) | instid1(VALU_DEP_1)
	v_lshrrev_b32_e32 v8, v3, v7
	v_lshlrev_b32_e32 v3, v3, v8
	s_delay_alu instid0(VALU_DEP_1) | instskip(SKIP_1) | instid1(VALU_DEP_1)
	v_cmp_ne_u32_e32 vcc_lo, v3, v7
	v_cndmask_b32_e64 v3, 0, 1, vcc_lo
	v_or_b32_e32 v3, v8, v3
	v_add_nc_u32_e32 v6, 0xfffffc10, v6
	s_delay_alu instid0(VALU_DEP_1) | instskip(SKIP_1) | instid1(VALU_DEP_2)
	v_lshl_or_b32 v7, v6, 12, v2
	v_cmp_gt_i32_e32 vcc_lo, 1, v6
	v_cndmask_b32_e32 v3, v7, v3, vcc_lo
	s_delay_alu instid0(VALU_DEP_1) | instskip(NEXT) | instid1(VALU_DEP_1)
	v_dual_lshrrev_b32 v3, 2, v3 :: v_dual_bitop2_b32 v7, 7, v3 bitop3:0x40
	v_cmp_lt_i32_e32 vcc_lo, 5, v7
	v_cndmask_b32_e64 v8, 0, 1, vcc_lo
	v_cmp_eq_u32_e32 vcc_lo, 3, v7
	v_cndmask_b32_e64 v7, 0, 1, vcc_lo
	v_cmp_ne_u32_e32 vcc_lo, 0, v2
	s_delay_alu instid0(VALU_DEP_2) | instskip(NEXT) | instid1(VALU_DEP_1)
	v_or_b32_e32 v7, v7, v8
	v_dual_mov_b32 v8, 0x7e00 :: v_dual_add_nc_u32 v3, v3, v7
	s_delay_alu instid0(VALU_DEP_1) | instskip(SKIP_1) | instid1(VALU_DEP_3)
	v_cndmask_b32_e32 v2, 0x7c00, v8, vcc_lo
	v_cmp_gt_i32_e32 vcc_lo, 31, v6
	v_cndmask_b32_e32 v3, 0x7c00, v3, vcc_lo
	v_cmp_eq_u32_e32 vcc_lo, 0x40f, v6
	s_delay_alu instid0(VALU_DEP_2) | instskip(NEXT) | instid1(VALU_DEP_1)
	v_dual_cndmask_b32 v2, v3, v2 :: v_dual_lshrrev_b32 v3, 16, v1
	v_and_or_b32 v2, 0x8000, v3, v2
	global_store_b16 v[4:5], v2, off
.LBB42_1149:
	s_mov_b32 s33, 0
.LBB42_1150:
	s_delay_alu instid0(SALU_CYCLE_1)
	s_and_not1_b32 vcc_lo, exec_lo, s33
	s_cbranch_vccnz .LBB42_1166
; %bb.1151:
	s_cmp_lt_i32 s31, 2
	s_mov_b32 s33, -1
	s_cbranch_scc1 .LBB42_1161
; %bb.1152:
	s_cmp_lt_i32 s31, 3
	s_cbranch_scc1 .LBB42_1158
; %bb.1153:
	s_cmp_gt_i32 s31, 3
	s_cbranch_scc0 .LBB42_1155
; %bb.1154:
	s_wait_xcnt 0x0
	s_delay_alu instid0(VALU_DEP_4) | instskip(SKIP_1) | instid1(VALU_DEP_1)
	v_trunc_f64_e32 v[2:3], v[0:1]
	s_mov_b32 s33, 0
	v_ldexp_f64 v[6:7], v[2:3], 0xffffffe0
	s_delay_alu instid0(VALU_DEP_1) | instskip(NEXT) | instid1(VALU_DEP_1)
	v_floor_f64_e32 v[6:7], v[6:7]
	v_fmamk_f64 v[2:3], v[6:7], 0xc1f00000, v[2:3]
	v_cvt_i32_f64_e32 v7, v[6:7]
	s_delay_alu instid0(VALU_DEP_2)
	v_cvt_u32_f64_e32 v6, v[2:3]
	global_store_b64 v[4:5], v[6:7], off
.LBB42_1155:
	s_and_not1_b32 vcc_lo, exec_lo, s33
	s_cbranch_vccnz .LBB42_1157
; %bb.1156:
	s_wait_xcnt 0x0
	s_delay_alu instid0(VALU_DEP_4)
	v_cvt_i32_f64_e32 v2, v[0:1]
	global_store_b32 v[4:5], v2, off
.LBB42_1157:
	s_mov_b32 s33, 0
.LBB42_1158:
	s_delay_alu instid0(SALU_CYCLE_1)
	s_and_not1_b32 vcc_lo, exec_lo, s33
	s_cbranch_vccnz .LBB42_1160
; %bb.1159:
	s_wait_xcnt 0x0
	s_delay_alu instid0(VALU_DEP_4)
	v_cvt_i32_f64_e32 v2, v[0:1]
	global_store_b16 v[4:5], v2, off
.LBB42_1160:
	s_mov_b32 s33, 0
.LBB42_1161:
	s_delay_alu instid0(SALU_CYCLE_1)
	s_and_not1_b32 vcc_lo, exec_lo, s33
	s_cbranch_vccnz .LBB42_1166
; %bb.1162:
	s_cmp_gt_i32 s31, 0
	s_mov_b32 s31, -1
	s_cbranch_scc0 .LBB42_1164
; %bb.1163:
	s_wait_xcnt 0x0
	s_delay_alu instid0(VALU_DEP_4)
	v_cvt_i32_f64_e32 v2, v[0:1]
	s_mov_b32 s31, 0
	global_store_b8 v[4:5], v2, off
.LBB42_1164:
	s_and_not1_b32 vcc_lo, exec_lo, s31
	s_cbranch_vccnz .LBB42_1166
; %bb.1165:
	s_wait_xcnt 0x0
	s_delay_alu instid0(VALU_DEP_4) | instskip(NEXT) | instid1(VALU_DEP_1)
	v_trunc_f64_e32 v[0:1], v[0:1]
	v_ldexp_f64 v[2:3], v[0:1], 0xffffffe0
	s_delay_alu instid0(VALU_DEP_1) | instskip(NEXT) | instid1(VALU_DEP_1)
	v_floor_f64_e32 v[2:3], v[2:3]
	v_fmamk_f64 v[0:1], v[2:3], 0xc1f00000, v[0:1]
	s_delay_alu instid0(VALU_DEP_1)
	v_cvt_u32_f64_e32 v0, v[0:1]
	global_store_b8 v[4:5], v0, off
.LBB42_1166:
	s_mov_b32 s34, -1
.LBB42_1167:
	s_delay_alu instid0(SALU_CYCLE_1)
	s_and_not1_b32 vcc_lo, exec_lo, s34
	s_cbranch_vccnz .LBB42_1169
; %bb.1168:
	v_add_nc_u32_e32 v14, 0x80, v14
	s_mov_b32 s33, -1
	s_branch .LBB42_1171
.LBB42_1169:
	s_mov_b32 s33, 0
.LBB42_1170:
                                        ; implicit-def: $vgpr14
.LBB42_1171:
	s_and_not1_b32 s31, s25, exec_lo
	s_and_b32 s0, s0, exec_lo
	s_and_b32 s30, s30, exec_lo
	s_or_b32 s31, s31, s0
	s_and_not1_b32 s0, s26, exec_lo
	s_and_not1_b32 s34, s24, exec_lo
	s_and_b32 s29, s29, exec_lo
	s_or_b32 s30, s0, s30
	s_or_b32 s29, s34, s29
	s_or_not1_b32 s36, s33, exec_lo
.LBB42_1172:
	s_wait_xcnt 0x0
	s_or_b32 exec_lo, exec_lo, s28
	s_mov_b32 s33, 0
	s_mov_b32 s34, 0
	s_mov_b32 s35, 0
                                        ; implicit-def: $sgpr0
                                        ; implicit-def: $vgpr2_vgpr3
                                        ; implicit-def: $vgpr0_vgpr1
	s_and_saveexec_b32 s28, s36
	s_cbranch_execz .LBB42_1255
; %bb.1173:
	v_cmp_gt_i32_e32 vcc_lo, s20, v14
	s_mov_b32 s37, s29
	s_mov_b32 s36, 0
	;; [unrolled: 1-line block ×3, first 2 shown]
                                        ; implicit-def: $sgpr0
                                        ; implicit-def: $vgpr2_vgpr3
                                        ; implicit-def: $vgpr0_vgpr1
	s_and_saveexec_b32 s20, vcc_lo
	s_cbranch_execz .LBB42_1254
; %bb.1174:
	s_wait_loadcnt 0x0
	v_mul_lo_u32 v0, v14, s13
	s_and_b32 s0, s17, 0xff
	s_delay_alu instid0(SALU_CYCLE_1) | instskip(NEXT) | instid1(VALU_DEP_1)
	s_cmp_lt_i32 s0, 11
	v_ashrrev_i32_e32 v1, 31, v0
	s_delay_alu instid0(VALU_DEP_1)
	v_add_nc_u64_e32 v[2:3], s[6:7], v[0:1]
	s_cbranch_scc1 .LBB42_1181
; %bb.1175:
	s_and_b32 s33, 0xffff, s0
	s_delay_alu instid0(SALU_CYCLE_1)
	s_cmp_gt_i32 s33, 25
	s_cbranch_scc0 .LBB42_1182
; %bb.1176:
	s_cmp_gt_i32 s33, 28
	s_cbranch_scc0 .LBB42_1183
; %bb.1177:
	;; [unrolled: 3-line block ×4, first 2 shown]
	s_cmp_eq_u32 s33, 46
	s_mov_b32 s37, 0
	s_cbranch_scc0 .LBB42_1188
; %bb.1180:
	global_load_b32 v0, v[2:3], off
	s_mov_b32 s36, -1
	s_wait_loadcnt 0x0
	v_lshlrev_b32_e32 v0, 16, v0
	s_delay_alu instid0(VALU_DEP_1)
	v_cvt_f64_f32_e32 v[0:1], v0
	s_branch .LBB42_1190
.LBB42_1181:
	s_mov_b32 s33, -1
	s_mov_b32 s34, s29
                                        ; implicit-def: $vgpr0_vgpr1
	s_branch .LBB42_1253
.LBB42_1182:
	s_mov_b32 s37, -1
	s_mov_b32 s34, s29
                                        ; implicit-def: $vgpr0_vgpr1
	s_branch .LBB42_1219
.LBB42_1183:
	s_mov_b32 s37, -1
	s_mov_b32 s34, s29
                                        ; implicit-def: $vgpr0_vgpr1
	s_branch .LBB42_1200
.LBB42_1184:
	s_mov_b32 s37, -1
	s_mov_b32 s34, s29
                                        ; implicit-def: $vgpr0_vgpr1
	s_branch .LBB42_1195
.LBB42_1185:
	s_mov_b32 s37, -1
	s_mov_b32 s34, s29
	s_branch .LBB42_1189
.LBB42_1186:
	s_and_not1_saveexec_b32 s36, s36
	s_cbranch_execz .LBB42_1080
.LBB42_1187:
	v_add_f32_e64 v3, 0x46000000, |v2|
	s_and_not1_b32 s35, s35, exec_lo
	s_delay_alu instid0(VALU_DEP_1) | instskip(NEXT) | instid1(VALU_DEP_1)
	v_and_b32_e32 v3, 0xff, v3
	v_cmp_ne_u32_e32 vcc_lo, 0, v3
	s_and_b32 s37, vcc_lo, exec_lo
	s_delay_alu instid0(SALU_CYCLE_1)
	s_or_b32 s35, s35, s37
	s_or_b32 exec_lo, exec_lo, s36
	v_mov_b32_e32 v6, 0
	s_and_saveexec_b32 s36, s35
	s_cbranch_execnz .LBB42_1081
	s_branch .LBB42_1082
.LBB42_1188:
	s_mov_b32 s34, -1
.LBB42_1189:
                                        ; implicit-def: $vgpr0_vgpr1
.LBB42_1190:
	s_and_b32 vcc_lo, exec_lo, s37
	s_cbranch_vccz .LBB42_1194
; %bb.1191:
	s_cmp_eq_u32 s33, 44
	s_cbranch_scc0 .LBB42_1193
; %bb.1192:
	global_load_u8 v4, v[2:3], off
	s_mov_b32 s34, 0
	s_mov_b32 s36, -1
	s_wait_loadcnt 0x0
	v_cmp_ne_u32_e32 vcc_lo, 0xff, v4
	v_lshlrev_b32_e32 v0, 23, v4
	s_delay_alu instid0(VALU_DEP_1) | instskip(NEXT) | instid1(VALU_DEP_1)
	v_cvt_f64_f32_e32 v[0:1], v0
	v_cndmask_b32_e32 v0, 0x20000000, v0, vcc_lo
	s_delay_alu instid0(VALU_DEP_2) | instskip(SKIP_1) | instid1(VALU_DEP_2)
	v_cndmask_b32_e32 v1, 0x7ff80000, v1, vcc_lo
	v_cmp_ne_u32_e32 vcc_lo, 0, v4
	v_cndmask_b32_e32 v1, 0x38000000, v1, vcc_lo
	s_delay_alu instid0(VALU_DEP_4)
	v_cndmask_b32_e32 v0, 0, v0, vcc_lo
	s_branch .LBB42_1194
.LBB42_1193:
	s_mov_b32 s34, -1
                                        ; implicit-def: $vgpr0_vgpr1
.LBB42_1194:
	s_mov_b32 s37, 0
.LBB42_1195:
	s_delay_alu instid0(SALU_CYCLE_1)
	s_and_b32 vcc_lo, exec_lo, s37
	s_cbranch_vccz .LBB42_1199
; %bb.1196:
	s_cmp_eq_u32 s33, 29
	s_cbranch_scc0 .LBB42_1198
; %bb.1197:
	global_load_b64 v[0:1], v[2:3], off
	s_mov_b32 s34, 0
	s_mov_b32 s36, -1
	s_mov_b32 s37, 0
	s_wait_loadcnt 0x0
	v_cvt_f64_u32_e32 v[4:5], v1
	v_cvt_f64_u32_e32 v[0:1], v0
	s_delay_alu instid0(VALU_DEP_2) | instskip(NEXT) | instid1(VALU_DEP_1)
	v_ldexp_f64 v[4:5], v[4:5], 32
	v_add_f64_e32 v[0:1], v[4:5], v[0:1]
	s_branch .LBB42_1200
.LBB42_1198:
	s_mov_b32 s34, -1
                                        ; implicit-def: $vgpr0_vgpr1
.LBB42_1199:
	s_mov_b32 s37, 0
.LBB42_1200:
	s_delay_alu instid0(SALU_CYCLE_1)
	s_and_b32 vcc_lo, exec_lo, s37
	s_cbranch_vccz .LBB42_1218
; %bb.1201:
	s_cmp_lt_i32 s33, 27
	s_cbranch_scc1 .LBB42_1204
; %bb.1202:
	s_cmp_gt_i32 s33, 27
	s_cbranch_scc0 .LBB42_1205
; %bb.1203:
	global_load_b32 v0, v[2:3], off
	s_mov_b32 s36, 0
	s_wait_loadcnt 0x0
	v_cvt_f64_u32_e32 v[0:1], v0
	s_branch .LBB42_1206
.LBB42_1204:
	s_mov_b32 s36, -1
                                        ; implicit-def: $vgpr0_vgpr1
	s_branch .LBB42_1209
.LBB42_1205:
	s_mov_b32 s36, -1
                                        ; implicit-def: $vgpr0_vgpr1
.LBB42_1206:
	s_delay_alu instid0(SALU_CYCLE_1)
	s_and_not1_b32 vcc_lo, exec_lo, s36
	s_cbranch_vccnz .LBB42_1208
; %bb.1207:
	global_load_u16 v0, v[2:3], off
	s_wait_loadcnt 0x0
	v_cvt_f64_u32_e32 v[0:1], v0
.LBB42_1208:
	s_mov_b32 s36, 0
.LBB42_1209:
	s_delay_alu instid0(SALU_CYCLE_1)
	s_and_not1_b32 vcc_lo, exec_lo, s36
	s_cbranch_vccnz .LBB42_1217
; %bb.1210:
	global_load_u8 v4, v[2:3], off
	s_mov_b32 s36, 0
	s_mov_b32 s37, exec_lo
	s_wait_loadcnt 0x0
	v_cmpx_lt_i16_e32 0x7f, v4
	s_xor_b32 s37, exec_lo, s37
	s_cbranch_execz .LBB42_1231
; %bb.1211:
	s_mov_b32 s36, -1
	s_mov_b32 s38, exec_lo
	v_cmpx_eq_u16_e32 0x80, v4
; %bb.1212:
	s_xor_b32 s36, exec_lo, -1
; %bb.1213:
	s_or_b32 exec_lo, exec_lo, s38
	s_delay_alu instid0(SALU_CYCLE_1)
	s_and_b32 s36, s36, exec_lo
	s_or_saveexec_b32 s37, s37
	v_mov_b64_e32 v[0:1], 0x7ff8000020000000
	s_xor_b32 exec_lo, exec_lo, s37
	s_cbranch_execnz .LBB42_1232
.LBB42_1214:
	s_or_b32 exec_lo, exec_lo, s37
	s_and_saveexec_b32 s37, s36
	s_cbranch_execz .LBB42_1216
.LBB42_1215:
	v_and_b32_e32 v0, 0xffff, v4
	s_delay_alu instid0(VALU_DEP_1) | instskip(SKIP_1) | instid1(VALU_DEP_2)
	v_and_b32_e32 v1, 7, v0
	v_bfe_u32 v7, v0, 3, 4
	v_clz_i32_u32_e32 v5, v1
	s_delay_alu instid0(VALU_DEP_2) | instskip(NEXT) | instid1(VALU_DEP_2)
	v_cmp_eq_u32_e32 vcc_lo, 0, v7
	v_min_u32_e32 v5, 32, v5
	s_delay_alu instid0(VALU_DEP_1) | instskip(NEXT) | instid1(VALU_DEP_1)
	v_subrev_nc_u32_e32 v6, 28, v5
	v_dual_lshlrev_b32 v0, v6, v0 :: v_dual_sub_nc_u32 v5, 29, v5
	s_delay_alu instid0(VALU_DEP_1) | instskip(NEXT) | instid1(VALU_DEP_2)
	v_and_b32_e32 v0, 7, v0
	v_dual_cndmask_b32 v5, v7, v5 :: v_dual_lshlrev_b32 v4, 24, v4
	s_delay_alu instid0(VALU_DEP_2) | instskip(NEXT) | instid1(VALU_DEP_2)
	v_cndmask_b32_e32 v0, v1, v0, vcc_lo
	v_and_b32_e32 v1, 0x80000000, v4
	s_delay_alu instid0(VALU_DEP_3) | instskip(NEXT) | instid1(VALU_DEP_3)
	v_lshl_add_u32 v4, v5, 23, 0x3b800000
	v_lshlrev_b32_e32 v0, 20, v0
	s_delay_alu instid0(VALU_DEP_1) | instskip(NEXT) | instid1(VALU_DEP_1)
	v_or3_b32 v0, v1, v4, v0
	v_cvt_f64_f32_e32 v[0:1], v0
.LBB42_1216:
	s_or_b32 exec_lo, exec_lo, s37
.LBB42_1217:
	s_mov_b32 s36, -1
.LBB42_1218:
	s_mov_b32 s37, 0
.LBB42_1219:
	s_delay_alu instid0(SALU_CYCLE_1)
	s_and_b32 vcc_lo, exec_lo, s37
	s_cbranch_vccz .LBB42_1252
; %bb.1220:
	s_cmp_gt_i32 s33, 22
	s_cbranch_scc0 .LBB42_1230
; %bb.1221:
	s_cmp_lt_i32 s33, 24
	s_cbranch_scc1 .LBB42_1233
; %bb.1222:
	s_cmp_gt_i32 s33, 24
	s_cbranch_scc0 .LBB42_1234
; %bb.1223:
	global_load_u8 v4, v[2:3], off
	s_mov_b32 s36, exec_lo
	s_wait_loadcnt 0x0
	v_cmpx_lt_i16_e32 0x7f, v4
	s_xor_b32 s36, exec_lo, s36
	s_cbranch_execz .LBB42_1246
; %bb.1224:
	s_mov_b32 s35, -1
	s_mov_b32 s37, exec_lo
	v_cmpx_eq_u16_e32 0x80, v4
; %bb.1225:
	s_xor_b32 s35, exec_lo, -1
; %bb.1226:
	s_or_b32 exec_lo, exec_lo, s37
	s_delay_alu instid0(SALU_CYCLE_1)
	s_and_b32 s35, s35, exec_lo
	s_or_saveexec_b32 s36, s36
	v_mov_b64_e32 v[0:1], 0x7ff8000020000000
	s_xor_b32 exec_lo, exec_lo, s36
	s_cbranch_execnz .LBB42_1247
.LBB42_1227:
	s_or_b32 exec_lo, exec_lo, s36
	s_and_saveexec_b32 s36, s35
	s_cbranch_execz .LBB42_1229
.LBB42_1228:
	v_and_b32_e32 v0, 0xffff, v4
	s_delay_alu instid0(VALU_DEP_1) | instskip(SKIP_1) | instid1(VALU_DEP_2)
	v_and_b32_e32 v1, 3, v0
	v_bfe_u32 v7, v0, 2, 5
	v_clz_i32_u32_e32 v5, v1
	s_delay_alu instid0(VALU_DEP_2) | instskip(NEXT) | instid1(VALU_DEP_2)
	v_cmp_eq_u32_e32 vcc_lo, 0, v7
	v_min_u32_e32 v5, 32, v5
	s_delay_alu instid0(VALU_DEP_1) | instskip(NEXT) | instid1(VALU_DEP_1)
	v_subrev_nc_u32_e32 v6, 29, v5
	v_dual_lshlrev_b32 v0, v6, v0 :: v_dual_sub_nc_u32 v5, 30, v5
	s_delay_alu instid0(VALU_DEP_1) | instskip(NEXT) | instid1(VALU_DEP_2)
	v_and_b32_e32 v0, 3, v0
	v_dual_cndmask_b32 v5, v7, v5 :: v_dual_lshlrev_b32 v4, 24, v4
	s_delay_alu instid0(VALU_DEP_2) | instskip(NEXT) | instid1(VALU_DEP_2)
	v_cndmask_b32_e32 v0, v1, v0, vcc_lo
	v_and_b32_e32 v1, 0x80000000, v4
	s_delay_alu instid0(VALU_DEP_3) | instskip(NEXT) | instid1(VALU_DEP_3)
	v_lshl_add_u32 v4, v5, 23, 0x37800000
	v_lshlrev_b32_e32 v0, 21, v0
	s_delay_alu instid0(VALU_DEP_1) | instskip(NEXT) | instid1(VALU_DEP_1)
	v_or3_b32 v0, v1, v4, v0
	v_cvt_f64_f32_e32 v[0:1], v0
.LBB42_1229:
	s_or_b32 exec_lo, exec_lo, s36
	s_mov_b32 s35, 0
	s_branch .LBB42_1235
.LBB42_1230:
	s_mov_b32 s35, -1
                                        ; implicit-def: $vgpr0_vgpr1
	s_branch .LBB42_1241
.LBB42_1231:
	s_or_saveexec_b32 s37, s37
	v_mov_b64_e32 v[0:1], 0x7ff8000020000000
	s_xor_b32 exec_lo, exec_lo, s37
	s_cbranch_execz .LBB42_1214
.LBB42_1232:
	v_cmp_ne_u16_e32 vcc_lo, 0, v4
	v_mov_b64_e32 v[0:1], 0
	s_and_not1_b32 s36, s36, exec_lo
	s_and_b32 s38, vcc_lo, exec_lo
	s_delay_alu instid0(SALU_CYCLE_1)
	s_or_b32 s36, s36, s38
	s_or_b32 exec_lo, exec_lo, s37
	s_and_saveexec_b32 s37, s36
	s_cbranch_execnz .LBB42_1215
	s_branch .LBB42_1216
.LBB42_1233:
	s_mov_b32 s35, -1
                                        ; implicit-def: $vgpr0_vgpr1
	s_branch .LBB42_1238
.LBB42_1234:
	s_mov_b32 s35, -1
                                        ; implicit-def: $vgpr0_vgpr1
.LBB42_1235:
	s_delay_alu instid0(SALU_CYCLE_1)
	s_and_b32 vcc_lo, exec_lo, s35
	s_cbranch_vccz .LBB42_1237
; %bb.1236:
	global_load_u8 v0, v[2:3], off
	s_wait_loadcnt 0x0
	v_lshlrev_b32_e32 v0, 24, v0
	s_delay_alu instid0(VALU_DEP_1) | instskip(NEXT) | instid1(VALU_DEP_1)
	v_and_b32_e32 v1, 0x7f000000, v0
	v_clz_i32_u32_e32 v4, v1
	v_cmp_ne_u32_e32 vcc_lo, 0, v1
	v_add_nc_u32_e32 v6, 0x1000000, v1
	s_delay_alu instid0(VALU_DEP_3) | instskip(NEXT) | instid1(VALU_DEP_1)
	v_min_u32_e32 v4, 32, v4
	v_sub_nc_u32_e64 v4, v4, 4 clamp
	s_delay_alu instid0(VALU_DEP_1) | instskip(NEXT) | instid1(VALU_DEP_1)
	v_dual_lshlrev_b32 v5, v4, v1 :: v_dual_lshlrev_b32 v4, 23, v4
	v_lshrrev_b32_e32 v5, 4, v5
	s_delay_alu instid0(VALU_DEP_1) | instskip(NEXT) | instid1(VALU_DEP_1)
	v_dual_sub_nc_u32 v4, v5, v4 :: v_dual_ashrrev_i32 v5, 8, v6
	v_add_nc_u32_e32 v4, 0x3c000000, v4
	s_delay_alu instid0(VALU_DEP_1) | instskip(NEXT) | instid1(VALU_DEP_1)
	v_and_or_b32 v4, 0x7f800000, v5, v4
	v_cndmask_b32_e32 v1, 0, v4, vcc_lo
	s_delay_alu instid0(VALU_DEP_1) | instskip(NEXT) | instid1(VALU_DEP_1)
	v_and_or_b32 v0, 0x80000000, v0, v1
	v_cvt_f64_f32_e32 v[0:1], v0
.LBB42_1237:
	s_mov_b32 s35, 0
.LBB42_1238:
	s_delay_alu instid0(SALU_CYCLE_1)
	s_and_not1_b32 vcc_lo, exec_lo, s35
	s_cbranch_vccnz .LBB42_1240
; %bb.1239:
	global_load_u8 v0, v[2:3], off
	s_wait_loadcnt 0x0
	v_lshlrev_b32_e32 v1, 25, v0
	v_lshlrev_b16 v0, 8, v0
	s_delay_alu instid0(VALU_DEP_1) | instskip(SKIP_1) | instid1(VALU_DEP_2)
	v_and_or_b32 v5, 0x7f00, v0, 0.5
	v_bfe_i32 v0, v0, 0, 16
	v_add_f32_e32 v5, -0.5, v5
	v_lshrrev_b32_e32 v4, 4, v1
	v_cmp_gt_u32_e32 vcc_lo, 0x8000000, v1
	s_delay_alu instid0(VALU_DEP_2) | instskip(NEXT) | instid1(VALU_DEP_1)
	v_or_b32_e32 v4, 0x70000000, v4
	v_mul_f32_e32 v4, 0x7800000, v4
	s_delay_alu instid0(VALU_DEP_1) | instskip(NEXT) | instid1(VALU_DEP_1)
	v_cndmask_b32_e32 v1, v4, v5, vcc_lo
	v_and_or_b32 v0, 0x80000000, v0, v1
	s_delay_alu instid0(VALU_DEP_1)
	v_cvt_f64_f32_e32 v[0:1], v0
.LBB42_1240:
	s_mov_b32 s35, 0
	s_mov_b32 s36, -1
.LBB42_1241:
	s_and_not1_b32 vcc_lo, exec_lo, s35
	s_mov_b32 s35, 0
	s_cbranch_vccnz .LBB42_1252
; %bb.1242:
	s_cmp_gt_i32 s33, 14
	s_cbranch_scc0 .LBB42_1245
; %bb.1243:
	s_cmp_eq_u32 s33, 15
	s_cbranch_scc0 .LBB42_1248
; %bb.1244:
	global_load_u16 v0, v[2:3], off
	s_mov_b32 s34, 0
	s_mov_b32 s36, -1
	s_wait_loadcnt 0x0
	v_lshlrev_b32_e32 v0, 16, v0
	s_delay_alu instid0(VALU_DEP_1)
	v_cvt_f64_f32_e32 v[0:1], v0
	s_branch .LBB42_1250
.LBB42_1245:
	s_mov_b32 s35, -1
	s_branch .LBB42_1249
.LBB42_1246:
	s_or_saveexec_b32 s36, s36
	v_mov_b64_e32 v[0:1], 0x7ff8000020000000
	s_xor_b32 exec_lo, exec_lo, s36
	s_cbranch_execz .LBB42_1227
.LBB42_1247:
	v_cmp_ne_u16_e32 vcc_lo, 0, v4
	v_mov_b64_e32 v[0:1], 0
	s_and_not1_b32 s35, s35, exec_lo
	s_and_b32 s37, vcc_lo, exec_lo
	s_delay_alu instid0(SALU_CYCLE_1)
	s_or_b32 s35, s35, s37
	s_or_b32 exec_lo, exec_lo, s36
	s_and_saveexec_b32 s36, s35
	s_cbranch_execnz .LBB42_1228
	s_branch .LBB42_1229
.LBB42_1248:
	s_mov_b32 s34, -1
.LBB42_1249:
                                        ; implicit-def: $vgpr0_vgpr1
.LBB42_1250:
	s_and_b32 vcc_lo, exec_lo, s35
	s_mov_b32 s35, 0
	s_cbranch_vccz .LBB42_1252
; %bb.1251:
	s_cmp_lg_u32 s33, 11
	s_mov_b32 s35, -1
	s_cselect_b32 s33, -1, 0
	s_and_not1_b32 s34, s34, exec_lo
	s_and_b32 s33, s33, exec_lo
	s_delay_alu instid0(SALU_CYCLE_1)
	s_or_b32 s34, s34, s33
.LBB42_1252:
	s_mov_b32 s33, 0
.LBB42_1253:
	s_and_not1_b32 s37, s29, exec_lo
	s_and_b32 s34, s34, exec_lo
	s_and_b32 s38, s36, exec_lo
	;; [unrolled: 1-line block ×4, first 2 shown]
	s_or_b32 s37, s37, s34
.LBB42_1254:
	s_wait_xcnt 0x0
	s_or_b32 exec_lo, exec_lo, s20
	s_delay_alu instid0(SALU_CYCLE_1)
	s_and_not1_b32 s20, s29, exec_lo
	s_and_b32 s29, s37, exec_lo
	s_and_b32 s35, s38, exec_lo
	;; [unrolled: 1-line block ×4, first 2 shown]
	s_or_b32 s29, s20, s29
.LBB42_1255:
	s_or_b32 exec_lo, exec_lo, s28
	s_delay_alu instid0(SALU_CYCLE_1)
	s_and_not1_b32 s20, s25, exec_lo
	s_and_b32 s25, s31, exec_lo
	s_and_not1_b32 s26, s26, exec_lo
	s_and_b32 s28, s30, exec_lo
	s_or_b32 s25, s20, s25
	s_and_not1_b32 s20, s24, exec_lo
	s_and_b32 s24, s29, exec_lo
	s_or_b32 s26, s26, s28
	s_and_b32 s31, s35, exec_lo
	s_and_b32 s30, s34, exec_lo
	;; [unrolled: 1-line block ×3, first 2 shown]
	s_or_b32 s24, s20, s24
.LBB42_1256:
	s_or_b32 exec_lo, exec_lo, s27
	s_delay_alu instid0(SALU_CYCLE_1)
	s_and_not1_b32 s19, s19, exec_lo
	s_and_b32 s20, s25, exec_lo
	s_and_not1_b32 s21, s21, exec_lo
	s_and_b32 s25, s26, exec_lo
	s_or_b32 s19, s19, s20
	s_and_not1_b32 s20, s22, exec_lo
	s_and_b32 s22, s24, exec_lo
	s_or_b32 s21, s21, s25
	s_and_b32 s25, s31, exec_lo
	s_and_b32 s26, s30, exec_lo
	;; [unrolled: 1-line block ×3, first 2 shown]
	s_or_b32 s22, s20, s22
	s_or_b32 exec_lo, exec_lo, s23
	s_mov_b32 s20, 0
	s_and_saveexec_b32 s23, s22
	s_cbranch_execz .LBB42_394
.LBB42_1257:
	s_mov_b32 s20, exec_lo
	s_and_not1_b32 s24, s24, exec_lo
	s_trap 2
	s_or_b32 exec_lo, exec_lo, s23
	s_and_saveexec_b32 s22, s24
	s_delay_alu instid0(SALU_CYCLE_1)
	s_xor_b32 s22, exec_lo, s22
	s_cbranch_execnz .LBB42_395
.LBB42_1258:
	s_or_b32 exec_lo, exec_lo, s22
	s_and_saveexec_b32 s22, s26
	s_cbranch_execz .LBB42_1304
.LBB42_1259:
	s_sext_i32_i16 s23, s0
	s_delay_alu instid0(SALU_CYCLE_1)
	s_cmp_lt_i32 s23, 5
	s_cbranch_scc1 .LBB42_1264
; %bb.1260:
	s_cmp_lt_i32 s23, 8
	s_cbranch_scc1 .LBB42_1265
; %bb.1261:
	;; [unrolled: 3-line block ×3, first 2 shown]
	s_cmp_gt_i32 s23, 9
	s_cbranch_scc0 .LBB42_1267
; %bb.1263:
	s_wait_loadcnt 0x0
	global_load_b64 v[0:1], v[2:3], off
	s_mov_b32 s23, 0
	s_branch .LBB42_1268
.LBB42_1264:
                                        ; implicit-def: $vgpr0_vgpr1
	s_branch .LBB42_1285
.LBB42_1265:
                                        ; implicit-def: $vgpr0_vgpr1
	s_branch .LBB42_1274
.LBB42_1266:
	s_mov_b32 s23, -1
                                        ; implicit-def: $vgpr0_vgpr1
	s_branch .LBB42_1271
.LBB42_1267:
	s_mov_b32 s23, -1
                                        ; implicit-def: $vgpr0_vgpr1
.LBB42_1268:
	s_delay_alu instid0(SALU_CYCLE_1)
	s_and_not1_b32 vcc_lo, exec_lo, s23
	s_cbranch_vccnz .LBB42_1270
; %bb.1269:
	s_wait_loadcnt 0x0
	global_load_b32 v0, v[2:3], off
	s_wait_loadcnt 0x0
	v_cvt_f64_f32_e32 v[0:1], v0
.LBB42_1270:
	s_mov_b32 s23, 0
.LBB42_1271:
	s_delay_alu instid0(SALU_CYCLE_1)
	s_and_not1_b32 vcc_lo, exec_lo, s23
	s_cbranch_vccnz .LBB42_1273
; %bb.1272:
	s_wait_loadcnt 0x0
	global_load_b32 v0, v[2:3], off
	s_wait_loadcnt 0x0
	v_cvt_f32_f16_e32 v0, v0
	s_delay_alu instid0(VALU_DEP_1)
	v_cvt_f64_f32_e32 v[0:1], v0
.LBB42_1273:
	s_cbranch_execnz .LBB42_1284
.LBB42_1274:
	s_sext_i32_i16 s23, s0
	s_delay_alu instid0(SALU_CYCLE_1)
	s_cmp_lt_i32 s23, 6
	s_cbranch_scc1 .LBB42_1277
; %bb.1275:
	s_cmp_gt_i32 s23, 6
	s_cbranch_scc0 .LBB42_1278
; %bb.1276:
	s_wait_loadcnt 0x0
	global_load_b64 v[0:1], v[2:3], off
	s_mov_b32 s23, 0
	s_branch .LBB42_1279
.LBB42_1277:
	s_mov_b32 s23, -1
                                        ; implicit-def: $vgpr0_vgpr1
	s_branch .LBB42_1282
.LBB42_1278:
	s_mov_b32 s23, -1
                                        ; implicit-def: $vgpr0_vgpr1
.LBB42_1279:
	s_delay_alu instid0(SALU_CYCLE_1)
	s_and_not1_b32 vcc_lo, exec_lo, s23
	s_cbranch_vccnz .LBB42_1281
; %bb.1280:
	s_wait_loadcnt 0x0
	global_load_b32 v0, v[2:3], off
	s_wait_loadcnt 0x0
	v_cvt_f64_f32_e32 v[0:1], v0
.LBB42_1281:
	s_mov_b32 s23, 0
.LBB42_1282:
	s_delay_alu instid0(SALU_CYCLE_1)
	s_and_not1_b32 vcc_lo, exec_lo, s23
	s_cbranch_vccnz .LBB42_1284
; %bb.1283:
	s_wait_loadcnt 0x0
	global_load_u16 v0, v[2:3], off
	s_wait_loadcnt 0x0
	v_cvt_f32_f16_e32 v0, v0
	s_delay_alu instid0(VALU_DEP_1)
	v_cvt_f64_f32_e32 v[0:1], v0
.LBB42_1284:
	s_cbranch_execnz .LBB42_1303
.LBB42_1285:
	s_sext_i32_i16 s23, s0
	s_delay_alu instid0(SALU_CYCLE_1)
	s_cmp_lt_i32 s23, 2
	s_cbranch_scc1 .LBB42_1289
; %bb.1286:
	s_cmp_lt_i32 s23, 3
	s_cbranch_scc1 .LBB42_1290
; %bb.1287:
	s_cmp_gt_i32 s23, 3
	s_cbranch_scc0 .LBB42_1291
; %bb.1288:
	s_wait_loadcnt 0x0
	global_load_b64 v[0:1], v[2:3], off
	s_mov_b32 s23, 0
	s_wait_loadcnt 0x0
	v_cvt_f64_i32_e32 v[4:5], v1
	v_cvt_f64_u32_e32 v[0:1], v0
	s_delay_alu instid0(VALU_DEP_2) | instskip(NEXT) | instid1(VALU_DEP_1)
	v_ldexp_f64 v[4:5], v[4:5], 32
	v_add_f64_e32 v[0:1], v[4:5], v[0:1]
	s_branch .LBB42_1292
.LBB42_1289:
                                        ; implicit-def: $vgpr0_vgpr1
	s_branch .LBB42_1298
.LBB42_1290:
	s_mov_b32 s23, -1
                                        ; implicit-def: $vgpr0_vgpr1
	s_branch .LBB42_1295
.LBB42_1291:
	s_mov_b32 s23, -1
                                        ; implicit-def: $vgpr0_vgpr1
.LBB42_1292:
	s_delay_alu instid0(SALU_CYCLE_1)
	s_and_not1_b32 vcc_lo, exec_lo, s23
	s_cbranch_vccnz .LBB42_1294
; %bb.1293:
	s_wait_loadcnt 0x0
	global_load_b32 v0, v[2:3], off
	s_wait_loadcnt 0x0
	v_cvt_f64_i32_e32 v[0:1], v0
.LBB42_1294:
	s_mov_b32 s23, 0
.LBB42_1295:
	s_delay_alu instid0(SALU_CYCLE_1)
	s_and_not1_b32 vcc_lo, exec_lo, s23
	s_cbranch_vccnz .LBB42_1297
; %bb.1296:
	s_wait_loadcnt 0x0
	global_load_i16 v0, v[2:3], off
	s_wait_loadcnt 0x0
	v_cvt_f64_i32_e32 v[0:1], v0
.LBB42_1297:
	s_cbranch_execnz .LBB42_1303
.LBB42_1298:
	s_sext_i32_i16 s0, s0
	s_delay_alu instid0(SALU_CYCLE_1)
	s_cmp_gt_i32 s0, 0
	s_mov_b32 s0, 0
	s_cbranch_scc0 .LBB42_1300
; %bb.1299:
	s_wait_loadcnt 0x0
	global_load_i8 v0, v[2:3], off
	s_wait_loadcnt 0x0
	v_cvt_f64_i32_e32 v[0:1], v0
	s_branch .LBB42_1301
.LBB42_1300:
	s_mov_b32 s0, -1
                                        ; implicit-def: $vgpr0_vgpr1
.LBB42_1301:
	s_delay_alu instid0(SALU_CYCLE_1)
	s_and_not1_b32 vcc_lo, exec_lo, s0
	s_cbranch_vccnz .LBB42_1303
; %bb.1302:
	s_wait_loadcnt 0x0
	global_load_u8 v0, v[2:3], off
	s_wait_loadcnt 0x0
	v_cvt_f64_u32_e32 v[0:1], v0
.LBB42_1303:
	s_or_b32 s25, s25, exec_lo
.LBB42_1304:
	s_wait_xcnt 0x0
	s_or_b32 exec_lo, exec_lo, s22
	s_mov_b32 s24, 0
	s_mov_b32 s26, 0
	;; [unrolled: 1-line block ×3, first 2 shown]
                                        ; implicit-def: $sgpr0
                                        ; implicit-def: $vgpr2_vgpr3
                                        ; implicit-def: $vgpr6_vgpr7
	s_and_saveexec_b32 s22, s25
	s_cbranch_execz .LBB42_1312
; %bb.1305:
	v_mul_lo_u32 v2, v14, s14
	s_and_b32 s0, s1, 0xff
	s_delay_alu instid0(SALU_CYCLE_1) | instskip(NEXT) | instid1(VALU_DEP_1)
	s_cmp_lt_i32 s0, 11
	v_ashrrev_i32_e32 v3, 31, v2
	s_delay_alu instid0(VALU_DEP_1)
	v_add_nc_u64_e32 v[2:3], s[2:3], v[2:3]
	s_cbranch_scc1 .LBB42_1315
; %bb.1306:
	s_and_b32 s23, 0xffff, s0
	s_mov_b32 s25, 0
	s_cmp_gt_i32 s23, 25
	s_cbranch_scc0 .LBB42_1316
; %bb.1307:
	s_cmp_gt_i32 s23, 28
	s_cbranch_scc0 .LBB42_1317
; %bb.1308:
	;; [unrolled: 3-line block ×4, first 2 shown]
	s_cmp_eq_u32 s23, 46
	s_mov_b32 s27, 0
	s_cbranch_scc0 .LBB42_1320
; %bb.1311:
	s_wait_loadcnt 0x0
	global_load_b32 v4, v[2:3], off
	s_mov_b32 s26, -1
	s_wait_loadcnt 0x0
	v_lshlrev_b32_e32 v4, 16, v4
	s_delay_alu instid0(VALU_DEP_1)
	v_cvt_f64_f32_e32 v[6:7], v4
	s_branch .LBB42_1322
.LBB42_1312:
	s_or_b32 exec_lo, exec_lo, s22
	s_and_saveexec_b32 s22, s21
	s_cbranch_execnz .LBB42_1385
.LBB42_1313:
	s_or_b32 exec_lo, exec_lo, s22
	s_and_saveexec_b32 s21, s24
	s_delay_alu instid0(SALU_CYCLE_1)
	s_xor_b32 s21, exec_lo, s21
	s_cbranch_execz .LBB42_1386
.LBB42_1314:
	s_wait_loadcnt 0x0
	global_load_u8 v4, v[2:3], off
	v_mov_b32_e32 v6, 0
	s_or_b32 s23, s23, exec_lo
	s_wait_loadcnt 0x0
	v_cmp_ne_u16_e32 vcc_lo, 0, v4
	v_cndmask_b32_e64 v7, 0, 0x3ff00000, vcc_lo
	s_wait_xcnt 0x0
	s_or_b32 exec_lo, exec_lo, s21
	s_and_saveexec_b32 s21, s26
	s_cbranch_execz .LBB42_1432
	s_branch .LBB42_1387
.LBB42_1315:
	s_mov_b32 s27, -1
	s_mov_b32 s25, 0
	s_mov_b32 s24, s21
                                        ; implicit-def: $vgpr6_vgpr7
	s_branch .LBB42_1384
.LBB42_1316:
	s_mov_b32 s24, s21
                                        ; implicit-def: $vgpr6_vgpr7
	s_cbranch_execnz .LBB42_1351
	s_branch .LBB42_1383
.LBB42_1317:
	s_mov_b32 s27, -1
	s_mov_b32 s24, s21
                                        ; implicit-def: $vgpr6_vgpr7
	s_branch .LBB42_1332
.LBB42_1318:
	s_mov_b32 s27, -1
	s_mov_b32 s24, s21
                                        ; implicit-def: $vgpr6_vgpr7
	s_branch .LBB42_1327
.LBB42_1319:
	s_mov_b32 s27, -1
	s_mov_b32 s24, s21
	s_branch .LBB42_1321
.LBB42_1320:
	s_mov_b32 s24, -1
.LBB42_1321:
                                        ; implicit-def: $vgpr6_vgpr7
.LBB42_1322:
	s_and_b32 vcc_lo, exec_lo, s27
	s_cbranch_vccz .LBB42_1326
; %bb.1323:
	s_cmp_eq_u32 s23, 44
	s_cbranch_scc0 .LBB42_1325
; %bb.1324:
	global_load_u8 v6, v[2:3], off
	s_mov_b32 s24, 0
	s_mov_b32 s26, -1
	s_wait_loadcnt 0x0
	v_cmp_ne_u32_e32 vcc_lo, 0xff, v6
	v_lshlrev_b32_e32 v4, 23, v6
	s_delay_alu instid0(VALU_DEP_1) | instskip(NEXT) | instid1(VALU_DEP_1)
	v_cvt_f64_f32_e32 v[4:5], v4
	v_cndmask_b32_e32 v4, 0x20000000, v4, vcc_lo
	s_delay_alu instid0(VALU_DEP_2) | instskip(SKIP_1) | instid1(VALU_DEP_2)
	v_cndmask_b32_e32 v5, 0x7ff80000, v5, vcc_lo
	v_cmp_ne_u32_e32 vcc_lo, 0, v6
	v_cndmask_b32_e32 v7, 0x38000000, v5, vcc_lo
	s_delay_alu instid0(VALU_DEP_4)
	v_cndmask_b32_e32 v6, 0, v4, vcc_lo
	s_branch .LBB42_1326
.LBB42_1325:
	s_mov_b32 s24, -1
                                        ; implicit-def: $vgpr6_vgpr7
.LBB42_1326:
	s_mov_b32 s27, 0
.LBB42_1327:
	s_delay_alu instid0(SALU_CYCLE_1)
	s_and_b32 vcc_lo, exec_lo, s27
	s_cbranch_vccz .LBB42_1331
; %bb.1328:
	s_cmp_eq_u32 s23, 29
	s_cbranch_scc0 .LBB42_1330
; %bb.1329:
	s_wait_loadcnt 0x0
	global_load_b64 v[4:5], v[2:3], off
	s_mov_b32 s24, 0
	s_mov_b32 s26, -1
	s_mov_b32 s27, 0
	s_wait_loadcnt 0x0
	v_cvt_f64_u32_e32 v[6:7], v5
	v_cvt_f64_u32_e32 v[4:5], v4
	s_delay_alu instid0(VALU_DEP_2) | instskip(NEXT) | instid1(VALU_DEP_1)
	v_ldexp_f64 v[6:7], v[6:7], 32
	v_add_f64_e32 v[6:7], v[6:7], v[4:5]
	s_branch .LBB42_1332
.LBB42_1330:
	s_mov_b32 s24, -1
                                        ; implicit-def: $vgpr6_vgpr7
.LBB42_1331:
	s_mov_b32 s27, 0
.LBB42_1332:
	s_delay_alu instid0(SALU_CYCLE_1)
	s_and_b32 vcc_lo, exec_lo, s27
	s_cbranch_vccz .LBB42_1350
; %bb.1333:
	s_cmp_lt_i32 s23, 27
	s_cbranch_scc1 .LBB42_1336
; %bb.1334:
	s_cmp_gt_i32 s23, 27
	s_cbranch_scc0 .LBB42_1337
; %bb.1335:
	s_wait_loadcnt 0x0
	global_load_b32 v4, v[2:3], off
	s_mov_b32 s26, 0
	s_wait_loadcnt 0x0
	v_cvt_f64_u32_e32 v[6:7], v4
	s_branch .LBB42_1338
.LBB42_1336:
	s_mov_b32 s26, -1
                                        ; implicit-def: $vgpr6_vgpr7
	s_branch .LBB42_1341
.LBB42_1337:
	s_mov_b32 s26, -1
                                        ; implicit-def: $vgpr6_vgpr7
.LBB42_1338:
	s_delay_alu instid0(SALU_CYCLE_1)
	s_and_not1_b32 vcc_lo, exec_lo, s26
	s_cbranch_vccnz .LBB42_1340
; %bb.1339:
	s_wait_loadcnt 0x0
	global_load_u16 v4, v[2:3], off
	s_wait_loadcnt 0x0
	v_cvt_f64_u32_e32 v[6:7], v4
.LBB42_1340:
	s_mov_b32 s26, 0
.LBB42_1341:
	s_delay_alu instid0(SALU_CYCLE_1)
	s_and_not1_b32 vcc_lo, exec_lo, s26
	s_cbranch_vccnz .LBB42_1349
; %bb.1342:
	s_wait_loadcnt 0x0
	global_load_u8 v4, v[2:3], off
	s_mov_b32 s26, 0
	s_mov_b32 s27, exec_lo
	s_wait_loadcnt 0x0
	v_cmpx_lt_i16_e32 0x7f, v4
	s_xor_b32 s27, exec_lo, s27
	s_cbranch_execz .LBB42_1362
; %bb.1343:
	s_mov_b32 s26, -1
	s_mov_b32 s28, exec_lo
	v_cmpx_eq_u16_e32 0x80, v4
; %bb.1344:
	s_xor_b32 s26, exec_lo, -1
; %bb.1345:
	s_or_b32 exec_lo, exec_lo, s28
	s_delay_alu instid0(SALU_CYCLE_1)
	s_and_b32 s26, s26, exec_lo
	s_or_saveexec_b32 s27, s27
	v_mov_b64_e32 v[6:7], 0x7ff8000020000000
	s_xor_b32 exec_lo, exec_lo, s27
	s_cbranch_execnz .LBB42_1363
.LBB42_1346:
	s_or_b32 exec_lo, exec_lo, s27
	s_and_saveexec_b32 s27, s26
	s_cbranch_execz .LBB42_1348
.LBB42_1347:
	v_and_b32_e32 v5, 0xffff, v4
	s_delay_alu instid0(VALU_DEP_1) | instskip(SKIP_1) | instid1(VALU_DEP_2)
	v_and_b32_e32 v6, 7, v5
	v_bfe_u32 v9, v5, 3, 4
	v_clz_i32_u32_e32 v7, v6
	s_delay_alu instid0(VALU_DEP_2) | instskip(NEXT) | instid1(VALU_DEP_2)
	v_cmp_eq_u32_e32 vcc_lo, 0, v9
	v_min_u32_e32 v7, 32, v7
	s_delay_alu instid0(VALU_DEP_1) | instskip(NEXT) | instid1(VALU_DEP_1)
	v_subrev_nc_u32_e32 v8, 28, v7
	v_dual_lshlrev_b32 v5, v8, v5 :: v_dual_sub_nc_u32 v7, 29, v7
	s_delay_alu instid0(VALU_DEP_1) | instskip(NEXT) | instid1(VALU_DEP_1)
	v_dual_lshlrev_b32 v4, 24, v4 :: v_dual_bitop2_b32 v5, 7, v5 bitop3:0x40
	v_dual_cndmask_b32 v7, v9, v7, vcc_lo :: v_dual_cndmask_b32 v5, v6, v5, vcc_lo
	s_delay_alu instid0(VALU_DEP_2) | instskip(NEXT) | instid1(VALU_DEP_2)
	v_and_b32_e32 v4, 0x80000000, v4
	v_lshl_add_u32 v6, v7, 23, 0x3b800000
	s_delay_alu instid0(VALU_DEP_3) | instskip(NEXT) | instid1(VALU_DEP_1)
	v_lshlrev_b32_e32 v5, 20, v5
	v_or3_b32 v4, v4, v6, v5
	s_delay_alu instid0(VALU_DEP_1)
	v_cvt_f64_f32_e32 v[6:7], v4
.LBB42_1348:
	s_or_b32 exec_lo, exec_lo, s27
.LBB42_1349:
	s_mov_b32 s26, -1
.LBB42_1350:
	s_branch .LBB42_1383
.LBB42_1351:
	s_cmp_gt_i32 s23, 22
	s_cbranch_scc0 .LBB42_1361
; %bb.1352:
	s_cmp_lt_i32 s23, 24
	s_cbranch_scc1 .LBB42_1364
; %bb.1353:
	s_cmp_gt_i32 s23, 24
	s_cbranch_scc0 .LBB42_1365
; %bb.1354:
	s_wait_loadcnt 0x0
	global_load_u8 v4, v[2:3], off
	s_mov_b32 s26, exec_lo
	s_wait_loadcnt 0x0
	v_cmpx_lt_i16_e32 0x7f, v4
	s_xor_b32 s26, exec_lo, s26
	s_cbranch_execz .LBB42_1377
; %bb.1355:
	s_mov_b32 s25, -1
	s_mov_b32 s27, exec_lo
	v_cmpx_eq_u16_e32 0x80, v4
; %bb.1356:
	s_xor_b32 s25, exec_lo, -1
; %bb.1357:
	s_or_b32 exec_lo, exec_lo, s27
	s_delay_alu instid0(SALU_CYCLE_1)
	s_and_b32 s25, s25, exec_lo
	s_or_saveexec_b32 s26, s26
	v_mov_b64_e32 v[6:7], 0x7ff8000020000000
	s_xor_b32 exec_lo, exec_lo, s26
	s_cbranch_execnz .LBB42_1378
.LBB42_1358:
	s_or_b32 exec_lo, exec_lo, s26
	s_and_saveexec_b32 s26, s25
	s_cbranch_execz .LBB42_1360
.LBB42_1359:
	v_and_b32_e32 v5, 0xffff, v4
	s_delay_alu instid0(VALU_DEP_1) | instskip(SKIP_1) | instid1(VALU_DEP_2)
	v_and_b32_e32 v6, 3, v5
	v_bfe_u32 v9, v5, 2, 5
	v_clz_i32_u32_e32 v7, v6
	s_delay_alu instid0(VALU_DEP_2) | instskip(NEXT) | instid1(VALU_DEP_2)
	v_cmp_eq_u32_e32 vcc_lo, 0, v9
	v_min_u32_e32 v7, 32, v7
	s_delay_alu instid0(VALU_DEP_1) | instskip(NEXT) | instid1(VALU_DEP_1)
	v_subrev_nc_u32_e32 v8, 29, v7
	v_dual_lshlrev_b32 v5, v8, v5 :: v_dual_sub_nc_u32 v7, 30, v7
	s_delay_alu instid0(VALU_DEP_1) | instskip(NEXT) | instid1(VALU_DEP_1)
	v_dual_lshlrev_b32 v4, 24, v4 :: v_dual_bitop2_b32 v5, 3, v5 bitop3:0x40
	v_dual_cndmask_b32 v7, v9, v7, vcc_lo :: v_dual_cndmask_b32 v5, v6, v5, vcc_lo
	s_delay_alu instid0(VALU_DEP_2) | instskip(NEXT) | instid1(VALU_DEP_2)
	v_and_b32_e32 v4, 0x80000000, v4
	v_lshl_add_u32 v6, v7, 23, 0x37800000
	s_delay_alu instid0(VALU_DEP_3) | instskip(NEXT) | instid1(VALU_DEP_1)
	v_lshlrev_b32_e32 v5, 21, v5
	v_or3_b32 v4, v4, v6, v5
	s_delay_alu instid0(VALU_DEP_1)
	v_cvt_f64_f32_e32 v[6:7], v4
.LBB42_1360:
	s_or_b32 exec_lo, exec_lo, s26
	s_mov_b32 s25, 0
	s_branch .LBB42_1366
.LBB42_1361:
	s_mov_b32 s25, -1
                                        ; implicit-def: $vgpr6_vgpr7
	s_branch .LBB42_1372
.LBB42_1362:
	s_or_saveexec_b32 s27, s27
	v_mov_b64_e32 v[6:7], 0x7ff8000020000000
	s_xor_b32 exec_lo, exec_lo, s27
	s_cbranch_execz .LBB42_1346
.LBB42_1363:
	v_cmp_ne_u16_e32 vcc_lo, 0, v4
	v_mov_b64_e32 v[6:7], 0
	s_and_not1_b32 s26, s26, exec_lo
	s_and_b32 s28, vcc_lo, exec_lo
	s_delay_alu instid0(SALU_CYCLE_1)
	s_or_b32 s26, s26, s28
	s_or_b32 exec_lo, exec_lo, s27
	s_and_saveexec_b32 s27, s26
	s_cbranch_execnz .LBB42_1347
	s_branch .LBB42_1348
.LBB42_1364:
	s_mov_b32 s25, -1
                                        ; implicit-def: $vgpr6_vgpr7
	s_branch .LBB42_1369
.LBB42_1365:
	s_mov_b32 s25, -1
                                        ; implicit-def: $vgpr6_vgpr7
.LBB42_1366:
	s_delay_alu instid0(SALU_CYCLE_1)
	s_and_b32 vcc_lo, exec_lo, s25
	s_cbranch_vccz .LBB42_1368
; %bb.1367:
	s_wait_loadcnt 0x0
	global_load_u8 v4, v[2:3], off
	s_wait_loadcnt 0x0
	v_lshlrev_b32_e32 v4, 24, v4
	s_delay_alu instid0(VALU_DEP_1) | instskip(NEXT) | instid1(VALU_DEP_1)
	v_and_b32_e32 v5, 0x7f000000, v4
	v_clz_i32_u32_e32 v6, v5
	v_cmp_ne_u32_e32 vcc_lo, 0, v5
	v_add_nc_u32_e32 v8, 0x1000000, v5
	s_delay_alu instid0(VALU_DEP_3) | instskip(NEXT) | instid1(VALU_DEP_1)
	v_min_u32_e32 v6, 32, v6
	v_sub_nc_u32_e64 v6, v6, 4 clamp
	s_delay_alu instid0(VALU_DEP_1) | instskip(NEXT) | instid1(VALU_DEP_1)
	v_dual_lshlrev_b32 v7, v6, v5 :: v_dual_lshlrev_b32 v6, 23, v6
	v_lshrrev_b32_e32 v7, 4, v7
	s_delay_alu instid0(VALU_DEP_1) | instskip(NEXT) | instid1(VALU_DEP_1)
	v_dual_sub_nc_u32 v6, v7, v6 :: v_dual_ashrrev_i32 v7, 8, v8
	v_add_nc_u32_e32 v6, 0x3c000000, v6
	s_delay_alu instid0(VALU_DEP_1) | instskip(NEXT) | instid1(VALU_DEP_1)
	v_and_or_b32 v6, 0x7f800000, v7, v6
	v_cndmask_b32_e32 v5, 0, v6, vcc_lo
	s_delay_alu instid0(VALU_DEP_1) | instskip(NEXT) | instid1(VALU_DEP_1)
	v_and_or_b32 v4, 0x80000000, v4, v5
	v_cvt_f64_f32_e32 v[6:7], v4
.LBB42_1368:
	s_mov_b32 s25, 0
.LBB42_1369:
	s_delay_alu instid0(SALU_CYCLE_1)
	s_and_not1_b32 vcc_lo, exec_lo, s25
	s_cbranch_vccnz .LBB42_1371
; %bb.1370:
	s_wait_loadcnt 0x0
	global_load_u8 v4, v[2:3], off
	s_wait_loadcnt 0x0
	v_lshlrev_b32_e32 v5, 25, v4
	v_lshlrev_b16 v4, 8, v4
	s_delay_alu instid0(VALU_DEP_1) | instskip(SKIP_1) | instid1(VALU_DEP_2)
	v_and_or_b32 v7, 0x7f00, v4, 0.5
	v_bfe_i32 v4, v4, 0, 16
	v_dual_add_f32 v7, -0.5, v7 :: v_dual_lshrrev_b32 v6, 4, v5
	v_cmp_gt_u32_e32 vcc_lo, 0x8000000, v5
	s_delay_alu instid0(VALU_DEP_2) | instskip(NEXT) | instid1(VALU_DEP_1)
	v_or_b32_e32 v6, 0x70000000, v6
	v_mul_f32_e32 v6, 0x7800000, v6
	s_delay_alu instid0(VALU_DEP_1) | instskip(NEXT) | instid1(VALU_DEP_1)
	v_cndmask_b32_e32 v5, v6, v7, vcc_lo
	v_and_or_b32 v4, 0x80000000, v4, v5
	s_delay_alu instid0(VALU_DEP_1)
	v_cvt_f64_f32_e32 v[6:7], v4
.LBB42_1371:
	s_mov_b32 s25, 0
	s_mov_b32 s26, -1
.LBB42_1372:
	s_and_not1_b32 vcc_lo, exec_lo, s25
	s_mov_b32 s25, 0
	s_cbranch_vccnz .LBB42_1383
; %bb.1373:
	s_cmp_gt_i32 s23, 14
	s_cbranch_scc0 .LBB42_1376
; %bb.1374:
	s_cmp_eq_u32 s23, 15
	s_cbranch_scc0 .LBB42_1379
; %bb.1375:
	s_wait_loadcnt 0x0
	global_load_u16 v4, v[2:3], off
	s_mov_b32 s24, 0
	s_mov_b32 s26, -1
	s_wait_loadcnt 0x0
	v_lshlrev_b32_e32 v4, 16, v4
	s_delay_alu instid0(VALU_DEP_1)
	v_cvt_f64_f32_e32 v[6:7], v4
	s_branch .LBB42_1381
.LBB42_1376:
	s_mov_b32 s25, -1
	s_branch .LBB42_1380
.LBB42_1377:
	s_or_saveexec_b32 s26, s26
	v_mov_b64_e32 v[6:7], 0x7ff8000020000000
	s_xor_b32 exec_lo, exec_lo, s26
	s_cbranch_execz .LBB42_1358
.LBB42_1378:
	v_cmp_ne_u16_e32 vcc_lo, 0, v4
	v_mov_b64_e32 v[6:7], 0
	s_and_not1_b32 s25, s25, exec_lo
	s_and_b32 s27, vcc_lo, exec_lo
	s_delay_alu instid0(SALU_CYCLE_1)
	s_or_b32 s25, s25, s27
	s_or_b32 exec_lo, exec_lo, s26
	s_and_saveexec_b32 s26, s25
	s_cbranch_execnz .LBB42_1359
	s_branch .LBB42_1360
.LBB42_1379:
	s_mov_b32 s24, -1
.LBB42_1380:
                                        ; implicit-def: $vgpr6_vgpr7
.LBB42_1381:
	s_and_b32 vcc_lo, exec_lo, s25
	s_mov_b32 s25, 0
	s_cbranch_vccz .LBB42_1383
; %bb.1382:
	s_cmp_lg_u32 s23, 11
	s_mov_b32 s25, -1
	s_cselect_b32 s23, -1, 0
	s_and_not1_b32 s24, s24, exec_lo
	s_and_b32 s23, s23, exec_lo
	s_delay_alu instid0(SALU_CYCLE_1)
	s_or_b32 s24, s24, s23
.LBB42_1383:
	s_mov_b32 s27, 0
.LBB42_1384:
	s_and_b32 s23, s26, exec_lo
	s_and_b32 s26, s27, exec_lo
	s_and_not1_b32 s21, s21, exec_lo
	s_and_b32 s27, s24, exec_lo
	s_and_b32 s24, s25, exec_lo
	s_or_b32 s21, s21, s27
	s_wait_xcnt 0x0
	s_or_b32 exec_lo, exec_lo, s22
	s_and_saveexec_b32 s22, s21
	s_cbranch_execz .LBB42_1313
.LBB42_1385:
	s_or_b32 s20, s20, exec_lo
	s_and_not1_b32 s24, s24, exec_lo
	s_trap 2
	s_or_b32 exec_lo, exec_lo, s22
	s_and_saveexec_b32 s21, s24
	s_delay_alu instid0(SALU_CYCLE_1)
	s_xor_b32 s21, exec_lo, s21
	s_cbranch_execnz .LBB42_1314
.LBB42_1386:
	s_or_b32 exec_lo, exec_lo, s21
	s_and_saveexec_b32 s21, s26
	s_cbranch_execz .LBB42_1432
.LBB42_1387:
	s_sext_i32_i16 s22, s0
	s_delay_alu instid0(SALU_CYCLE_1)
	s_cmp_lt_i32 s22, 5
	s_cbranch_scc1 .LBB42_1392
; %bb.1388:
	s_cmp_lt_i32 s22, 8
	s_cbranch_scc1 .LBB42_1393
; %bb.1389:
	;; [unrolled: 3-line block ×3, first 2 shown]
	s_cmp_gt_i32 s22, 9
	s_cbranch_scc0 .LBB42_1395
; %bb.1391:
	global_load_b64 v[6:7], v[2:3], off
	s_mov_b32 s22, 0
	s_branch .LBB42_1396
.LBB42_1392:
                                        ; implicit-def: $vgpr6_vgpr7
	s_branch .LBB42_1413
.LBB42_1393:
                                        ; implicit-def: $vgpr6_vgpr7
	s_branch .LBB42_1402
.LBB42_1394:
	s_mov_b32 s22, -1
                                        ; implicit-def: $vgpr6_vgpr7
	s_branch .LBB42_1399
.LBB42_1395:
	s_mov_b32 s22, -1
                                        ; implicit-def: $vgpr6_vgpr7
.LBB42_1396:
	s_delay_alu instid0(SALU_CYCLE_1)
	s_and_not1_b32 vcc_lo, exec_lo, s22
	s_cbranch_vccnz .LBB42_1398
; %bb.1397:
	s_wait_loadcnt 0x0
	global_load_b32 v4, v[2:3], off
	s_wait_loadcnt 0x0
	v_cvt_f64_f32_e32 v[6:7], v4
.LBB42_1398:
	s_mov_b32 s22, 0
.LBB42_1399:
	s_delay_alu instid0(SALU_CYCLE_1)
	s_and_not1_b32 vcc_lo, exec_lo, s22
	s_cbranch_vccnz .LBB42_1401
; %bb.1400:
	s_wait_loadcnt 0x0
	global_load_b32 v4, v[2:3], off
	s_wait_loadcnt 0x0
	v_cvt_f32_f16_e32 v4, v4
	s_delay_alu instid0(VALU_DEP_1)
	v_cvt_f64_f32_e32 v[6:7], v4
.LBB42_1401:
	s_cbranch_execnz .LBB42_1412
.LBB42_1402:
	s_sext_i32_i16 s22, s0
	s_delay_alu instid0(SALU_CYCLE_1)
	s_cmp_lt_i32 s22, 6
	s_cbranch_scc1 .LBB42_1405
; %bb.1403:
	s_cmp_gt_i32 s22, 6
	s_cbranch_scc0 .LBB42_1406
; %bb.1404:
	s_wait_loadcnt 0x0
	global_load_b64 v[6:7], v[2:3], off
	s_mov_b32 s22, 0
	s_branch .LBB42_1407
.LBB42_1405:
	s_mov_b32 s22, -1
                                        ; implicit-def: $vgpr6_vgpr7
	s_branch .LBB42_1410
.LBB42_1406:
	s_mov_b32 s22, -1
                                        ; implicit-def: $vgpr6_vgpr7
.LBB42_1407:
	s_delay_alu instid0(SALU_CYCLE_1)
	s_and_not1_b32 vcc_lo, exec_lo, s22
	s_cbranch_vccnz .LBB42_1409
; %bb.1408:
	s_wait_loadcnt 0x0
	global_load_b32 v4, v[2:3], off
	s_wait_loadcnt 0x0
	v_cvt_f64_f32_e32 v[6:7], v4
.LBB42_1409:
	s_mov_b32 s22, 0
.LBB42_1410:
	s_delay_alu instid0(SALU_CYCLE_1)
	s_and_not1_b32 vcc_lo, exec_lo, s22
	s_cbranch_vccnz .LBB42_1412
; %bb.1411:
	s_wait_loadcnt 0x0
	global_load_u16 v4, v[2:3], off
	s_wait_loadcnt 0x0
	v_cvt_f32_f16_e32 v4, v4
	s_delay_alu instid0(VALU_DEP_1)
	v_cvt_f64_f32_e32 v[6:7], v4
.LBB42_1412:
	s_cbranch_execnz .LBB42_1431
.LBB42_1413:
	s_sext_i32_i16 s22, s0
	s_delay_alu instid0(SALU_CYCLE_1)
	s_cmp_lt_i32 s22, 2
	s_cbranch_scc1 .LBB42_1417
; %bb.1414:
	s_cmp_lt_i32 s22, 3
	s_cbranch_scc1 .LBB42_1418
; %bb.1415:
	s_cmp_gt_i32 s22, 3
	s_cbranch_scc0 .LBB42_1419
; %bb.1416:
	s_wait_loadcnt 0x0
	global_load_b64 v[4:5], v[2:3], off
	s_mov_b32 s22, 0
	s_wait_loadcnt 0x0
	v_cvt_f64_i32_e32 v[6:7], v5
	v_cvt_f64_u32_e32 v[4:5], v4
	s_delay_alu instid0(VALU_DEP_2) | instskip(NEXT) | instid1(VALU_DEP_1)
	v_ldexp_f64 v[6:7], v[6:7], 32
	v_add_f64_e32 v[6:7], v[6:7], v[4:5]
	s_branch .LBB42_1420
.LBB42_1417:
                                        ; implicit-def: $vgpr6_vgpr7
	s_branch .LBB42_1426
.LBB42_1418:
	s_mov_b32 s22, -1
                                        ; implicit-def: $vgpr6_vgpr7
	s_branch .LBB42_1423
.LBB42_1419:
	s_mov_b32 s22, -1
                                        ; implicit-def: $vgpr6_vgpr7
.LBB42_1420:
	s_delay_alu instid0(SALU_CYCLE_1)
	s_and_not1_b32 vcc_lo, exec_lo, s22
	s_cbranch_vccnz .LBB42_1422
; %bb.1421:
	s_wait_loadcnt 0x0
	global_load_b32 v4, v[2:3], off
	s_wait_loadcnt 0x0
	v_cvt_f64_i32_e32 v[6:7], v4
.LBB42_1422:
	s_mov_b32 s22, 0
.LBB42_1423:
	s_delay_alu instid0(SALU_CYCLE_1)
	s_and_not1_b32 vcc_lo, exec_lo, s22
	s_cbranch_vccnz .LBB42_1425
; %bb.1424:
	s_wait_loadcnt 0x0
	global_load_i16 v4, v[2:3], off
	s_wait_loadcnt 0x0
	v_cvt_f64_i32_e32 v[6:7], v4
.LBB42_1425:
	s_cbranch_execnz .LBB42_1431
.LBB42_1426:
	s_sext_i32_i16 s0, s0
	s_delay_alu instid0(SALU_CYCLE_1)
	s_cmp_gt_i32 s0, 0
	s_mov_b32 s0, 0
	s_cbranch_scc0 .LBB42_1428
; %bb.1427:
	s_wait_loadcnt 0x0
	global_load_i8 v4, v[2:3], off
	s_wait_loadcnt 0x0
	v_cvt_f64_i32_e32 v[6:7], v4
	s_branch .LBB42_1429
.LBB42_1428:
	s_mov_b32 s0, -1
                                        ; implicit-def: $vgpr6_vgpr7
.LBB42_1429:
	s_delay_alu instid0(SALU_CYCLE_1)
	s_and_not1_b32 vcc_lo, exec_lo, s0
	s_cbranch_vccnz .LBB42_1431
; %bb.1430:
	global_load_u8 v2, v[2:3], off
	s_wait_loadcnt 0x0
	v_cvt_f64_u32_e32 v[6:7], v2
.LBB42_1431:
	s_or_b32 s23, s23, exec_lo
.LBB42_1432:
	s_wait_xcnt 0x0
	s_or_b32 exec_lo, exec_lo, s21
	s_mov_b32 s0, 0
	s_mov_b32 s24, 0
                                        ; implicit-def: $sgpr21
                                        ; implicit-def: $vgpr4_vgpr5
	s_and_saveexec_b32 s22, s23
	s_cbranch_execz .LBB42_1442
; %bb.1433:
	s_wait_loadcnt 0x0
	s_delay_alu instid0(VALU_DEP_1) | instskip(SKIP_1) | instid1(VALU_DEP_1)
	v_mul_f64_e32 v[2:3], s[8:9], v[6:7]
	s_mov_b32 s21, exec_lo
	v_cmpx_nlt_f64_e32 s[10:11], v[2:3]
	s_cbranch_execz .LBB42_1435
; %bb.1434:
	v_mul_f64_e32 v[4:5], 0x3ff71547652b82fe, v[2:3]
	s_mov_b64 s[24:25], 0x3e5ade156a5dcb37
	v_cmp_nlt_f64_e32 vcc_lo, 0x40900000, v[2:3]
	v_cmp_ngt_f64_e64 s0, 0xc090cc00, v[2:3]
	s_delay_alu instid0(VALU_DEP_3) | instskip(NEXT) | instid1(VALU_DEP_1)
	v_rndne_f64_e32 v[4:5], v[4:5]
	v_fmamk_f64 v[6:7], v[4:5], 0xbfe62e42fefa39ef, v[2:3]
	v_cvt_i32_f64_e32 v10, v[4:5]
	s_delay_alu instid0(VALU_DEP_2) | instskip(NEXT) | instid1(VALU_DEP_1)
	v_fmamk_f64 v[6:7], v[4:5], 0xbc7abc9e3b39803f, v[6:7]
	v_fmaak_f64 v[8:9], s[24:25], v[6:7], 0x3e928af3fca7ab0c
	s_delay_alu instid0(VALU_DEP_1) | instskip(NEXT) | instid1(VALU_DEP_1)
	v_fmaak_f64 v[8:9], v[6:7], v[8:9], 0x3ec71dee623fde64
	v_fmaak_f64 v[8:9], v[6:7], v[8:9], 0x3efa01997c89e6b0
	s_delay_alu instid0(VALU_DEP_1) | instskip(NEXT) | instid1(VALU_DEP_1)
	v_fmaak_f64 v[8:9], v[6:7], v[8:9], 0x3f2a01a014761f6e
	;; [unrolled: 3-line block ×4, first 2 shown]
	v_fmaak_f64 v[8:9], v[6:7], v[8:9], 0x3fe000000000000b
	s_delay_alu instid0(VALU_DEP_1) | instskip(NEXT) | instid1(VALU_DEP_1)
	v_fma_f64 v[8:9], v[6:7], v[8:9], 1.0
	v_fma_f64 v[4:5], v[6:7], v[8:9], 1.0
	s_delay_alu instid0(VALU_DEP_1) | instskip(NEXT) | instid1(VALU_DEP_1)
	v_ldexp_f64 v[4:5], v[4:5], v10
	v_cndmask_b32_e32 v5, 0x7ff00000, v5, vcc_lo
	s_and_b32 vcc_lo, s0, vcc_lo
	s_delay_alu instid0(VALU_DEP_1) | instid1(SALU_CYCLE_1)
	v_dual_cndmask_b32 v2, 0, v4, vcc_lo :: v_dual_cndmask_b32 v3, 0, v5, s0
	s_delay_alu instid0(VALU_DEP_1) | instskip(SKIP_1) | instid1(VALU_DEP_1)
	v_mul_f64_e32 v[0:1], v[0:1], v[2:3]
	v_add_f64_e32 v[2:3], 1.0, v[2:3]
	v_div_scale_f64 v[4:5], null, v[2:3], v[2:3], v[0:1]
	s_delay_alu instid0(VALU_DEP_1) | instskip(SKIP_1) | instid1(TRANS32_DEP_1)
	v_rcp_f64_e32 v[6:7], v[4:5]
	v_nop
	v_fma_f64 v[8:9], -v[4:5], v[6:7], 1.0
	s_delay_alu instid0(VALU_DEP_1) | instskip(NEXT) | instid1(VALU_DEP_1)
	v_fmac_f64_e32 v[6:7], v[6:7], v[8:9]
	v_fma_f64 v[8:9], -v[4:5], v[6:7], 1.0
	s_delay_alu instid0(VALU_DEP_1) | instskip(SKIP_1) | instid1(VALU_DEP_1)
	v_fmac_f64_e32 v[6:7], v[6:7], v[8:9]
	v_div_scale_f64 v[8:9], vcc_lo, v[0:1], v[2:3], v[0:1]
	v_mul_f64_e32 v[10:11], v[8:9], v[6:7]
	s_delay_alu instid0(VALU_DEP_1) | instskip(NEXT) | instid1(VALU_DEP_1)
	v_fma_f64 v[4:5], -v[4:5], v[10:11], v[8:9]
	v_div_fmas_f64 v[4:5], v[4:5], v[6:7], v[10:11]
	s_delay_alu instid0(VALU_DEP_1)
	v_div_fixup_f64 v[0:1], v[4:5], v[2:3], v[0:1]
.LBB42_1435:
	s_or_b32 exec_lo, exec_lo, s21
	v_mul_lo_u32 v2, v14, s12
	s_and_b32 s21, s15, 0xff
	s_delay_alu instid0(SALU_CYCLE_1) | instskip(NEXT) | instid1(VALU_DEP_1)
	s_cmp_lt_i32 s21, 11
	v_ashrrev_i32_e32 v3, 31, v2
	s_delay_alu instid0(VALU_DEP_1)
	v_add_nc_u64_e32 v[4:5], s[4:5], v[2:3]
	s_cbranch_scc1 .LBB42_1445
; %bb.1436:
	s_and_b32 s23, 0xffff, s21
	s_mov_b32 s24, -1
	s_cmp_gt_i32 s23, 25
	s_mov_b32 s0, s19
	s_cbranch_scc0 .LBB42_1473
; %bb.1437:
	s_cmp_gt_i32 s23, 28
	s_mov_b32 s0, s19
	s_cbranch_scc0 .LBB42_1457
; %bb.1438:
	;; [unrolled: 4-line block ×4, first 2 shown]
	s_cmp_eq_u32 s23, 46
	s_mov_b32 s0, -1
	s_cbranch_scc0 .LBB42_1446
; %bb.1441:
	s_delay_alu instid0(VALU_DEP_4) | instskip(SKIP_2) | instid1(VALU_DEP_1)
	v_cvt_f32_f64_e32 v2, v[0:1]
	s_mov_b32 s0, 0
	s_mov_b32 s24, 0
	v_bfe_u32 v3, v2, 16, 1
	v_cmp_o_f32_e32 vcc_lo, v2, v2
	s_delay_alu instid0(VALU_DEP_2) | instskip(NEXT) | instid1(VALU_DEP_1)
	v_add3_u32 v3, v2, v3, 0x7fff
	v_lshrrev_b32_e32 v3, 16, v3
	s_delay_alu instid0(VALU_DEP_1)
	v_cndmask_b32_e32 v2, 0x7fc0, v3, vcc_lo
	global_store_b32 v[4:5], v2, off
	s_branch .LBB42_1447
.LBB42_1442:
	s_or_b32 exec_lo, exec_lo, s22
	s_and_saveexec_b32 s22, s19
	s_cbranch_execnz .LBB42_1515
.LBB42_1443:
	s_or_b32 exec_lo, exec_lo, s22
	s_and_saveexec_b32 s19, s0
	s_delay_alu instid0(SALU_CYCLE_1)
	s_xor_b32 s0, exec_lo, s19
	s_cbranch_execz .LBB42_1516
.LBB42_1444:
	s_wait_loadcnt 0x0
	s_delay_alu instid0(VALU_DEP_1)
	v_cmp_neq_f64_e32 vcc_lo, 0, v[0:1]
	v_cndmask_b32_e64 v2, 0, 1, vcc_lo
	global_store_b8 v[4:5], v2, off
	s_wait_xcnt 0x0
	s_or_b32 exec_lo, exec_lo, s0
	s_and_saveexec_b32 s0, s24
	s_delay_alu instid0(SALU_CYCLE_1)
	s_xor_b32 s0, exec_lo, s0
	s_cbranch_execz .LBB42_1554
	s_branch .LBB42_1517
.LBB42_1445:
	s_mov_b32 s25, 0
	s_mov_b32 s24, -1
	s_mov_b32 s0, s19
	s_branch .LBB42_1514
.LBB42_1446:
	s_mov_b32 s24, 0
.LBB42_1447:
	s_delay_alu instid0(SALU_CYCLE_1)
	s_and_b32 vcc_lo, exec_lo, s24
	s_cbranch_vccz .LBB42_1452
; %bb.1448:
	s_cmp_eq_u32 s23, 44
	s_mov_b32 s0, -1
	s_cbranch_scc0 .LBB42_1452
; %bb.1449:
	s_wait_xcnt 0x0
	s_delay_alu instid0(VALU_DEP_4) | instskip(SKIP_2) | instid1(VALU_DEP_2)
	v_cvt_f32_f64_e32 v2, v[0:1]
	v_mov_b32_e32 v3, 0xff
	s_mov_b32 s24, exec_lo
	v_bfe_u32 v6, v2, 23, 8
	s_delay_alu instid0(VALU_DEP_1)
	v_cmpx_ne_u32_e32 0xff, v6
	s_cbranch_execz .LBB42_1451
; %bb.1450:
	v_and_b32_e32 v3, 0x400000, v2
	v_and_or_b32 v6, 0x3fffff, v2, v6
	v_lshrrev_b32_e32 v2, 23, v2
	s_delay_alu instid0(VALU_DEP_3) | instskip(NEXT) | instid1(VALU_DEP_3)
	v_cmp_ne_u32_e32 vcc_lo, 0, v3
	v_cmp_ne_u32_e64 s0, 0, v6
	s_and_b32 s0, vcc_lo, s0
	s_delay_alu instid0(SALU_CYCLE_1) | instskip(NEXT) | instid1(VALU_DEP_1)
	v_cndmask_b32_e64 v3, 0, 1, s0
	v_add_nc_u32_e32 v3, v2, v3
.LBB42_1451:
	s_or_b32 exec_lo, exec_lo, s24
	s_mov_b32 s0, 0
	global_store_b8 v[4:5], v3, off
.LBB42_1452:
	s_mov_b32 s24, 0
.LBB42_1453:
	s_delay_alu instid0(SALU_CYCLE_1)
	s_and_b32 vcc_lo, exec_lo, s24
	s_cbranch_vccz .LBB42_1456
; %bb.1454:
	s_cmp_eq_u32 s23, 29
	s_mov_b32 s0, -1
	s_cbranch_scc0 .LBB42_1456
; %bb.1455:
	s_wait_xcnt 0x0
	s_delay_alu instid0(VALU_DEP_4) | instskip(SKIP_2) | instid1(VALU_DEP_1)
	v_trunc_f64_e32 v[2:3], v[0:1]
	s_mov_b32 s0, 0
	s_mov_b32 s24, 0
	v_ldexp_f64 v[6:7], v[2:3], 0xffffffe0
	s_delay_alu instid0(VALU_DEP_1) | instskip(NEXT) | instid1(VALU_DEP_1)
	v_floor_f64_e32 v[6:7], v[6:7]
	v_fmamk_f64 v[2:3], v[6:7], 0xc1f00000, v[2:3]
	v_cvt_u32_f64_e32 v7, v[6:7]
	s_delay_alu instid0(VALU_DEP_2)
	v_cvt_u32_f64_e32 v6, v[2:3]
	global_store_b64 v[4:5], v[6:7], off
	s_branch .LBB42_1457
.LBB42_1456:
	s_mov_b32 s24, 0
.LBB42_1457:
	s_delay_alu instid0(SALU_CYCLE_1)
	s_and_b32 vcc_lo, exec_lo, s24
	s_cbranch_vccz .LBB42_1472
; %bb.1458:
	s_cmp_lt_i32 s23, 27
	s_mov_b32 s24, -1
	s_cbranch_scc1 .LBB42_1464
; %bb.1459:
	s_wait_xcnt 0x0
	s_delay_alu instid0(VALU_DEP_4)
	v_cvt_u32_f64_e32 v2, v[0:1]
	s_cmp_gt_i32 s23, 27
	s_cbranch_scc0 .LBB42_1461
; %bb.1460:
	s_mov_b32 s24, 0
	global_store_b32 v[4:5], v2, off
.LBB42_1461:
	s_and_not1_b32 vcc_lo, exec_lo, s24
	s_cbranch_vccnz .LBB42_1463
; %bb.1462:
	global_store_b16 v[4:5], v2, off
.LBB42_1463:
	s_mov_b32 s24, 0
.LBB42_1464:
	s_delay_alu instid0(SALU_CYCLE_1)
	s_and_not1_b32 vcc_lo, exec_lo, s24
	s_cbranch_vccnz .LBB42_1472
; %bb.1465:
	s_wait_xcnt 0x0
	s_delay_alu instid0(VALU_DEP_4) | instskip(SKIP_2) | instid1(VALU_DEP_2)
	v_cvt_f32_f64_e32 v2, v[0:1]
	v_mov_b32_e32 v6, 0x80
	s_mov_b32 s24, exec_lo
	v_and_b32_e32 v3, 0x7fffffff, v2
	s_delay_alu instid0(VALU_DEP_1)
	v_cmpx_gt_u32_e32 0x43800000, v3
	s_cbranch_execz .LBB42_1471
; %bb.1466:
	v_cmp_lt_u32_e32 vcc_lo, 0x3bffffff, v3
	s_mov_b32 s25, 0
                                        ; implicit-def: $vgpr3
	s_and_saveexec_b32 s26, vcc_lo
	s_delay_alu instid0(SALU_CYCLE_1)
	s_xor_b32 s26, exec_lo, s26
	s_cbranch_execz .LBB42_1569
; %bb.1467:
	v_bfe_u32 v3, v2, 20, 1
	s_mov_b32 s25, exec_lo
	s_delay_alu instid0(VALU_DEP_1) | instskip(NEXT) | instid1(VALU_DEP_1)
	v_add3_u32 v3, v2, v3, 0x487ffff
	v_lshrrev_b32_e32 v3, 20, v3
	s_and_not1_saveexec_b32 s26, s26
	s_cbranch_execnz .LBB42_1570
.LBB42_1468:
	s_or_b32 exec_lo, exec_lo, s26
	v_mov_b32_e32 v6, 0
	s_and_saveexec_b32 s26, s25
.LBB42_1469:
	v_lshrrev_b32_e32 v2, 24, v2
	s_delay_alu instid0(VALU_DEP_1)
	v_and_or_b32 v6, 0x80, v2, v3
.LBB42_1470:
	s_or_b32 exec_lo, exec_lo, s26
.LBB42_1471:
	s_delay_alu instid0(SALU_CYCLE_1)
	s_or_b32 exec_lo, exec_lo, s24
	global_store_b8 v[4:5], v6, off
.LBB42_1472:
	s_mov_b32 s24, 0
.LBB42_1473:
	s_delay_alu instid0(SALU_CYCLE_1)
	s_and_b32 vcc_lo, exec_lo, s24
	s_mov_b32 s24, 0
	s_cbranch_vccz .LBB42_1513
; %bb.1474:
	s_cmp_gt_i32 s23, 22
	s_mov_b32 s25, -1
	s_cbranch_scc0 .LBB42_1506
; %bb.1475:
	s_cmp_lt_i32 s23, 24
	s_cbranch_scc1 .LBB42_1495
; %bb.1476:
	s_cmp_gt_i32 s23, 24
	s_cbranch_scc0 .LBB42_1484
; %bb.1477:
	s_wait_xcnt 0x0
	s_delay_alu instid0(VALU_DEP_4) | instskip(SKIP_2) | instid1(VALU_DEP_2)
	v_cvt_f32_f64_e32 v2, v[0:1]
	v_mov_b32_e32 v6, 0x80
	s_mov_b32 s25, exec_lo
	v_and_b32_e32 v3, 0x7fffffff, v2
	s_delay_alu instid0(VALU_DEP_1)
	v_cmpx_gt_u32_e32 0x47800000, v3
	s_cbranch_execz .LBB42_1483
; %bb.1478:
	v_cmp_lt_u32_e32 vcc_lo, 0x37ffffff, v3
	s_mov_b32 s26, 0
                                        ; implicit-def: $vgpr3
	s_and_saveexec_b32 s27, vcc_lo
	s_delay_alu instid0(SALU_CYCLE_1)
	s_xor_b32 s27, exec_lo, s27
	s_cbranch_execz .LBB42_1695
; %bb.1479:
	v_bfe_u32 v3, v2, 21, 1
	s_mov_b32 s26, exec_lo
	s_delay_alu instid0(VALU_DEP_1) | instskip(NEXT) | instid1(VALU_DEP_1)
	v_add3_u32 v3, v2, v3, 0x88fffff
	v_lshrrev_b32_e32 v3, 21, v3
	s_and_not1_saveexec_b32 s27, s27
	s_cbranch_execnz .LBB42_1696
.LBB42_1480:
	s_or_b32 exec_lo, exec_lo, s27
	v_mov_b32_e32 v6, 0
	s_and_saveexec_b32 s27, s26
.LBB42_1481:
	v_lshrrev_b32_e32 v2, 24, v2
	s_delay_alu instid0(VALU_DEP_1)
	v_and_or_b32 v6, 0x80, v2, v3
.LBB42_1482:
	s_or_b32 exec_lo, exec_lo, s27
.LBB42_1483:
	s_delay_alu instid0(SALU_CYCLE_1)
	s_or_b32 exec_lo, exec_lo, s25
	s_mov_b32 s25, 0
	global_store_b8 v[4:5], v6, off
.LBB42_1484:
	s_and_b32 vcc_lo, exec_lo, s25
	s_cbranch_vccz .LBB42_1494
; %bb.1485:
	s_wait_xcnt 0x0
	s_delay_alu instid0(VALU_DEP_4) | instskip(SKIP_1) | instid1(VALU_DEP_1)
	v_cvt_f32_f64_e32 v2, v[0:1]
	s_mov_b32 s25, exec_lo
                                        ; implicit-def: $vgpr3
	v_and_b32_e32 v6, 0x7fffffff, v2
	s_delay_alu instid0(VALU_DEP_1)
	v_cmpx_gt_u32_e32 0x43f00000, v6
	s_xor_b32 s25, exec_lo, s25
	s_cbranch_execz .LBB42_1491
; %bb.1486:
	s_mov_b32 s26, exec_lo
                                        ; implicit-def: $vgpr3
	v_cmpx_lt_u32_e32 0x3c7fffff, v6
	s_xor_b32 s26, exec_lo, s26
; %bb.1487:
	v_bfe_u32 v3, v2, 20, 1
	s_delay_alu instid0(VALU_DEP_1) | instskip(NEXT) | instid1(VALU_DEP_1)
	v_add3_u32 v3, v2, v3, 0x407ffff
	v_and_b32_e32 v6, 0xff00000, v3
	v_lshrrev_b32_e32 v3, 20, v3
	s_delay_alu instid0(VALU_DEP_2) | instskip(NEXT) | instid1(VALU_DEP_2)
	v_cmp_ne_u32_e32 vcc_lo, 0x7f00000, v6
	v_cndmask_b32_e32 v3, 0x7e, v3, vcc_lo
; %bb.1488:
	s_and_not1_saveexec_b32 s26, s26
; %bb.1489:
	v_add_f32_e64 v3, 0x46800000, |v2|
; %bb.1490:
	s_or_b32 exec_lo, exec_lo, s26
                                        ; implicit-def: $vgpr6
.LBB42_1491:
	s_and_not1_saveexec_b32 s25, s25
; %bb.1492:
	v_mov_b32_e32 v3, 0x7f
	v_cmp_lt_u32_e32 vcc_lo, 0x7f800000, v6
	s_delay_alu instid0(VALU_DEP_2)
	v_cndmask_b32_e32 v3, 0x7e, v3, vcc_lo
; %bb.1493:
	s_or_b32 exec_lo, exec_lo, s25
	v_lshrrev_b32_e32 v2, 24, v2
	s_delay_alu instid0(VALU_DEP_1)
	v_and_or_b32 v2, 0x80, v2, v3
	global_store_b8 v[4:5], v2, off
.LBB42_1494:
	s_mov_b32 s25, 0
.LBB42_1495:
	s_delay_alu instid0(SALU_CYCLE_1)
	s_and_not1_b32 vcc_lo, exec_lo, s25
	s_cbranch_vccnz .LBB42_1505
; %bb.1496:
	s_wait_xcnt 0x0
	s_delay_alu instid0(VALU_DEP_4) | instskip(SKIP_1) | instid1(VALU_DEP_1)
	v_cvt_f32_f64_e32 v2, v[0:1]
	s_mov_b32 s25, exec_lo
                                        ; implicit-def: $vgpr3
	v_and_b32_e32 v6, 0x7fffffff, v2
	s_delay_alu instid0(VALU_DEP_1)
	v_cmpx_gt_u32_e32 0x47800000, v6
	s_xor_b32 s25, exec_lo, s25
	s_cbranch_execz .LBB42_1502
; %bb.1497:
	s_mov_b32 s26, exec_lo
                                        ; implicit-def: $vgpr3
	v_cmpx_lt_u32_e32 0x387fffff, v6
	s_xor_b32 s26, exec_lo, s26
; %bb.1498:
	v_bfe_u32 v3, v2, 21, 1
	s_delay_alu instid0(VALU_DEP_1) | instskip(NEXT) | instid1(VALU_DEP_1)
	v_add3_u32 v3, v2, v3, 0x80fffff
	v_lshrrev_b32_e32 v3, 21, v3
; %bb.1499:
	s_and_not1_saveexec_b32 s26, s26
; %bb.1500:
	v_add_f32_e64 v3, 0x43000000, |v2|
; %bb.1501:
	s_or_b32 exec_lo, exec_lo, s26
                                        ; implicit-def: $vgpr6
.LBB42_1502:
	s_and_not1_saveexec_b32 s25, s25
; %bb.1503:
	v_mov_b32_e32 v3, 0x7f
	v_cmp_lt_u32_e32 vcc_lo, 0x7f800000, v6
	s_delay_alu instid0(VALU_DEP_2)
	v_cndmask_b32_e32 v3, 0x7c, v3, vcc_lo
; %bb.1504:
	s_or_b32 exec_lo, exec_lo, s25
	v_lshrrev_b32_e32 v2, 24, v2
	s_delay_alu instid0(VALU_DEP_1)
	v_and_or_b32 v2, 0x80, v2, v3
	global_store_b8 v[4:5], v2, off
.LBB42_1505:
	s_mov_b32 s25, 0
.LBB42_1506:
	s_delay_alu instid0(SALU_CYCLE_1)
	s_and_not1_b32 vcc_lo, exec_lo, s25
	s_mov_b32 s25, 0
	s_cbranch_vccnz .LBB42_1514
; %bb.1507:
	s_cmp_gt_i32 s23, 14
	s_mov_b32 s25, -1
	s_cbranch_scc0 .LBB42_1511
; %bb.1508:
	s_cmp_eq_u32 s23, 15
	s_mov_b32 s0, -1
	s_cbranch_scc0 .LBB42_1510
; %bb.1509:
	s_wait_xcnt 0x0
	s_delay_alu instid0(VALU_DEP_4) | instskip(SKIP_1) | instid1(VALU_DEP_1)
	v_cvt_f32_f64_e32 v2, v[0:1]
	s_mov_b32 s0, 0
	v_bfe_u32 v3, v2, 16, 1
	v_cmp_o_f32_e32 vcc_lo, v2, v2
	s_delay_alu instid0(VALU_DEP_2) | instskip(NEXT) | instid1(VALU_DEP_1)
	v_add3_u32 v3, v2, v3, 0x7fff
	v_lshrrev_b32_e32 v3, 16, v3
	s_delay_alu instid0(VALU_DEP_1)
	v_cndmask_b32_e32 v2, 0x7fc0, v3, vcc_lo
	global_store_b16 v[4:5], v2, off
.LBB42_1510:
	s_mov_b32 s25, 0
.LBB42_1511:
	s_delay_alu instid0(SALU_CYCLE_1)
	s_and_b32 vcc_lo, exec_lo, s25
	s_mov_b32 s25, 0
	s_cbranch_vccz .LBB42_1514
; %bb.1512:
	s_cmp_lg_u32 s23, 11
	s_mov_b32 s25, -1
	s_cselect_b32 s23, -1, 0
	s_and_not1_b32 s0, s0, exec_lo
	s_and_b32 s23, s23, exec_lo
	s_delay_alu instid0(SALU_CYCLE_1)
	s_or_b32 s0, s0, s23
	s_branch .LBB42_1514
.LBB42_1513:
	s_mov_b32 s25, 0
.LBB42_1514:
	s_and_not1_b32 s19, s19, exec_lo
	s_and_b32 s23, s0, exec_lo
	s_and_b32 s24, s24, exec_lo
	;; [unrolled: 1-line block ×3, first 2 shown]
	s_or_b32 s19, s19, s23
	s_wait_xcnt 0x0
	s_or_b32 exec_lo, exec_lo, s22
	s_and_saveexec_b32 s22, s19
	s_cbranch_execz .LBB42_1443
.LBB42_1515:
	s_or_b32 s20, s20, exec_lo
	s_and_not1_b32 s0, s0, exec_lo
	s_trap 2
	s_or_b32 exec_lo, exec_lo, s22
	s_and_saveexec_b32 s19, s0
	s_delay_alu instid0(SALU_CYCLE_1)
	s_xor_b32 s0, exec_lo, s19
	s_cbranch_execnz .LBB42_1444
.LBB42_1516:
	s_or_b32 exec_lo, exec_lo, s0
	s_and_saveexec_b32 s0, s24
	s_delay_alu instid0(SALU_CYCLE_1)
	s_xor_b32 s0, exec_lo, s0
	s_cbranch_execz .LBB42_1554
.LBB42_1517:
	s_sext_i32_i16 s22, s21
	s_mov_b32 s19, -1
	s_cmp_lt_i32 s22, 5
	s_cbranch_scc1 .LBB42_1538
; %bb.1518:
	s_cmp_lt_i32 s22, 8
	s_cbranch_scc1 .LBB42_1528
; %bb.1519:
	;; [unrolled: 3-line block ×3, first 2 shown]
	s_cmp_gt_i32 s22, 9
	s_cbranch_scc0 .LBB42_1522
; %bb.1521:
	v_mov_b32_e32 v2, 0
	s_mov_b32 s19, 0
	s_delay_alu instid0(VALU_DEP_1)
	v_mov_b32_e32 v3, v2
	s_wait_loadcnt 0x0
	global_store_b128 v[4:5], v[0:3], off
.LBB42_1522:
	s_and_not1_b32 vcc_lo, exec_lo, s19
	s_cbranch_vccnz .LBB42_1524
; %bb.1523:
	s_wait_loadcnt 0x0
	v_cvt_f32_f64_e32 v2, v[0:1]
	v_mov_b32_e32 v3, 0
	global_store_b64 v[4:5], v[2:3], off
.LBB42_1524:
	s_mov_b32 s19, 0
.LBB42_1525:
	s_delay_alu instid0(SALU_CYCLE_1)
	s_and_not1_b32 vcc_lo, exec_lo, s19
	s_cbranch_vccnz .LBB42_1527
; %bb.1526:
	s_wait_loadcnt 0x0
	v_and_or_b32 v2, 0x1ff, v1, v0
	v_lshrrev_b32_e32 v3, 8, v1
	v_bfe_u32 v6, v1, 20, 11
	s_delay_alu instid0(VALU_DEP_3) | instskip(NEXT) | instid1(VALU_DEP_2)
	v_cmp_ne_u32_e32 vcc_lo, 0, v2
	v_sub_nc_u32_e32 v7, 0x3f1, v6
	v_cndmask_b32_e64 v2, 0, 1, vcc_lo
	s_delay_alu instid0(VALU_DEP_1) | instskip(NEXT) | instid1(VALU_DEP_3)
	v_and_or_b32 v2, 0xffe, v3, v2
	v_med3_i32 v3, v7, 0, 13
	s_delay_alu instid0(VALU_DEP_2) | instskip(NEXT) | instid1(VALU_DEP_1)
	v_or_b32_e32 v7, 0x1000, v2
	v_lshrrev_b32_e32 v8, v3, v7
	s_delay_alu instid0(VALU_DEP_1) | instskip(NEXT) | instid1(VALU_DEP_1)
	v_lshlrev_b32_e32 v3, v3, v8
	v_cmp_ne_u32_e32 vcc_lo, v3, v7
	v_cndmask_b32_e64 v3, 0, 1, vcc_lo
	s_delay_alu instid0(VALU_DEP_1) | instskip(SKIP_1) | instid1(VALU_DEP_1)
	v_or_b32_e32 v3, v8, v3
	v_add_nc_u32_e32 v6, 0xfffffc10, v6
	v_lshl_or_b32 v7, v6, 12, v2
	v_cmp_gt_i32_e32 vcc_lo, 1, v6
	s_delay_alu instid0(VALU_DEP_2) | instskip(NEXT) | instid1(VALU_DEP_1)
	v_cndmask_b32_e32 v3, v7, v3, vcc_lo
	v_dual_lshrrev_b32 v3, 2, v3 :: v_dual_bitop2_b32 v7, 7, v3 bitop3:0x40
	s_delay_alu instid0(VALU_DEP_1) | instskip(SKIP_4) | instid1(VALU_DEP_2)
	v_cmp_lt_i32_e32 vcc_lo, 5, v7
	v_cndmask_b32_e64 v8, 0, 1, vcc_lo
	v_cmp_eq_u32_e32 vcc_lo, 3, v7
	v_cndmask_b32_e64 v7, 0, 1, vcc_lo
	v_cmp_ne_u32_e32 vcc_lo, 0, v2
	v_or_b32_e32 v7, v7, v8
	s_delay_alu instid0(VALU_DEP_1) | instskip(NEXT) | instid1(VALU_DEP_1)
	v_dual_mov_b32 v8, 0x7e00 :: v_dual_add_nc_u32 v3, v3, v7
	v_cndmask_b32_e32 v2, 0x7c00, v8, vcc_lo
	v_cmp_gt_i32_e32 vcc_lo, 31, v6
	v_lshrrev_b32_e32 v7, 16, v1
	s_delay_alu instid0(VALU_DEP_4) | instskip(SKIP_1) | instid1(VALU_DEP_2)
	v_cndmask_b32_e32 v3, 0x7c00, v3, vcc_lo
	v_cmp_eq_u32_e32 vcc_lo, 0x40f, v6
	v_cndmask_b32_e32 v2, v3, v2, vcc_lo
	s_delay_alu instid0(VALU_DEP_4) | instskip(NEXT) | instid1(VALU_DEP_1)
	v_and_b32_e32 v3, 0x8000, v7
	v_bitop3_b32 v2, v3, 0xffff, v2 bitop3:0xc8
	global_store_b32 v[4:5], v2, off
.LBB42_1527:
	s_mov_b32 s19, 0
.LBB42_1528:
	s_delay_alu instid0(SALU_CYCLE_1)
	s_and_not1_b32 vcc_lo, exec_lo, s19
	s_cbranch_vccnz .LBB42_1537
; %bb.1529:
	s_sext_i32_i16 s22, s21
	s_mov_b32 s19, -1
	s_cmp_lt_i32 s22, 6
	s_cbranch_scc1 .LBB42_1535
; %bb.1530:
	s_cmp_gt_i32 s22, 6
	s_cbranch_scc0 .LBB42_1532
; %bb.1531:
	s_mov_b32 s19, 0
	s_wait_loadcnt 0x0
	global_store_b64 v[4:5], v[0:1], off
.LBB42_1532:
	s_and_not1_b32 vcc_lo, exec_lo, s19
	s_cbranch_vccnz .LBB42_1534
; %bb.1533:
	s_wait_loadcnt 0x0
	v_cvt_f32_f64_e32 v2, v[0:1]
	global_store_b32 v[4:5], v2, off
.LBB42_1534:
	s_mov_b32 s19, 0
.LBB42_1535:
	s_delay_alu instid0(SALU_CYCLE_1)
	s_and_not1_b32 vcc_lo, exec_lo, s19
	s_cbranch_vccnz .LBB42_1537
; %bb.1536:
	s_wait_loadcnt 0x0
	v_and_or_b32 v2, 0x1ff, v1, v0
	v_lshrrev_b32_e32 v3, 8, v1
	v_bfe_u32 v6, v1, 20, 11
	s_delay_alu instid0(VALU_DEP_3) | instskip(NEXT) | instid1(VALU_DEP_2)
	v_cmp_ne_u32_e32 vcc_lo, 0, v2
	v_sub_nc_u32_e32 v7, 0x3f1, v6
	v_cndmask_b32_e64 v2, 0, 1, vcc_lo
	s_delay_alu instid0(VALU_DEP_1) | instskip(NEXT) | instid1(VALU_DEP_3)
	v_and_or_b32 v2, 0xffe, v3, v2
	v_med3_i32 v3, v7, 0, 13
	s_delay_alu instid0(VALU_DEP_2) | instskip(NEXT) | instid1(VALU_DEP_1)
	v_or_b32_e32 v7, 0x1000, v2
	v_lshrrev_b32_e32 v8, v3, v7
	s_delay_alu instid0(VALU_DEP_1) | instskip(NEXT) | instid1(VALU_DEP_1)
	v_lshlrev_b32_e32 v3, v3, v8
	v_cmp_ne_u32_e32 vcc_lo, v3, v7
	v_cndmask_b32_e64 v3, 0, 1, vcc_lo
	s_delay_alu instid0(VALU_DEP_1) | instskip(SKIP_1) | instid1(VALU_DEP_1)
	v_or_b32_e32 v3, v8, v3
	v_add_nc_u32_e32 v6, 0xfffffc10, v6
	v_lshl_or_b32 v7, v6, 12, v2
	v_cmp_gt_i32_e32 vcc_lo, 1, v6
	s_delay_alu instid0(VALU_DEP_2) | instskip(NEXT) | instid1(VALU_DEP_1)
	v_cndmask_b32_e32 v3, v7, v3, vcc_lo
	v_dual_lshrrev_b32 v3, 2, v3 :: v_dual_bitop2_b32 v7, 7, v3 bitop3:0x40
	s_delay_alu instid0(VALU_DEP_1) | instskip(SKIP_4) | instid1(VALU_DEP_2)
	v_cmp_lt_i32_e32 vcc_lo, 5, v7
	v_cndmask_b32_e64 v8, 0, 1, vcc_lo
	v_cmp_eq_u32_e32 vcc_lo, 3, v7
	v_cndmask_b32_e64 v7, 0, 1, vcc_lo
	v_cmp_ne_u32_e32 vcc_lo, 0, v2
	v_or_b32_e32 v7, v7, v8
	s_delay_alu instid0(VALU_DEP_1) | instskip(NEXT) | instid1(VALU_DEP_1)
	v_dual_mov_b32 v8, 0x7e00 :: v_dual_add_nc_u32 v3, v3, v7
	v_cndmask_b32_e32 v2, 0x7c00, v8, vcc_lo
	v_cmp_gt_i32_e32 vcc_lo, 31, v6
	s_delay_alu instid0(VALU_DEP_3) | instskip(SKIP_1) | instid1(VALU_DEP_2)
	v_cndmask_b32_e32 v3, 0x7c00, v3, vcc_lo
	v_cmp_eq_u32_e32 vcc_lo, 0x40f, v6
	v_dual_cndmask_b32 v2, v3, v2 :: v_dual_lshrrev_b32 v3, 16, v1
	s_delay_alu instid0(VALU_DEP_1)
	v_and_or_b32 v2, 0x8000, v3, v2
	global_store_b16 v[4:5], v2, off
.LBB42_1537:
	s_mov_b32 s19, 0
.LBB42_1538:
	s_delay_alu instid0(SALU_CYCLE_1)
	s_and_not1_b32 vcc_lo, exec_lo, s19
	s_cbranch_vccnz .LBB42_1554
; %bb.1539:
	s_sext_i32_i16 s22, s21
	s_mov_b32 s19, -1
	s_cmp_lt_i32 s22, 2
	s_cbranch_scc1 .LBB42_1549
; %bb.1540:
	s_cmp_lt_i32 s22, 3
	s_cbranch_scc1 .LBB42_1546
; %bb.1541:
	s_cmp_gt_i32 s22, 3
	s_cbranch_scc0 .LBB42_1543
; %bb.1542:
	s_wait_loadcnt 0x0
	v_trunc_f64_e32 v[2:3], v[0:1]
	s_mov_b32 s19, 0
	s_delay_alu instid0(VALU_DEP_1) | instskip(NEXT) | instid1(VALU_DEP_1)
	v_ldexp_f64 v[6:7], v[2:3], 0xffffffe0
	v_floor_f64_e32 v[6:7], v[6:7]
	s_delay_alu instid0(VALU_DEP_1) | instskip(SKIP_1) | instid1(VALU_DEP_2)
	v_fmamk_f64 v[2:3], v[6:7], 0xc1f00000, v[2:3]
	v_cvt_i32_f64_e32 v7, v[6:7]
	v_cvt_u32_f64_e32 v6, v[2:3]
	global_store_b64 v[4:5], v[6:7], off
.LBB42_1543:
	s_and_not1_b32 vcc_lo, exec_lo, s19
	s_cbranch_vccnz .LBB42_1545
; %bb.1544:
	s_wait_loadcnt 0x0
	v_cvt_i32_f64_e32 v2, v[0:1]
	global_store_b32 v[4:5], v2, off
.LBB42_1545:
	s_mov_b32 s19, 0
.LBB42_1546:
	s_delay_alu instid0(SALU_CYCLE_1)
	s_and_not1_b32 vcc_lo, exec_lo, s19
	s_cbranch_vccnz .LBB42_1548
; %bb.1547:
	s_wait_loadcnt 0x0
	v_cvt_i32_f64_e32 v2, v[0:1]
	global_store_b16 v[4:5], v2, off
.LBB42_1548:
	s_mov_b32 s19, 0
.LBB42_1549:
	s_delay_alu instid0(SALU_CYCLE_1)
	s_and_not1_b32 vcc_lo, exec_lo, s19
	s_cbranch_vccnz .LBB42_1554
; %bb.1550:
	s_sext_i32_i16 s19, s21
	s_delay_alu instid0(SALU_CYCLE_1)
	s_cmp_gt_i32 s19, 0
	s_mov_b32 s19, -1
	s_cbranch_scc0 .LBB42_1552
; %bb.1551:
	s_wait_loadcnt 0x0
	v_cvt_i32_f64_e32 v2, v[0:1]
	s_mov_b32 s19, 0
	global_store_b8 v[4:5], v2, off
.LBB42_1552:
	s_and_not1_b32 vcc_lo, exec_lo, s19
	s_cbranch_vccnz .LBB42_1554
; %bb.1553:
	s_wait_loadcnt 0x0
	v_trunc_f64_e32 v[0:1], v[0:1]
	s_delay_alu instid0(VALU_DEP_1) | instskip(NEXT) | instid1(VALU_DEP_1)
	v_ldexp_f64 v[2:3], v[0:1], 0xffffffe0
	v_floor_f64_e32 v[2:3], v[2:3]
	s_delay_alu instid0(VALU_DEP_1) | instskip(NEXT) | instid1(VALU_DEP_1)
	v_fmamk_f64 v[0:1], v[2:3], 0xc1f00000, v[0:1]
	v_cvt_u32_f64_e32 v0, v[0:1]
	global_store_b8 v[4:5], v0, off
.LBB42_1554:
	s_wait_xcnt 0x0
	s_or_b32 exec_lo, exec_lo, s0
	s_delay_alu instid0(SALU_CYCLE_1)
	s_and_b32 s19, s20, exec_lo
                                        ; implicit-def: $vgpr14
.LBB42_1555:
	s_or_saveexec_b32 s18, s18
	s_mov_b32 s0, 0
                                        ; implicit-def: $sgpr20
                                        ; implicit-def: $vgpr0_vgpr1
                                        ; implicit-def: $vgpr12_vgpr13
	s_xor_b32 exec_lo, exec_lo, s18
	s_cbranch_execz .LBB42_2686
; %bb.1556:
	v_mul_lo_u32 v2, s13, v14
	s_and_b32 s17, s17, 0xff
	s_delay_alu instid0(SALU_CYCLE_1) | instskip(NEXT) | instid1(VALU_DEP_1)
	s_cmp_lt_i32 s17, 11
	v_ashrrev_i32_e32 v3, 31, v2
	s_wait_loadcnt 0x0
	s_delay_alu instid0(VALU_DEP_1)
	v_add_nc_u64_e32 v[4:5], s[6:7], v[2:3]
	s_cbranch_scc1 .LBB42_1563
; %bb.1557:
	s_and_b32 s0, 0xffff, s17
	s_mov_b32 s20, 0
	s_cmp_gt_i32 s0, 25
	s_cbranch_scc0 .LBB42_1565
; %bb.1558:
	s_cmp_gt_i32 s0, 28
	s_cbranch_scc0 .LBB42_1566
; %bb.1559:
	;; [unrolled: 3-line block ×4, first 2 shown]
	s_cmp_eq_u32 s0, 46
	s_mov_b32 s22, 0
	s_cbranch_scc0 .LBB42_1571
; %bb.1562:
	global_load_b32 v0, v[4:5], off
	s_mov_b32 s21, -1
	s_wait_loadcnt 0x0
	v_lshlrev_b32_e32 v0, 16, v0
	s_delay_alu instid0(VALU_DEP_1)
	v_cvt_f64_f32_e32 v[0:1], v0
	s_branch .LBB42_1573
.LBB42_1563:
	s_mov_b32 s21, 0
	s_mov_b32 s16, s19
                                        ; implicit-def: $vgpr0_vgpr1
	s_cbranch_execnz .LBB42_1636
.LBB42_1564:
	s_and_not1_b32 vcc_lo, exec_lo, s21
	s_cbranch_vccz .LBB42_1681
	s_branch .LBB42_2684
.LBB42_1565:
	s_mov_b32 s21, 0
                                        ; implicit-def: $vgpr0_vgpr1
	s_cbranch_execnz .LBB42_1601
	s_branch .LBB42_1632
.LBB42_1566:
	s_mov_b32 s22, -1
	s_mov_b32 s21, 0
                                        ; implicit-def: $vgpr0_vgpr1
	s_branch .LBB42_1582
.LBB42_1567:
	s_mov_b32 s21, 0
                                        ; implicit-def: $vgpr0_vgpr1
	s_cbranch_execnz .LBB42_1578
	s_branch .LBB42_1581
.LBB42_1568:
	s_mov_b32 s22, -1
	s_branch .LBB42_1572
.LBB42_1569:
	s_and_not1_saveexec_b32 s26, s26
	s_cbranch_execz .LBB42_1468
.LBB42_1570:
	v_add_f32_e64 v3, 0x46000000, |v2|
	s_and_not1_b32 s25, s25, exec_lo
	s_delay_alu instid0(VALU_DEP_1) | instskip(NEXT) | instid1(VALU_DEP_1)
	v_and_b32_e32 v3, 0xff, v3
	v_cmp_ne_u32_e32 vcc_lo, 0, v3
	s_and_b32 s27, vcc_lo, exec_lo
	s_delay_alu instid0(SALU_CYCLE_1)
	s_or_b32 s25, s25, s27
	s_or_b32 exec_lo, exec_lo, s26
	v_mov_b32_e32 v6, 0
	s_and_saveexec_b32 s26, s25
	s_cbranch_execnz .LBB42_1469
	s_branch .LBB42_1470
.LBB42_1571:
	s_mov_b32 s16, -1
.LBB42_1572:
	s_mov_b32 s21, 0
                                        ; implicit-def: $vgpr0_vgpr1
.LBB42_1573:
	s_and_b32 vcc_lo, exec_lo, s22
	s_cbranch_vccz .LBB42_1576
; %bb.1574:
	s_cmp_eq_u32 s0, 44
	s_cbranch_scc0 .LBB42_1577
; %bb.1575:
	global_load_u8 v3, v[4:5], off
	s_mov_b32 s16, 0
	s_mov_b32 s21, -1
	s_wait_loadcnt 0x0
	v_cmp_ne_u32_e32 vcc_lo, 0xff, v3
	v_lshlrev_b32_e32 v0, 23, v3
	s_delay_alu instid0(VALU_DEP_1) | instskip(NEXT) | instid1(VALU_DEP_1)
	v_cvt_f64_f32_e32 v[0:1], v0
	v_cndmask_b32_e32 v0, 0x20000000, v0, vcc_lo
	s_delay_alu instid0(VALU_DEP_2) | instskip(SKIP_1) | instid1(VALU_DEP_2)
	v_cndmask_b32_e32 v1, 0x7ff80000, v1, vcc_lo
	v_cmp_ne_u32_e32 vcc_lo, 0, v3
	v_cndmask_b32_e32 v1, 0x38000000, v1, vcc_lo
	s_delay_alu instid0(VALU_DEP_4)
	v_cndmask_b32_e32 v0, 0, v0, vcc_lo
.LBB42_1576:
	s_branch .LBB42_1581
.LBB42_1577:
	s_mov_b32 s16, -1
                                        ; implicit-def: $vgpr0_vgpr1
	s_branch .LBB42_1581
.LBB42_1578:
	s_cmp_eq_u32 s0, 29
	s_cbranch_scc0 .LBB42_1580
; %bb.1579:
	global_load_b64 v[0:1], v[4:5], off
	s_mov_b32 s16, 0
	s_mov_b32 s21, -1
	s_mov_b32 s22, 0
	s_wait_loadcnt 0x0
	v_cvt_f64_u32_e32 v[6:7], v1
	v_cvt_f64_u32_e32 v[0:1], v0
	s_delay_alu instid0(VALU_DEP_2) | instskip(NEXT) | instid1(VALU_DEP_1)
	v_ldexp_f64 v[6:7], v[6:7], 32
	v_add_f64_e32 v[0:1], v[6:7], v[0:1]
	s_branch .LBB42_1582
.LBB42_1580:
	s_mov_b32 s16, -1
                                        ; implicit-def: $vgpr0_vgpr1
.LBB42_1581:
	s_mov_b32 s22, 0
.LBB42_1582:
	s_delay_alu instid0(SALU_CYCLE_1)
	s_and_b32 vcc_lo, exec_lo, s22
	s_cbranch_vccz .LBB42_1600
; %bb.1583:
	s_cmp_lt_i32 s0, 27
	s_cbranch_scc1 .LBB42_1586
; %bb.1584:
	s_cmp_gt_i32 s0, 27
	s_cbranch_scc0 .LBB42_1587
; %bb.1585:
	global_load_b32 v0, v[4:5], off
	s_mov_b32 s21, 0
	s_wait_loadcnt 0x0
	v_cvt_f64_u32_e32 v[0:1], v0
	s_branch .LBB42_1588
.LBB42_1586:
	s_mov_b32 s21, -1
                                        ; implicit-def: $vgpr0_vgpr1
	s_branch .LBB42_1591
.LBB42_1587:
	s_mov_b32 s21, -1
                                        ; implicit-def: $vgpr0_vgpr1
.LBB42_1588:
	s_delay_alu instid0(SALU_CYCLE_1)
	s_and_not1_b32 vcc_lo, exec_lo, s21
	s_cbranch_vccnz .LBB42_1590
; %bb.1589:
	global_load_u16 v0, v[4:5], off
	s_wait_loadcnt 0x0
	v_cvt_f64_u32_e32 v[0:1], v0
.LBB42_1590:
	s_mov_b32 s21, 0
.LBB42_1591:
	s_delay_alu instid0(SALU_CYCLE_1)
	s_and_not1_b32 vcc_lo, exec_lo, s21
	s_cbranch_vccnz .LBB42_1599
; %bb.1592:
	global_load_u8 v3, v[4:5], off
	s_mov_b32 s21, 0
	s_mov_b32 s22, exec_lo
	s_wait_loadcnt 0x0
	v_cmpx_lt_i16_e32 0x7f, v3
	s_xor_b32 s22, exec_lo, s22
	s_cbranch_execz .LBB42_1612
; %bb.1593:
	s_mov_b32 s21, -1
	s_mov_b32 s23, exec_lo
	v_cmpx_eq_u16_e32 0x80, v3
; %bb.1594:
	s_xor_b32 s21, exec_lo, -1
; %bb.1595:
	s_or_b32 exec_lo, exec_lo, s23
	s_delay_alu instid0(SALU_CYCLE_1)
	s_and_b32 s21, s21, exec_lo
	s_or_saveexec_b32 s22, s22
	v_mov_b64_e32 v[0:1], 0x7ff8000020000000
	s_xor_b32 exec_lo, exec_lo, s22
	s_cbranch_execnz .LBB42_1613
.LBB42_1596:
	s_or_b32 exec_lo, exec_lo, s22
	s_and_saveexec_b32 s22, s21
	s_cbranch_execz .LBB42_1598
.LBB42_1597:
	v_and_b32_e32 v0, 0xffff, v3
	s_delay_alu instid0(VALU_DEP_1) | instskip(SKIP_1) | instid1(VALU_DEP_2)
	v_and_b32_e32 v1, 7, v0
	v_bfe_u32 v8, v0, 3, 4
	v_clz_i32_u32_e32 v6, v1
	s_delay_alu instid0(VALU_DEP_2) | instskip(NEXT) | instid1(VALU_DEP_2)
	v_cmp_eq_u32_e32 vcc_lo, 0, v8
	v_min_u32_e32 v6, 32, v6
	s_delay_alu instid0(VALU_DEP_1) | instskip(NEXT) | instid1(VALU_DEP_1)
	v_subrev_nc_u32_e32 v7, 28, v6
	v_dual_lshlrev_b32 v0, v7, v0 :: v_dual_sub_nc_u32 v6, 29, v6
	s_delay_alu instid0(VALU_DEP_1) | instskip(NEXT) | instid1(VALU_DEP_1)
	v_dual_lshlrev_b32 v3, 24, v3 :: v_dual_bitop2_b32 v0, 7, v0 bitop3:0x40
	v_dual_cndmask_b32 v6, v8, v6, vcc_lo :: v_dual_cndmask_b32 v0, v1, v0, vcc_lo
	s_delay_alu instid0(VALU_DEP_2) | instskip(NEXT) | instid1(VALU_DEP_2)
	v_and_b32_e32 v1, 0x80000000, v3
	v_lshl_add_u32 v3, v6, 23, 0x3b800000
	s_delay_alu instid0(VALU_DEP_3) | instskip(NEXT) | instid1(VALU_DEP_1)
	v_lshlrev_b32_e32 v0, 20, v0
	v_or3_b32 v0, v1, v3, v0
	s_delay_alu instid0(VALU_DEP_1)
	v_cvt_f64_f32_e32 v[0:1], v0
.LBB42_1598:
	s_or_b32 exec_lo, exec_lo, s22
.LBB42_1599:
	s_mov_b32 s21, -1
.LBB42_1600:
	s_branch .LBB42_1632
.LBB42_1601:
	s_cmp_gt_i32 s0, 22
	s_cbranch_scc0 .LBB42_1611
; %bb.1602:
	s_cmp_lt_i32 s0, 24
	s_cbranch_scc1 .LBB42_1614
; %bb.1603:
	s_cmp_gt_i32 s0, 24
	s_cbranch_scc0 .LBB42_1615
; %bb.1604:
	global_load_u8 v3, v[4:5], off
	s_mov_b32 s21, exec_lo
	s_wait_loadcnt 0x0
	v_cmpx_lt_i16_e32 0x7f, v3
	s_xor_b32 s21, exec_lo, s21
	s_cbranch_execz .LBB42_1626
; %bb.1605:
	s_mov_b32 s20, -1
	s_mov_b32 s22, exec_lo
	v_cmpx_eq_u16_e32 0x80, v3
; %bb.1606:
	s_xor_b32 s20, exec_lo, -1
; %bb.1607:
	s_or_b32 exec_lo, exec_lo, s22
	s_delay_alu instid0(SALU_CYCLE_1)
	s_and_b32 s20, s20, exec_lo
	s_or_saveexec_b32 s21, s21
	v_mov_b64_e32 v[0:1], 0x7ff8000020000000
	s_xor_b32 exec_lo, exec_lo, s21
	s_cbranch_execnz .LBB42_1627
.LBB42_1608:
	s_or_b32 exec_lo, exec_lo, s21
	s_and_saveexec_b32 s21, s20
	s_cbranch_execz .LBB42_1610
.LBB42_1609:
	v_and_b32_e32 v0, 0xffff, v3
	s_delay_alu instid0(VALU_DEP_1) | instskip(SKIP_1) | instid1(VALU_DEP_2)
	v_and_b32_e32 v1, 3, v0
	v_bfe_u32 v8, v0, 2, 5
	v_clz_i32_u32_e32 v6, v1
	s_delay_alu instid0(VALU_DEP_2) | instskip(NEXT) | instid1(VALU_DEP_2)
	v_cmp_eq_u32_e32 vcc_lo, 0, v8
	v_min_u32_e32 v6, 32, v6
	s_delay_alu instid0(VALU_DEP_1) | instskip(NEXT) | instid1(VALU_DEP_1)
	v_subrev_nc_u32_e32 v7, 29, v6
	v_dual_lshlrev_b32 v0, v7, v0 :: v_dual_sub_nc_u32 v6, 30, v6
	s_delay_alu instid0(VALU_DEP_1) | instskip(NEXT) | instid1(VALU_DEP_1)
	v_dual_lshlrev_b32 v3, 24, v3 :: v_dual_bitop2_b32 v0, 3, v0 bitop3:0x40
	v_dual_cndmask_b32 v6, v8, v6, vcc_lo :: v_dual_cndmask_b32 v0, v1, v0, vcc_lo
	s_delay_alu instid0(VALU_DEP_2) | instskip(NEXT) | instid1(VALU_DEP_2)
	v_and_b32_e32 v1, 0x80000000, v3
	v_lshl_add_u32 v3, v6, 23, 0x37800000
	s_delay_alu instid0(VALU_DEP_3) | instskip(NEXT) | instid1(VALU_DEP_1)
	v_lshlrev_b32_e32 v0, 21, v0
	v_or3_b32 v0, v1, v3, v0
	s_delay_alu instid0(VALU_DEP_1)
	v_cvt_f64_f32_e32 v[0:1], v0
.LBB42_1610:
	s_or_b32 exec_lo, exec_lo, s21
	s_mov_b32 s20, 0
	s_branch .LBB42_1616
.LBB42_1611:
                                        ; implicit-def: $vgpr0_vgpr1
	s_mov_b32 s20, 0
	s_branch .LBB42_1622
.LBB42_1612:
	s_or_saveexec_b32 s22, s22
	v_mov_b64_e32 v[0:1], 0x7ff8000020000000
	s_xor_b32 exec_lo, exec_lo, s22
	s_cbranch_execz .LBB42_1596
.LBB42_1613:
	v_cmp_ne_u16_e32 vcc_lo, 0, v3
	v_mov_b64_e32 v[0:1], 0
	s_and_not1_b32 s21, s21, exec_lo
	s_and_b32 s23, vcc_lo, exec_lo
	s_delay_alu instid0(SALU_CYCLE_1)
	s_or_b32 s21, s21, s23
	s_or_b32 exec_lo, exec_lo, s22
	s_and_saveexec_b32 s22, s21
	s_cbranch_execnz .LBB42_1597
	s_branch .LBB42_1598
.LBB42_1614:
	s_mov_b32 s20, -1
                                        ; implicit-def: $vgpr0_vgpr1
	s_branch .LBB42_1619
.LBB42_1615:
	s_mov_b32 s20, -1
                                        ; implicit-def: $vgpr0_vgpr1
.LBB42_1616:
	s_delay_alu instid0(SALU_CYCLE_1)
	s_and_b32 vcc_lo, exec_lo, s20
	s_cbranch_vccz .LBB42_1618
; %bb.1617:
	global_load_u8 v0, v[4:5], off
	s_wait_loadcnt 0x0
	v_lshlrev_b32_e32 v0, 24, v0
	s_delay_alu instid0(VALU_DEP_1) | instskip(NEXT) | instid1(VALU_DEP_1)
	v_and_b32_e32 v1, 0x7f000000, v0
	v_clz_i32_u32_e32 v3, v1
	v_add_nc_u32_e32 v7, 0x1000000, v1
	v_cmp_ne_u32_e32 vcc_lo, 0, v1
	s_delay_alu instid0(VALU_DEP_3) | instskip(NEXT) | instid1(VALU_DEP_1)
	v_min_u32_e32 v3, 32, v3
	v_sub_nc_u32_e64 v3, v3, 4 clamp
	s_delay_alu instid0(VALU_DEP_1) | instskip(NEXT) | instid1(VALU_DEP_1)
	v_dual_lshlrev_b32 v6, v3, v1 :: v_dual_lshlrev_b32 v3, 23, v3
	v_lshrrev_b32_e32 v6, 4, v6
	s_delay_alu instid0(VALU_DEP_1) | instskip(SKIP_1) | instid1(VALU_DEP_2)
	v_sub_nc_u32_e32 v3, v6, v3
	v_ashrrev_i32_e32 v6, 8, v7
	v_add_nc_u32_e32 v3, 0x3c000000, v3
	s_delay_alu instid0(VALU_DEP_1) | instskip(NEXT) | instid1(VALU_DEP_1)
	v_and_or_b32 v3, 0x7f800000, v6, v3
	v_cndmask_b32_e32 v1, 0, v3, vcc_lo
	s_delay_alu instid0(VALU_DEP_1) | instskip(NEXT) | instid1(VALU_DEP_1)
	v_and_or_b32 v0, 0x80000000, v0, v1
	v_cvt_f64_f32_e32 v[0:1], v0
.LBB42_1618:
	s_mov_b32 s20, 0
.LBB42_1619:
	s_delay_alu instid0(SALU_CYCLE_1)
	s_and_not1_b32 vcc_lo, exec_lo, s20
	s_cbranch_vccnz .LBB42_1621
; %bb.1620:
	global_load_u8 v0, v[4:5], off
	s_wait_loadcnt 0x0
	v_lshlrev_b32_e32 v1, 25, v0
	v_lshlrev_b16 v0, 8, v0
	s_delay_alu instid0(VALU_DEP_1) | instskip(SKIP_1) | instid1(VALU_DEP_2)
	v_and_or_b32 v6, 0x7f00, v0, 0.5
	v_bfe_i32 v0, v0, 0, 16
	v_dual_add_f32 v6, -0.5, v6 :: v_dual_lshrrev_b32 v3, 4, v1
	v_cmp_gt_u32_e32 vcc_lo, 0x8000000, v1
	s_delay_alu instid0(VALU_DEP_2) | instskip(NEXT) | instid1(VALU_DEP_1)
	v_or_b32_e32 v3, 0x70000000, v3
	v_mul_f32_e32 v3, 0x7800000, v3
	s_delay_alu instid0(VALU_DEP_1) | instskip(NEXT) | instid1(VALU_DEP_1)
	v_cndmask_b32_e32 v1, v3, v6, vcc_lo
	v_and_or_b32 v0, 0x80000000, v0, v1
	s_delay_alu instid0(VALU_DEP_1)
	v_cvt_f64_f32_e32 v[0:1], v0
.LBB42_1621:
	s_mov_b32 s21, -1
	s_mov_b32 s20, 0
	s_cbranch_execnz .LBB42_1632
.LBB42_1622:
	s_cmp_gt_i32 s0, 14
	s_cbranch_scc0 .LBB42_1625
; %bb.1623:
	s_cmp_eq_u32 s0, 15
	s_cbranch_scc0 .LBB42_1628
; %bb.1624:
	global_load_u16 v0, v[4:5], off
	s_mov_b32 s16, 0
	s_mov_b32 s21, -1
	s_wait_loadcnt 0x0
	v_lshlrev_b32_e32 v0, 16, v0
	s_delay_alu instid0(VALU_DEP_1)
	v_cvt_f64_f32_e32 v[0:1], v0
	s_branch .LBB42_1630
.LBB42_1625:
	s_mov_b32 s20, -1
	s_branch .LBB42_1629
.LBB42_1626:
	s_or_saveexec_b32 s21, s21
	v_mov_b64_e32 v[0:1], 0x7ff8000020000000
	s_xor_b32 exec_lo, exec_lo, s21
	s_cbranch_execz .LBB42_1608
.LBB42_1627:
	v_cmp_ne_u16_e32 vcc_lo, 0, v3
	v_mov_b64_e32 v[0:1], 0
	s_and_not1_b32 s20, s20, exec_lo
	s_and_b32 s22, vcc_lo, exec_lo
	s_delay_alu instid0(SALU_CYCLE_1)
	s_or_b32 s20, s20, s22
	s_or_b32 exec_lo, exec_lo, s21
	s_and_saveexec_b32 s21, s20
	s_cbranch_execnz .LBB42_1609
	s_branch .LBB42_1610
.LBB42_1628:
	s_mov_b32 s16, -1
.LBB42_1629:
                                        ; implicit-def: $vgpr0_vgpr1
.LBB42_1630:
	s_and_b32 vcc_lo, exec_lo, s20
	s_mov_b32 s20, 0
	s_cbranch_vccz .LBB42_1632
; %bb.1631:
	s_cmp_lg_u32 s0, 11
	s_mov_b32 s20, -1
	s_cselect_b32 s16, -1, 0
.LBB42_1632:
	s_delay_alu instid0(SALU_CYCLE_1)
	s_and_b32 vcc_lo, exec_lo, s16
	s_mov_b32 s16, s19
	s_cbranch_vccnz .LBB42_1693
; %bb.1633:
	s_and_not1_b32 vcc_lo, exec_lo, s20
	s_cbranch_vccnz .LBB42_1635
.LBB42_1634:
	global_load_u8 v0, v[4:5], off
	s_mov_b32 s21, -1
	s_wait_loadcnt 0x0
	v_cmp_ne_u16_e32 vcc_lo, 0, v0
	v_mov_b32_e32 v0, 0
	v_cndmask_b32_e64 v1, 0, 0x3ff00000, vcc_lo
.LBB42_1635:
	s_branch .LBB42_1564
.LBB42_1636:
	s_and_b32 s0, 0xffff, s17
	s_delay_alu instid0(SALU_CYCLE_1)
	s_cmp_lt_i32 s0, 5
	s_cbranch_scc1 .LBB42_1641
; %bb.1637:
	s_cmp_lt_i32 s0, 8
	s_cbranch_scc1 .LBB42_1642
; %bb.1638:
	;; [unrolled: 3-line block ×3, first 2 shown]
	s_cmp_gt_i32 s0, 9
	s_cbranch_scc0 .LBB42_1644
; %bb.1640:
	global_load_b64 v[0:1], v[4:5], off
	s_mov_b32 s20, 0
	s_branch .LBB42_1645
.LBB42_1641:
                                        ; implicit-def: $vgpr0_vgpr1
	s_branch .LBB42_1662
.LBB42_1642:
                                        ; implicit-def: $vgpr0_vgpr1
	s_branch .LBB42_1651
.LBB42_1643:
	s_mov_b32 s20, -1
                                        ; implicit-def: $vgpr0_vgpr1
	s_branch .LBB42_1648
.LBB42_1644:
	s_mov_b32 s20, -1
                                        ; implicit-def: $vgpr0_vgpr1
.LBB42_1645:
	s_delay_alu instid0(SALU_CYCLE_1)
	s_and_not1_b32 vcc_lo, exec_lo, s20
	s_cbranch_vccnz .LBB42_1647
; %bb.1646:
	s_wait_loadcnt 0x0
	global_load_b32 v0, v[4:5], off
	s_wait_loadcnt 0x0
	v_cvt_f64_f32_e32 v[0:1], v0
.LBB42_1647:
	s_mov_b32 s20, 0
.LBB42_1648:
	s_delay_alu instid0(SALU_CYCLE_1)
	s_and_not1_b32 vcc_lo, exec_lo, s20
	s_cbranch_vccnz .LBB42_1650
; %bb.1649:
	s_wait_loadcnt 0x0
	global_load_b32 v0, v[4:5], off
	s_wait_loadcnt 0x0
	v_cvt_f32_f16_e32 v0, v0
	s_delay_alu instid0(VALU_DEP_1)
	v_cvt_f64_f32_e32 v[0:1], v0
.LBB42_1650:
	s_cbranch_execnz .LBB42_1661
.LBB42_1651:
	s_cmp_lt_i32 s0, 6
	s_cbranch_scc1 .LBB42_1654
; %bb.1652:
	s_cmp_gt_i32 s0, 6
	s_cbranch_scc0 .LBB42_1655
; %bb.1653:
	s_wait_loadcnt 0x0
	global_load_b64 v[0:1], v[4:5], off
	s_mov_b32 s20, 0
	s_branch .LBB42_1656
.LBB42_1654:
	s_mov_b32 s20, -1
                                        ; implicit-def: $vgpr0_vgpr1
	s_branch .LBB42_1659
.LBB42_1655:
	s_mov_b32 s20, -1
                                        ; implicit-def: $vgpr0_vgpr1
.LBB42_1656:
	s_delay_alu instid0(SALU_CYCLE_1)
	s_and_not1_b32 vcc_lo, exec_lo, s20
	s_cbranch_vccnz .LBB42_1658
; %bb.1657:
	s_wait_loadcnt 0x0
	global_load_b32 v0, v[4:5], off
	s_wait_loadcnt 0x0
	v_cvt_f64_f32_e32 v[0:1], v0
.LBB42_1658:
	s_mov_b32 s20, 0
.LBB42_1659:
	s_delay_alu instid0(SALU_CYCLE_1)
	s_and_not1_b32 vcc_lo, exec_lo, s20
	s_cbranch_vccnz .LBB42_1661
; %bb.1660:
	s_wait_loadcnt 0x0
	global_load_u16 v0, v[4:5], off
	s_wait_loadcnt 0x0
	v_cvt_f32_f16_e32 v0, v0
	s_delay_alu instid0(VALU_DEP_1)
	v_cvt_f64_f32_e32 v[0:1], v0
.LBB42_1661:
	s_cbranch_execnz .LBB42_1680
.LBB42_1662:
	s_cmp_lt_i32 s0, 2
	s_cbranch_scc1 .LBB42_1666
; %bb.1663:
	s_cmp_lt_i32 s0, 3
	s_cbranch_scc1 .LBB42_1667
; %bb.1664:
	s_cmp_gt_i32 s0, 3
	s_cbranch_scc0 .LBB42_1668
; %bb.1665:
	s_wait_loadcnt 0x0
	global_load_b64 v[0:1], v[4:5], off
	s_mov_b32 s20, 0
	s_wait_loadcnt 0x0
	v_cvt_f64_i32_e32 v[6:7], v1
	v_cvt_f64_u32_e32 v[0:1], v0
	s_delay_alu instid0(VALU_DEP_2) | instskip(NEXT) | instid1(VALU_DEP_1)
	v_ldexp_f64 v[6:7], v[6:7], 32
	v_add_f64_e32 v[0:1], v[6:7], v[0:1]
	s_branch .LBB42_1669
.LBB42_1666:
                                        ; implicit-def: $vgpr0_vgpr1
	s_branch .LBB42_1675
.LBB42_1667:
	s_mov_b32 s20, -1
                                        ; implicit-def: $vgpr0_vgpr1
	s_branch .LBB42_1672
.LBB42_1668:
	s_mov_b32 s20, -1
                                        ; implicit-def: $vgpr0_vgpr1
.LBB42_1669:
	s_delay_alu instid0(SALU_CYCLE_1)
	s_and_not1_b32 vcc_lo, exec_lo, s20
	s_cbranch_vccnz .LBB42_1671
; %bb.1670:
	s_wait_loadcnt 0x0
	global_load_b32 v0, v[4:5], off
	s_wait_loadcnt 0x0
	v_cvt_f64_i32_e32 v[0:1], v0
.LBB42_1671:
	s_mov_b32 s20, 0
.LBB42_1672:
	s_delay_alu instid0(SALU_CYCLE_1)
	s_and_not1_b32 vcc_lo, exec_lo, s20
	s_cbranch_vccnz .LBB42_1674
; %bb.1673:
	s_wait_loadcnt 0x0
	global_load_i16 v0, v[4:5], off
	s_wait_loadcnt 0x0
	v_cvt_f64_i32_e32 v[0:1], v0
.LBB42_1674:
	s_cbranch_execnz .LBB42_1680
.LBB42_1675:
	s_cmp_gt_i32 s0, 0
	s_mov_b32 s0, 0
	s_cbranch_scc0 .LBB42_1677
; %bb.1676:
	s_wait_loadcnt 0x0
	global_load_i8 v0, v[4:5], off
	s_wait_loadcnt 0x0
	v_cvt_f64_i32_e32 v[0:1], v0
	s_branch .LBB42_1678
.LBB42_1677:
	s_mov_b32 s0, -1
                                        ; implicit-def: $vgpr0_vgpr1
.LBB42_1678:
	s_delay_alu instid0(SALU_CYCLE_1)
	s_and_not1_b32 vcc_lo, exec_lo, s0
	s_cbranch_vccnz .LBB42_1680
; %bb.1679:
	s_wait_loadcnt 0x0
	global_load_u8 v0, v[4:5], off
	s_wait_loadcnt 0x0
	v_cvt_f64_u32_e32 v[0:1], v0
.LBB42_1680:
.LBB42_1681:
	v_mul_lo_u32 v6, s14, v14
	s_and_b32 s1, s1, 0xff
	s_delay_alu instid0(SALU_CYCLE_1) | instskip(NEXT) | instid1(VALU_DEP_1)
	s_cmp_lt_i32 s1, 11
	v_ashrrev_i32_e32 v7, 31, v6
	s_wait_xcnt 0x0
	s_delay_alu instid0(VALU_DEP_1)
	v_add_nc_u64_e32 v[4:5], s[2:3], v[6:7]
	s_cbranch_scc1 .LBB42_1688
; %bb.1682:
	s_and_b32 s0, 0xffff, s1
	s_mov_b32 s21, 0
	s_cmp_gt_i32 s0, 25
	s_cbranch_scc0 .LBB42_1690
; %bb.1683:
	s_cmp_gt_i32 s0, 28
	s_cbranch_scc0 .LBB42_1691
; %bb.1684:
	;; [unrolled: 3-line block ×4, first 2 shown]
	s_cmp_eq_u32 s0, 46
	s_mov_b32 s23, 0
	s_cbranch_scc0 .LBB42_1697
; %bb.1687:
	global_load_b32 v3, v[4:5], off
	s_mov_b32 s20, 0
	s_mov_b32 s22, -1
	s_wait_loadcnt 0x0
	v_lshlrev_b32_e32 v3, 16, v3
	s_delay_alu instid0(VALU_DEP_1)
	v_cvt_f64_f32_e32 v[8:9], v3
	s_branch .LBB42_1699
.LBB42_1688:
	s_mov_b32 s22, 0
                                        ; implicit-def: $vgpr8_vgpr9
	s_cbranch_execnz .LBB42_1764
.LBB42_1689:
	s_and_not1_b32 vcc_lo, exec_lo, s22
	s_cbranch_vccnz .LBB42_2684
	s_branch .LBB42_1811
.LBB42_1690:
	s_mov_b32 s22, 0
	s_mov_b32 s20, 0
                                        ; implicit-def: $vgpr8_vgpr9
	s_cbranch_execnz .LBB42_1728
	s_branch .LBB42_1760
.LBB42_1691:
	s_mov_b32 s23, -1
	s_mov_b32 s22, 0
	s_mov_b32 s20, 0
                                        ; implicit-def: $vgpr8_vgpr9
	s_branch .LBB42_1709
.LBB42_1692:
	s_mov_b32 s23, -1
	s_mov_b32 s22, 0
	s_mov_b32 s20, 0
                                        ; implicit-def: $vgpr8_vgpr9
	s_branch .LBB42_1704
.LBB42_1693:
	s_or_b32 s16, s19, exec_lo
	s_trap 2
	s_cbranch_execz .LBB42_1634
	s_branch .LBB42_1635
.LBB42_1694:
	s_mov_b32 s23, -1
	s_mov_b32 s22, 0
	s_mov_b32 s20, 0
	s_branch .LBB42_1698
.LBB42_1695:
	s_and_not1_saveexec_b32 s27, s27
	s_cbranch_execz .LBB42_1480
.LBB42_1696:
	v_add_f32_e64 v3, 0x42800000, |v2|
	s_and_not1_b32 s26, s26, exec_lo
	s_delay_alu instid0(VALU_DEP_1) | instskip(NEXT) | instid1(VALU_DEP_1)
	v_and_b32_e32 v3, 0xff, v3
	v_cmp_ne_u32_e32 vcc_lo, 0, v3
	s_and_b32 s28, vcc_lo, exec_lo
	s_delay_alu instid0(SALU_CYCLE_1)
	s_or_b32 s26, s26, s28
	s_or_b32 exec_lo, exec_lo, s27
	v_mov_b32_e32 v6, 0
	s_and_saveexec_b32 s27, s26
	s_cbranch_execnz .LBB42_1481
	s_branch .LBB42_1482
.LBB42_1697:
	s_mov_b32 s20, -1
	s_mov_b32 s22, 0
.LBB42_1698:
                                        ; implicit-def: $vgpr8_vgpr9
.LBB42_1699:
	s_and_b32 vcc_lo, exec_lo, s23
	s_cbranch_vccz .LBB42_1703
; %bb.1700:
	s_cmp_eq_u32 s0, 44
	s_cbranch_scc0 .LBB42_1702
; %bb.1701:
	global_load_u8 v3, v[4:5], off
	s_mov_b32 s20, 0
	s_mov_b32 s22, -1
	s_wait_loadcnt 0x0
	v_cmp_ne_u32_e32 vcc_lo, 0xff, v3
	v_lshlrev_b32_e32 v7, 23, v3
	s_delay_alu instid0(VALU_DEP_1) | instskip(NEXT) | instid1(VALU_DEP_1)
	v_cvt_f64_f32_e32 v[8:9], v7
	v_cndmask_b32_e32 v7, 0x20000000, v8, vcc_lo
	s_delay_alu instid0(VALU_DEP_2) | instskip(SKIP_1) | instid1(VALU_DEP_2)
	v_cndmask_b32_e32 v8, 0x7ff80000, v9, vcc_lo
	v_cmp_ne_u32_e32 vcc_lo, 0, v3
	v_cndmask_b32_e32 v9, 0x38000000, v8, vcc_lo
	s_delay_alu instid0(VALU_DEP_4)
	v_cndmask_b32_e32 v8, 0, v7, vcc_lo
	s_branch .LBB42_1703
.LBB42_1702:
	s_mov_b32 s20, -1
                                        ; implicit-def: $vgpr8_vgpr9
.LBB42_1703:
	s_mov_b32 s23, 0
.LBB42_1704:
	s_delay_alu instid0(SALU_CYCLE_1)
	s_and_b32 vcc_lo, exec_lo, s23
	s_cbranch_vccz .LBB42_1708
; %bb.1705:
	s_cmp_eq_u32 s0, 29
	s_cbranch_scc0 .LBB42_1707
; %bb.1706:
	global_load_b64 v[8:9], v[4:5], off
	s_mov_b32 s20, 0
	s_mov_b32 s22, -1
	s_mov_b32 s23, 0
	s_wait_loadcnt 0x0
	v_cvt_f64_u32_e32 v[10:11], v9
	v_cvt_f64_u32_e32 v[8:9], v8
	s_delay_alu instid0(VALU_DEP_2) | instskip(NEXT) | instid1(VALU_DEP_1)
	v_ldexp_f64 v[10:11], v[10:11], 32
	v_add_f64_e32 v[8:9], v[10:11], v[8:9]
	s_branch .LBB42_1709
.LBB42_1707:
	s_mov_b32 s20, -1
                                        ; implicit-def: $vgpr8_vgpr9
.LBB42_1708:
	s_mov_b32 s23, 0
.LBB42_1709:
	s_delay_alu instid0(SALU_CYCLE_1)
	s_and_b32 vcc_lo, exec_lo, s23
	s_cbranch_vccz .LBB42_1727
; %bb.1710:
	s_cmp_lt_i32 s0, 27
	s_cbranch_scc1 .LBB42_1713
; %bb.1711:
	s_cmp_gt_i32 s0, 27
	s_cbranch_scc0 .LBB42_1714
; %bb.1712:
	global_load_b32 v3, v[4:5], off
	s_mov_b32 s22, 0
	s_wait_loadcnt 0x0
	v_cvt_f64_u32_e32 v[8:9], v3
	s_branch .LBB42_1715
.LBB42_1713:
	s_mov_b32 s22, -1
                                        ; implicit-def: $vgpr8_vgpr9
	s_branch .LBB42_1718
.LBB42_1714:
	s_mov_b32 s22, -1
                                        ; implicit-def: $vgpr8_vgpr9
.LBB42_1715:
	s_delay_alu instid0(SALU_CYCLE_1)
	s_and_not1_b32 vcc_lo, exec_lo, s22
	s_cbranch_vccnz .LBB42_1717
; %bb.1716:
	global_load_u16 v3, v[4:5], off
	s_wait_loadcnt 0x0
	v_cvt_f64_u32_e32 v[8:9], v3
.LBB42_1717:
	s_mov_b32 s22, 0
.LBB42_1718:
	s_delay_alu instid0(SALU_CYCLE_1)
	s_and_not1_b32 vcc_lo, exec_lo, s22
	s_cbranch_vccnz .LBB42_1726
; %bb.1719:
	global_load_u8 v3, v[4:5], off
	s_mov_b32 s22, 0
	s_mov_b32 s23, exec_lo
	s_wait_loadcnt 0x0
	v_cmpx_lt_i16_e32 0x7f, v3
	s_xor_b32 s23, exec_lo, s23
	s_cbranch_execz .LBB42_1739
; %bb.1720:
	s_mov_b32 s22, -1
	s_mov_b32 s24, exec_lo
	v_cmpx_eq_u16_e32 0x80, v3
; %bb.1721:
	s_xor_b32 s22, exec_lo, -1
; %bb.1722:
	s_or_b32 exec_lo, exec_lo, s24
	s_delay_alu instid0(SALU_CYCLE_1)
	s_and_b32 s22, s22, exec_lo
	s_or_saveexec_b32 s23, s23
	v_mov_b64_e32 v[8:9], 0x7ff8000020000000
	s_xor_b32 exec_lo, exec_lo, s23
	s_cbranch_execnz .LBB42_1740
.LBB42_1723:
	s_or_b32 exec_lo, exec_lo, s23
	s_and_saveexec_b32 s23, s22
	s_cbranch_execz .LBB42_1725
.LBB42_1724:
	v_and_b32_e32 v7, 0xffff, v3
	s_delay_alu instid0(VALU_DEP_1) | instskip(SKIP_1) | instid1(VALU_DEP_2)
	v_and_b32_e32 v8, 7, v7
	v_bfe_u32 v11, v7, 3, 4
	v_clz_i32_u32_e32 v9, v8
	s_delay_alu instid0(VALU_DEP_2) | instskip(NEXT) | instid1(VALU_DEP_2)
	v_cmp_eq_u32_e32 vcc_lo, 0, v11
	v_min_u32_e32 v9, 32, v9
	s_delay_alu instid0(VALU_DEP_1) | instskip(NEXT) | instid1(VALU_DEP_1)
	v_subrev_nc_u32_e32 v10, 28, v9
	v_dual_lshlrev_b32 v7, v10, v7 :: v_dual_sub_nc_u32 v9, 29, v9
	s_delay_alu instid0(VALU_DEP_1) | instskip(NEXT) | instid1(VALU_DEP_2)
	v_and_b32_e32 v7, 7, v7
	v_dual_lshlrev_b32 v3, 24, v3 :: v_dual_cndmask_b32 v9, v11, v9, vcc_lo
	s_delay_alu instid0(VALU_DEP_2) | instskip(NEXT) | instid1(VALU_DEP_2)
	v_cndmask_b32_e32 v7, v8, v7, vcc_lo
	v_and_b32_e32 v3, 0x80000000, v3
	s_delay_alu instid0(VALU_DEP_3) | instskip(NEXT) | instid1(VALU_DEP_3)
	v_lshl_add_u32 v8, v9, 23, 0x3b800000
	v_lshlrev_b32_e32 v7, 20, v7
	s_delay_alu instid0(VALU_DEP_1) | instskip(NEXT) | instid1(VALU_DEP_1)
	v_or3_b32 v3, v3, v8, v7
	v_cvt_f64_f32_e32 v[8:9], v3
.LBB42_1725:
	s_or_b32 exec_lo, exec_lo, s23
.LBB42_1726:
	s_mov_b32 s22, -1
.LBB42_1727:
	s_branch .LBB42_1760
.LBB42_1728:
	s_cmp_gt_i32 s0, 22
	s_cbranch_scc0 .LBB42_1738
; %bb.1729:
	s_cmp_lt_i32 s0, 24
	s_cbranch_scc1 .LBB42_1741
; %bb.1730:
	s_cmp_gt_i32 s0, 24
	s_cbranch_scc0 .LBB42_1742
; %bb.1731:
	global_load_u8 v3, v[4:5], off
	s_mov_b32 s22, exec_lo
	s_wait_loadcnt 0x0
	v_cmpx_lt_i16_e32 0x7f, v3
	s_xor_b32 s22, exec_lo, s22
	s_cbranch_execz .LBB42_1754
; %bb.1732:
	s_mov_b32 s21, -1
	s_mov_b32 s23, exec_lo
	v_cmpx_eq_u16_e32 0x80, v3
; %bb.1733:
	s_xor_b32 s21, exec_lo, -1
; %bb.1734:
	s_or_b32 exec_lo, exec_lo, s23
	s_delay_alu instid0(SALU_CYCLE_1)
	s_and_b32 s21, s21, exec_lo
	s_or_saveexec_b32 s22, s22
	v_mov_b64_e32 v[8:9], 0x7ff8000020000000
	s_xor_b32 exec_lo, exec_lo, s22
	s_cbranch_execnz .LBB42_1755
.LBB42_1735:
	s_or_b32 exec_lo, exec_lo, s22
	s_and_saveexec_b32 s22, s21
	s_cbranch_execz .LBB42_1737
.LBB42_1736:
	v_and_b32_e32 v7, 0xffff, v3
	s_delay_alu instid0(VALU_DEP_1) | instskip(SKIP_1) | instid1(VALU_DEP_2)
	v_and_b32_e32 v8, 3, v7
	v_bfe_u32 v11, v7, 2, 5
	v_clz_i32_u32_e32 v9, v8
	s_delay_alu instid0(VALU_DEP_2) | instskip(NEXT) | instid1(VALU_DEP_2)
	v_cmp_eq_u32_e32 vcc_lo, 0, v11
	v_min_u32_e32 v9, 32, v9
	s_delay_alu instid0(VALU_DEP_1) | instskip(NEXT) | instid1(VALU_DEP_1)
	v_subrev_nc_u32_e32 v10, 29, v9
	v_dual_lshlrev_b32 v7, v10, v7 :: v_dual_sub_nc_u32 v9, 30, v9
	s_delay_alu instid0(VALU_DEP_1) | instskip(NEXT) | instid1(VALU_DEP_2)
	v_and_b32_e32 v7, 3, v7
	v_dual_lshlrev_b32 v3, 24, v3 :: v_dual_cndmask_b32 v9, v11, v9, vcc_lo
	s_delay_alu instid0(VALU_DEP_2) | instskip(NEXT) | instid1(VALU_DEP_2)
	v_cndmask_b32_e32 v7, v8, v7, vcc_lo
	v_and_b32_e32 v3, 0x80000000, v3
	s_delay_alu instid0(VALU_DEP_3) | instskip(NEXT) | instid1(VALU_DEP_3)
	v_lshl_add_u32 v8, v9, 23, 0x37800000
	v_lshlrev_b32_e32 v7, 21, v7
	s_delay_alu instid0(VALU_DEP_1) | instskip(NEXT) | instid1(VALU_DEP_1)
	v_or3_b32 v3, v3, v8, v7
	v_cvt_f64_f32_e32 v[8:9], v3
.LBB42_1737:
	s_or_b32 exec_lo, exec_lo, s22
	s_mov_b32 s21, 0
	s_branch .LBB42_1743
.LBB42_1738:
	s_mov_b32 s21, -1
                                        ; implicit-def: $vgpr8_vgpr9
	s_branch .LBB42_1749
.LBB42_1739:
	s_or_saveexec_b32 s23, s23
	v_mov_b64_e32 v[8:9], 0x7ff8000020000000
	s_xor_b32 exec_lo, exec_lo, s23
	s_cbranch_execz .LBB42_1723
.LBB42_1740:
	v_cmp_ne_u16_e32 vcc_lo, 0, v3
	v_mov_b64_e32 v[8:9], 0
	s_and_not1_b32 s22, s22, exec_lo
	s_and_b32 s24, vcc_lo, exec_lo
	s_delay_alu instid0(SALU_CYCLE_1)
	s_or_b32 s22, s22, s24
	s_or_b32 exec_lo, exec_lo, s23
	s_and_saveexec_b32 s23, s22
	s_cbranch_execnz .LBB42_1724
	s_branch .LBB42_1725
.LBB42_1741:
	s_mov_b32 s21, -1
                                        ; implicit-def: $vgpr8_vgpr9
	s_branch .LBB42_1746
.LBB42_1742:
	s_mov_b32 s21, -1
                                        ; implicit-def: $vgpr8_vgpr9
.LBB42_1743:
	s_delay_alu instid0(SALU_CYCLE_1)
	s_and_b32 vcc_lo, exec_lo, s21
	s_cbranch_vccz .LBB42_1745
; %bb.1744:
	global_load_u8 v3, v[4:5], off
	s_wait_loadcnt 0x0
	v_lshlrev_b32_e32 v3, 24, v3
	s_delay_alu instid0(VALU_DEP_1) | instskip(NEXT) | instid1(VALU_DEP_1)
	v_and_b32_e32 v7, 0x7f000000, v3
	v_clz_i32_u32_e32 v8, v7
	v_cmp_ne_u32_e32 vcc_lo, 0, v7
	v_add_nc_u32_e32 v10, 0x1000000, v7
	s_delay_alu instid0(VALU_DEP_3) | instskip(NEXT) | instid1(VALU_DEP_1)
	v_min_u32_e32 v8, 32, v8
	v_sub_nc_u32_e64 v8, v8, 4 clamp
	s_delay_alu instid0(VALU_DEP_1) | instskip(NEXT) | instid1(VALU_DEP_1)
	v_dual_lshlrev_b32 v9, v8, v7 :: v_dual_lshlrev_b32 v8, 23, v8
	v_lshrrev_b32_e32 v9, 4, v9
	s_delay_alu instid0(VALU_DEP_1) | instskip(NEXT) | instid1(VALU_DEP_1)
	v_dual_sub_nc_u32 v8, v9, v8 :: v_dual_ashrrev_i32 v9, 8, v10
	v_add_nc_u32_e32 v8, 0x3c000000, v8
	s_delay_alu instid0(VALU_DEP_1) | instskip(NEXT) | instid1(VALU_DEP_1)
	v_and_or_b32 v8, 0x7f800000, v9, v8
	v_cndmask_b32_e32 v7, 0, v8, vcc_lo
	s_delay_alu instid0(VALU_DEP_1) | instskip(NEXT) | instid1(VALU_DEP_1)
	v_and_or_b32 v3, 0x80000000, v3, v7
	v_cvt_f64_f32_e32 v[8:9], v3
.LBB42_1745:
	s_mov_b32 s21, 0
.LBB42_1746:
	s_delay_alu instid0(SALU_CYCLE_1)
	s_and_not1_b32 vcc_lo, exec_lo, s21
	s_cbranch_vccnz .LBB42_1748
; %bb.1747:
	global_load_u8 v3, v[4:5], off
	s_wait_loadcnt 0x0
	v_lshlrev_b32_e32 v7, 25, v3
	v_lshlrev_b16 v3, 8, v3
	s_delay_alu instid0(VALU_DEP_1) | instskip(SKIP_1) | instid1(VALU_DEP_2)
	v_and_or_b32 v9, 0x7f00, v3, 0.5
	v_bfe_i32 v3, v3, 0, 16
	v_dual_add_f32 v9, -0.5, v9 :: v_dual_lshrrev_b32 v8, 4, v7
	v_cmp_gt_u32_e32 vcc_lo, 0x8000000, v7
	s_delay_alu instid0(VALU_DEP_2) | instskip(NEXT) | instid1(VALU_DEP_1)
	v_or_b32_e32 v8, 0x70000000, v8
	v_mul_f32_e32 v8, 0x7800000, v8
	s_delay_alu instid0(VALU_DEP_1) | instskip(NEXT) | instid1(VALU_DEP_1)
	v_cndmask_b32_e32 v7, v8, v9, vcc_lo
	v_and_or_b32 v3, 0x80000000, v3, v7
	s_delay_alu instid0(VALU_DEP_1)
	v_cvt_f64_f32_e32 v[8:9], v3
.LBB42_1748:
	s_mov_b32 s21, 0
	s_mov_b32 s22, -1
.LBB42_1749:
	s_and_not1_b32 vcc_lo, exec_lo, s21
	s_mov_b32 s21, 0
	s_cbranch_vccnz .LBB42_1760
; %bb.1750:
	s_cmp_gt_i32 s0, 14
	s_cbranch_scc0 .LBB42_1753
; %bb.1751:
	s_cmp_eq_u32 s0, 15
	s_cbranch_scc0 .LBB42_1756
; %bb.1752:
	global_load_u16 v3, v[4:5], off
	s_mov_b32 s20, 0
	s_mov_b32 s22, -1
	s_wait_loadcnt 0x0
	v_lshlrev_b32_e32 v3, 16, v3
	s_delay_alu instid0(VALU_DEP_1)
	v_cvt_f64_f32_e32 v[8:9], v3
	s_branch .LBB42_1758
.LBB42_1753:
	s_mov_b32 s21, -1
	s_branch .LBB42_1757
.LBB42_1754:
	s_or_saveexec_b32 s22, s22
	v_mov_b64_e32 v[8:9], 0x7ff8000020000000
	s_xor_b32 exec_lo, exec_lo, s22
	s_cbranch_execz .LBB42_1735
.LBB42_1755:
	v_cmp_ne_u16_e32 vcc_lo, 0, v3
	v_mov_b64_e32 v[8:9], 0
	s_and_not1_b32 s21, s21, exec_lo
	s_and_b32 s23, vcc_lo, exec_lo
	s_delay_alu instid0(SALU_CYCLE_1)
	s_or_b32 s21, s21, s23
	s_or_b32 exec_lo, exec_lo, s22
	s_and_saveexec_b32 s22, s21
	s_cbranch_execnz .LBB42_1736
	s_branch .LBB42_1737
.LBB42_1756:
	s_mov_b32 s20, -1
.LBB42_1757:
                                        ; implicit-def: $vgpr8_vgpr9
.LBB42_1758:
	s_and_b32 vcc_lo, exec_lo, s21
	s_mov_b32 s21, 0
	s_cbranch_vccz .LBB42_1760
; %bb.1759:
	s_cmp_lg_u32 s0, 11
	s_mov_b32 s21, -1
	s_cselect_b32 s20, -1, 0
.LBB42_1760:
	s_delay_alu instid0(SALU_CYCLE_1)
	s_and_b32 vcc_lo, exec_lo, s20
	s_cbranch_vccnz .LBB42_1825
; %bb.1761:
	s_and_not1_b32 vcc_lo, exec_lo, s21
	s_cbranch_vccnz .LBB42_1763
.LBB42_1762:
	global_load_u8 v3, v[4:5], off
	v_mov_b32_e32 v8, 0
	s_mov_b32 s22, -1
	s_wait_loadcnt 0x0
	v_cmp_ne_u16_e32 vcc_lo, 0, v3
	v_cndmask_b32_e64 v9, 0, 0x3ff00000, vcc_lo
.LBB42_1763:
	s_branch .LBB42_1689
.LBB42_1764:
	s_and_b32 s0, 0xffff, s1
	s_delay_alu instid0(SALU_CYCLE_1)
	s_cmp_lt_i32 s0, 5
	s_cbranch_scc1 .LBB42_1769
; %bb.1765:
	s_cmp_lt_i32 s0, 8
	s_cbranch_scc1 .LBB42_1770
; %bb.1766:
	;; [unrolled: 3-line block ×3, first 2 shown]
	s_cmp_gt_i32 s0, 9
	s_cbranch_scc0 .LBB42_1772
; %bb.1768:
	global_load_b64 v[8:9], v[4:5], off
	s_mov_b32 s20, 0
	s_branch .LBB42_1773
.LBB42_1769:
                                        ; implicit-def: $vgpr8_vgpr9
	s_branch .LBB42_1791
.LBB42_1770:
	s_mov_b32 s20, -1
                                        ; implicit-def: $vgpr8_vgpr9
	s_branch .LBB42_1779
.LBB42_1771:
	s_mov_b32 s20, -1
                                        ; implicit-def: $vgpr8_vgpr9
	s_branch .LBB42_1776
.LBB42_1772:
	s_mov_b32 s20, -1
                                        ; implicit-def: $vgpr8_vgpr9
.LBB42_1773:
	s_delay_alu instid0(SALU_CYCLE_1)
	s_and_not1_b32 vcc_lo, exec_lo, s20
	s_cbranch_vccnz .LBB42_1775
; %bb.1774:
	global_load_b32 v3, v[4:5], off
	s_wait_loadcnt 0x0
	v_cvt_f64_f32_e32 v[8:9], v3
.LBB42_1775:
	s_mov_b32 s20, 0
.LBB42_1776:
	s_delay_alu instid0(SALU_CYCLE_1)
	s_and_not1_b32 vcc_lo, exec_lo, s20
	s_cbranch_vccnz .LBB42_1778
; %bb.1777:
	global_load_b32 v3, v[4:5], off
	s_wait_loadcnt 0x0
	v_cvt_f32_f16_e32 v3, v3
	s_delay_alu instid0(VALU_DEP_1)
	v_cvt_f64_f32_e32 v[8:9], v3
.LBB42_1778:
	s_mov_b32 s20, 0
.LBB42_1779:
	s_delay_alu instid0(SALU_CYCLE_1)
	s_and_not1_b32 vcc_lo, exec_lo, s20
	s_cbranch_vccnz .LBB42_1790
; %bb.1780:
	s_cmp_lt_i32 s0, 6
	s_cbranch_scc1 .LBB42_1783
; %bb.1781:
	s_cmp_gt_i32 s0, 6
	s_cbranch_scc0 .LBB42_1784
; %bb.1782:
	s_wait_loadcnt 0x0
	global_load_b64 v[8:9], v[4:5], off
	s_mov_b32 s20, 0
	s_branch .LBB42_1785
.LBB42_1783:
	s_mov_b32 s20, -1
                                        ; implicit-def: $vgpr8_vgpr9
	s_branch .LBB42_1788
.LBB42_1784:
	s_mov_b32 s20, -1
                                        ; implicit-def: $vgpr8_vgpr9
.LBB42_1785:
	s_delay_alu instid0(SALU_CYCLE_1)
	s_and_not1_b32 vcc_lo, exec_lo, s20
	s_cbranch_vccnz .LBB42_1787
; %bb.1786:
	global_load_b32 v3, v[4:5], off
	s_wait_loadcnt 0x0
	v_cvt_f64_f32_e32 v[8:9], v3
.LBB42_1787:
	s_mov_b32 s20, 0
.LBB42_1788:
	s_delay_alu instid0(SALU_CYCLE_1)
	s_and_not1_b32 vcc_lo, exec_lo, s20
	s_cbranch_vccnz .LBB42_1790
; %bb.1789:
	global_load_u16 v3, v[4:5], off
	s_wait_loadcnt 0x0
	v_cvt_f32_f16_e32 v3, v3
	s_delay_alu instid0(VALU_DEP_1)
	v_cvt_f64_f32_e32 v[8:9], v3
.LBB42_1790:
	s_cbranch_execnz .LBB42_1810
.LBB42_1791:
	s_cmp_lt_i32 s0, 2
	s_cbranch_scc1 .LBB42_1795
; %bb.1792:
	s_cmp_lt_i32 s0, 3
	s_cbranch_scc1 .LBB42_1796
; %bb.1793:
	s_cmp_gt_i32 s0, 3
	s_cbranch_scc0 .LBB42_1797
; %bb.1794:
	s_wait_loadcnt 0x0
	global_load_b64 v[8:9], v[4:5], off
	s_mov_b32 s20, 0
	s_wait_loadcnt 0x0
	v_cvt_f64_i32_e32 v[10:11], v9
	v_cvt_f64_u32_e32 v[8:9], v8
	s_delay_alu instid0(VALU_DEP_2) | instskip(NEXT) | instid1(VALU_DEP_1)
	v_ldexp_f64 v[10:11], v[10:11], 32
	v_add_f64_e32 v[8:9], v[10:11], v[8:9]
	s_branch .LBB42_1798
.LBB42_1795:
	s_mov_b32 s20, -1
                                        ; implicit-def: $vgpr8_vgpr9
	s_branch .LBB42_1804
.LBB42_1796:
	s_mov_b32 s20, -1
                                        ; implicit-def: $vgpr8_vgpr9
	s_branch .LBB42_1801
.LBB42_1797:
	s_mov_b32 s20, -1
                                        ; implicit-def: $vgpr8_vgpr9
.LBB42_1798:
	s_delay_alu instid0(SALU_CYCLE_1)
	s_and_not1_b32 vcc_lo, exec_lo, s20
	s_cbranch_vccnz .LBB42_1800
; %bb.1799:
	global_load_b32 v3, v[4:5], off
	s_wait_loadcnt 0x0
	v_cvt_f64_i32_e32 v[8:9], v3
.LBB42_1800:
	s_mov_b32 s20, 0
.LBB42_1801:
	s_delay_alu instid0(SALU_CYCLE_1)
	s_and_not1_b32 vcc_lo, exec_lo, s20
	s_cbranch_vccnz .LBB42_1803
; %bb.1802:
	global_load_i16 v3, v[4:5], off
	s_wait_loadcnt 0x0
	v_cvt_f64_i32_e32 v[8:9], v3
.LBB42_1803:
	s_mov_b32 s20, 0
.LBB42_1804:
	s_delay_alu instid0(SALU_CYCLE_1)
	s_and_not1_b32 vcc_lo, exec_lo, s20
	s_cbranch_vccnz .LBB42_1810
; %bb.1805:
	s_cmp_gt_i32 s0, 0
	s_mov_b32 s0, 0
	s_cbranch_scc0 .LBB42_1807
; %bb.1806:
	global_load_i8 v3, v[4:5], off
	s_wait_loadcnt 0x0
	v_cvt_f64_i32_e32 v[8:9], v3
	s_branch .LBB42_1808
.LBB42_1807:
	s_mov_b32 s0, -1
                                        ; implicit-def: $vgpr8_vgpr9
.LBB42_1808:
	s_delay_alu instid0(SALU_CYCLE_1)
	s_and_not1_b32 vcc_lo, exec_lo, s0
	s_cbranch_vccnz .LBB42_1810
; %bb.1809:
	global_load_u8 v3, v[4:5], off
	s_wait_loadcnt 0x0
	v_cvt_f64_u32_e32 v[8:9], v3
.LBB42_1810:
.LBB42_1811:
	s_wait_loadcnt 0x0
	s_delay_alu instid0(VALU_DEP_1) | instskip(SKIP_1) | instid1(VALU_DEP_1)
	v_mul_f64_e32 v[4:5], s[8:9], v[8:9]
	s_mov_b32 s20, exec_lo
	v_cmpx_nlt_f64_e32 s[10:11], v[4:5]
	s_cbranch_execz .LBB42_1813
; %bb.1812:
	v_mul_f64_e32 v[8:9], 0x3ff71547652b82fe, v[4:5]
	s_mov_b64 s[22:23], 0x3e5ade156a5dcb37
	v_cmp_nlt_f64_e32 vcc_lo, 0x40900000, v[4:5]
	v_cmp_ngt_f64_e64 s0, 0xc090cc00, v[4:5]
	s_delay_alu instid0(VALU_DEP_3) | instskip(NEXT) | instid1(VALU_DEP_1)
	v_rndne_f64_e32 v[8:9], v[8:9]
	v_fmamk_f64 v[10:11], v[8:9], 0xbfe62e42fefa39ef, v[4:5]
	v_cvt_i32_f64_e32 v3, v[8:9]
	s_delay_alu instid0(VALU_DEP_2) | instskip(NEXT) | instid1(VALU_DEP_1)
	v_fmamk_f64 v[10:11], v[8:9], 0xbc7abc9e3b39803f, v[10:11]
	v_fmaak_f64 v[12:13], s[22:23], v[10:11], 0x3e928af3fca7ab0c
	s_delay_alu instid0(VALU_DEP_1) | instskip(NEXT) | instid1(VALU_DEP_1)
	v_fmaak_f64 v[12:13], v[10:11], v[12:13], 0x3ec71dee623fde64
	v_fmaak_f64 v[12:13], v[10:11], v[12:13], 0x3efa01997c89e6b0
	s_delay_alu instid0(VALU_DEP_1) | instskip(NEXT) | instid1(VALU_DEP_1)
	v_fmaak_f64 v[12:13], v[10:11], v[12:13], 0x3f2a01a014761f6e
	;; [unrolled: 3-line block ×4, first 2 shown]
	v_fmaak_f64 v[12:13], v[10:11], v[12:13], 0x3fe000000000000b
	s_delay_alu instid0(VALU_DEP_1) | instskip(NEXT) | instid1(VALU_DEP_1)
	v_fma_f64 v[12:13], v[10:11], v[12:13], 1.0
	v_fma_f64 v[8:9], v[10:11], v[12:13], 1.0
	s_delay_alu instid0(VALU_DEP_1) | instskip(NEXT) | instid1(VALU_DEP_1)
	v_ldexp_f64 v[8:9], v[8:9], v3
	v_cndmask_b32_e32 v3, 0x7ff00000, v9, vcc_lo
	s_and_b32 vcc_lo, s0, vcc_lo
	s_delay_alu instid0(VALU_DEP_1) | instid1(SALU_CYCLE_1)
	v_dual_cndmask_b32 v4, 0, v8, vcc_lo :: v_dual_cndmask_b32 v5, 0, v3, s0
	s_delay_alu instid0(VALU_DEP_1) | instskip(SKIP_1) | instid1(VALU_DEP_1)
	v_mul_f64_e32 v[0:1], v[0:1], v[4:5]
	v_add_f64_e32 v[4:5], 1.0, v[4:5]
	v_div_scale_f64 v[8:9], null, v[4:5], v[4:5], v[0:1]
	s_delay_alu instid0(VALU_DEP_1) | instskip(SKIP_1) | instid1(TRANS32_DEP_1)
	v_rcp_f64_e32 v[10:11], v[8:9]
	v_nop
	v_fma_f64 v[12:13], -v[8:9], v[10:11], 1.0
	s_delay_alu instid0(VALU_DEP_1) | instskip(NEXT) | instid1(VALU_DEP_1)
	v_fmac_f64_e32 v[10:11], v[10:11], v[12:13]
	v_fma_f64 v[12:13], -v[8:9], v[10:11], 1.0
	s_delay_alu instid0(VALU_DEP_1) | instskip(SKIP_1) | instid1(VALU_DEP_1)
	v_fmac_f64_e32 v[10:11], v[10:11], v[12:13]
	v_div_scale_f64 v[12:13], vcc_lo, v[0:1], v[4:5], v[0:1]
	v_mul_f64_e32 v[16:17], v[12:13], v[10:11]
	s_delay_alu instid0(VALU_DEP_1) | instskip(NEXT) | instid1(VALU_DEP_1)
	v_fma_f64 v[8:9], -v[8:9], v[16:17], v[12:13]
	v_div_fmas_f64 v[8:9], v[8:9], v[10:11], v[16:17]
	s_delay_alu instid0(VALU_DEP_1)
	v_div_fixup_f64 v[0:1], v[8:9], v[4:5], v[0:1]
.LBB42_1813:
	s_or_b32 exec_lo, exec_lo, s20
	s_lshl_b32 s13, s13, 7
	s_cmp_lt_i32 s17, 11
	v_add_nc_u32_e32 v2, s13, v2
	s_delay_alu instid0(VALU_DEP_1) | instskip(NEXT) | instid1(VALU_DEP_1)
	v_ashrrev_i32_e32 v3, 31, v2
	v_add_nc_u64_e32 v[8:9], s[6:7], v[2:3]
	s_cbranch_scc1 .LBB42_1820
; %bb.1814:
	s_and_b32 s0, 0xffff, s17
	s_mov_b32 s21, 0
	s_cmp_gt_i32 s0, 25
	s_cbranch_scc0 .LBB42_1822
; %bb.1815:
	s_cmp_gt_i32 s0, 28
	s_cbranch_scc0 .LBB42_1823
; %bb.1816:
	;; [unrolled: 3-line block ×4, first 2 shown]
	s_cmp_eq_u32 s0, 46
	s_mov_b32 s23, 0
	s_cbranch_scc0 .LBB42_1827
; %bb.1819:
	global_load_b32 v3, v[8:9], off
	s_mov_b32 s20, 0
	s_mov_b32 s22, -1
	s_wait_loadcnt 0x0
	v_lshlrev_b32_e32 v3, 16, v3
	s_delay_alu instid0(VALU_DEP_1)
	v_cvt_f64_f32_e32 v[4:5], v3
	s_branch .LBB42_1829
.LBB42_1820:
	s_mov_b32 s22, 0
                                        ; implicit-def: $vgpr4_vgpr5
	s_cbranch_execnz .LBB42_1895
.LBB42_1821:
	s_and_not1_b32 vcc_lo, exec_lo, s22
	s_cbranch_vccnz .LBB42_2684
	s_branch .LBB42_1943
.LBB42_1822:
	s_mov_b32 s23, -1
	s_mov_b32 s22, 0
	s_mov_b32 s20, 0
                                        ; implicit-def: $vgpr4_vgpr5
	s_branch .LBB42_1858
.LBB42_1823:
	s_mov_b32 s23, -1
	s_mov_b32 s22, 0
	s_mov_b32 s20, 0
                                        ; implicit-def: $vgpr4_vgpr5
	s_branch .LBB42_1839
.LBB42_1824:
	s_mov_b32 s23, -1
	s_mov_b32 s22, 0
	s_mov_b32 s20, 0
                                        ; implicit-def: $vgpr4_vgpr5
	s_branch .LBB42_1834
.LBB42_1825:
	s_or_b32 s16, s16, exec_lo
	s_trap 2
	s_cbranch_execz .LBB42_1762
	s_branch .LBB42_1763
.LBB42_1826:
	s_mov_b32 s23, -1
	s_mov_b32 s22, 0
	s_mov_b32 s20, 0
	s_branch .LBB42_1828
.LBB42_1827:
	s_mov_b32 s20, -1
	s_mov_b32 s22, 0
.LBB42_1828:
                                        ; implicit-def: $vgpr4_vgpr5
.LBB42_1829:
	s_and_b32 vcc_lo, exec_lo, s23
	s_cbranch_vccz .LBB42_1833
; %bb.1830:
	s_cmp_eq_u32 s0, 44
	s_cbranch_scc0 .LBB42_1832
; %bb.1831:
	global_load_u8 v3, v[8:9], off
	s_mov_b32 s20, 0
	s_mov_b32 s22, -1
	s_wait_loadcnt 0x0
	v_cmp_ne_u32_e32 vcc_lo, 0xff, v3
	v_lshlrev_b32_e32 v4, 23, v3
	s_delay_alu instid0(VALU_DEP_1) | instskip(NEXT) | instid1(VALU_DEP_1)
	v_cvt_f64_f32_e32 v[4:5], v4
	v_cndmask_b32_e32 v4, 0x20000000, v4, vcc_lo
	s_delay_alu instid0(VALU_DEP_2) | instskip(SKIP_1) | instid1(VALU_DEP_2)
	v_cndmask_b32_e32 v5, 0x7ff80000, v5, vcc_lo
	v_cmp_ne_u32_e32 vcc_lo, 0, v3
	v_cndmask_b32_e32 v5, 0x38000000, v5, vcc_lo
	s_delay_alu instid0(VALU_DEP_4)
	v_cndmask_b32_e32 v4, 0, v4, vcc_lo
	s_branch .LBB42_1833
.LBB42_1832:
	s_mov_b32 s20, -1
                                        ; implicit-def: $vgpr4_vgpr5
.LBB42_1833:
	s_mov_b32 s23, 0
.LBB42_1834:
	s_delay_alu instid0(SALU_CYCLE_1)
	s_and_b32 vcc_lo, exec_lo, s23
	s_cbranch_vccz .LBB42_1838
; %bb.1835:
	s_cmp_eq_u32 s0, 29
	s_cbranch_scc0 .LBB42_1837
; %bb.1836:
	global_load_b64 v[4:5], v[8:9], off
	s_mov_b32 s20, 0
	s_mov_b32 s22, -1
	s_mov_b32 s23, 0
	s_wait_loadcnt 0x0
	v_cvt_f64_u32_e32 v[10:11], v5
	v_cvt_f64_u32_e32 v[4:5], v4
	s_delay_alu instid0(VALU_DEP_2) | instskip(NEXT) | instid1(VALU_DEP_1)
	v_ldexp_f64 v[10:11], v[10:11], 32
	v_add_f64_e32 v[4:5], v[10:11], v[4:5]
	s_branch .LBB42_1839
.LBB42_1837:
	s_mov_b32 s20, -1
                                        ; implicit-def: $vgpr4_vgpr5
.LBB42_1838:
	s_mov_b32 s23, 0
.LBB42_1839:
	s_delay_alu instid0(SALU_CYCLE_1)
	s_and_b32 vcc_lo, exec_lo, s23
	s_cbranch_vccz .LBB42_1857
; %bb.1840:
	s_cmp_lt_i32 s0, 27
	s_cbranch_scc1 .LBB42_1843
; %bb.1841:
	s_cmp_gt_i32 s0, 27
	s_cbranch_scc0 .LBB42_1844
; %bb.1842:
	global_load_b32 v3, v[8:9], off
	s_mov_b32 s22, 0
	s_wait_loadcnt 0x0
	v_cvt_f64_u32_e32 v[4:5], v3
	s_branch .LBB42_1845
.LBB42_1843:
	s_mov_b32 s22, -1
                                        ; implicit-def: $vgpr4_vgpr5
	s_branch .LBB42_1848
.LBB42_1844:
	s_mov_b32 s22, -1
                                        ; implicit-def: $vgpr4_vgpr5
.LBB42_1845:
	s_delay_alu instid0(SALU_CYCLE_1)
	s_and_not1_b32 vcc_lo, exec_lo, s22
	s_cbranch_vccnz .LBB42_1847
; %bb.1846:
	global_load_u16 v3, v[8:9], off
	s_wait_loadcnt 0x0
	v_cvt_f64_u32_e32 v[4:5], v3
.LBB42_1847:
	s_mov_b32 s22, 0
.LBB42_1848:
	s_delay_alu instid0(SALU_CYCLE_1)
	s_and_not1_b32 vcc_lo, exec_lo, s22
	s_cbranch_vccnz .LBB42_1856
; %bb.1849:
	global_load_u8 v3, v[8:9], off
	s_mov_b32 s22, 0
	s_mov_b32 s23, exec_lo
	s_wait_loadcnt 0x0
	v_cmpx_lt_i16_e32 0x7f, v3
	s_xor_b32 s23, exec_lo, s23
	s_cbranch_execz .LBB42_1870
; %bb.1850:
	s_mov_b32 s22, -1
	s_mov_b32 s24, exec_lo
	v_cmpx_eq_u16_e32 0x80, v3
; %bb.1851:
	s_xor_b32 s22, exec_lo, -1
; %bb.1852:
	s_or_b32 exec_lo, exec_lo, s24
	s_delay_alu instid0(SALU_CYCLE_1)
	s_and_b32 s22, s22, exec_lo
	s_or_saveexec_b32 s23, s23
	v_mov_b64_e32 v[4:5], 0x7ff8000020000000
	s_xor_b32 exec_lo, exec_lo, s23
	s_cbranch_execnz .LBB42_1871
.LBB42_1853:
	s_or_b32 exec_lo, exec_lo, s23
	s_and_saveexec_b32 s23, s22
	s_cbranch_execz .LBB42_1855
.LBB42_1854:
	v_and_b32_e32 v4, 0xffff, v3
	s_delay_alu instid0(VALU_DEP_1) | instskip(SKIP_1) | instid1(VALU_DEP_2)
	v_and_b32_e32 v5, 7, v4
	v_bfe_u32 v11, v4, 3, 4
	v_clz_i32_u32_e32 v7, v5
	s_delay_alu instid0(VALU_DEP_2) | instskip(NEXT) | instid1(VALU_DEP_2)
	v_cmp_eq_u32_e32 vcc_lo, 0, v11
	v_min_u32_e32 v7, 32, v7
	s_delay_alu instid0(VALU_DEP_1) | instskip(NEXT) | instid1(VALU_DEP_1)
	v_subrev_nc_u32_e32 v10, 28, v7
	v_dual_lshlrev_b32 v4, v10, v4 :: v_dual_sub_nc_u32 v7, 29, v7
	s_delay_alu instid0(VALU_DEP_1) | instskip(NEXT) | instid1(VALU_DEP_1)
	v_dual_lshlrev_b32 v3, 24, v3 :: v_dual_bitop2_b32 v4, 7, v4 bitop3:0x40
	v_dual_cndmask_b32 v4, v5, v4 :: v_dual_cndmask_b32 v7, v11, v7
	s_delay_alu instid0(VALU_DEP_2) | instskip(NEXT) | instid1(VALU_DEP_2)
	v_and_b32_e32 v3, 0x80000000, v3
	v_lshlrev_b32_e32 v4, 20, v4
	s_delay_alu instid0(VALU_DEP_3) | instskip(NEXT) | instid1(VALU_DEP_1)
	v_lshl_add_u32 v5, v7, 23, 0x3b800000
	v_or3_b32 v3, v3, v5, v4
	s_delay_alu instid0(VALU_DEP_1)
	v_cvt_f64_f32_e32 v[4:5], v3
.LBB42_1855:
	s_or_b32 exec_lo, exec_lo, s23
.LBB42_1856:
	s_mov_b32 s22, -1
.LBB42_1857:
	s_mov_b32 s23, 0
.LBB42_1858:
	s_delay_alu instid0(SALU_CYCLE_1)
	s_and_b32 vcc_lo, exec_lo, s23
	s_cbranch_vccz .LBB42_1891
; %bb.1859:
	s_cmp_gt_i32 s0, 22
	s_cbranch_scc0 .LBB42_1869
; %bb.1860:
	s_cmp_lt_i32 s0, 24
	s_cbranch_scc1 .LBB42_1872
; %bb.1861:
	s_cmp_gt_i32 s0, 24
	s_cbranch_scc0 .LBB42_1873
; %bb.1862:
	global_load_u8 v3, v[8:9], off
	s_mov_b32 s22, exec_lo
	s_wait_loadcnt 0x0
	v_cmpx_lt_i16_e32 0x7f, v3
	s_xor_b32 s22, exec_lo, s22
	s_cbranch_execz .LBB42_1885
; %bb.1863:
	s_mov_b32 s21, -1
	s_mov_b32 s23, exec_lo
	v_cmpx_eq_u16_e32 0x80, v3
; %bb.1864:
	s_xor_b32 s21, exec_lo, -1
; %bb.1865:
	s_or_b32 exec_lo, exec_lo, s23
	s_delay_alu instid0(SALU_CYCLE_1)
	s_and_b32 s21, s21, exec_lo
	s_or_saveexec_b32 s22, s22
	v_mov_b64_e32 v[4:5], 0x7ff8000020000000
	s_xor_b32 exec_lo, exec_lo, s22
	s_cbranch_execnz .LBB42_1886
.LBB42_1866:
	s_or_b32 exec_lo, exec_lo, s22
	s_and_saveexec_b32 s22, s21
	s_cbranch_execz .LBB42_1868
.LBB42_1867:
	v_and_b32_e32 v4, 0xffff, v3
	s_delay_alu instid0(VALU_DEP_1) | instskip(SKIP_1) | instid1(VALU_DEP_2)
	v_and_b32_e32 v5, 3, v4
	v_bfe_u32 v11, v4, 2, 5
	v_clz_i32_u32_e32 v7, v5
	s_delay_alu instid0(VALU_DEP_2) | instskip(NEXT) | instid1(VALU_DEP_2)
	v_cmp_eq_u32_e32 vcc_lo, 0, v11
	v_min_u32_e32 v7, 32, v7
	s_delay_alu instid0(VALU_DEP_1) | instskip(NEXT) | instid1(VALU_DEP_1)
	v_subrev_nc_u32_e32 v10, 29, v7
	v_dual_lshlrev_b32 v4, v10, v4 :: v_dual_sub_nc_u32 v7, 30, v7
	s_delay_alu instid0(VALU_DEP_1) | instskip(NEXT) | instid1(VALU_DEP_1)
	v_dual_lshlrev_b32 v3, 24, v3 :: v_dual_bitop2_b32 v4, 3, v4 bitop3:0x40
	v_dual_cndmask_b32 v4, v5, v4 :: v_dual_cndmask_b32 v7, v11, v7
	s_delay_alu instid0(VALU_DEP_2) | instskip(NEXT) | instid1(VALU_DEP_2)
	v_and_b32_e32 v3, 0x80000000, v3
	v_lshlrev_b32_e32 v4, 21, v4
	s_delay_alu instid0(VALU_DEP_3) | instskip(NEXT) | instid1(VALU_DEP_1)
	v_lshl_add_u32 v5, v7, 23, 0x37800000
	v_or3_b32 v3, v3, v5, v4
	s_delay_alu instid0(VALU_DEP_1)
	v_cvt_f64_f32_e32 v[4:5], v3
.LBB42_1868:
	s_or_b32 exec_lo, exec_lo, s22
	s_mov_b32 s21, 0
	s_branch .LBB42_1874
.LBB42_1869:
	s_mov_b32 s21, -1
                                        ; implicit-def: $vgpr4_vgpr5
	s_branch .LBB42_1880
.LBB42_1870:
	s_or_saveexec_b32 s23, s23
	v_mov_b64_e32 v[4:5], 0x7ff8000020000000
	s_xor_b32 exec_lo, exec_lo, s23
	s_cbranch_execz .LBB42_1853
.LBB42_1871:
	v_cmp_ne_u16_e32 vcc_lo, 0, v3
	v_mov_b64_e32 v[4:5], 0
	s_and_not1_b32 s22, s22, exec_lo
	s_and_b32 s24, vcc_lo, exec_lo
	s_delay_alu instid0(SALU_CYCLE_1)
	s_or_b32 s22, s22, s24
	s_or_b32 exec_lo, exec_lo, s23
	s_and_saveexec_b32 s23, s22
	s_cbranch_execnz .LBB42_1854
	s_branch .LBB42_1855
.LBB42_1872:
	s_mov_b32 s21, -1
                                        ; implicit-def: $vgpr4_vgpr5
	s_branch .LBB42_1877
.LBB42_1873:
	s_mov_b32 s21, -1
                                        ; implicit-def: $vgpr4_vgpr5
.LBB42_1874:
	s_delay_alu instid0(SALU_CYCLE_1)
	s_and_b32 vcc_lo, exec_lo, s21
	s_cbranch_vccz .LBB42_1876
; %bb.1875:
	global_load_u8 v3, v[8:9], off
	s_wait_loadcnt 0x0
	v_lshlrev_b32_e32 v3, 24, v3
	s_delay_alu instid0(VALU_DEP_1) | instskip(NEXT) | instid1(VALU_DEP_1)
	v_and_b32_e32 v4, 0x7f000000, v3
	v_clz_i32_u32_e32 v5, v4
	v_add_nc_u32_e32 v10, 0x1000000, v4
	v_cmp_ne_u32_e32 vcc_lo, 0, v4
	s_delay_alu instid0(VALU_DEP_3) | instskip(NEXT) | instid1(VALU_DEP_1)
	v_min_u32_e32 v5, 32, v5
	v_sub_nc_u32_e64 v5, v5, 4 clamp
	s_delay_alu instid0(VALU_DEP_1) | instskip(NEXT) | instid1(VALU_DEP_1)
	v_dual_lshlrev_b32 v7, v5, v4 :: v_dual_lshlrev_b32 v5, 23, v5
	v_lshrrev_b32_e32 v7, 4, v7
	s_delay_alu instid0(VALU_DEP_1) | instskip(NEXT) | instid1(VALU_DEP_1)
	v_dual_sub_nc_u32 v5, v7, v5 :: v_dual_ashrrev_i32 v7, 8, v10
	v_add_nc_u32_e32 v5, 0x3c000000, v5
	s_delay_alu instid0(VALU_DEP_1) | instskip(NEXT) | instid1(VALU_DEP_1)
	v_and_or_b32 v5, 0x7f800000, v7, v5
	v_cndmask_b32_e32 v4, 0, v5, vcc_lo
	s_delay_alu instid0(VALU_DEP_1) | instskip(NEXT) | instid1(VALU_DEP_1)
	v_and_or_b32 v3, 0x80000000, v3, v4
	v_cvt_f64_f32_e32 v[4:5], v3
.LBB42_1876:
	s_mov_b32 s21, 0
.LBB42_1877:
	s_delay_alu instid0(SALU_CYCLE_1)
	s_and_not1_b32 vcc_lo, exec_lo, s21
	s_cbranch_vccnz .LBB42_1879
; %bb.1878:
	global_load_u8 v3, v[8:9], off
	s_wait_loadcnt 0x0
	v_lshlrev_b32_e32 v4, 25, v3
	v_lshlrev_b16 v3, 8, v3
	s_delay_alu instid0(VALU_DEP_1) | instskip(NEXT) | instid1(VALU_DEP_3)
	v_and_or_b32 v7, 0x7f00, v3, 0.5
	v_lshrrev_b32_e32 v5, 4, v4
	v_bfe_i32 v3, v3, 0, 16
	s_delay_alu instid0(VALU_DEP_3) | instskip(NEXT) | instid1(VALU_DEP_3)
	v_add_f32_e32 v7, -0.5, v7
	v_or_b32_e32 v5, 0x70000000, v5
	s_delay_alu instid0(VALU_DEP_1) | instskip(SKIP_1) | instid1(VALU_DEP_2)
	v_mul_f32_e32 v5, 0x7800000, v5
	v_cmp_gt_u32_e32 vcc_lo, 0x8000000, v4
	v_cndmask_b32_e32 v4, v5, v7, vcc_lo
	s_delay_alu instid0(VALU_DEP_1) | instskip(NEXT) | instid1(VALU_DEP_1)
	v_and_or_b32 v3, 0x80000000, v3, v4
	v_cvt_f64_f32_e32 v[4:5], v3
.LBB42_1879:
	s_mov_b32 s21, 0
	s_mov_b32 s22, -1
.LBB42_1880:
	s_and_not1_b32 vcc_lo, exec_lo, s21
	s_mov_b32 s21, 0
	s_cbranch_vccnz .LBB42_1891
; %bb.1881:
	s_cmp_gt_i32 s0, 14
	s_cbranch_scc0 .LBB42_1884
; %bb.1882:
	s_cmp_eq_u32 s0, 15
	s_cbranch_scc0 .LBB42_1887
; %bb.1883:
	global_load_u16 v3, v[8:9], off
	s_mov_b32 s20, 0
	s_mov_b32 s22, -1
	s_wait_loadcnt 0x0
	v_lshlrev_b32_e32 v3, 16, v3
	s_delay_alu instid0(VALU_DEP_1)
	v_cvt_f64_f32_e32 v[4:5], v3
	s_branch .LBB42_1889
.LBB42_1884:
	s_mov_b32 s21, -1
	s_branch .LBB42_1888
.LBB42_1885:
	s_or_saveexec_b32 s22, s22
	v_mov_b64_e32 v[4:5], 0x7ff8000020000000
	s_xor_b32 exec_lo, exec_lo, s22
	s_cbranch_execz .LBB42_1866
.LBB42_1886:
	v_cmp_ne_u16_e32 vcc_lo, 0, v3
	v_mov_b64_e32 v[4:5], 0
	s_and_not1_b32 s21, s21, exec_lo
	s_and_b32 s23, vcc_lo, exec_lo
	s_delay_alu instid0(SALU_CYCLE_1)
	s_or_b32 s21, s21, s23
	s_or_b32 exec_lo, exec_lo, s22
	s_and_saveexec_b32 s22, s21
	s_cbranch_execnz .LBB42_1867
	s_branch .LBB42_1868
.LBB42_1887:
	s_mov_b32 s20, -1
.LBB42_1888:
                                        ; implicit-def: $vgpr4_vgpr5
.LBB42_1889:
	s_and_b32 vcc_lo, exec_lo, s21
	s_mov_b32 s21, 0
	s_cbranch_vccz .LBB42_1891
; %bb.1890:
	s_cmp_lg_u32 s0, 11
	s_mov_b32 s21, -1
	s_cselect_b32 s20, -1, 0
.LBB42_1891:
	s_delay_alu instid0(SALU_CYCLE_1)
	s_and_b32 vcc_lo, exec_lo, s20
	s_cbranch_vccnz .LBB42_1954
; %bb.1892:
	s_and_not1_b32 vcc_lo, exec_lo, s21
	s_cbranch_vccnz .LBB42_1894
.LBB42_1893:
	global_load_u8 v3, v[8:9], off
	v_mov_b32_e32 v4, 0
	s_mov_b32 s22, -1
	s_wait_loadcnt 0x0
	v_cmp_ne_u16_e32 vcc_lo, 0, v3
	v_cndmask_b32_e64 v5, 0, 0x3ff00000, vcc_lo
.LBB42_1894:
	s_branch .LBB42_1821
.LBB42_1895:
	s_and_b32 s0, 0xffff, s17
	s_delay_alu instid0(SALU_CYCLE_1)
	s_cmp_lt_i32 s0, 5
	s_cbranch_scc1 .LBB42_1900
; %bb.1896:
	s_cmp_lt_i32 s0, 8
	s_cbranch_scc1 .LBB42_1901
; %bb.1897:
	;; [unrolled: 3-line block ×3, first 2 shown]
	s_cmp_gt_i32 s0, 9
	s_cbranch_scc0 .LBB42_1903
; %bb.1899:
	global_load_b64 v[4:5], v[8:9], off
	s_mov_b32 s20, 0
	s_branch .LBB42_1904
.LBB42_1900:
	s_mov_b32 s20, -1
                                        ; implicit-def: $vgpr4_vgpr5
	s_branch .LBB42_1922
.LBB42_1901:
	s_mov_b32 s20, -1
                                        ; implicit-def: $vgpr4_vgpr5
	s_branch .LBB42_1910
.LBB42_1902:
	s_mov_b32 s20, -1
                                        ; implicit-def: $vgpr4_vgpr5
	s_branch .LBB42_1907
.LBB42_1903:
	s_mov_b32 s20, -1
                                        ; implicit-def: $vgpr4_vgpr5
.LBB42_1904:
	s_delay_alu instid0(SALU_CYCLE_1)
	s_and_not1_b32 vcc_lo, exec_lo, s20
	s_cbranch_vccnz .LBB42_1906
; %bb.1905:
	global_load_b32 v3, v[8:9], off
	s_wait_loadcnt 0x0
	v_cvt_f64_f32_e32 v[4:5], v3
.LBB42_1906:
	s_mov_b32 s20, 0
.LBB42_1907:
	s_delay_alu instid0(SALU_CYCLE_1)
	s_and_not1_b32 vcc_lo, exec_lo, s20
	s_cbranch_vccnz .LBB42_1909
; %bb.1908:
	global_load_b32 v3, v[8:9], off
	s_wait_loadcnt 0x0
	v_cvt_f32_f16_e32 v3, v3
	s_delay_alu instid0(VALU_DEP_1)
	v_cvt_f64_f32_e32 v[4:5], v3
.LBB42_1909:
	s_mov_b32 s20, 0
.LBB42_1910:
	s_delay_alu instid0(SALU_CYCLE_1)
	s_and_not1_b32 vcc_lo, exec_lo, s20
	s_cbranch_vccnz .LBB42_1921
; %bb.1911:
	s_cmp_lt_i32 s0, 6
	s_cbranch_scc1 .LBB42_1914
; %bb.1912:
	s_cmp_gt_i32 s0, 6
	s_cbranch_scc0 .LBB42_1915
; %bb.1913:
	s_wait_loadcnt 0x0
	global_load_b64 v[4:5], v[8:9], off
	s_mov_b32 s20, 0
	s_branch .LBB42_1916
.LBB42_1914:
	s_mov_b32 s20, -1
                                        ; implicit-def: $vgpr4_vgpr5
	s_branch .LBB42_1919
.LBB42_1915:
	s_mov_b32 s20, -1
                                        ; implicit-def: $vgpr4_vgpr5
.LBB42_1916:
	s_delay_alu instid0(SALU_CYCLE_1)
	s_and_not1_b32 vcc_lo, exec_lo, s20
	s_cbranch_vccnz .LBB42_1918
; %bb.1917:
	global_load_b32 v3, v[8:9], off
	s_wait_loadcnt 0x0
	v_cvt_f64_f32_e32 v[4:5], v3
.LBB42_1918:
	s_mov_b32 s20, 0
.LBB42_1919:
	s_delay_alu instid0(SALU_CYCLE_1)
	s_and_not1_b32 vcc_lo, exec_lo, s20
	s_cbranch_vccnz .LBB42_1921
; %bb.1920:
	global_load_u16 v3, v[8:9], off
	s_wait_loadcnt 0x0
	v_cvt_f32_f16_e32 v3, v3
	s_delay_alu instid0(VALU_DEP_1)
	v_cvt_f64_f32_e32 v[4:5], v3
.LBB42_1921:
	s_mov_b32 s20, 0
.LBB42_1922:
	s_delay_alu instid0(SALU_CYCLE_1)
	s_and_not1_b32 vcc_lo, exec_lo, s20
	s_cbranch_vccnz .LBB42_1942
; %bb.1923:
	s_cmp_lt_i32 s0, 2
	s_cbranch_scc1 .LBB42_1927
; %bb.1924:
	s_cmp_lt_i32 s0, 3
	s_cbranch_scc1 .LBB42_1928
; %bb.1925:
	s_cmp_gt_i32 s0, 3
	s_cbranch_scc0 .LBB42_1929
; %bb.1926:
	s_wait_loadcnt 0x0
	global_load_b64 v[4:5], v[8:9], off
	s_mov_b32 s20, 0
	s_wait_loadcnt 0x0
	v_cvt_f64_i32_e32 v[10:11], v5
	v_cvt_f64_u32_e32 v[4:5], v4
	s_delay_alu instid0(VALU_DEP_2) | instskip(NEXT) | instid1(VALU_DEP_1)
	v_ldexp_f64 v[10:11], v[10:11], 32
	v_add_f64_e32 v[4:5], v[10:11], v[4:5]
	s_branch .LBB42_1930
.LBB42_1927:
	s_mov_b32 s20, -1
                                        ; implicit-def: $vgpr4_vgpr5
	s_branch .LBB42_1936
.LBB42_1928:
	s_mov_b32 s20, -1
                                        ; implicit-def: $vgpr4_vgpr5
	s_branch .LBB42_1933
.LBB42_1929:
	s_mov_b32 s20, -1
                                        ; implicit-def: $vgpr4_vgpr5
.LBB42_1930:
	s_delay_alu instid0(SALU_CYCLE_1)
	s_and_not1_b32 vcc_lo, exec_lo, s20
	s_cbranch_vccnz .LBB42_1932
; %bb.1931:
	global_load_b32 v3, v[8:9], off
	s_wait_loadcnt 0x0
	v_cvt_f64_i32_e32 v[4:5], v3
.LBB42_1932:
	s_mov_b32 s20, 0
.LBB42_1933:
	s_delay_alu instid0(SALU_CYCLE_1)
	s_and_not1_b32 vcc_lo, exec_lo, s20
	s_cbranch_vccnz .LBB42_1935
; %bb.1934:
	global_load_i16 v3, v[8:9], off
	s_wait_loadcnt 0x0
	v_cvt_f64_i32_e32 v[4:5], v3
.LBB42_1935:
	s_mov_b32 s20, 0
.LBB42_1936:
	s_delay_alu instid0(SALU_CYCLE_1)
	s_and_not1_b32 vcc_lo, exec_lo, s20
	s_cbranch_vccnz .LBB42_1942
; %bb.1937:
	s_cmp_gt_i32 s0, 0
	s_mov_b32 s0, 0
	s_cbranch_scc0 .LBB42_1939
; %bb.1938:
	global_load_i8 v3, v[8:9], off
	s_wait_loadcnt 0x0
	v_cvt_f64_i32_e32 v[4:5], v3
	s_branch .LBB42_1940
.LBB42_1939:
	s_mov_b32 s0, -1
                                        ; implicit-def: $vgpr4_vgpr5
.LBB42_1940:
	s_delay_alu instid0(SALU_CYCLE_1)
	s_and_not1_b32 vcc_lo, exec_lo, s0
	s_cbranch_vccnz .LBB42_1942
; %bb.1941:
	global_load_u8 v3, v[8:9], off
	s_wait_loadcnt 0x0
	v_cvt_f64_u32_e32 v[4:5], v3
.LBB42_1942:
.LBB42_1943:
	s_lshl_b32 s14, s14, 7
	s_cmp_lt_i32 s1, 11
	v_add_nc_u32_e32 v6, s14, v6
	s_delay_alu instid0(VALU_DEP_1) | instskip(SKIP_1) | instid1(VALU_DEP_1)
	v_ashrrev_i32_e32 v7, 31, v6
	s_wait_xcnt 0x0
	v_add_nc_u64_e32 v[8:9], s[2:3], v[6:7]
	s_cbranch_scc1 .LBB42_1950
; %bb.1944:
	s_and_b32 s0, 0xffff, s1
	s_mov_b32 s21, 0
	s_cmp_gt_i32 s0, 25
	s_cbranch_scc0 .LBB42_1951
; %bb.1945:
	s_cmp_gt_i32 s0, 28
	s_cbranch_scc0 .LBB42_1952
; %bb.1946:
	;; [unrolled: 3-line block ×4, first 2 shown]
	s_cmp_eq_u32 s0, 46
	s_mov_b32 s23, 0
	s_cbranch_scc0 .LBB42_1956
; %bb.1949:
	global_load_b32 v3, v[8:9], off
	s_mov_b32 s20, 0
	s_mov_b32 s22, -1
	s_wait_loadcnt 0x0
	v_lshlrev_b32_e32 v3, 16, v3
	s_delay_alu instid0(VALU_DEP_1)
	v_cvt_f64_f32_e32 v[10:11], v3
	s_branch .LBB42_1958
.LBB42_1950:
	s_mov_b32 s0, -1
	s_mov_b32 s22, 0
                                        ; implicit-def: $vgpr10_vgpr11
	s_branch .LBB42_2024
.LBB42_1951:
	s_mov_b32 s23, -1
	s_mov_b32 s22, 0
	s_mov_b32 s20, 0
                                        ; implicit-def: $vgpr10_vgpr11
	s_branch .LBB42_1987
.LBB42_1952:
	s_mov_b32 s23, -1
	s_mov_b32 s22, 0
	s_mov_b32 s20, 0
                                        ; implicit-def: $vgpr10_vgpr11
	s_branch .LBB42_1968
.LBB42_1953:
	s_mov_b32 s23, -1
	s_mov_b32 s22, 0
	s_mov_b32 s20, 0
                                        ; implicit-def: $vgpr10_vgpr11
	s_branch .LBB42_1963
.LBB42_1954:
	s_or_b32 s16, s16, exec_lo
	s_trap 2
	s_cbranch_execz .LBB42_1893
	s_branch .LBB42_1894
.LBB42_1955:
	s_mov_b32 s23, -1
	s_mov_b32 s22, 0
	s_mov_b32 s20, 0
	s_branch .LBB42_1957
.LBB42_1956:
	s_mov_b32 s20, -1
	s_mov_b32 s22, 0
.LBB42_1957:
                                        ; implicit-def: $vgpr10_vgpr11
.LBB42_1958:
	s_and_b32 vcc_lo, exec_lo, s23
	s_cbranch_vccz .LBB42_1962
; %bb.1959:
	s_cmp_eq_u32 s0, 44
	s_cbranch_scc0 .LBB42_1961
; %bb.1960:
	global_load_u8 v3, v[8:9], off
	s_mov_b32 s20, 0
	s_mov_b32 s22, -1
	s_wait_loadcnt 0x0
	v_lshlrev_b32_e32 v7, 23, v3
	v_cmp_ne_u32_e32 vcc_lo, 0xff, v3
	s_delay_alu instid0(VALU_DEP_2) | instskip(NEXT) | instid1(VALU_DEP_1)
	v_cvt_f64_f32_e32 v[10:11], v7
	v_cndmask_b32_e32 v7, 0x20000000, v10, vcc_lo
	s_delay_alu instid0(VALU_DEP_2) | instskip(SKIP_1) | instid1(VALU_DEP_2)
	v_cndmask_b32_e32 v10, 0x7ff80000, v11, vcc_lo
	v_cmp_ne_u32_e32 vcc_lo, 0, v3
	v_cndmask_b32_e32 v11, 0x38000000, v10, vcc_lo
	s_delay_alu instid0(VALU_DEP_4)
	v_cndmask_b32_e32 v10, 0, v7, vcc_lo
	s_branch .LBB42_1962
.LBB42_1961:
	s_mov_b32 s20, -1
                                        ; implicit-def: $vgpr10_vgpr11
.LBB42_1962:
	s_mov_b32 s23, 0
.LBB42_1963:
	s_delay_alu instid0(SALU_CYCLE_1)
	s_and_b32 vcc_lo, exec_lo, s23
	s_cbranch_vccz .LBB42_1967
; %bb.1964:
	s_cmp_eq_u32 s0, 29
	s_cbranch_scc0 .LBB42_1966
; %bb.1965:
	global_load_b64 v[10:11], v[8:9], off
	s_mov_b32 s20, 0
	s_mov_b32 s22, -1
	s_mov_b32 s23, 0
	s_wait_loadcnt 0x0
	v_cvt_f64_u32_e32 v[12:13], v11
	v_cvt_f64_u32_e32 v[10:11], v10
	s_delay_alu instid0(VALU_DEP_2) | instskip(NEXT) | instid1(VALU_DEP_1)
	v_ldexp_f64 v[12:13], v[12:13], 32
	v_add_f64_e32 v[10:11], v[12:13], v[10:11]
	s_branch .LBB42_1968
.LBB42_1966:
	s_mov_b32 s20, -1
                                        ; implicit-def: $vgpr10_vgpr11
.LBB42_1967:
	s_mov_b32 s23, 0
.LBB42_1968:
	s_delay_alu instid0(SALU_CYCLE_1)
	s_and_b32 vcc_lo, exec_lo, s23
	s_cbranch_vccz .LBB42_1986
; %bb.1969:
	s_cmp_lt_i32 s0, 27
	s_cbranch_scc1 .LBB42_1972
; %bb.1970:
	s_cmp_gt_i32 s0, 27
	s_cbranch_scc0 .LBB42_1973
; %bb.1971:
	global_load_b32 v3, v[8:9], off
	s_mov_b32 s22, 0
	s_wait_loadcnt 0x0
	v_cvt_f64_u32_e32 v[10:11], v3
	s_branch .LBB42_1974
.LBB42_1972:
	s_mov_b32 s22, -1
                                        ; implicit-def: $vgpr10_vgpr11
	s_branch .LBB42_1977
.LBB42_1973:
	s_mov_b32 s22, -1
                                        ; implicit-def: $vgpr10_vgpr11
.LBB42_1974:
	s_delay_alu instid0(SALU_CYCLE_1)
	s_and_not1_b32 vcc_lo, exec_lo, s22
	s_cbranch_vccnz .LBB42_1976
; %bb.1975:
	global_load_u16 v3, v[8:9], off
	s_wait_loadcnt 0x0
	v_cvt_f64_u32_e32 v[10:11], v3
.LBB42_1976:
	s_mov_b32 s22, 0
.LBB42_1977:
	s_delay_alu instid0(SALU_CYCLE_1)
	s_and_not1_b32 vcc_lo, exec_lo, s22
	s_cbranch_vccnz .LBB42_1985
; %bb.1978:
	global_load_u8 v3, v[8:9], off
	s_mov_b32 s22, 0
	s_mov_b32 s23, exec_lo
	s_wait_loadcnt 0x0
	v_cmpx_lt_i16_e32 0x7f, v3
	s_xor_b32 s23, exec_lo, s23
	s_cbranch_execz .LBB42_1999
; %bb.1979:
	s_mov_b32 s22, -1
	s_mov_b32 s24, exec_lo
	v_cmpx_eq_u16_e32 0x80, v3
; %bb.1980:
	s_xor_b32 s22, exec_lo, -1
; %bb.1981:
	s_or_b32 exec_lo, exec_lo, s24
	s_delay_alu instid0(SALU_CYCLE_1)
	s_and_b32 s22, s22, exec_lo
	s_or_saveexec_b32 s23, s23
	v_mov_b64_e32 v[10:11], 0x7ff8000020000000
	s_xor_b32 exec_lo, exec_lo, s23
	s_cbranch_execnz .LBB42_2000
.LBB42_1982:
	s_or_b32 exec_lo, exec_lo, s23
	s_and_saveexec_b32 s23, s22
	s_cbranch_execz .LBB42_1984
.LBB42_1983:
	v_and_b32_e32 v7, 0xffff, v3
	v_lshlrev_b32_e32 v3, 24, v3
	s_delay_alu instid0(VALU_DEP_2) | instskip(SKIP_1) | instid1(VALU_DEP_3)
	v_and_b32_e32 v10, 7, v7
	v_bfe_u32 v13, v7, 3, 4
	v_and_b32_e32 v3, 0x80000000, v3
	s_delay_alu instid0(VALU_DEP_3) | instskip(NEXT) | instid1(VALU_DEP_3)
	v_clz_i32_u32_e32 v11, v10
	v_cmp_eq_u32_e32 vcc_lo, 0, v13
	s_delay_alu instid0(VALU_DEP_2) | instskip(NEXT) | instid1(VALU_DEP_1)
	v_min_u32_e32 v11, 32, v11
	v_subrev_nc_u32_e32 v12, 28, v11
	v_sub_nc_u32_e32 v11, 29, v11
	s_delay_alu instid0(VALU_DEP_2) | instskip(NEXT) | instid1(VALU_DEP_2)
	v_lshlrev_b32_e32 v7, v12, v7
	v_cndmask_b32_e32 v11, v13, v11, vcc_lo
	s_delay_alu instid0(VALU_DEP_2) | instskip(NEXT) | instid1(VALU_DEP_1)
	v_and_b32_e32 v7, 7, v7
	v_cndmask_b32_e32 v7, v10, v7, vcc_lo
	s_delay_alu instid0(VALU_DEP_3) | instskip(NEXT) | instid1(VALU_DEP_2)
	v_lshl_add_u32 v10, v11, 23, 0x3b800000
	v_lshlrev_b32_e32 v7, 20, v7
	s_delay_alu instid0(VALU_DEP_1) | instskip(NEXT) | instid1(VALU_DEP_1)
	v_or3_b32 v3, v3, v10, v7
	v_cvt_f64_f32_e32 v[10:11], v3
.LBB42_1984:
	s_or_b32 exec_lo, exec_lo, s23
.LBB42_1985:
	s_mov_b32 s22, -1
.LBB42_1986:
	s_mov_b32 s23, 0
.LBB42_1987:
	s_delay_alu instid0(SALU_CYCLE_1)
	s_and_b32 vcc_lo, exec_lo, s23
	s_cbranch_vccz .LBB42_2020
; %bb.1988:
	s_cmp_gt_i32 s0, 22
	s_cbranch_scc0 .LBB42_1998
; %bb.1989:
	s_cmp_lt_i32 s0, 24
	s_cbranch_scc1 .LBB42_2001
; %bb.1990:
	s_cmp_gt_i32 s0, 24
	s_cbranch_scc0 .LBB42_2002
; %bb.1991:
	global_load_u8 v3, v[8:9], off
	s_mov_b32 s22, exec_lo
	s_wait_loadcnt 0x0
	v_cmpx_lt_i16_e32 0x7f, v3
	s_xor_b32 s22, exec_lo, s22
	s_cbranch_execz .LBB42_2014
; %bb.1992:
	s_mov_b32 s21, -1
	s_mov_b32 s23, exec_lo
	v_cmpx_eq_u16_e32 0x80, v3
; %bb.1993:
	s_xor_b32 s21, exec_lo, -1
; %bb.1994:
	s_or_b32 exec_lo, exec_lo, s23
	s_delay_alu instid0(SALU_CYCLE_1)
	s_and_b32 s21, s21, exec_lo
	s_or_saveexec_b32 s22, s22
	v_mov_b64_e32 v[10:11], 0x7ff8000020000000
	s_xor_b32 exec_lo, exec_lo, s22
	s_cbranch_execnz .LBB42_2015
.LBB42_1995:
	s_or_b32 exec_lo, exec_lo, s22
	s_and_saveexec_b32 s22, s21
	s_cbranch_execz .LBB42_1997
.LBB42_1996:
	v_and_b32_e32 v7, 0xffff, v3
	v_lshlrev_b32_e32 v3, 24, v3
	s_delay_alu instid0(VALU_DEP_2) | instskip(SKIP_1) | instid1(VALU_DEP_3)
	v_and_b32_e32 v10, 3, v7
	v_bfe_u32 v13, v7, 2, 5
	v_and_b32_e32 v3, 0x80000000, v3
	s_delay_alu instid0(VALU_DEP_3) | instskip(NEXT) | instid1(VALU_DEP_3)
	v_clz_i32_u32_e32 v11, v10
	v_cmp_eq_u32_e32 vcc_lo, 0, v13
	s_delay_alu instid0(VALU_DEP_2) | instskip(NEXT) | instid1(VALU_DEP_1)
	v_min_u32_e32 v11, 32, v11
	v_subrev_nc_u32_e32 v12, 29, v11
	v_sub_nc_u32_e32 v11, 30, v11
	s_delay_alu instid0(VALU_DEP_2) | instskip(NEXT) | instid1(VALU_DEP_2)
	v_lshlrev_b32_e32 v7, v12, v7
	v_cndmask_b32_e32 v11, v13, v11, vcc_lo
	s_delay_alu instid0(VALU_DEP_2) | instskip(NEXT) | instid1(VALU_DEP_1)
	v_and_b32_e32 v7, 3, v7
	v_cndmask_b32_e32 v7, v10, v7, vcc_lo
	s_delay_alu instid0(VALU_DEP_3) | instskip(NEXT) | instid1(VALU_DEP_2)
	v_lshl_add_u32 v10, v11, 23, 0x37800000
	v_lshlrev_b32_e32 v7, 21, v7
	s_delay_alu instid0(VALU_DEP_1) | instskip(NEXT) | instid1(VALU_DEP_1)
	v_or3_b32 v3, v3, v10, v7
	v_cvt_f64_f32_e32 v[10:11], v3
.LBB42_1997:
	s_or_b32 exec_lo, exec_lo, s22
	s_mov_b32 s21, 0
	s_branch .LBB42_2003
.LBB42_1998:
	s_mov_b32 s21, -1
                                        ; implicit-def: $vgpr10_vgpr11
	s_branch .LBB42_2009
.LBB42_1999:
	s_or_saveexec_b32 s23, s23
	v_mov_b64_e32 v[10:11], 0x7ff8000020000000
	s_xor_b32 exec_lo, exec_lo, s23
	s_cbranch_execz .LBB42_1982
.LBB42_2000:
	v_cmp_ne_u16_e32 vcc_lo, 0, v3
	v_mov_b64_e32 v[10:11], 0
	s_and_not1_b32 s22, s22, exec_lo
	s_and_b32 s24, vcc_lo, exec_lo
	s_delay_alu instid0(SALU_CYCLE_1)
	s_or_b32 s22, s22, s24
	s_or_b32 exec_lo, exec_lo, s23
	s_and_saveexec_b32 s23, s22
	s_cbranch_execnz .LBB42_1983
	s_branch .LBB42_1984
.LBB42_2001:
	s_mov_b32 s21, -1
                                        ; implicit-def: $vgpr10_vgpr11
	s_branch .LBB42_2006
.LBB42_2002:
	s_mov_b32 s21, -1
                                        ; implicit-def: $vgpr10_vgpr11
.LBB42_2003:
	s_delay_alu instid0(SALU_CYCLE_1)
	s_and_b32 vcc_lo, exec_lo, s21
	s_cbranch_vccz .LBB42_2005
; %bb.2004:
	global_load_u8 v3, v[8:9], off
	s_wait_loadcnt 0x0
	v_lshlrev_b32_e32 v3, 24, v3
	s_delay_alu instid0(VALU_DEP_1) | instskip(NEXT) | instid1(VALU_DEP_1)
	v_and_b32_e32 v7, 0x7f000000, v3
	v_clz_i32_u32_e32 v10, v7
	v_cmp_ne_u32_e32 vcc_lo, 0, v7
	v_add_nc_u32_e32 v12, 0x1000000, v7
	s_delay_alu instid0(VALU_DEP_3) | instskip(NEXT) | instid1(VALU_DEP_1)
	v_min_u32_e32 v10, 32, v10
	v_sub_nc_u32_e64 v10, v10, 4 clamp
	s_delay_alu instid0(VALU_DEP_1) | instskip(NEXT) | instid1(VALU_DEP_1)
	v_dual_lshlrev_b32 v11, v10, v7 :: v_dual_lshlrev_b32 v10, 23, v10
	v_lshrrev_b32_e32 v11, 4, v11
	s_delay_alu instid0(VALU_DEP_1) | instskip(NEXT) | instid1(VALU_DEP_1)
	v_dual_sub_nc_u32 v10, v11, v10 :: v_dual_ashrrev_i32 v11, 8, v12
	v_add_nc_u32_e32 v10, 0x3c000000, v10
	s_delay_alu instid0(VALU_DEP_1) | instskip(NEXT) | instid1(VALU_DEP_1)
	v_and_or_b32 v10, 0x7f800000, v11, v10
	v_cndmask_b32_e32 v7, 0, v10, vcc_lo
	s_delay_alu instid0(VALU_DEP_1) | instskip(NEXT) | instid1(VALU_DEP_1)
	v_and_or_b32 v3, 0x80000000, v3, v7
	v_cvt_f64_f32_e32 v[10:11], v3
.LBB42_2005:
	s_mov_b32 s21, 0
.LBB42_2006:
	s_delay_alu instid0(SALU_CYCLE_1)
	s_and_not1_b32 vcc_lo, exec_lo, s21
	s_cbranch_vccnz .LBB42_2008
; %bb.2007:
	global_load_u8 v3, v[8:9], off
	s_wait_loadcnt 0x0
	v_lshlrev_b32_e32 v7, 25, v3
	v_lshlrev_b16 v3, 8, v3
	s_delay_alu instid0(VALU_DEP_2) | instskip(NEXT) | instid1(VALU_DEP_2)
	v_lshrrev_b32_e32 v10, 4, v7
	v_and_or_b32 v11, 0x7f00, v3, 0.5
	v_bfe_i32 v3, v3, 0, 16
	s_delay_alu instid0(VALU_DEP_3) | instskip(NEXT) | instid1(VALU_DEP_1)
	v_or_b32_e32 v10, 0x70000000, v10
	v_dual_add_f32 v11, -0.5, v11 :: v_dual_mul_f32 v10, 0x7800000, v10
	v_cmp_gt_u32_e32 vcc_lo, 0x8000000, v7
	s_delay_alu instid0(VALU_DEP_2) | instskip(NEXT) | instid1(VALU_DEP_1)
	v_cndmask_b32_e32 v7, v10, v11, vcc_lo
	v_and_or_b32 v3, 0x80000000, v3, v7
	s_delay_alu instid0(VALU_DEP_1)
	v_cvt_f64_f32_e32 v[10:11], v3
.LBB42_2008:
	s_mov_b32 s21, 0
	s_mov_b32 s22, -1
.LBB42_2009:
	s_and_not1_b32 vcc_lo, exec_lo, s21
	s_mov_b32 s21, 0
	s_cbranch_vccnz .LBB42_2020
; %bb.2010:
	s_cmp_gt_i32 s0, 14
	s_cbranch_scc0 .LBB42_2013
; %bb.2011:
	s_cmp_eq_u32 s0, 15
	s_cbranch_scc0 .LBB42_2016
; %bb.2012:
	global_load_u16 v3, v[8:9], off
	s_mov_b32 s20, 0
	s_mov_b32 s22, -1
	s_wait_loadcnt 0x0
	v_lshlrev_b32_e32 v3, 16, v3
	s_delay_alu instid0(VALU_DEP_1)
	v_cvt_f64_f32_e32 v[10:11], v3
	s_branch .LBB42_2018
.LBB42_2013:
	s_mov_b32 s21, -1
	s_branch .LBB42_2017
.LBB42_2014:
	s_or_saveexec_b32 s22, s22
	v_mov_b64_e32 v[10:11], 0x7ff8000020000000
	s_xor_b32 exec_lo, exec_lo, s22
	s_cbranch_execz .LBB42_1995
.LBB42_2015:
	v_cmp_ne_u16_e32 vcc_lo, 0, v3
	v_mov_b64_e32 v[10:11], 0
	s_and_not1_b32 s21, s21, exec_lo
	s_and_b32 s23, vcc_lo, exec_lo
	s_delay_alu instid0(SALU_CYCLE_1)
	s_or_b32 s21, s21, s23
	s_or_b32 exec_lo, exec_lo, s22
	s_and_saveexec_b32 s22, s21
	s_cbranch_execnz .LBB42_1996
	s_branch .LBB42_1997
.LBB42_2016:
	s_mov_b32 s20, -1
.LBB42_2017:
                                        ; implicit-def: $vgpr10_vgpr11
.LBB42_2018:
	s_and_b32 vcc_lo, exec_lo, s21
	s_mov_b32 s21, 0
	s_cbranch_vccz .LBB42_2020
; %bb.2019:
	s_cmp_lg_u32 s0, 11
	s_mov_b32 s21, -1
	s_cselect_b32 s20, -1, 0
.LBB42_2020:
	s_delay_alu instid0(SALU_CYCLE_1)
	s_and_b32 vcc_lo, exec_lo, s20
	s_cbranch_vccnz .LBB42_2087
; %bb.2021:
	s_and_not1_b32 vcc_lo, exec_lo, s21
	s_cbranch_vccnz .LBB42_2023
.LBB42_2022:
	global_load_u8 v3, v[8:9], off
	v_mov_b32_e32 v10, 0
	s_mov_b32 s22, -1
	s_wait_loadcnt 0x0
	v_cmp_ne_u16_e32 vcc_lo, 0, v3
	v_cndmask_b32_e64 v11, 0, 0x3ff00000, vcc_lo
.LBB42_2023:
	s_mov_b32 s0, 0
.LBB42_2024:
	s_delay_alu instid0(SALU_CYCLE_1)
	s_and_b32 vcc_lo, exec_lo, s0
	s_cbranch_vccz .LBB42_2073
; %bb.2025:
	s_and_b32 s0, 0xffff, s1
	s_delay_alu instid0(SALU_CYCLE_1)
	s_cmp_lt_i32 s0, 5
	s_cbranch_scc1 .LBB42_2030
; %bb.2026:
	s_cmp_lt_i32 s0, 8
	s_cbranch_scc1 .LBB42_2031
; %bb.2027:
	;; [unrolled: 3-line block ×3, first 2 shown]
	s_cmp_gt_i32 s0, 9
	s_cbranch_scc0 .LBB42_2033
; %bb.2029:
	global_load_b64 v[10:11], v[8:9], off
	s_mov_b32 s20, 0
	s_branch .LBB42_2034
.LBB42_2030:
	s_mov_b32 s20, -1
                                        ; implicit-def: $vgpr10_vgpr11
	s_branch .LBB42_2052
.LBB42_2031:
	s_mov_b32 s20, -1
                                        ; implicit-def: $vgpr10_vgpr11
	s_branch .LBB42_2040
.LBB42_2032:
	s_mov_b32 s20, -1
                                        ; implicit-def: $vgpr10_vgpr11
	s_branch .LBB42_2037
.LBB42_2033:
	s_mov_b32 s20, -1
                                        ; implicit-def: $vgpr10_vgpr11
.LBB42_2034:
	s_delay_alu instid0(SALU_CYCLE_1)
	s_and_not1_b32 vcc_lo, exec_lo, s20
	s_cbranch_vccnz .LBB42_2036
; %bb.2035:
	global_load_b32 v3, v[8:9], off
	s_wait_loadcnt 0x0
	v_cvt_f64_f32_e32 v[10:11], v3
.LBB42_2036:
	s_mov_b32 s20, 0
.LBB42_2037:
	s_delay_alu instid0(SALU_CYCLE_1)
	s_and_not1_b32 vcc_lo, exec_lo, s20
	s_cbranch_vccnz .LBB42_2039
; %bb.2038:
	global_load_b32 v3, v[8:9], off
	s_wait_loadcnt 0x0
	v_cvt_f32_f16_e32 v3, v3
	s_delay_alu instid0(VALU_DEP_1)
	v_cvt_f64_f32_e32 v[10:11], v3
.LBB42_2039:
	s_mov_b32 s20, 0
.LBB42_2040:
	s_delay_alu instid0(SALU_CYCLE_1)
	s_and_not1_b32 vcc_lo, exec_lo, s20
	s_cbranch_vccnz .LBB42_2051
; %bb.2041:
	s_cmp_lt_i32 s0, 6
	s_cbranch_scc1 .LBB42_2044
; %bb.2042:
	s_cmp_gt_i32 s0, 6
	s_cbranch_scc0 .LBB42_2045
; %bb.2043:
	s_wait_loadcnt 0x0
	global_load_b64 v[10:11], v[8:9], off
	s_mov_b32 s20, 0
	s_branch .LBB42_2046
.LBB42_2044:
	s_mov_b32 s20, -1
                                        ; implicit-def: $vgpr10_vgpr11
	s_branch .LBB42_2049
.LBB42_2045:
	s_mov_b32 s20, -1
                                        ; implicit-def: $vgpr10_vgpr11
.LBB42_2046:
	s_delay_alu instid0(SALU_CYCLE_1)
	s_and_not1_b32 vcc_lo, exec_lo, s20
	s_cbranch_vccnz .LBB42_2048
; %bb.2047:
	global_load_b32 v3, v[8:9], off
	s_wait_loadcnt 0x0
	v_cvt_f64_f32_e32 v[10:11], v3
.LBB42_2048:
	s_mov_b32 s20, 0
.LBB42_2049:
	s_delay_alu instid0(SALU_CYCLE_1)
	s_and_not1_b32 vcc_lo, exec_lo, s20
	s_cbranch_vccnz .LBB42_2051
; %bb.2050:
	global_load_u16 v3, v[8:9], off
	s_wait_loadcnt 0x0
	v_cvt_f32_f16_e32 v3, v3
	s_delay_alu instid0(VALU_DEP_1)
	v_cvt_f64_f32_e32 v[10:11], v3
.LBB42_2051:
	s_mov_b32 s20, 0
.LBB42_2052:
	s_delay_alu instid0(SALU_CYCLE_1)
	s_and_not1_b32 vcc_lo, exec_lo, s20
	s_cbranch_vccnz .LBB42_2072
; %bb.2053:
	s_cmp_lt_i32 s0, 2
	s_cbranch_scc1 .LBB42_2057
; %bb.2054:
	s_cmp_lt_i32 s0, 3
	s_cbranch_scc1 .LBB42_2058
; %bb.2055:
	s_cmp_gt_i32 s0, 3
	s_cbranch_scc0 .LBB42_2059
; %bb.2056:
	s_wait_loadcnt 0x0
	global_load_b64 v[10:11], v[8:9], off
	s_mov_b32 s20, 0
	s_wait_loadcnt 0x0
	v_cvt_f64_i32_e32 v[12:13], v11
	v_cvt_f64_u32_e32 v[10:11], v10
	s_delay_alu instid0(VALU_DEP_2) | instskip(NEXT) | instid1(VALU_DEP_1)
	v_ldexp_f64 v[12:13], v[12:13], 32
	v_add_f64_e32 v[10:11], v[12:13], v[10:11]
	s_branch .LBB42_2060
.LBB42_2057:
	s_mov_b32 s20, -1
                                        ; implicit-def: $vgpr10_vgpr11
	s_branch .LBB42_2066
.LBB42_2058:
	s_mov_b32 s20, -1
                                        ; implicit-def: $vgpr10_vgpr11
	s_branch .LBB42_2063
.LBB42_2059:
	s_mov_b32 s20, -1
                                        ; implicit-def: $vgpr10_vgpr11
.LBB42_2060:
	s_delay_alu instid0(SALU_CYCLE_1)
	s_and_not1_b32 vcc_lo, exec_lo, s20
	s_cbranch_vccnz .LBB42_2062
; %bb.2061:
	global_load_b32 v3, v[8:9], off
	s_wait_loadcnt 0x0
	v_cvt_f64_i32_e32 v[10:11], v3
.LBB42_2062:
	s_mov_b32 s20, 0
.LBB42_2063:
	s_delay_alu instid0(SALU_CYCLE_1)
	s_and_not1_b32 vcc_lo, exec_lo, s20
	s_cbranch_vccnz .LBB42_2065
; %bb.2064:
	global_load_i16 v3, v[8:9], off
	s_wait_loadcnt 0x0
	v_cvt_f64_i32_e32 v[10:11], v3
.LBB42_2065:
	s_mov_b32 s20, 0
.LBB42_2066:
	s_delay_alu instid0(SALU_CYCLE_1)
	s_and_not1_b32 vcc_lo, exec_lo, s20
	s_cbranch_vccnz .LBB42_2072
; %bb.2067:
	s_cmp_gt_i32 s0, 0
	s_mov_b32 s0, 0
	s_cbranch_scc0 .LBB42_2069
; %bb.2068:
	global_load_i8 v3, v[8:9], off
	s_wait_loadcnt 0x0
	v_cvt_f64_i32_e32 v[10:11], v3
	s_branch .LBB42_2070
.LBB42_2069:
	s_mov_b32 s0, -1
                                        ; implicit-def: $vgpr10_vgpr11
.LBB42_2070:
	s_delay_alu instid0(SALU_CYCLE_1)
	s_and_not1_b32 vcc_lo, exec_lo, s0
	s_cbranch_vccnz .LBB42_2072
; %bb.2071:
	global_load_u8 v3, v[8:9], off
	s_wait_loadcnt 0x0
	v_cvt_f64_u32_e32 v[10:11], v3
.LBB42_2072:
	s_mov_b32 s22, -1
.LBB42_2073:
	s_delay_alu instid0(SALU_CYCLE_1)
	s_and_not1_b32 vcc_lo, exec_lo, s22
	s_cbranch_vccnz .LBB42_2684
; %bb.2074:
	s_wait_loadcnt 0x0
	s_delay_alu instid0(VALU_DEP_1) | instskip(SKIP_1) | instid1(VALU_DEP_1)
	v_mul_f64_e32 v[8:9], s[8:9], v[10:11]
	s_mov_b32 s20, exec_lo
	v_cmpx_nlt_f64_e32 s[10:11], v[8:9]
	s_cbranch_execz .LBB42_2076
; %bb.2075:
	v_mul_f64_e32 v[10:11], 0x3ff71547652b82fe, v[8:9]
	s_mov_b64 s[22:23], 0x3e5ade156a5dcb37
	v_cmp_nlt_f64_e32 vcc_lo, 0x40900000, v[8:9]
	v_cmp_ngt_f64_e64 s0, 0xc090cc00, v[8:9]
	s_delay_alu instid0(VALU_DEP_3) | instskip(NEXT) | instid1(VALU_DEP_1)
	v_rndne_f64_e32 v[10:11], v[10:11]
	v_fmamk_f64 v[12:13], v[10:11], 0xbfe62e42fefa39ef, v[8:9]
	v_cvt_i32_f64_e32 v3, v[10:11]
	s_delay_alu instid0(VALU_DEP_2) | instskip(NEXT) | instid1(VALU_DEP_1)
	v_fmamk_f64 v[12:13], v[10:11], 0xbc7abc9e3b39803f, v[12:13]
	v_fmaak_f64 v[16:17], s[22:23], v[12:13], 0x3e928af3fca7ab0c
	s_delay_alu instid0(VALU_DEP_1) | instskip(NEXT) | instid1(VALU_DEP_1)
	v_fmaak_f64 v[16:17], v[12:13], v[16:17], 0x3ec71dee623fde64
	v_fmaak_f64 v[16:17], v[12:13], v[16:17], 0x3efa01997c89e6b0
	s_delay_alu instid0(VALU_DEP_1) | instskip(NEXT) | instid1(VALU_DEP_1)
	v_fmaak_f64 v[16:17], v[12:13], v[16:17], 0x3f2a01a014761f6e
	;; [unrolled: 3-line block ×4, first 2 shown]
	v_fmaak_f64 v[16:17], v[12:13], v[16:17], 0x3fe000000000000b
	s_delay_alu instid0(VALU_DEP_1) | instskip(NEXT) | instid1(VALU_DEP_1)
	v_fma_f64 v[16:17], v[12:13], v[16:17], 1.0
	v_fma_f64 v[10:11], v[12:13], v[16:17], 1.0
	s_delay_alu instid0(VALU_DEP_1) | instskip(NEXT) | instid1(VALU_DEP_1)
	v_ldexp_f64 v[10:11], v[10:11], v3
	v_cndmask_b32_e32 v3, 0x7ff00000, v11, vcc_lo
	s_and_b32 vcc_lo, s0, vcc_lo
	s_delay_alu instid0(VALU_DEP_1) | instid1(SALU_CYCLE_1)
	v_dual_cndmask_b32 v8, 0, v10, vcc_lo :: v_dual_cndmask_b32 v9, 0, v3, s0
	s_delay_alu instid0(VALU_DEP_1) | instskip(SKIP_1) | instid1(VALU_DEP_1)
	v_mul_f64_e32 v[4:5], v[4:5], v[8:9]
	v_add_f64_e32 v[8:9], 1.0, v[8:9]
	v_div_scale_f64 v[10:11], null, v[8:9], v[8:9], v[4:5]
	s_delay_alu instid0(VALU_DEP_1) | instskip(SKIP_1) | instid1(TRANS32_DEP_1)
	v_rcp_f64_e32 v[12:13], v[10:11]
	v_nop
	v_fma_f64 v[16:17], -v[10:11], v[12:13], 1.0
	s_delay_alu instid0(VALU_DEP_1) | instskip(NEXT) | instid1(VALU_DEP_1)
	v_fmac_f64_e32 v[12:13], v[12:13], v[16:17]
	v_fma_f64 v[16:17], -v[10:11], v[12:13], 1.0
	s_delay_alu instid0(VALU_DEP_1) | instskip(SKIP_1) | instid1(VALU_DEP_1)
	v_fmac_f64_e32 v[12:13], v[12:13], v[16:17]
	v_div_scale_f64 v[16:17], vcc_lo, v[4:5], v[8:9], v[4:5]
	v_mul_f64_e32 v[18:19], v[16:17], v[12:13]
	s_delay_alu instid0(VALU_DEP_1) | instskip(NEXT) | instid1(VALU_DEP_1)
	v_fma_f64 v[10:11], -v[10:11], v[18:19], v[16:17]
	v_div_fmas_f64 v[10:11], v[10:11], v[12:13], v[18:19]
	s_delay_alu instid0(VALU_DEP_1)
	v_div_fixup_f64 v[4:5], v[10:11], v[8:9], v[4:5]
.LBB42_2076:
	s_or_b32 exec_lo, exec_lo, s20
	v_add_nc_u32_e32 v2, s13, v2
	s_cmp_lt_i32 s17, 11
	s_delay_alu instid0(VALU_DEP_1) | instskip(NEXT) | instid1(VALU_DEP_1)
	v_ashrrev_i32_e32 v3, 31, v2
	v_add_nc_u64_e32 v[10:11], s[6:7], v[2:3]
	s_cbranch_scc1 .LBB42_2083
; %bb.2077:
	s_and_b32 s0, 0xffff, s17
	s_mov_b32 s21, 0
	s_cmp_gt_i32 s0, 25
	s_cbranch_scc0 .LBB42_2084
; %bb.2078:
	s_cmp_gt_i32 s0, 28
	s_cbranch_scc0 .LBB42_2085
; %bb.2079:
	;; [unrolled: 3-line block ×4, first 2 shown]
	s_cmp_eq_u32 s0, 46
	s_mov_b32 s23, 0
	s_cbranch_scc0 .LBB42_2089
; %bb.2082:
	global_load_b32 v3, v[10:11], off
	s_mov_b32 s20, 0
	s_mov_b32 s22, -1
	s_wait_loadcnt 0x0
	v_lshlrev_b32_e32 v3, 16, v3
	s_delay_alu instid0(VALU_DEP_1)
	v_cvt_f64_f32_e32 v[8:9], v3
	s_branch .LBB42_2091
.LBB42_2083:
	s_mov_b32 s0, -1
	s_mov_b32 s22, 0
                                        ; implicit-def: $vgpr8_vgpr9
	s_branch .LBB42_2157
.LBB42_2084:
	s_mov_b32 s23, -1
	s_mov_b32 s22, 0
	s_mov_b32 s20, 0
                                        ; implicit-def: $vgpr8_vgpr9
	s_branch .LBB42_2120
.LBB42_2085:
	s_mov_b32 s23, -1
	s_mov_b32 s22, 0
	s_mov_b32 s20, 0
                                        ; implicit-def: $vgpr8_vgpr9
	s_branch .LBB42_2101
.LBB42_2086:
	s_mov_b32 s23, -1
	s_mov_b32 s22, 0
	s_mov_b32 s20, 0
                                        ; implicit-def: $vgpr8_vgpr9
	s_branch .LBB42_2096
.LBB42_2087:
	s_or_b32 s16, s16, exec_lo
	s_trap 2
	s_cbranch_execz .LBB42_2022
	s_branch .LBB42_2023
.LBB42_2088:
	s_mov_b32 s23, -1
	s_mov_b32 s22, 0
	s_mov_b32 s20, 0
	s_branch .LBB42_2090
.LBB42_2089:
	s_mov_b32 s20, -1
	s_mov_b32 s22, 0
.LBB42_2090:
                                        ; implicit-def: $vgpr8_vgpr9
.LBB42_2091:
	s_and_b32 vcc_lo, exec_lo, s23
	s_cbranch_vccz .LBB42_2095
; %bb.2092:
	s_cmp_eq_u32 s0, 44
	s_cbranch_scc0 .LBB42_2094
; %bb.2093:
	global_load_u8 v3, v[10:11], off
	s_mov_b32 s20, 0
	s_mov_b32 s22, -1
	s_wait_loadcnt 0x0
	v_cmp_ne_u32_e32 vcc_lo, 0xff, v3
	v_lshlrev_b32_e32 v7, 23, v3
	s_delay_alu instid0(VALU_DEP_1) | instskip(NEXT) | instid1(VALU_DEP_1)
	v_cvt_f64_f32_e32 v[8:9], v7
	v_cndmask_b32_e32 v7, 0x20000000, v8, vcc_lo
	s_delay_alu instid0(VALU_DEP_2) | instskip(SKIP_1) | instid1(VALU_DEP_2)
	v_cndmask_b32_e32 v8, 0x7ff80000, v9, vcc_lo
	v_cmp_ne_u32_e32 vcc_lo, 0, v3
	v_cndmask_b32_e32 v9, 0x38000000, v8, vcc_lo
	s_delay_alu instid0(VALU_DEP_4)
	v_cndmask_b32_e32 v8, 0, v7, vcc_lo
	s_branch .LBB42_2095
.LBB42_2094:
	s_mov_b32 s20, -1
                                        ; implicit-def: $vgpr8_vgpr9
.LBB42_2095:
	s_mov_b32 s23, 0
.LBB42_2096:
	s_delay_alu instid0(SALU_CYCLE_1)
	s_and_b32 vcc_lo, exec_lo, s23
	s_cbranch_vccz .LBB42_2100
; %bb.2097:
	s_cmp_eq_u32 s0, 29
	s_cbranch_scc0 .LBB42_2099
; %bb.2098:
	global_load_b64 v[8:9], v[10:11], off
	s_mov_b32 s20, 0
	s_mov_b32 s22, -1
	s_mov_b32 s23, 0
	s_wait_loadcnt 0x0
	v_cvt_f64_u32_e32 v[12:13], v9
	v_cvt_f64_u32_e32 v[8:9], v8
	s_delay_alu instid0(VALU_DEP_2) | instskip(NEXT) | instid1(VALU_DEP_1)
	v_ldexp_f64 v[12:13], v[12:13], 32
	v_add_f64_e32 v[8:9], v[12:13], v[8:9]
	s_branch .LBB42_2101
.LBB42_2099:
	s_mov_b32 s20, -1
                                        ; implicit-def: $vgpr8_vgpr9
.LBB42_2100:
	s_mov_b32 s23, 0
.LBB42_2101:
	s_delay_alu instid0(SALU_CYCLE_1)
	s_and_b32 vcc_lo, exec_lo, s23
	s_cbranch_vccz .LBB42_2119
; %bb.2102:
	s_cmp_lt_i32 s0, 27
	s_cbranch_scc1 .LBB42_2105
; %bb.2103:
	s_cmp_gt_i32 s0, 27
	s_cbranch_scc0 .LBB42_2106
; %bb.2104:
	global_load_b32 v3, v[10:11], off
	s_mov_b32 s22, 0
	s_wait_loadcnt 0x0
	v_cvt_f64_u32_e32 v[8:9], v3
	s_branch .LBB42_2107
.LBB42_2105:
	s_mov_b32 s22, -1
                                        ; implicit-def: $vgpr8_vgpr9
	s_branch .LBB42_2110
.LBB42_2106:
	s_mov_b32 s22, -1
                                        ; implicit-def: $vgpr8_vgpr9
.LBB42_2107:
	s_delay_alu instid0(SALU_CYCLE_1)
	s_and_not1_b32 vcc_lo, exec_lo, s22
	s_cbranch_vccnz .LBB42_2109
; %bb.2108:
	global_load_u16 v3, v[10:11], off
	s_wait_loadcnt 0x0
	v_cvt_f64_u32_e32 v[8:9], v3
.LBB42_2109:
	s_mov_b32 s22, 0
.LBB42_2110:
	s_delay_alu instid0(SALU_CYCLE_1)
	s_and_not1_b32 vcc_lo, exec_lo, s22
	s_cbranch_vccnz .LBB42_2118
; %bb.2111:
	global_load_u8 v3, v[10:11], off
	s_mov_b32 s22, 0
	s_mov_b32 s23, exec_lo
	s_wait_loadcnt 0x0
	v_cmpx_lt_i16_e32 0x7f, v3
	s_xor_b32 s23, exec_lo, s23
	s_cbranch_execz .LBB42_2132
; %bb.2112:
	s_mov_b32 s22, -1
	s_mov_b32 s24, exec_lo
	v_cmpx_eq_u16_e32 0x80, v3
; %bb.2113:
	s_xor_b32 s22, exec_lo, -1
; %bb.2114:
	s_or_b32 exec_lo, exec_lo, s24
	s_delay_alu instid0(SALU_CYCLE_1)
	s_and_b32 s22, s22, exec_lo
	s_or_saveexec_b32 s23, s23
	v_mov_b64_e32 v[8:9], 0x7ff8000020000000
	s_xor_b32 exec_lo, exec_lo, s23
	s_cbranch_execnz .LBB42_2133
.LBB42_2115:
	s_or_b32 exec_lo, exec_lo, s23
	s_and_saveexec_b32 s23, s22
	s_cbranch_execz .LBB42_2117
.LBB42_2116:
	v_and_b32_e32 v7, 0xffff, v3
	s_delay_alu instid0(VALU_DEP_1) | instskip(SKIP_1) | instid1(VALU_DEP_2)
	v_and_b32_e32 v8, 7, v7
	v_bfe_u32 v13, v7, 3, 4
	v_clz_i32_u32_e32 v9, v8
	s_delay_alu instid0(VALU_DEP_2) | instskip(NEXT) | instid1(VALU_DEP_2)
	v_cmp_eq_u32_e32 vcc_lo, 0, v13
	v_min_u32_e32 v9, 32, v9
	s_delay_alu instid0(VALU_DEP_1) | instskip(NEXT) | instid1(VALU_DEP_1)
	v_subrev_nc_u32_e32 v12, 28, v9
	v_dual_lshlrev_b32 v7, v12, v7 :: v_dual_sub_nc_u32 v9, 29, v9
	s_delay_alu instid0(VALU_DEP_1) | instskip(NEXT) | instid1(VALU_DEP_2)
	v_and_b32_e32 v7, 7, v7
	v_dual_lshlrev_b32 v3, 24, v3 :: v_dual_cndmask_b32 v9, v13, v9, vcc_lo
	s_delay_alu instid0(VALU_DEP_2) | instskip(NEXT) | instid1(VALU_DEP_2)
	v_cndmask_b32_e32 v7, v8, v7, vcc_lo
	v_and_b32_e32 v3, 0x80000000, v3
	s_delay_alu instid0(VALU_DEP_3) | instskip(NEXT) | instid1(VALU_DEP_3)
	v_lshl_add_u32 v8, v9, 23, 0x3b800000
	v_lshlrev_b32_e32 v7, 20, v7
	s_delay_alu instid0(VALU_DEP_1) | instskip(NEXT) | instid1(VALU_DEP_1)
	v_or3_b32 v3, v3, v8, v7
	v_cvt_f64_f32_e32 v[8:9], v3
.LBB42_2117:
	s_or_b32 exec_lo, exec_lo, s23
.LBB42_2118:
	s_mov_b32 s22, -1
.LBB42_2119:
	s_mov_b32 s23, 0
.LBB42_2120:
	s_delay_alu instid0(SALU_CYCLE_1)
	s_and_b32 vcc_lo, exec_lo, s23
	s_cbranch_vccz .LBB42_2153
; %bb.2121:
	s_cmp_gt_i32 s0, 22
	s_cbranch_scc0 .LBB42_2131
; %bb.2122:
	s_cmp_lt_i32 s0, 24
	s_cbranch_scc1 .LBB42_2134
; %bb.2123:
	s_cmp_gt_i32 s0, 24
	s_cbranch_scc0 .LBB42_2135
; %bb.2124:
	global_load_u8 v3, v[10:11], off
	s_mov_b32 s22, exec_lo
	s_wait_loadcnt 0x0
	v_cmpx_lt_i16_e32 0x7f, v3
	s_xor_b32 s22, exec_lo, s22
	s_cbranch_execz .LBB42_2147
; %bb.2125:
	s_mov_b32 s21, -1
	s_mov_b32 s23, exec_lo
	v_cmpx_eq_u16_e32 0x80, v3
; %bb.2126:
	s_xor_b32 s21, exec_lo, -1
; %bb.2127:
	s_or_b32 exec_lo, exec_lo, s23
	s_delay_alu instid0(SALU_CYCLE_1)
	s_and_b32 s21, s21, exec_lo
	s_or_saveexec_b32 s22, s22
	v_mov_b64_e32 v[8:9], 0x7ff8000020000000
	s_xor_b32 exec_lo, exec_lo, s22
	s_cbranch_execnz .LBB42_2148
.LBB42_2128:
	s_or_b32 exec_lo, exec_lo, s22
	s_and_saveexec_b32 s22, s21
	s_cbranch_execz .LBB42_2130
.LBB42_2129:
	v_and_b32_e32 v7, 0xffff, v3
	s_delay_alu instid0(VALU_DEP_1) | instskip(SKIP_1) | instid1(VALU_DEP_2)
	v_and_b32_e32 v8, 3, v7
	v_bfe_u32 v13, v7, 2, 5
	v_clz_i32_u32_e32 v9, v8
	s_delay_alu instid0(VALU_DEP_2) | instskip(NEXT) | instid1(VALU_DEP_2)
	v_cmp_eq_u32_e32 vcc_lo, 0, v13
	v_min_u32_e32 v9, 32, v9
	s_delay_alu instid0(VALU_DEP_1) | instskip(NEXT) | instid1(VALU_DEP_1)
	v_subrev_nc_u32_e32 v12, 29, v9
	v_dual_lshlrev_b32 v7, v12, v7 :: v_dual_sub_nc_u32 v9, 30, v9
	s_delay_alu instid0(VALU_DEP_1) | instskip(NEXT) | instid1(VALU_DEP_2)
	v_and_b32_e32 v7, 3, v7
	v_dual_lshlrev_b32 v3, 24, v3 :: v_dual_cndmask_b32 v9, v13, v9, vcc_lo
	s_delay_alu instid0(VALU_DEP_2) | instskip(NEXT) | instid1(VALU_DEP_2)
	v_cndmask_b32_e32 v7, v8, v7, vcc_lo
	v_and_b32_e32 v3, 0x80000000, v3
	s_delay_alu instid0(VALU_DEP_3) | instskip(NEXT) | instid1(VALU_DEP_3)
	v_lshl_add_u32 v8, v9, 23, 0x37800000
	v_lshlrev_b32_e32 v7, 21, v7
	s_delay_alu instid0(VALU_DEP_1) | instskip(NEXT) | instid1(VALU_DEP_1)
	v_or3_b32 v3, v3, v8, v7
	v_cvt_f64_f32_e32 v[8:9], v3
.LBB42_2130:
	s_or_b32 exec_lo, exec_lo, s22
	s_mov_b32 s21, 0
	s_branch .LBB42_2136
.LBB42_2131:
	s_mov_b32 s21, -1
                                        ; implicit-def: $vgpr8_vgpr9
	s_branch .LBB42_2142
.LBB42_2132:
	s_or_saveexec_b32 s23, s23
	v_mov_b64_e32 v[8:9], 0x7ff8000020000000
	s_xor_b32 exec_lo, exec_lo, s23
	s_cbranch_execz .LBB42_2115
.LBB42_2133:
	v_cmp_ne_u16_e32 vcc_lo, 0, v3
	v_mov_b64_e32 v[8:9], 0
	s_and_not1_b32 s22, s22, exec_lo
	s_and_b32 s24, vcc_lo, exec_lo
	s_delay_alu instid0(SALU_CYCLE_1)
	s_or_b32 s22, s22, s24
	s_or_b32 exec_lo, exec_lo, s23
	s_and_saveexec_b32 s23, s22
	s_cbranch_execnz .LBB42_2116
	s_branch .LBB42_2117
.LBB42_2134:
	s_mov_b32 s21, -1
                                        ; implicit-def: $vgpr8_vgpr9
	s_branch .LBB42_2139
.LBB42_2135:
	s_mov_b32 s21, -1
                                        ; implicit-def: $vgpr8_vgpr9
.LBB42_2136:
	s_delay_alu instid0(SALU_CYCLE_1)
	s_and_b32 vcc_lo, exec_lo, s21
	s_cbranch_vccz .LBB42_2138
; %bb.2137:
	global_load_u8 v3, v[10:11], off
	s_wait_loadcnt 0x0
	v_lshlrev_b32_e32 v3, 24, v3
	s_delay_alu instid0(VALU_DEP_1) | instskip(NEXT) | instid1(VALU_DEP_1)
	v_and_b32_e32 v7, 0x7f000000, v3
	v_clz_i32_u32_e32 v8, v7
	v_cmp_ne_u32_e32 vcc_lo, 0, v7
	v_add_nc_u32_e32 v12, 0x1000000, v7
	s_delay_alu instid0(VALU_DEP_3) | instskip(NEXT) | instid1(VALU_DEP_1)
	v_min_u32_e32 v8, 32, v8
	v_sub_nc_u32_e64 v8, v8, 4 clamp
	s_delay_alu instid0(VALU_DEP_1) | instskip(NEXT) | instid1(VALU_DEP_1)
	v_dual_lshlrev_b32 v9, v8, v7 :: v_dual_lshlrev_b32 v8, 23, v8
	v_lshrrev_b32_e32 v9, 4, v9
	s_delay_alu instid0(VALU_DEP_1) | instskip(SKIP_1) | instid1(VALU_DEP_2)
	v_sub_nc_u32_e32 v8, v9, v8
	v_ashrrev_i32_e32 v9, 8, v12
	v_add_nc_u32_e32 v8, 0x3c000000, v8
	s_delay_alu instid0(VALU_DEP_1) | instskip(NEXT) | instid1(VALU_DEP_1)
	v_and_or_b32 v8, 0x7f800000, v9, v8
	v_cndmask_b32_e32 v7, 0, v8, vcc_lo
	s_delay_alu instid0(VALU_DEP_1) | instskip(NEXT) | instid1(VALU_DEP_1)
	v_and_or_b32 v3, 0x80000000, v3, v7
	v_cvt_f64_f32_e32 v[8:9], v3
.LBB42_2138:
	s_mov_b32 s21, 0
.LBB42_2139:
	s_delay_alu instid0(SALU_CYCLE_1)
	s_and_not1_b32 vcc_lo, exec_lo, s21
	s_cbranch_vccnz .LBB42_2141
; %bb.2140:
	global_load_u8 v3, v[10:11], off
	s_wait_loadcnt 0x0
	v_lshlrev_b32_e32 v7, 25, v3
	v_lshlrev_b16 v3, 8, v3
	s_delay_alu instid0(VALU_DEP_1) | instskip(SKIP_1) | instid1(VALU_DEP_2)
	v_and_or_b32 v9, 0x7f00, v3, 0.5
	v_bfe_i32 v3, v3, 0, 16
	v_dual_add_f32 v9, -0.5, v9 :: v_dual_lshrrev_b32 v8, 4, v7
	v_cmp_gt_u32_e32 vcc_lo, 0x8000000, v7
	s_delay_alu instid0(VALU_DEP_2) | instskip(NEXT) | instid1(VALU_DEP_1)
	v_or_b32_e32 v8, 0x70000000, v8
	v_mul_f32_e32 v8, 0x7800000, v8
	s_delay_alu instid0(VALU_DEP_1) | instskip(NEXT) | instid1(VALU_DEP_1)
	v_cndmask_b32_e32 v7, v8, v9, vcc_lo
	v_and_or_b32 v3, 0x80000000, v3, v7
	s_delay_alu instid0(VALU_DEP_1)
	v_cvt_f64_f32_e32 v[8:9], v3
.LBB42_2141:
	s_mov_b32 s21, 0
	s_mov_b32 s22, -1
.LBB42_2142:
	s_and_not1_b32 vcc_lo, exec_lo, s21
	s_mov_b32 s21, 0
	s_cbranch_vccnz .LBB42_2153
; %bb.2143:
	s_cmp_gt_i32 s0, 14
	s_cbranch_scc0 .LBB42_2146
; %bb.2144:
	s_cmp_eq_u32 s0, 15
	s_cbranch_scc0 .LBB42_2149
; %bb.2145:
	global_load_u16 v3, v[10:11], off
	s_mov_b32 s20, 0
	s_mov_b32 s22, -1
	s_wait_loadcnt 0x0
	v_lshlrev_b32_e32 v3, 16, v3
	s_delay_alu instid0(VALU_DEP_1)
	v_cvt_f64_f32_e32 v[8:9], v3
	s_branch .LBB42_2151
.LBB42_2146:
	s_mov_b32 s21, -1
	s_branch .LBB42_2150
.LBB42_2147:
	s_or_saveexec_b32 s22, s22
	v_mov_b64_e32 v[8:9], 0x7ff8000020000000
	s_xor_b32 exec_lo, exec_lo, s22
	s_cbranch_execz .LBB42_2128
.LBB42_2148:
	v_cmp_ne_u16_e32 vcc_lo, 0, v3
	v_mov_b64_e32 v[8:9], 0
	s_and_not1_b32 s21, s21, exec_lo
	s_and_b32 s23, vcc_lo, exec_lo
	s_delay_alu instid0(SALU_CYCLE_1)
	s_or_b32 s21, s21, s23
	s_or_b32 exec_lo, exec_lo, s22
	s_and_saveexec_b32 s22, s21
	s_cbranch_execnz .LBB42_2129
	s_branch .LBB42_2130
.LBB42_2149:
	s_mov_b32 s20, -1
.LBB42_2150:
                                        ; implicit-def: $vgpr8_vgpr9
.LBB42_2151:
	s_and_b32 vcc_lo, exec_lo, s21
	s_mov_b32 s21, 0
	s_cbranch_vccz .LBB42_2153
; %bb.2152:
	s_cmp_lg_u32 s0, 11
	s_mov_b32 s21, -1
	s_cselect_b32 s20, -1, 0
.LBB42_2153:
	s_delay_alu instid0(SALU_CYCLE_1)
	s_and_b32 vcc_lo, exec_lo, s20
	s_cbranch_vccnz .LBB42_2218
; %bb.2154:
	s_and_not1_b32 vcc_lo, exec_lo, s21
	s_cbranch_vccnz .LBB42_2156
.LBB42_2155:
	global_load_u8 v3, v[10:11], off
	v_mov_b32_e32 v8, 0
	s_mov_b32 s22, -1
	s_wait_loadcnt 0x0
	v_cmp_ne_u16_e32 vcc_lo, 0, v3
	v_cndmask_b32_e64 v9, 0, 0x3ff00000, vcc_lo
.LBB42_2156:
	s_mov_b32 s0, 0
.LBB42_2157:
	s_delay_alu instid0(SALU_CYCLE_1)
	s_and_b32 vcc_lo, exec_lo, s0
	s_cbranch_vccz .LBB42_2206
; %bb.2158:
	s_and_b32 s0, 0xffff, s17
	s_delay_alu instid0(SALU_CYCLE_1)
	s_cmp_lt_i32 s0, 5
	s_cbranch_scc1 .LBB42_2163
; %bb.2159:
	s_cmp_lt_i32 s0, 8
	s_cbranch_scc1 .LBB42_2164
; %bb.2160:
	s_cmp_lt_i32 s0, 9
	s_cbranch_scc1 .LBB42_2165
; %bb.2161:
	s_cmp_gt_i32 s0, 9
	s_cbranch_scc0 .LBB42_2166
; %bb.2162:
	global_load_b64 v[8:9], v[10:11], off
	s_mov_b32 s20, 0
	s_branch .LBB42_2167
.LBB42_2163:
	s_mov_b32 s20, -1
                                        ; implicit-def: $vgpr8_vgpr9
	s_branch .LBB42_2185
.LBB42_2164:
	s_mov_b32 s20, -1
                                        ; implicit-def: $vgpr8_vgpr9
	s_branch .LBB42_2173
.LBB42_2165:
	s_mov_b32 s20, -1
                                        ; implicit-def: $vgpr8_vgpr9
	s_branch .LBB42_2170
.LBB42_2166:
	s_mov_b32 s20, -1
                                        ; implicit-def: $vgpr8_vgpr9
.LBB42_2167:
	s_delay_alu instid0(SALU_CYCLE_1)
	s_and_not1_b32 vcc_lo, exec_lo, s20
	s_cbranch_vccnz .LBB42_2169
; %bb.2168:
	global_load_b32 v3, v[10:11], off
	s_wait_loadcnt 0x0
	v_cvt_f64_f32_e32 v[8:9], v3
.LBB42_2169:
	s_mov_b32 s20, 0
.LBB42_2170:
	s_delay_alu instid0(SALU_CYCLE_1)
	s_and_not1_b32 vcc_lo, exec_lo, s20
	s_cbranch_vccnz .LBB42_2172
; %bb.2171:
	global_load_b32 v3, v[10:11], off
	s_wait_loadcnt 0x0
	v_cvt_f32_f16_e32 v3, v3
	s_delay_alu instid0(VALU_DEP_1)
	v_cvt_f64_f32_e32 v[8:9], v3
.LBB42_2172:
	s_mov_b32 s20, 0
.LBB42_2173:
	s_delay_alu instid0(SALU_CYCLE_1)
	s_and_not1_b32 vcc_lo, exec_lo, s20
	s_cbranch_vccnz .LBB42_2184
; %bb.2174:
	s_cmp_lt_i32 s0, 6
	s_cbranch_scc1 .LBB42_2177
; %bb.2175:
	s_cmp_gt_i32 s0, 6
	s_cbranch_scc0 .LBB42_2178
; %bb.2176:
	s_wait_loadcnt 0x0
	global_load_b64 v[8:9], v[10:11], off
	s_mov_b32 s20, 0
	s_branch .LBB42_2179
.LBB42_2177:
	s_mov_b32 s20, -1
                                        ; implicit-def: $vgpr8_vgpr9
	s_branch .LBB42_2182
.LBB42_2178:
	s_mov_b32 s20, -1
                                        ; implicit-def: $vgpr8_vgpr9
.LBB42_2179:
	s_delay_alu instid0(SALU_CYCLE_1)
	s_and_not1_b32 vcc_lo, exec_lo, s20
	s_cbranch_vccnz .LBB42_2181
; %bb.2180:
	global_load_b32 v3, v[10:11], off
	s_wait_loadcnt 0x0
	v_cvt_f64_f32_e32 v[8:9], v3
.LBB42_2181:
	s_mov_b32 s20, 0
.LBB42_2182:
	s_delay_alu instid0(SALU_CYCLE_1)
	s_and_not1_b32 vcc_lo, exec_lo, s20
	s_cbranch_vccnz .LBB42_2184
; %bb.2183:
	global_load_u16 v3, v[10:11], off
	s_wait_loadcnt 0x0
	v_cvt_f32_f16_e32 v3, v3
	s_delay_alu instid0(VALU_DEP_1)
	v_cvt_f64_f32_e32 v[8:9], v3
.LBB42_2184:
	s_mov_b32 s20, 0
.LBB42_2185:
	s_delay_alu instid0(SALU_CYCLE_1)
	s_and_not1_b32 vcc_lo, exec_lo, s20
	s_cbranch_vccnz .LBB42_2205
; %bb.2186:
	s_cmp_lt_i32 s0, 2
	s_cbranch_scc1 .LBB42_2190
; %bb.2187:
	s_cmp_lt_i32 s0, 3
	s_cbranch_scc1 .LBB42_2191
; %bb.2188:
	s_cmp_gt_i32 s0, 3
	s_cbranch_scc0 .LBB42_2192
; %bb.2189:
	s_wait_loadcnt 0x0
	global_load_b64 v[8:9], v[10:11], off
	s_mov_b32 s20, 0
	s_wait_loadcnt 0x0
	v_cvt_f64_i32_e32 v[12:13], v9
	v_cvt_f64_u32_e32 v[8:9], v8
	s_delay_alu instid0(VALU_DEP_2) | instskip(NEXT) | instid1(VALU_DEP_1)
	v_ldexp_f64 v[12:13], v[12:13], 32
	v_add_f64_e32 v[8:9], v[12:13], v[8:9]
	s_branch .LBB42_2193
.LBB42_2190:
	s_mov_b32 s20, -1
                                        ; implicit-def: $vgpr8_vgpr9
	s_branch .LBB42_2199
.LBB42_2191:
	s_mov_b32 s20, -1
                                        ; implicit-def: $vgpr8_vgpr9
	s_branch .LBB42_2196
.LBB42_2192:
	s_mov_b32 s20, -1
                                        ; implicit-def: $vgpr8_vgpr9
.LBB42_2193:
	s_delay_alu instid0(SALU_CYCLE_1)
	s_and_not1_b32 vcc_lo, exec_lo, s20
	s_cbranch_vccnz .LBB42_2195
; %bb.2194:
	global_load_b32 v3, v[10:11], off
	s_wait_loadcnt 0x0
	v_cvt_f64_i32_e32 v[8:9], v3
.LBB42_2195:
	s_mov_b32 s20, 0
.LBB42_2196:
	s_delay_alu instid0(SALU_CYCLE_1)
	s_and_not1_b32 vcc_lo, exec_lo, s20
	s_cbranch_vccnz .LBB42_2198
; %bb.2197:
	global_load_i16 v3, v[10:11], off
	s_wait_loadcnt 0x0
	v_cvt_f64_i32_e32 v[8:9], v3
.LBB42_2198:
	s_mov_b32 s20, 0
.LBB42_2199:
	s_delay_alu instid0(SALU_CYCLE_1)
	s_and_not1_b32 vcc_lo, exec_lo, s20
	s_cbranch_vccnz .LBB42_2205
; %bb.2200:
	s_cmp_gt_i32 s0, 0
	s_mov_b32 s0, 0
	s_cbranch_scc0 .LBB42_2202
; %bb.2201:
	global_load_i8 v3, v[10:11], off
	s_wait_loadcnt 0x0
	v_cvt_f64_i32_e32 v[8:9], v3
	s_branch .LBB42_2203
.LBB42_2202:
	s_mov_b32 s0, -1
                                        ; implicit-def: $vgpr8_vgpr9
.LBB42_2203:
	s_delay_alu instid0(SALU_CYCLE_1)
	s_and_not1_b32 vcc_lo, exec_lo, s0
	s_cbranch_vccnz .LBB42_2205
; %bb.2204:
	global_load_u8 v3, v[10:11], off
	s_wait_loadcnt 0x0
	v_cvt_f64_u32_e32 v[8:9], v3
.LBB42_2205:
	s_mov_b32 s22, -1
.LBB42_2206:
	s_delay_alu instid0(SALU_CYCLE_1)
	s_and_not1_b32 vcc_lo, exec_lo, s22
	s_cbranch_vccnz .LBB42_2684
; %bb.2207:
	v_add_nc_u32_e32 v6, s14, v6
	s_cmp_lt_i32 s1, 11
	s_delay_alu instid0(VALU_DEP_1) | instskip(SKIP_1) | instid1(VALU_DEP_1)
	v_ashrrev_i32_e32 v7, 31, v6
	s_wait_xcnt 0x0
	v_add_nc_u64_e32 v[10:11], s[2:3], v[6:7]
	s_cbranch_scc1 .LBB42_2214
; %bb.2208:
	s_and_b32 s0, 0xffff, s1
	s_mov_b32 s21, 0
	s_cmp_gt_i32 s0, 25
	s_cbranch_scc0 .LBB42_2215
; %bb.2209:
	s_cmp_gt_i32 s0, 28
	s_cbranch_scc0 .LBB42_2216
; %bb.2210:
	;; [unrolled: 3-line block ×4, first 2 shown]
	s_cmp_eq_u32 s0, 46
	s_mov_b32 s23, 0
	s_cbranch_scc0 .LBB42_2222
; %bb.2213:
	global_load_b32 v3, v[10:11], off
	s_mov_b32 s20, 0
	s_mov_b32 s22, -1
	s_wait_loadcnt 0x0
	v_lshlrev_b32_e32 v3, 16, v3
	s_delay_alu instid0(VALU_DEP_1)
	v_cvt_f64_f32_e32 v[12:13], v3
	s_branch .LBB42_2224
.LBB42_2214:
	s_mov_b32 s0, -1
	s_mov_b32 s22, 0
                                        ; implicit-def: $vgpr12_vgpr13
	s_branch .LBB42_2290
.LBB42_2215:
	s_mov_b32 s23, -1
	s_mov_b32 s22, 0
	s_mov_b32 s20, 0
                                        ; implicit-def: $vgpr12_vgpr13
	s_branch .LBB42_2253
.LBB42_2216:
	s_mov_b32 s23, -1
	s_mov_b32 s22, 0
	s_mov_b32 s20, 0
                                        ; implicit-def: $vgpr12_vgpr13
	s_branch .LBB42_2234
.LBB42_2217:
	s_mov_b32 s23, -1
	s_mov_b32 s22, 0
	s_mov_b32 s20, 0
                                        ; implicit-def: $vgpr12_vgpr13
	s_branch .LBB42_2229
.LBB42_2218:
	s_or_b32 s16, s16, exec_lo
	s_trap 2
	s_cbranch_execz .LBB42_2155
	s_branch .LBB42_2156
.LBB42_2219:
	s_mov_b32 s23, -1
	s_mov_b32 s22, 0
	s_mov_b32 s20, 0
	s_branch .LBB42_2223
.LBB42_2220:
	s_and_not1_saveexec_b32 s36, s36
	s_cbranch_execz .LBB42_1093
.LBB42_2221:
	v_add_f32_e64 v3, 0x42800000, |v2|
	s_and_not1_b32 s35, s35, exec_lo
	s_delay_alu instid0(VALU_DEP_1) | instskip(NEXT) | instid1(VALU_DEP_1)
	v_and_b32_e32 v3, 0xff, v3
	v_cmp_ne_u32_e32 vcc_lo, 0, v3
	s_and_b32 s37, vcc_lo, exec_lo
	s_delay_alu instid0(SALU_CYCLE_1)
	s_or_b32 s35, s35, s37
	s_or_b32 exec_lo, exec_lo, s36
	v_mov_b32_e32 v6, 0
	s_and_saveexec_b32 s36, s35
	s_cbranch_execnz .LBB42_1094
	s_branch .LBB42_1095
.LBB42_2222:
	s_mov_b32 s20, -1
	s_mov_b32 s22, 0
.LBB42_2223:
                                        ; implicit-def: $vgpr12_vgpr13
.LBB42_2224:
	s_and_b32 vcc_lo, exec_lo, s23
	s_cbranch_vccz .LBB42_2228
; %bb.2225:
	s_cmp_eq_u32 s0, 44
	s_cbranch_scc0 .LBB42_2227
; %bb.2226:
	global_load_u8 v3, v[10:11], off
	s_mov_b32 s20, 0
	s_mov_b32 s22, -1
	s_wait_loadcnt 0x0
	v_cmp_ne_u32_e32 vcc_lo, 0xff, v3
	v_lshlrev_b32_e32 v7, 23, v3
	s_delay_alu instid0(VALU_DEP_1) | instskip(NEXT) | instid1(VALU_DEP_1)
	v_cvt_f64_f32_e32 v[12:13], v7
	v_cndmask_b32_e32 v7, 0x20000000, v12, vcc_lo
	s_delay_alu instid0(VALU_DEP_2) | instskip(SKIP_1) | instid1(VALU_DEP_2)
	v_cndmask_b32_e32 v12, 0x7ff80000, v13, vcc_lo
	v_cmp_ne_u32_e32 vcc_lo, 0, v3
	v_cndmask_b32_e32 v13, 0x38000000, v12, vcc_lo
	s_delay_alu instid0(VALU_DEP_4)
	v_cndmask_b32_e32 v12, 0, v7, vcc_lo
	s_branch .LBB42_2228
.LBB42_2227:
	s_mov_b32 s20, -1
                                        ; implicit-def: $vgpr12_vgpr13
.LBB42_2228:
	s_mov_b32 s23, 0
.LBB42_2229:
	s_delay_alu instid0(SALU_CYCLE_1)
	s_and_b32 vcc_lo, exec_lo, s23
	s_cbranch_vccz .LBB42_2233
; %bb.2230:
	s_cmp_eq_u32 s0, 29
	s_cbranch_scc0 .LBB42_2232
; %bb.2231:
	global_load_b64 v[12:13], v[10:11], off
	s_mov_b32 s20, 0
	s_mov_b32 s22, -1
	s_mov_b32 s23, 0
	s_wait_loadcnt 0x0
	v_cvt_f64_u32_e32 v[16:17], v13
	v_cvt_f64_u32_e32 v[12:13], v12
	s_delay_alu instid0(VALU_DEP_2) | instskip(NEXT) | instid1(VALU_DEP_1)
	v_ldexp_f64 v[16:17], v[16:17], 32
	v_add_f64_e32 v[12:13], v[16:17], v[12:13]
	s_branch .LBB42_2234
.LBB42_2232:
	s_mov_b32 s20, -1
                                        ; implicit-def: $vgpr12_vgpr13
.LBB42_2233:
	s_mov_b32 s23, 0
.LBB42_2234:
	s_delay_alu instid0(SALU_CYCLE_1)
	s_and_b32 vcc_lo, exec_lo, s23
	s_cbranch_vccz .LBB42_2252
; %bb.2235:
	s_cmp_lt_i32 s0, 27
	s_cbranch_scc1 .LBB42_2238
; %bb.2236:
	s_cmp_gt_i32 s0, 27
	s_cbranch_scc0 .LBB42_2239
; %bb.2237:
	global_load_b32 v3, v[10:11], off
	s_mov_b32 s22, 0
	s_wait_loadcnt 0x0
	v_cvt_f64_u32_e32 v[12:13], v3
	s_branch .LBB42_2240
.LBB42_2238:
	s_mov_b32 s22, -1
                                        ; implicit-def: $vgpr12_vgpr13
	s_branch .LBB42_2243
.LBB42_2239:
	s_mov_b32 s22, -1
                                        ; implicit-def: $vgpr12_vgpr13
.LBB42_2240:
	s_delay_alu instid0(SALU_CYCLE_1)
	s_and_not1_b32 vcc_lo, exec_lo, s22
	s_cbranch_vccnz .LBB42_2242
; %bb.2241:
	global_load_u16 v3, v[10:11], off
	s_wait_loadcnt 0x0
	v_cvt_f64_u32_e32 v[12:13], v3
.LBB42_2242:
	s_mov_b32 s22, 0
.LBB42_2243:
	s_delay_alu instid0(SALU_CYCLE_1)
	s_and_not1_b32 vcc_lo, exec_lo, s22
	s_cbranch_vccnz .LBB42_2251
; %bb.2244:
	global_load_u8 v3, v[10:11], off
	s_mov_b32 s22, 0
	s_mov_b32 s23, exec_lo
	s_wait_loadcnt 0x0
	v_cmpx_lt_i16_e32 0x7f, v3
	s_xor_b32 s23, exec_lo, s23
	s_cbranch_execz .LBB42_2265
; %bb.2245:
	s_mov_b32 s22, -1
	s_mov_b32 s24, exec_lo
	v_cmpx_eq_u16_e32 0x80, v3
; %bb.2246:
	s_xor_b32 s22, exec_lo, -1
; %bb.2247:
	s_or_b32 exec_lo, exec_lo, s24
	s_delay_alu instid0(SALU_CYCLE_1)
	s_and_b32 s22, s22, exec_lo
	s_or_saveexec_b32 s23, s23
	v_mov_b64_e32 v[12:13], 0x7ff8000020000000
	s_xor_b32 exec_lo, exec_lo, s23
	s_cbranch_execnz .LBB42_2266
.LBB42_2248:
	s_or_b32 exec_lo, exec_lo, s23
	s_and_saveexec_b32 s23, s22
	s_cbranch_execz .LBB42_2250
.LBB42_2249:
	v_and_b32_e32 v7, 0xffff, v3
	s_delay_alu instid0(VALU_DEP_1) | instskip(SKIP_1) | instid1(VALU_DEP_2)
	v_and_b32_e32 v12, 7, v7
	v_bfe_u32 v16, v7, 3, 4
	v_clz_i32_u32_e32 v13, v12
	s_delay_alu instid0(VALU_DEP_2) | instskip(NEXT) | instid1(VALU_DEP_2)
	v_cmp_eq_u32_e32 vcc_lo, 0, v16
	v_min_u32_e32 v13, 32, v13
	s_delay_alu instid0(VALU_DEP_1) | instskip(NEXT) | instid1(VALU_DEP_1)
	v_subrev_nc_u32_e32 v15, 28, v13
	v_dual_lshlrev_b32 v7, v15, v7 :: v_dual_sub_nc_u32 v13, 29, v13
	s_delay_alu instid0(VALU_DEP_1) | instskip(NEXT) | instid1(VALU_DEP_2)
	v_and_b32_e32 v7, 7, v7
	v_dual_lshlrev_b32 v3, 24, v3 :: v_dual_cndmask_b32 v13, v16, v13, vcc_lo
	s_delay_alu instid0(VALU_DEP_2) | instskip(NEXT) | instid1(VALU_DEP_2)
	v_cndmask_b32_e32 v7, v12, v7, vcc_lo
	v_and_b32_e32 v3, 0x80000000, v3
	s_delay_alu instid0(VALU_DEP_3) | instskip(NEXT) | instid1(VALU_DEP_3)
	v_lshl_add_u32 v12, v13, 23, 0x3b800000
	v_lshlrev_b32_e32 v7, 20, v7
	s_delay_alu instid0(VALU_DEP_1) | instskip(NEXT) | instid1(VALU_DEP_1)
	v_or3_b32 v3, v3, v12, v7
	v_cvt_f64_f32_e32 v[12:13], v3
.LBB42_2250:
	s_or_b32 exec_lo, exec_lo, s23
.LBB42_2251:
	s_mov_b32 s22, -1
.LBB42_2252:
	s_mov_b32 s23, 0
.LBB42_2253:
	s_delay_alu instid0(SALU_CYCLE_1)
	s_and_b32 vcc_lo, exec_lo, s23
	s_cbranch_vccz .LBB42_2286
; %bb.2254:
	s_cmp_gt_i32 s0, 22
	s_cbranch_scc0 .LBB42_2264
; %bb.2255:
	s_cmp_lt_i32 s0, 24
	s_cbranch_scc1 .LBB42_2267
; %bb.2256:
	s_cmp_gt_i32 s0, 24
	s_cbranch_scc0 .LBB42_2268
; %bb.2257:
	global_load_u8 v3, v[10:11], off
	s_mov_b32 s22, exec_lo
	s_wait_loadcnt 0x0
	v_cmpx_lt_i16_e32 0x7f, v3
	s_xor_b32 s22, exec_lo, s22
	s_cbranch_execz .LBB42_2280
; %bb.2258:
	s_mov_b32 s21, -1
	s_mov_b32 s23, exec_lo
	v_cmpx_eq_u16_e32 0x80, v3
; %bb.2259:
	s_xor_b32 s21, exec_lo, -1
; %bb.2260:
	s_or_b32 exec_lo, exec_lo, s23
	s_delay_alu instid0(SALU_CYCLE_1)
	s_and_b32 s21, s21, exec_lo
	s_or_saveexec_b32 s22, s22
	v_mov_b64_e32 v[12:13], 0x7ff8000020000000
	s_xor_b32 exec_lo, exec_lo, s22
	s_cbranch_execnz .LBB42_2281
.LBB42_2261:
	s_or_b32 exec_lo, exec_lo, s22
	s_and_saveexec_b32 s22, s21
	s_cbranch_execz .LBB42_2263
.LBB42_2262:
	v_and_b32_e32 v7, 0xffff, v3
	s_delay_alu instid0(VALU_DEP_1) | instskip(SKIP_1) | instid1(VALU_DEP_2)
	v_and_b32_e32 v12, 3, v7
	v_bfe_u32 v16, v7, 2, 5
	v_clz_i32_u32_e32 v13, v12
	s_delay_alu instid0(VALU_DEP_2) | instskip(NEXT) | instid1(VALU_DEP_2)
	v_cmp_eq_u32_e32 vcc_lo, 0, v16
	v_min_u32_e32 v13, 32, v13
	s_delay_alu instid0(VALU_DEP_1) | instskip(NEXT) | instid1(VALU_DEP_1)
	v_subrev_nc_u32_e32 v15, 29, v13
	v_dual_lshlrev_b32 v7, v15, v7 :: v_dual_sub_nc_u32 v13, 30, v13
	s_delay_alu instid0(VALU_DEP_1) | instskip(NEXT) | instid1(VALU_DEP_2)
	v_and_b32_e32 v7, 3, v7
	v_dual_lshlrev_b32 v3, 24, v3 :: v_dual_cndmask_b32 v13, v16, v13, vcc_lo
	s_delay_alu instid0(VALU_DEP_2) | instskip(NEXT) | instid1(VALU_DEP_2)
	v_cndmask_b32_e32 v7, v12, v7, vcc_lo
	v_and_b32_e32 v3, 0x80000000, v3
	s_delay_alu instid0(VALU_DEP_3) | instskip(NEXT) | instid1(VALU_DEP_3)
	v_lshl_add_u32 v12, v13, 23, 0x37800000
	v_lshlrev_b32_e32 v7, 21, v7
	s_delay_alu instid0(VALU_DEP_1) | instskip(NEXT) | instid1(VALU_DEP_1)
	v_or3_b32 v3, v3, v12, v7
	v_cvt_f64_f32_e32 v[12:13], v3
.LBB42_2263:
	s_or_b32 exec_lo, exec_lo, s22
	s_mov_b32 s21, 0
	s_branch .LBB42_2269
.LBB42_2264:
	s_mov_b32 s21, -1
                                        ; implicit-def: $vgpr12_vgpr13
	s_branch .LBB42_2275
.LBB42_2265:
	s_or_saveexec_b32 s23, s23
	v_mov_b64_e32 v[12:13], 0x7ff8000020000000
	s_xor_b32 exec_lo, exec_lo, s23
	s_cbranch_execz .LBB42_2248
.LBB42_2266:
	v_cmp_ne_u16_e32 vcc_lo, 0, v3
	v_mov_b64_e32 v[12:13], 0
	s_and_not1_b32 s22, s22, exec_lo
	s_and_b32 s24, vcc_lo, exec_lo
	s_delay_alu instid0(SALU_CYCLE_1)
	s_or_b32 s22, s22, s24
	s_or_b32 exec_lo, exec_lo, s23
	s_and_saveexec_b32 s23, s22
	s_cbranch_execnz .LBB42_2249
	s_branch .LBB42_2250
.LBB42_2267:
	s_mov_b32 s21, -1
                                        ; implicit-def: $vgpr12_vgpr13
	s_branch .LBB42_2272
.LBB42_2268:
	s_mov_b32 s21, -1
                                        ; implicit-def: $vgpr12_vgpr13
.LBB42_2269:
	s_delay_alu instid0(SALU_CYCLE_1)
	s_and_b32 vcc_lo, exec_lo, s21
	s_cbranch_vccz .LBB42_2271
; %bb.2270:
	global_load_u8 v3, v[10:11], off
	s_wait_loadcnt 0x0
	v_lshlrev_b32_e32 v3, 24, v3
	s_delay_alu instid0(VALU_DEP_1) | instskip(NEXT) | instid1(VALU_DEP_1)
	v_and_b32_e32 v7, 0x7f000000, v3
	v_clz_i32_u32_e32 v12, v7
	v_add_nc_u32_e32 v15, 0x1000000, v7
	v_cmp_ne_u32_e32 vcc_lo, 0, v7
	s_delay_alu instid0(VALU_DEP_3) | instskip(NEXT) | instid1(VALU_DEP_1)
	v_min_u32_e32 v12, 32, v12
	v_sub_nc_u32_e64 v12, v12, 4 clamp
	s_delay_alu instid0(VALU_DEP_1) | instskip(NEXT) | instid1(VALU_DEP_1)
	v_dual_lshlrev_b32 v13, v12, v7 :: v_dual_lshlrev_b32 v12, 23, v12
	v_lshrrev_b32_e32 v13, 4, v13
	s_delay_alu instid0(VALU_DEP_1) | instskip(NEXT) | instid1(VALU_DEP_1)
	v_dual_sub_nc_u32 v12, v13, v12 :: v_dual_ashrrev_i32 v13, 8, v15
	v_add_nc_u32_e32 v12, 0x3c000000, v12
	s_delay_alu instid0(VALU_DEP_1) | instskip(NEXT) | instid1(VALU_DEP_1)
	v_and_or_b32 v12, 0x7f800000, v13, v12
	v_cndmask_b32_e32 v7, 0, v12, vcc_lo
	s_delay_alu instid0(VALU_DEP_1) | instskip(NEXT) | instid1(VALU_DEP_1)
	v_and_or_b32 v3, 0x80000000, v3, v7
	v_cvt_f64_f32_e32 v[12:13], v3
.LBB42_2271:
	s_mov_b32 s21, 0
.LBB42_2272:
	s_delay_alu instid0(SALU_CYCLE_1)
	s_and_not1_b32 vcc_lo, exec_lo, s21
	s_cbranch_vccnz .LBB42_2274
; %bb.2273:
	global_load_u8 v3, v[10:11], off
	s_wait_loadcnt 0x0
	v_lshlrev_b32_e32 v7, 25, v3
	v_lshlrev_b16 v3, 8, v3
	s_delay_alu instid0(VALU_DEP_1) | instskip(SKIP_1) | instid1(VALU_DEP_2)
	v_and_or_b32 v13, 0x7f00, v3, 0.5
	v_bfe_i32 v3, v3, 0, 16
	v_dual_add_f32 v13, -0.5, v13 :: v_dual_lshrrev_b32 v12, 4, v7
	v_cmp_gt_u32_e32 vcc_lo, 0x8000000, v7
	s_delay_alu instid0(VALU_DEP_2) | instskip(NEXT) | instid1(VALU_DEP_1)
	v_or_b32_e32 v12, 0x70000000, v12
	v_mul_f32_e32 v12, 0x7800000, v12
	s_delay_alu instid0(VALU_DEP_1) | instskip(NEXT) | instid1(VALU_DEP_1)
	v_cndmask_b32_e32 v7, v12, v13, vcc_lo
	v_and_or_b32 v3, 0x80000000, v3, v7
	s_delay_alu instid0(VALU_DEP_1)
	v_cvt_f64_f32_e32 v[12:13], v3
.LBB42_2274:
	s_mov_b32 s21, 0
	s_mov_b32 s22, -1
.LBB42_2275:
	s_and_not1_b32 vcc_lo, exec_lo, s21
	s_mov_b32 s21, 0
	s_cbranch_vccnz .LBB42_2286
; %bb.2276:
	s_cmp_gt_i32 s0, 14
	s_cbranch_scc0 .LBB42_2279
; %bb.2277:
	s_cmp_eq_u32 s0, 15
	s_cbranch_scc0 .LBB42_2282
; %bb.2278:
	global_load_u16 v3, v[10:11], off
	s_mov_b32 s20, 0
	s_mov_b32 s22, -1
	s_wait_loadcnt 0x0
	v_lshlrev_b32_e32 v3, 16, v3
	s_delay_alu instid0(VALU_DEP_1)
	v_cvt_f64_f32_e32 v[12:13], v3
	s_branch .LBB42_2284
.LBB42_2279:
	s_mov_b32 s21, -1
	s_branch .LBB42_2283
.LBB42_2280:
	s_or_saveexec_b32 s22, s22
	v_mov_b64_e32 v[12:13], 0x7ff8000020000000
	s_xor_b32 exec_lo, exec_lo, s22
	s_cbranch_execz .LBB42_2261
.LBB42_2281:
	v_cmp_ne_u16_e32 vcc_lo, 0, v3
	v_mov_b64_e32 v[12:13], 0
	s_and_not1_b32 s21, s21, exec_lo
	s_and_b32 s23, vcc_lo, exec_lo
	s_delay_alu instid0(SALU_CYCLE_1)
	s_or_b32 s21, s21, s23
	s_or_b32 exec_lo, exec_lo, s22
	s_and_saveexec_b32 s22, s21
	s_cbranch_execnz .LBB42_2262
	s_branch .LBB42_2263
.LBB42_2282:
	s_mov_b32 s20, -1
.LBB42_2283:
                                        ; implicit-def: $vgpr12_vgpr13
.LBB42_2284:
	s_and_b32 vcc_lo, exec_lo, s21
	s_mov_b32 s21, 0
	s_cbranch_vccz .LBB42_2286
; %bb.2285:
	s_cmp_lg_u32 s0, 11
	s_mov_b32 s21, -1
	s_cselect_b32 s20, -1, 0
.LBB42_2286:
	s_delay_alu instid0(SALU_CYCLE_1)
	s_and_b32 vcc_lo, exec_lo, s20
	s_cbranch_vccnz .LBB42_2353
; %bb.2287:
	s_and_not1_b32 vcc_lo, exec_lo, s21
	s_cbranch_vccnz .LBB42_2289
.LBB42_2288:
	global_load_u8 v3, v[10:11], off
	v_mov_b32_e32 v12, 0
	s_mov_b32 s22, -1
	s_wait_loadcnt 0x0
	v_cmp_ne_u16_e32 vcc_lo, 0, v3
	v_cndmask_b32_e64 v13, 0, 0x3ff00000, vcc_lo
.LBB42_2289:
	s_mov_b32 s0, 0
.LBB42_2290:
	s_delay_alu instid0(SALU_CYCLE_1)
	s_and_b32 vcc_lo, exec_lo, s0
	s_cbranch_vccz .LBB42_2339
; %bb.2291:
	s_and_b32 s0, 0xffff, s1
	s_delay_alu instid0(SALU_CYCLE_1)
	s_cmp_lt_i32 s0, 5
	s_cbranch_scc1 .LBB42_2296
; %bb.2292:
	s_cmp_lt_i32 s0, 8
	s_cbranch_scc1 .LBB42_2297
; %bb.2293:
	;; [unrolled: 3-line block ×3, first 2 shown]
	s_cmp_gt_i32 s0, 9
	s_cbranch_scc0 .LBB42_2299
; %bb.2295:
	global_load_b64 v[12:13], v[10:11], off
	s_mov_b32 s20, 0
	s_branch .LBB42_2300
.LBB42_2296:
	s_mov_b32 s20, -1
                                        ; implicit-def: $vgpr12_vgpr13
	s_branch .LBB42_2318
.LBB42_2297:
	s_mov_b32 s20, -1
                                        ; implicit-def: $vgpr12_vgpr13
	s_branch .LBB42_2306
.LBB42_2298:
	s_mov_b32 s20, -1
                                        ; implicit-def: $vgpr12_vgpr13
	s_branch .LBB42_2303
.LBB42_2299:
	s_mov_b32 s20, -1
                                        ; implicit-def: $vgpr12_vgpr13
.LBB42_2300:
	s_delay_alu instid0(SALU_CYCLE_1)
	s_and_not1_b32 vcc_lo, exec_lo, s20
	s_cbranch_vccnz .LBB42_2302
; %bb.2301:
	global_load_b32 v3, v[10:11], off
	s_wait_loadcnt 0x0
	v_cvt_f64_f32_e32 v[12:13], v3
.LBB42_2302:
	s_mov_b32 s20, 0
.LBB42_2303:
	s_delay_alu instid0(SALU_CYCLE_1)
	s_and_not1_b32 vcc_lo, exec_lo, s20
	s_cbranch_vccnz .LBB42_2305
; %bb.2304:
	global_load_b32 v3, v[10:11], off
	s_wait_loadcnt 0x0
	v_cvt_f32_f16_e32 v3, v3
	s_delay_alu instid0(VALU_DEP_1)
	v_cvt_f64_f32_e32 v[12:13], v3
.LBB42_2305:
	s_mov_b32 s20, 0
.LBB42_2306:
	s_delay_alu instid0(SALU_CYCLE_1)
	s_and_not1_b32 vcc_lo, exec_lo, s20
	s_cbranch_vccnz .LBB42_2317
; %bb.2307:
	s_cmp_lt_i32 s0, 6
	s_cbranch_scc1 .LBB42_2310
; %bb.2308:
	s_cmp_gt_i32 s0, 6
	s_cbranch_scc0 .LBB42_2311
; %bb.2309:
	s_wait_loadcnt 0x0
	global_load_b64 v[12:13], v[10:11], off
	s_mov_b32 s20, 0
	s_branch .LBB42_2312
.LBB42_2310:
	s_mov_b32 s20, -1
                                        ; implicit-def: $vgpr12_vgpr13
	s_branch .LBB42_2315
.LBB42_2311:
	s_mov_b32 s20, -1
                                        ; implicit-def: $vgpr12_vgpr13
.LBB42_2312:
	s_delay_alu instid0(SALU_CYCLE_1)
	s_and_not1_b32 vcc_lo, exec_lo, s20
	s_cbranch_vccnz .LBB42_2314
; %bb.2313:
	global_load_b32 v3, v[10:11], off
	s_wait_loadcnt 0x0
	v_cvt_f64_f32_e32 v[12:13], v3
.LBB42_2314:
	s_mov_b32 s20, 0
.LBB42_2315:
	s_delay_alu instid0(SALU_CYCLE_1)
	s_and_not1_b32 vcc_lo, exec_lo, s20
	s_cbranch_vccnz .LBB42_2317
; %bb.2316:
	global_load_u16 v3, v[10:11], off
	s_wait_loadcnt 0x0
	v_cvt_f32_f16_e32 v3, v3
	s_delay_alu instid0(VALU_DEP_1)
	v_cvt_f64_f32_e32 v[12:13], v3
.LBB42_2317:
	s_mov_b32 s20, 0
.LBB42_2318:
	s_delay_alu instid0(SALU_CYCLE_1)
	s_and_not1_b32 vcc_lo, exec_lo, s20
	s_cbranch_vccnz .LBB42_2338
; %bb.2319:
	s_cmp_lt_i32 s0, 2
	s_cbranch_scc1 .LBB42_2323
; %bb.2320:
	s_cmp_lt_i32 s0, 3
	s_cbranch_scc1 .LBB42_2324
; %bb.2321:
	s_cmp_gt_i32 s0, 3
	s_cbranch_scc0 .LBB42_2325
; %bb.2322:
	s_wait_loadcnt 0x0
	global_load_b64 v[12:13], v[10:11], off
	s_mov_b32 s20, 0
	s_wait_loadcnt 0x0
	v_cvt_f64_i32_e32 v[16:17], v13
	v_cvt_f64_u32_e32 v[12:13], v12
	s_delay_alu instid0(VALU_DEP_2) | instskip(NEXT) | instid1(VALU_DEP_1)
	v_ldexp_f64 v[16:17], v[16:17], 32
	v_add_f64_e32 v[12:13], v[16:17], v[12:13]
	s_branch .LBB42_2326
.LBB42_2323:
	s_mov_b32 s20, -1
                                        ; implicit-def: $vgpr12_vgpr13
	s_branch .LBB42_2332
.LBB42_2324:
	s_mov_b32 s20, -1
                                        ; implicit-def: $vgpr12_vgpr13
	s_branch .LBB42_2329
.LBB42_2325:
	s_mov_b32 s20, -1
                                        ; implicit-def: $vgpr12_vgpr13
.LBB42_2326:
	s_delay_alu instid0(SALU_CYCLE_1)
	s_and_not1_b32 vcc_lo, exec_lo, s20
	s_cbranch_vccnz .LBB42_2328
; %bb.2327:
	global_load_b32 v3, v[10:11], off
	s_wait_loadcnt 0x0
	v_cvt_f64_i32_e32 v[12:13], v3
.LBB42_2328:
	s_mov_b32 s20, 0
.LBB42_2329:
	s_delay_alu instid0(SALU_CYCLE_1)
	s_and_not1_b32 vcc_lo, exec_lo, s20
	s_cbranch_vccnz .LBB42_2331
; %bb.2330:
	global_load_i16 v3, v[10:11], off
	s_wait_loadcnt 0x0
	v_cvt_f64_i32_e32 v[12:13], v3
.LBB42_2331:
	s_mov_b32 s20, 0
.LBB42_2332:
	s_delay_alu instid0(SALU_CYCLE_1)
	s_and_not1_b32 vcc_lo, exec_lo, s20
	s_cbranch_vccnz .LBB42_2338
; %bb.2333:
	s_cmp_gt_i32 s0, 0
	s_mov_b32 s0, 0
	s_cbranch_scc0 .LBB42_2335
; %bb.2334:
	global_load_i8 v3, v[10:11], off
	s_wait_loadcnt 0x0
	v_cvt_f64_i32_e32 v[12:13], v3
	s_branch .LBB42_2336
.LBB42_2335:
	s_mov_b32 s0, -1
                                        ; implicit-def: $vgpr12_vgpr13
.LBB42_2336:
	s_delay_alu instid0(SALU_CYCLE_1)
	s_and_not1_b32 vcc_lo, exec_lo, s0
	s_cbranch_vccnz .LBB42_2338
; %bb.2337:
	global_load_u8 v3, v[10:11], off
	s_wait_loadcnt 0x0
	v_cvt_f64_u32_e32 v[12:13], v3
.LBB42_2338:
	s_mov_b32 s22, -1
.LBB42_2339:
	s_delay_alu instid0(SALU_CYCLE_1)
	s_and_not1_b32 vcc_lo, exec_lo, s22
	s_cbranch_vccnz .LBB42_2684
; %bb.2340:
	s_wait_loadcnt 0x0
	s_delay_alu instid0(VALU_DEP_1) | instskip(SKIP_1) | instid1(VALU_DEP_1)
	v_mul_f64_e32 v[10:11], s[8:9], v[12:13]
	s_mov_b32 s20, exec_lo
	v_cmpx_nlt_f64_e32 s[10:11], v[10:11]
	s_cbranch_execz .LBB42_2342
; %bb.2341:
	v_mul_f64_e32 v[12:13], 0x3ff71547652b82fe, v[10:11]
	s_mov_b64 s[22:23], 0x3e5ade156a5dcb37
	v_cmp_nlt_f64_e32 vcc_lo, 0x40900000, v[10:11]
	v_cmp_ngt_f64_e64 s0, 0xc090cc00, v[10:11]
	s_delay_alu instid0(VALU_DEP_3) | instskip(NEXT) | instid1(VALU_DEP_1)
	v_rndne_f64_e32 v[12:13], v[12:13]
	v_fmamk_f64 v[16:17], v[12:13], 0xbfe62e42fefa39ef, v[10:11]
	v_cvt_i32_f64_e32 v3, v[12:13]
	s_delay_alu instid0(VALU_DEP_2) | instskip(NEXT) | instid1(VALU_DEP_1)
	v_fmamk_f64 v[16:17], v[12:13], 0xbc7abc9e3b39803f, v[16:17]
	v_fmaak_f64 v[18:19], s[22:23], v[16:17], 0x3e928af3fca7ab0c
	s_delay_alu instid0(VALU_DEP_1) | instskip(NEXT) | instid1(VALU_DEP_1)
	v_fmaak_f64 v[18:19], v[16:17], v[18:19], 0x3ec71dee623fde64
	v_fmaak_f64 v[18:19], v[16:17], v[18:19], 0x3efa01997c89e6b0
	s_delay_alu instid0(VALU_DEP_1) | instskip(NEXT) | instid1(VALU_DEP_1)
	v_fmaak_f64 v[18:19], v[16:17], v[18:19], 0x3f2a01a014761f6e
	;; [unrolled: 3-line block ×4, first 2 shown]
	v_fmaak_f64 v[18:19], v[16:17], v[18:19], 0x3fe000000000000b
	s_delay_alu instid0(VALU_DEP_1) | instskip(NEXT) | instid1(VALU_DEP_1)
	v_fma_f64 v[18:19], v[16:17], v[18:19], 1.0
	v_fma_f64 v[12:13], v[16:17], v[18:19], 1.0
	s_delay_alu instid0(VALU_DEP_1) | instskip(NEXT) | instid1(VALU_DEP_1)
	v_ldexp_f64 v[12:13], v[12:13], v3
	v_cndmask_b32_e32 v3, 0x7ff00000, v13, vcc_lo
	s_and_b32 vcc_lo, s0, vcc_lo
	s_delay_alu instid0(VALU_DEP_1) | instid1(SALU_CYCLE_1)
	v_dual_cndmask_b32 v10, 0, v12, vcc_lo :: v_dual_cndmask_b32 v11, 0, v3, s0
	s_delay_alu instid0(VALU_DEP_1) | instskip(SKIP_1) | instid1(VALU_DEP_1)
	v_mul_f64_e32 v[8:9], v[8:9], v[10:11]
	v_add_f64_e32 v[10:11], 1.0, v[10:11]
	v_div_scale_f64 v[12:13], null, v[10:11], v[10:11], v[8:9]
	s_delay_alu instid0(VALU_DEP_1) | instskip(SKIP_1) | instid1(TRANS32_DEP_1)
	v_rcp_f64_e32 v[16:17], v[12:13]
	v_nop
	v_fma_f64 v[18:19], -v[12:13], v[16:17], 1.0
	s_delay_alu instid0(VALU_DEP_1) | instskip(NEXT) | instid1(VALU_DEP_1)
	v_fmac_f64_e32 v[16:17], v[16:17], v[18:19]
	v_fma_f64 v[18:19], -v[12:13], v[16:17], 1.0
	s_delay_alu instid0(VALU_DEP_1) | instskip(SKIP_1) | instid1(VALU_DEP_1)
	v_fmac_f64_e32 v[16:17], v[16:17], v[18:19]
	v_div_scale_f64 v[18:19], vcc_lo, v[8:9], v[10:11], v[8:9]
	v_mul_f64_e32 v[20:21], v[18:19], v[16:17]
	s_delay_alu instid0(VALU_DEP_1) | instskip(NEXT) | instid1(VALU_DEP_1)
	v_fma_f64 v[12:13], -v[12:13], v[20:21], v[18:19]
	v_div_fmas_f64 v[12:13], v[12:13], v[16:17], v[20:21]
	s_delay_alu instid0(VALU_DEP_1)
	v_div_fixup_f64 v[8:9], v[12:13], v[10:11], v[8:9]
.LBB42_2342:
	s_or_b32 exec_lo, exec_lo, s20
	v_add_nc_u32_e32 v2, s13, v2
	s_cmp_lt_i32 s17, 11
	s_delay_alu instid0(VALU_DEP_1) | instskip(NEXT) | instid1(VALU_DEP_1)
	v_ashrrev_i32_e32 v3, 31, v2
	v_add_nc_u64_e32 v[2:3], s[6:7], v[2:3]
	s_cbranch_scc1 .LBB42_2349
; %bb.2343:
	s_and_b32 s0, 0xffff, s17
	s_mov_b32 s7, 0
	s_cmp_gt_i32 s0, 25
	s_cbranch_scc0 .LBB42_2350
; %bb.2344:
	s_cmp_gt_i32 s0, 28
	s_cbranch_scc0 .LBB42_2351
; %bb.2345:
	;; [unrolled: 3-line block ×4, first 2 shown]
	s_cmp_eq_u32 s0, 46
	s_mov_b32 s20, 0
	s_cbranch_scc0 .LBB42_2355
; %bb.2348:
	global_load_b32 v7, v[2:3], off
	s_mov_b32 s6, 0
	s_mov_b32 s13, -1
	s_wait_loadcnt 0x0
	v_lshlrev_b32_e32 v7, 16, v7
	s_delay_alu instid0(VALU_DEP_1)
	v_cvt_f64_f32_e32 v[12:13], v7
	s_branch .LBB42_2357
.LBB42_2349:
	s_mov_b32 s0, -1
	s_mov_b32 s13, 0
                                        ; implicit-def: $vgpr12_vgpr13
	s_branch .LBB42_2423
.LBB42_2350:
	s_mov_b32 s20, -1
	s_mov_b32 s13, 0
	s_mov_b32 s6, 0
                                        ; implicit-def: $vgpr12_vgpr13
	s_branch .LBB42_2386
.LBB42_2351:
	s_mov_b32 s20, -1
	s_mov_b32 s13, 0
	s_mov_b32 s6, 0
                                        ; implicit-def: $vgpr12_vgpr13
	s_branch .LBB42_2367
.LBB42_2352:
	s_mov_b32 s20, -1
	s_mov_b32 s13, 0
	s_mov_b32 s6, 0
                                        ; implicit-def: $vgpr12_vgpr13
	s_branch .LBB42_2362
.LBB42_2353:
	s_or_b32 s16, s16, exec_lo
	s_trap 2
	s_cbranch_execz .LBB42_2288
	s_branch .LBB42_2289
.LBB42_2354:
	s_mov_b32 s20, -1
	s_mov_b32 s13, 0
	s_mov_b32 s6, 0
	s_branch .LBB42_2356
.LBB42_2355:
	s_mov_b32 s6, -1
	s_mov_b32 s13, 0
.LBB42_2356:
                                        ; implicit-def: $vgpr12_vgpr13
.LBB42_2357:
	s_and_b32 vcc_lo, exec_lo, s20
	s_cbranch_vccz .LBB42_2361
; %bb.2358:
	s_cmp_eq_u32 s0, 44
	s_cbranch_scc0 .LBB42_2360
; %bb.2359:
	global_load_u8 v7, v[2:3], off
	s_mov_b32 s6, 0
	s_mov_b32 s13, -1
	s_wait_loadcnt 0x0
	v_lshlrev_b32_e32 v10, 23, v7
	v_cmp_ne_u32_e32 vcc_lo, 0xff, v7
	s_delay_alu instid0(VALU_DEP_2) | instskip(NEXT) | instid1(VALU_DEP_1)
	v_cvt_f64_f32_e32 v[10:11], v10
	v_cndmask_b32_e32 v10, 0x20000000, v10, vcc_lo
	s_delay_alu instid0(VALU_DEP_2) | instskip(SKIP_1) | instid1(VALU_DEP_2)
	v_cndmask_b32_e32 v11, 0x7ff80000, v11, vcc_lo
	v_cmp_ne_u32_e32 vcc_lo, 0, v7
	v_cndmask_b32_e32 v13, 0x38000000, v11, vcc_lo
	s_delay_alu instid0(VALU_DEP_4)
	v_cndmask_b32_e32 v12, 0, v10, vcc_lo
	s_branch .LBB42_2361
.LBB42_2360:
	s_mov_b32 s6, -1
                                        ; implicit-def: $vgpr12_vgpr13
.LBB42_2361:
	s_mov_b32 s20, 0
.LBB42_2362:
	s_delay_alu instid0(SALU_CYCLE_1)
	s_and_b32 vcc_lo, exec_lo, s20
	s_cbranch_vccz .LBB42_2366
; %bb.2363:
	s_cmp_eq_u32 s0, 29
	s_cbranch_scc0 .LBB42_2365
; %bb.2364:
	global_load_b64 v[10:11], v[2:3], off
	s_mov_b32 s6, 0
	s_mov_b32 s13, -1
	s_mov_b32 s20, 0
	s_wait_loadcnt 0x0
	v_cvt_f64_u32_e32 v[12:13], v11
	v_cvt_f64_u32_e32 v[10:11], v10
	s_delay_alu instid0(VALU_DEP_2) | instskip(NEXT) | instid1(VALU_DEP_1)
	v_ldexp_f64 v[12:13], v[12:13], 32
	v_add_f64_e32 v[12:13], v[12:13], v[10:11]
	s_branch .LBB42_2367
.LBB42_2365:
	s_mov_b32 s6, -1
                                        ; implicit-def: $vgpr12_vgpr13
.LBB42_2366:
	s_mov_b32 s20, 0
.LBB42_2367:
	s_delay_alu instid0(SALU_CYCLE_1)
	s_and_b32 vcc_lo, exec_lo, s20
	s_cbranch_vccz .LBB42_2385
; %bb.2368:
	s_cmp_lt_i32 s0, 27
	s_cbranch_scc1 .LBB42_2371
; %bb.2369:
	s_cmp_gt_i32 s0, 27
	s_cbranch_scc0 .LBB42_2372
; %bb.2370:
	global_load_b32 v7, v[2:3], off
	s_mov_b32 s13, 0
	s_wait_loadcnt 0x0
	v_cvt_f64_u32_e32 v[12:13], v7
	s_branch .LBB42_2373
.LBB42_2371:
	s_mov_b32 s13, -1
                                        ; implicit-def: $vgpr12_vgpr13
	s_branch .LBB42_2376
.LBB42_2372:
	s_mov_b32 s13, -1
                                        ; implicit-def: $vgpr12_vgpr13
.LBB42_2373:
	s_delay_alu instid0(SALU_CYCLE_1)
	s_and_not1_b32 vcc_lo, exec_lo, s13
	s_cbranch_vccnz .LBB42_2375
; %bb.2374:
	global_load_u16 v7, v[2:3], off
	s_wait_loadcnt 0x0
	v_cvt_f64_u32_e32 v[12:13], v7
.LBB42_2375:
	s_mov_b32 s13, 0
.LBB42_2376:
	s_delay_alu instid0(SALU_CYCLE_1)
	s_and_not1_b32 vcc_lo, exec_lo, s13
	s_cbranch_vccnz .LBB42_2384
; %bb.2377:
	global_load_u8 v7, v[2:3], off
	s_mov_b32 s13, 0
	s_mov_b32 s20, exec_lo
	s_wait_loadcnt 0x0
	v_cmpx_lt_i16_e32 0x7f, v7
	s_xor_b32 s20, exec_lo, s20
	s_cbranch_execz .LBB42_2398
; %bb.2378:
	s_mov_b32 s13, -1
	s_mov_b32 s21, exec_lo
	v_cmpx_eq_u16_e32 0x80, v7
; %bb.2379:
	s_xor_b32 s13, exec_lo, -1
; %bb.2380:
	s_or_b32 exec_lo, exec_lo, s21
	s_delay_alu instid0(SALU_CYCLE_1)
	s_and_b32 s13, s13, exec_lo
	s_or_saveexec_b32 s20, s20
	v_mov_b64_e32 v[12:13], 0x7ff8000020000000
	s_xor_b32 exec_lo, exec_lo, s20
	s_cbranch_execnz .LBB42_2399
.LBB42_2381:
	s_or_b32 exec_lo, exec_lo, s20
	s_and_saveexec_b32 s20, s13
	s_cbranch_execz .LBB42_2383
.LBB42_2382:
	v_and_b32_e32 v10, 0xffff, v7
	s_delay_alu instid0(VALU_DEP_1) | instskip(SKIP_1) | instid1(VALU_DEP_2)
	v_and_b32_e32 v11, 7, v10
	v_bfe_u32 v15, v10, 3, 4
	v_clz_i32_u32_e32 v12, v11
	s_delay_alu instid0(VALU_DEP_2) | instskip(NEXT) | instid1(VALU_DEP_2)
	v_cmp_eq_u32_e32 vcc_lo, 0, v15
	v_min_u32_e32 v12, 32, v12
	s_delay_alu instid0(VALU_DEP_1) | instskip(NEXT) | instid1(VALU_DEP_1)
	v_subrev_nc_u32_e32 v13, 28, v12
	v_dual_lshlrev_b32 v10, v13, v10 :: v_dual_sub_nc_u32 v12, 29, v12
	s_delay_alu instid0(VALU_DEP_1) | instskip(NEXT) | instid1(VALU_DEP_2)
	v_dual_lshlrev_b32 v7, 24, v7 :: v_dual_bitop2_b32 v10, 7, v10 bitop3:0x40
	v_cndmask_b32_e32 v12, v15, v12, vcc_lo
	s_delay_alu instid0(VALU_DEP_2) | instskip(NEXT) | instid1(VALU_DEP_3)
	v_cndmask_b32_e32 v10, v11, v10, vcc_lo
	v_and_b32_e32 v7, 0x80000000, v7
	s_delay_alu instid0(VALU_DEP_3) | instskip(NEXT) | instid1(VALU_DEP_3)
	v_lshl_add_u32 v11, v12, 23, 0x3b800000
	v_lshlrev_b32_e32 v10, 20, v10
	s_delay_alu instid0(VALU_DEP_1) | instskip(NEXT) | instid1(VALU_DEP_1)
	v_or3_b32 v7, v7, v11, v10
	v_cvt_f64_f32_e32 v[12:13], v7
.LBB42_2383:
	s_or_b32 exec_lo, exec_lo, s20
.LBB42_2384:
	s_mov_b32 s13, -1
.LBB42_2385:
	s_mov_b32 s20, 0
.LBB42_2386:
	s_delay_alu instid0(SALU_CYCLE_1)
	s_and_b32 vcc_lo, exec_lo, s20
	s_cbranch_vccz .LBB42_2419
; %bb.2387:
	s_cmp_gt_i32 s0, 22
	s_cbranch_scc0 .LBB42_2397
; %bb.2388:
	s_cmp_lt_i32 s0, 24
	s_cbranch_scc1 .LBB42_2400
; %bb.2389:
	s_cmp_gt_i32 s0, 24
	s_cbranch_scc0 .LBB42_2401
; %bb.2390:
	global_load_u8 v7, v[2:3], off
	s_mov_b32 s13, exec_lo
	s_wait_loadcnt 0x0
	v_cmpx_lt_i16_e32 0x7f, v7
	s_xor_b32 s13, exec_lo, s13
	s_cbranch_execz .LBB42_2413
; %bb.2391:
	s_mov_b32 s7, -1
	s_mov_b32 s20, exec_lo
	v_cmpx_eq_u16_e32 0x80, v7
; %bb.2392:
	s_xor_b32 s7, exec_lo, -1
; %bb.2393:
	s_or_b32 exec_lo, exec_lo, s20
	s_delay_alu instid0(SALU_CYCLE_1)
	s_and_b32 s7, s7, exec_lo
	s_or_saveexec_b32 s13, s13
	v_mov_b64_e32 v[12:13], 0x7ff8000020000000
	s_xor_b32 exec_lo, exec_lo, s13
	s_cbranch_execnz .LBB42_2414
.LBB42_2394:
	s_or_b32 exec_lo, exec_lo, s13
	s_and_saveexec_b32 s13, s7
	s_cbranch_execz .LBB42_2396
.LBB42_2395:
	v_and_b32_e32 v10, 0xffff, v7
	s_delay_alu instid0(VALU_DEP_1) | instskip(SKIP_1) | instid1(VALU_DEP_2)
	v_and_b32_e32 v11, 3, v10
	v_bfe_u32 v15, v10, 2, 5
	v_clz_i32_u32_e32 v12, v11
	s_delay_alu instid0(VALU_DEP_2) | instskip(NEXT) | instid1(VALU_DEP_2)
	v_cmp_eq_u32_e32 vcc_lo, 0, v15
	v_min_u32_e32 v12, 32, v12
	s_delay_alu instid0(VALU_DEP_1) | instskip(NEXT) | instid1(VALU_DEP_1)
	v_subrev_nc_u32_e32 v13, 29, v12
	v_dual_lshlrev_b32 v10, v13, v10 :: v_dual_sub_nc_u32 v12, 30, v12
	s_delay_alu instid0(VALU_DEP_1) | instskip(NEXT) | instid1(VALU_DEP_2)
	v_dual_lshlrev_b32 v7, 24, v7 :: v_dual_bitop2_b32 v10, 3, v10 bitop3:0x40
	v_cndmask_b32_e32 v12, v15, v12, vcc_lo
	s_delay_alu instid0(VALU_DEP_2) | instskip(NEXT) | instid1(VALU_DEP_3)
	v_cndmask_b32_e32 v10, v11, v10, vcc_lo
	v_and_b32_e32 v7, 0x80000000, v7
	s_delay_alu instid0(VALU_DEP_3) | instskip(NEXT) | instid1(VALU_DEP_3)
	v_lshl_add_u32 v11, v12, 23, 0x37800000
	v_lshlrev_b32_e32 v10, 21, v10
	s_delay_alu instid0(VALU_DEP_1) | instskip(NEXT) | instid1(VALU_DEP_1)
	v_or3_b32 v7, v7, v11, v10
	v_cvt_f64_f32_e32 v[12:13], v7
.LBB42_2396:
	s_or_b32 exec_lo, exec_lo, s13
	s_mov_b32 s7, 0
	s_branch .LBB42_2402
.LBB42_2397:
	s_mov_b32 s7, -1
                                        ; implicit-def: $vgpr12_vgpr13
	s_branch .LBB42_2408
.LBB42_2398:
	s_or_saveexec_b32 s20, s20
	v_mov_b64_e32 v[12:13], 0x7ff8000020000000
	s_xor_b32 exec_lo, exec_lo, s20
	s_cbranch_execz .LBB42_2381
.LBB42_2399:
	v_cmp_ne_u16_e32 vcc_lo, 0, v7
	v_mov_b64_e32 v[12:13], 0
	s_and_not1_b32 s13, s13, exec_lo
	s_and_b32 s21, vcc_lo, exec_lo
	s_delay_alu instid0(SALU_CYCLE_1)
	s_or_b32 s13, s13, s21
	s_or_b32 exec_lo, exec_lo, s20
	s_and_saveexec_b32 s20, s13
	s_cbranch_execnz .LBB42_2382
	s_branch .LBB42_2383
.LBB42_2400:
	s_mov_b32 s7, -1
                                        ; implicit-def: $vgpr12_vgpr13
	s_branch .LBB42_2405
.LBB42_2401:
	s_mov_b32 s7, -1
                                        ; implicit-def: $vgpr12_vgpr13
.LBB42_2402:
	s_delay_alu instid0(SALU_CYCLE_1)
	s_and_b32 vcc_lo, exec_lo, s7
	s_cbranch_vccz .LBB42_2404
; %bb.2403:
	global_load_u8 v7, v[2:3], off
	s_wait_loadcnt 0x0
	v_lshlrev_b32_e32 v7, 24, v7
	s_delay_alu instid0(VALU_DEP_1) | instskip(NEXT) | instid1(VALU_DEP_1)
	v_and_b32_e32 v10, 0x7f000000, v7
	v_clz_i32_u32_e32 v11, v10
	v_cmp_ne_u32_e32 vcc_lo, 0, v10
	v_add_nc_u32_e32 v13, 0x1000000, v10
	s_delay_alu instid0(VALU_DEP_3) | instskip(NEXT) | instid1(VALU_DEP_1)
	v_min_u32_e32 v11, 32, v11
	v_sub_nc_u32_e64 v11, v11, 4 clamp
	s_delay_alu instid0(VALU_DEP_1) | instskip(NEXT) | instid1(VALU_DEP_1)
	v_dual_lshlrev_b32 v12, v11, v10 :: v_dual_lshlrev_b32 v11, 23, v11
	v_lshrrev_b32_e32 v12, 4, v12
	s_delay_alu instid0(VALU_DEP_1) | instskip(NEXT) | instid1(VALU_DEP_1)
	v_dual_sub_nc_u32 v11, v12, v11 :: v_dual_ashrrev_i32 v12, 8, v13
	v_add_nc_u32_e32 v11, 0x3c000000, v11
	s_delay_alu instid0(VALU_DEP_1) | instskip(NEXT) | instid1(VALU_DEP_1)
	v_and_or_b32 v11, 0x7f800000, v12, v11
	v_cndmask_b32_e32 v10, 0, v11, vcc_lo
	s_delay_alu instid0(VALU_DEP_1) | instskip(NEXT) | instid1(VALU_DEP_1)
	v_and_or_b32 v7, 0x80000000, v7, v10
	v_cvt_f64_f32_e32 v[12:13], v7
.LBB42_2404:
	s_mov_b32 s7, 0
.LBB42_2405:
	s_delay_alu instid0(SALU_CYCLE_1)
	s_and_not1_b32 vcc_lo, exec_lo, s7
	s_cbranch_vccnz .LBB42_2407
; %bb.2406:
	global_load_u8 v7, v[2:3], off
	s_wait_loadcnt 0x0
	v_lshlrev_b32_e32 v10, 25, v7
	v_lshlrev_b16 v7, 8, v7
	s_delay_alu instid0(VALU_DEP_1) | instskip(SKIP_1) | instid1(VALU_DEP_2)
	v_and_or_b32 v12, 0x7f00, v7, 0.5
	v_bfe_i32 v7, v7, 0, 16
	v_dual_add_f32 v12, -0.5, v12 :: v_dual_lshrrev_b32 v11, 4, v10
	v_cmp_gt_u32_e32 vcc_lo, 0x8000000, v10
	s_delay_alu instid0(VALU_DEP_2) | instskip(NEXT) | instid1(VALU_DEP_1)
	v_or_b32_e32 v11, 0x70000000, v11
	v_mul_f32_e32 v11, 0x7800000, v11
	s_delay_alu instid0(VALU_DEP_1) | instskip(NEXT) | instid1(VALU_DEP_1)
	v_cndmask_b32_e32 v10, v11, v12, vcc_lo
	v_and_or_b32 v7, 0x80000000, v7, v10
	s_delay_alu instid0(VALU_DEP_1)
	v_cvt_f64_f32_e32 v[12:13], v7
.LBB42_2407:
	s_mov_b32 s7, 0
	s_mov_b32 s13, -1
.LBB42_2408:
	s_and_not1_b32 vcc_lo, exec_lo, s7
	s_mov_b32 s7, 0
	s_cbranch_vccnz .LBB42_2419
; %bb.2409:
	s_cmp_gt_i32 s0, 14
	s_cbranch_scc0 .LBB42_2412
; %bb.2410:
	s_cmp_eq_u32 s0, 15
	s_cbranch_scc0 .LBB42_2415
; %bb.2411:
	global_load_u16 v7, v[2:3], off
	s_mov_b32 s6, 0
	s_mov_b32 s13, -1
	s_wait_loadcnt 0x0
	v_lshlrev_b32_e32 v7, 16, v7
	s_delay_alu instid0(VALU_DEP_1)
	v_cvt_f64_f32_e32 v[12:13], v7
	s_branch .LBB42_2417
.LBB42_2412:
	s_mov_b32 s7, -1
	s_branch .LBB42_2416
.LBB42_2413:
	s_or_saveexec_b32 s13, s13
	v_mov_b64_e32 v[12:13], 0x7ff8000020000000
	s_xor_b32 exec_lo, exec_lo, s13
	s_cbranch_execz .LBB42_2394
.LBB42_2414:
	v_cmp_ne_u16_e32 vcc_lo, 0, v7
	v_mov_b64_e32 v[12:13], 0
	s_and_not1_b32 s7, s7, exec_lo
	s_and_b32 s20, vcc_lo, exec_lo
	s_delay_alu instid0(SALU_CYCLE_1)
	s_or_b32 s7, s7, s20
	s_or_b32 exec_lo, exec_lo, s13
	s_and_saveexec_b32 s13, s7
	s_cbranch_execnz .LBB42_2395
	s_branch .LBB42_2396
.LBB42_2415:
	s_mov_b32 s6, -1
.LBB42_2416:
                                        ; implicit-def: $vgpr12_vgpr13
.LBB42_2417:
	s_and_b32 vcc_lo, exec_lo, s7
	s_mov_b32 s7, 0
	s_cbranch_vccz .LBB42_2419
; %bb.2418:
	s_cmp_lg_u32 s0, 11
	s_mov_b32 s7, -1
	s_cselect_b32 s6, -1, 0
.LBB42_2419:
	s_delay_alu instid0(SALU_CYCLE_1)
	s_and_b32 vcc_lo, exec_lo, s6
	s_cbranch_vccnz .LBB42_2484
; %bb.2420:
	s_and_not1_b32 vcc_lo, exec_lo, s7
	s_cbranch_vccnz .LBB42_2422
.LBB42_2421:
	global_load_u8 v7, v[2:3], off
	v_mov_b32_e32 v12, 0
	s_mov_b32 s13, -1
	s_wait_loadcnt 0x0
	v_cmp_ne_u16_e32 vcc_lo, 0, v7
	v_cndmask_b32_e64 v13, 0, 0x3ff00000, vcc_lo
.LBB42_2422:
	s_mov_b32 s0, 0
.LBB42_2423:
	s_delay_alu instid0(SALU_CYCLE_1)
	s_and_b32 vcc_lo, exec_lo, s0
	s_cbranch_vccz .LBB42_2472
; %bb.2424:
	s_and_b32 s0, 0xffff, s17
	s_delay_alu instid0(SALU_CYCLE_1)
	s_cmp_lt_i32 s0, 5
	s_cbranch_scc1 .LBB42_2429
; %bb.2425:
	s_cmp_lt_i32 s0, 8
	s_cbranch_scc1 .LBB42_2430
; %bb.2426:
	;; [unrolled: 3-line block ×3, first 2 shown]
	s_cmp_gt_i32 s0, 9
	s_cbranch_scc0 .LBB42_2432
; %bb.2428:
	global_load_b64 v[12:13], v[2:3], off
	s_mov_b32 s6, 0
	s_branch .LBB42_2433
.LBB42_2429:
	s_mov_b32 s6, -1
                                        ; implicit-def: $vgpr12_vgpr13
	s_branch .LBB42_2451
.LBB42_2430:
	s_mov_b32 s6, -1
                                        ; implicit-def: $vgpr12_vgpr13
	s_branch .LBB42_2439
.LBB42_2431:
	s_mov_b32 s6, -1
                                        ; implicit-def: $vgpr12_vgpr13
	s_branch .LBB42_2436
.LBB42_2432:
	s_mov_b32 s6, -1
                                        ; implicit-def: $vgpr12_vgpr13
.LBB42_2433:
	s_delay_alu instid0(SALU_CYCLE_1)
	s_and_not1_b32 vcc_lo, exec_lo, s6
	s_cbranch_vccnz .LBB42_2435
; %bb.2434:
	global_load_b32 v7, v[2:3], off
	s_wait_loadcnt 0x0
	v_cvt_f64_f32_e32 v[12:13], v7
.LBB42_2435:
	s_mov_b32 s6, 0
.LBB42_2436:
	s_delay_alu instid0(SALU_CYCLE_1)
	s_and_not1_b32 vcc_lo, exec_lo, s6
	s_cbranch_vccnz .LBB42_2438
; %bb.2437:
	global_load_b32 v7, v[2:3], off
	s_wait_loadcnt 0x0
	v_cvt_f32_f16_e32 v7, v7
	s_delay_alu instid0(VALU_DEP_1)
	v_cvt_f64_f32_e32 v[12:13], v7
.LBB42_2438:
	s_mov_b32 s6, 0
.LBB42_2439:
	s_delay_alu instid0(SALU_CYCLE_1)
	s_and_not1_b32 vcc_lo, exec_lo, s6
	s_cbranch_vccnz .LBB42_2450
; %bb.2440:
	s_cmp_lt_i32 s0, 6
	s_cbranch_scc1 .LBB42_2443
; %bb.2441:
	s_cmp_gt_i32 s0, 6
	s_cbranch_scc0 .LBB42_2444
; %bb.2442:
	s_wait_loadcnt 0x0
	global_load_b64 v[12:13], v[2:3], off
	s_mov_b32 s6, 0
	s_branch .LBB42_2445
.LBB42_2443:
	s_mov_b32 s6, -1
                                        ; implicit-def: $vgpr12_vgpr13
	s_branch .LBB42_2448
.LBB42_2444:
	s_mov_b32 s6, -1
                                        ; implicit-def: $vgpr12_vgpr13
.LBB42_2445:
	s_delay_alu instid0(SALU_CYCLE_1)
	s_and_not1_b32 vcc_lo, exec_lo, s6
	s_cbranch_vccnz .LBB42_2447
; %bb.2446:
	global_load_b32 v7, v[2:3], off
	s_wait_loadcnt 0x0
	v_cvt_f64_f32_e32 v[12:13], v7
.LBB42_2447:
	s_mov_b32 s6, 0
.LBB42_2448:
	s_delay_alu instid0(SALU_CYCLE_1)
	s_and_not1_b32 vcc_lo, exec_lo, s6
	s_cbranch_vccnz .LBB42_2450
; %bb.2449:
	global_load_u16 v7, v[2:3], off
	s_wait_loadcnt 0x0
	v_cvt_f32_f16_e32 v7, v7
	s_delay_alu instid0(VALU_DEP_1)
	v_cvt_f64_f32_e32 v[12:13], v7
.LBB42_2450:
	s_mov_b32 s6, 0
.LBB42_2451:
	s_delay_alu instid0(SALU_CYCLE_1)
	s_and_not1_b32 vcc_lo, exec_lo, s6
	s_cbranch_vccnz .LBB42_2471
; %bb.2452:
	s_cmp_lt_i32 s0, 2
	s_cbranch_scc1 .LBB42_2456
; %bb.2453:
	s_cmp_lt_i32 s0, 3
	s_cbranch_scc1 .LBB42_2457
; %bb.2454:
	s_cmp_gt_i32 s0, 3
	s_cbranch_scc0 .LBB42_2458
; %bb.2455:
	global_load_b64 v[10:11], v[2:3], off
	s_mov_b32 s6, 0
	s_wait_loadcnt 0x0
	v_cvt_f64_i32_e32 v[12:13], v11
	v_cvt_f64_u32_e32 v[10:11], v10
	s_delay_alu instid0(VALU_DEP_2) | instskip(NEXT) | instid1(VALU_DEP_1)
	v_ldexp_f64 v[12:13], v[12:13], 32
	v_add_f64_e32 v[12:13], v[12:13], v[10:11]
	s_branch .LBB42_2459
.LBB42_2456:
	s_mov_b32 s6, -1
                                        ; implicit-def: $vgpr12_vgpr13
	s_branch .LBB42_2465
.LBB42_2457:
	s_mov_b32 s6, -1
                                        ; implicit-def: $vgpr12_vgpr13
	s_branch .LBB42_2462
.LBB42_2458:
	s_mov_b32 s6, -1
                                        ; implicit-def: $vgpr12_vgpr13
.LBB42_2459:
	s_delay_alu instid0(SALU_CYCLE_1)
	s_and_not1_b32 vcc_lo, exec_lo, s6
	s_cbranch_vccnz .LBB42_2461
; %bb.2460:
	global_load_b32 v7, v[2:3], off
	s_wait_loadcnt 0x0
	v_cvt_f64_i32_e32 v[12:13], v7
.LBB42_2461:
	s_mov_b32 s6, 0
.LBB42_2462:
	s_delay_alu instid0(SALU_CYCLE_1)
	s_and_not1_b32 vcc_lo, exec_lo, s6
	s_cbranch_vccnz .LBB42_2464
; %bb.2463:
	global_load_i16 v7, v[2:3], off
	s_wait_loadcnt 0x0
	v_cvt_f64_i32_e32 v[12:13], v7
.LBB42_2464:
	s_mov_b32 s6, 0
.LBB42_2465:
	s_delay_alu instid0(SALU_CYCLE_1)
	s_and_not1_b32 vcc_lo, exec_lo, s6
	s_cbranch_vccnz .LBB42_2471
; %bb.2466:
	s_cmp_gt_i32 s0, 0
	s_mov_b32 s0, 0
	s_cbranch_scc0 .LBB42_2468
; %bb.2467:
	global_load_i8 v7, v[2:3], off
	s_wait_loadcnt 0x0
	v_cvt_f64_i32_e32 v[12:13], v7
	s_branch .LBB42_2469
.LBB42_2468:
	s_mov_b32 s0, -1
                                        ; implicit-def: $vgpr12_vgpr13
.LBB42_2469:
	s_delay_alu instid0(SALU_CYCLE_1)
	s_and_not1_b32 vcc_lo, exec_lo, s0
	s_cbranch_vccnz .LBB42_2471
; %bb.2470:
	global_load_u8 v2, v[2:3], off
	s_wait_loadcnt 0x0
	v_cvt_f64_u32_e32 v[12:13], v2
.LBB42_2471:
	s_mov_b32 s13, -1
.LBB42_2472:
	s_delay_alu instid0(SALU_CYCLE_1)
	s_and_not1_b32 vcc_lo, exec_lo, s13
	s_cbranch_vccnz .LBB42_2684
; %bb.2473:
	s_wait_xcnt 0x0
	v_add_nc_u32_e32 v2, s14, v6
	s_cmp_lt_i32 s1, 11
	s_delay_alu instid0(VALU_DEP_1) | instskip(NEXT) | instid1(VALU_DEP_1)
	v_ashrrev_i32_e32 v3, 31, v2
	v_add_nc_u64_e32 v[2:3], s[2:3], v[2:3]
	s_cbranch_scc1 .LBB42_2480
; %bb.2474:
	s_and_b32 s0, 0xffff, s1
	s_mov_b32 s3, 0
	s_cmp_gt_i32 s0, 25
	s_cbranch_scc0 .LBB42_2481
; %bb.2475:
	s_cmp_gt_i32 s0, 28
	s_cbranch_scc0 .LBB42_2482
; %bb.2476:
	;; [unrolled: 3-line block ×4, first 2 shown]
	s_cmp_eq_u32 s0, 46
	s_mov_b32 s7, 0
	s_cbranch_scc0 .LBB42_2486
; %bb.2479:
	global_load_b32 v6, v[2:3], off
	s_mov_b32 s2, 0
	s_mov_b32 s6, -1
	s_wait_loadcnt 0x0
	v_lshlrev_b32_e32 v6, 16, v6
	s_delay_alu instid0(VALU_DEP_1)
	v_cvt_f64_f32_e32 v[6:7], v6
	s_branch .LBB42_2488
.LBB42_2480:
	s_mov_b32 s0, -1
	s_mov_b32 s6, 0
                                        ; implicit-def: $vgpr6_vgpr7
	s_branch .LBB42_2554
.LBB42_2481:
	s_mov_b32 s7, -1
	s_mov_b32 s6, 0
	s_mov_b32 s2, 0
                                        ; implicit-def: $vgpr6_vgpr7
	s_branch .LBB42_2517
.LBB42_2482:
	s_mov_b32 s7, -1
	s_mov_b32 s6, 0
	s_mov_b32 s2, 0
                                        ; implicit-def: $vgpr6_vgpr7
	s_branch .LBB42_2498
.LBB42_2483:
	s_mov_b32 s7, -1
	s_mov_b32 s6, 0
	s_mov_b32 s2, 0
                                        ; implicit-def: $vgpr6_vgpr7
	s_branch .LBB42_2493
.LBB42_2484:
	s_or_b32 s16, s16, exec_lo
	s_trap 2
	s_cbranch_execz .LBB42_2421
	s_branch .LBB42_2422
.LBB42_2485:
	s_mov_b32 s7, -1
	s_mov_b32 s6, 0
	s_mov_b32 s2, 0
	s_branch .LBB42_2487
.LBB42_2486:
	s_mov_b32 s2, -1
	s_mov_b32 s6, 0
.LBB42_2487:
                                        ; implicit-def: $vgpr6_vgpr7
.LBB42_2488:
	s_and_b32 vcc_lo, exec_lo, s7
	s_cbranch_vccz .LBB42_2492
; %bb.2489:
	s_cmp_eq_u32 s0, 44
	s_cbranch_scc0 .LBB42_2491
; %bb.2490:
	global_load_u8 v10, v[2:3], off
	s_mov_b32 s2, 0
	s_mov_b32 s6, -1
	s_wait_loadcnt 0x0
	v_cmp_ne_u32_e32 vcc_lo, 0xff, v10
	v_lshlrev_b32_e32 v6, 23, v10
	s_delay_alu instid0(VALU_DEP_1) | instskip(NEXT) | instid1(VALU_DEP_1)
	v_cvt_f64_f32_e32 v[6:7], v6
	v_cndmask_b32_e32 v6, 0x20000000, v6, vcc_lo
	s_delay_alu instid0(VALU_DEP_2) | instskip(SKIP_1) | instid1(VALU_DEP_2)
	v_cndmask_b32_e32 v7, 0x7ff80000, v7, vcc_lo
	v_cmp_ne_u32_e32 vcc_lo, 0, v10
	v_cndmask_b32_e32 v7, 0x38000000, v7, vcc_lo
	s_delay_alu instid0(VALU_DEP_4)
	v_cndmask_b32_e32 v6, 0, v6, vcc_lo
	s_branch .LBB42_2492
.LBB42_2491:
	s_mov_b32 s2, -1
                                        ; implicit-def: $vgpr6_vgpr7
.LBB42_2492:
	s_mov_b32 s7, 0
.LBB42_2493:
	s_delay_alu instid0(SALU_CYCLE_1)
	s_and_b32 vcc_lo, exec_lo, s7
	s_cbranch_vccz .LBB42_2497
; %bb.2494:
	s_cmp_eq_u32 s0, 29
	s_cbranch_scc0 .LBB42_2496
; %bb.2495:
	global_load_b64 v[6:7], v[2:3], off
	s_mov_b32 s2, 0
	s_mov_b32 s6, -1
	s_mov_b32 s7, 0
	s_wait_loadcnt 0x0
	v_cvt_f64_u32_e32 v[10:11], v7
	v_cvt_f64_u32_e32 v[6:7], v6
	s_delay_alu instid0(VALU_DEP_2) | instskip(NEXT) | instid1(VALU_DEP_1)
	v_ldexp_f64 v[10:11], v[10:11], 32
	v_add_f64_e32 v[6:7], v[10:11], v[6:7]
	s_branch .LBB42_2498
.LBB42_2496:
	s_mov_b32 s2, -1
                                        ; implicit-def: $vgpr6_vgpr7
.LBB42_2497:
	s_mov_b32 s7, 0
.LBB42_2498:
	s_delay_alu instid0(SALU_CYCLE_1)
	s_and_b32 vcc_lo, exec_lo, s7
	s_cbranch_vccz .LBB42_2516
; %bb.2499:
	s_cmp_lt_i32 s0, 27
	s_cbranch_scc1 .LBB42_2502
; %bb.2500:
	s_cmp_gt_i32 s0, 27
	s_cbranch_scc0 .LBB42_2503
; %bb.2501:
	global_load_b32 v6, v[2:3], off
	s_mov_b32 s6, 0
	s_wait_loadcnt 0x0
	v_cvt_f64_u32_e32 v[6:7], v6
	s_branch .LBB42_2504
.LBB42_2502:
	s_mov_b32 s6, -1
                                        ; implicit-def: $vgpr6_vgpr7
	s_branch .LBB42_2507
.LBB42_2503:
	s_mov_b32 s6, -1
                                        ; implicit-def: $vgpr6_vgpr7
.LBB42_2504:
	s_delay_alu instid0(SALU_CYCLE_1)
	s_and_not1_b32 vcc_lo, exec_lo, s6
	s_cbranch_vccnz .LBB42_2506
; %bb.2505:
	global_load_u16 v6, v[2:3], off
	s_wait_loadcnt 0x0
	v_cvt_f64_u32_e32 v[6:7], v6
.LBB42_2506:
	s_mov_b32 s6, 0
.LBB42_2507:
	s_delay_alu instid0(SALU_CYCLE_1)
	s_and_not1_b32 vcc_lo, exec_lo, s6
	s_cbranch_vccnz .LBB42_2515
; %bb.2508:
	global_load_u8 v10, v[2:3], off
	s_mov_b32 s6, 0
	s_mov_b32 s7, exec_lo
	s_wait_loadcnt 0x0
	v_cmpx_lt_i16_e32 0x7f, v10
	s_xor_b32 s7, exec_lo, s7
	s_cbranch_execz .LBB42_2529
; %bb.2509:
	s_mov_b32 s6, -1
	s_mov_b32 s13, exec_lo
	v_cmpx_eq_u16_e32 0x80, v10
; %bb.2510:
	s_xor_b32 s6, exec_lo, -1
; %bb.2511:
	s_or_b32 exec_lo, exec_lo, s13
	s_delay_alu instid0(SALU_CYCLE_1)
	s_and_b32 s6, s6, exec_lo
	s_or_saveexec_b32 s7, s7
	v_mov_b64_e32 v[6:7], 0x7ff8000020000000
	s_xor_b32 exec_lo, exec_lo, s7
	s_cbranch_execnz .LBB42_2530
.LBB42_2512:
	s_or_b32 exec_lo, exec_lo, s7
	s_and_saveexec_b32 s7, s6
	s_cbranch_execz .LBB42_2514
.LBB42_2513:
	v_and_b32_e32 v6, 0xffff, v10
	s_delay_alu instid0(VALU_DEP_1) | instskip(SKIP_1) | instid1(VALU_DEP_2)
	v_and_b32_e32 v7, 7, v6
	v_bfe_u32 v16, v6, 3, 4
	v_clz_i32_u32_e32 v11, v7
	s_delay_alu instid0(VALU_DEP_2) | instskip(NEXT) | instid1(VALU_DEP_2)
	v_cmp_eq_u32_e32 vcc_lo, 0, v16
	v_min_u32_e32 v11, 32, v11
	s_delay_alu instid0(VALU_DEP_1) | instskip(NEXT) | instid1(VALU_DEP_1)
	v_subrev_nc_u32_e32 v15, 28, v11
	v_dual_lshlrev_b32 v6, v15, v6 :: v_dual_sub_nc_u32 v11, 29, v11
	s_delay_alu instid0(VALU_DEP_1) | instskip(NEXT) | instid1(VALU_DEP_2)
	v_and_b32_e32 v6, 7, v6
	v_dual_cndmask_b32 v11, v16, v11 :: v_dual_lshlrev_b32 v10, 24, v10
	s_delay_alu instid0(VALU_DEP_2) | instskip(NEXT) | instid1(VALU_DEP_2)
	v_cndmask_b32_e32 v6, v7, v6, vcc_lo
	v_and_b32_e32 v7, 0x80000000, v10
	s_delay_alu instid0(VALU_DEP_3) | instskip(NEXT) | instid1(VALU_DEP_3)
	v_lshl_add_u32 v10, v11, 23, 0x3b800000
	v_lshlrev_b32_e32 v6, 20, v6
	s_delay_alu instid0(VALU_DEP_1) | instskip(NEXT) | instid1(VALU_DEP_1)
	v_or3_b32 v6, v7, v10, v6
	v_cvt_f64_f32_e32 v[6:7], v6
.LBB42_2514:
	s_or_b32 exec_lo, exec_lo, s7
.LBB42_2515:
	s_mov_b32 s6, -1
.LBB42_2516:
	s_mov_b32 s7, 0
.LBB42_2517:
	s_delay_alu instid0(SALU_CYCLE_1)
	s_and_b32 vcc_lo, exec_lo, s7
	s_cbranch_vccz .LBB42_2550
; %bb.2518:
	s_cmp_gt_i32 s0, 22
	s_cbranch_scc0 .LBB42_2528
; %bb.2519:
	s_cmp_lt_i32 s0, 24
	s_cbranch_scc1 .LBB42_2531
; %bb.2520:
	s_cmp_gt_i32 s0, 24
	s_cbranch_scc0 .LBB42_2532
; %bb.2521:
	global_load_u8 v10, v[2:3], off
	s_mov_b32 s6, exec_lo
	s_wait_loadcnt 0x0
	v_cmpx_lt_i16_e32 0x7f, v10
	s_xor_b32 s6, exec_lo, s6
	s_cbranch_execz .LBB42_2544
; %bb.2522:
	s_mov_b32 s3, -1
	s_mov_b32 s7, exec_lo
	v_cmpx_eq_u16_e32 0x80, v10
; %bb.2523:
	s_xor_b32 s3, exec_lo, -1
; %bb.2524:
	s_or_b32 exec_lo, exec_lo, s7
	s_delay_alu instid0(SALU_CYCLE_1)
	s_and_b32 s3, s3, exec_lo
	s_or_saveexec_b32 s6, s6
	v_mov_b64_e32 v[6:7], 0x7ff8000020000000
	s_xor_b32 exec_lo, exec_lo, s6
	s_cbranch_execnz .LBB42_2545
.LBB42_2525:
	s_or_b32 exec_lo, exec_lo, s6
	s_and_saveexec_b32 s6, s3
	s_cbranch_execz .LBB42_2527
.LBB42_2526:
	v_and_b32_e32 v6, 0xffff, v10
	s_delay_alu instid0(VALU_DEP_1) | instskip(SKIP_1) | instid1(VALU_DEP_2)
	v_and_b32_e32 v7, 3, v6
	v_bfe_u32 v16, v6, 2, 5
	v_clz_i32_u32_e32 v11, v7
	s_delay_alu instid0(VALU_DEP_2) | instskip(NEXT) | instid1(VALU_DEP_2)
	v_cmp_eq_u32_e32 vcc_lo, 0, v16
	v_min_u32_e32 v11, 32, v11
	s_delay_alu instid0(VALU_DEP_1) | instskip(NEXT) | instid1(VALU_DEP_1)
	v_subrev_nc_u32_e32 v15, 29, v11
	v_dual_lshlrev_b32 v6, v15, v6 :: v_dual_sub_nc_u32 v11, 30, v11
	s_delay_alu instid0(VALU_DEP_1) | instskip(NEXT) | instid1(VALU_DEP_2)
	v_and_b32_e32 v6, 3, v6
	v_dual_cndmask_b32 v11, v16, v11 :: v_dual_lshlrev_b32 v10, 24, v10
	s_delay_alu instid0(VALU_DEP_2) | instskip(NEXT) | instid1(VALU_DEP_2)
	v_cndmask_b32_e32 v6, v7, v6, vcc_lo
	v_and_b32_e32 v7, 0x80000000, v10
	s_delay_alu instid0(VALU_DEP_3) | instskip(NEXT) | instid1(VALU_DEP_3)
	v_lshl_add_u32 v10, v11, 23, 0x37800000
	v_lshlrev_b32_e32 v6, 21, v6
	s_delay_alu instid0(VALU_DEP_1) | instskip(NEXT) | instid1(VALU_DEP_1)
	v_or3_b32 v6, v7, v10, v6
	v_cvt_f64_f32_e32 v[6:7], v6
.LBB42_2527:
	s_or_b32 exec_lo, exec_lo, s6
	s_mov_b32 s3, 0
	s_branch .LBB42_2533
.LBB42_2528:
	s_mov_b32 s3, -1
                                        ; implicit-def: $vgpr6_vgpr7
	s_branch .LBB42_2539
.LBB42_2529:
	s_or_saveexec_b32 s7, s7
	v_mov_b64_e32 v[6:7], 0x7ff8000020000000
	s_xor_b32 exec_lo, exec_lo, s7
	s_cbranch_execz .LBB42_2512
.LBB42_2530:
	v_cmp_ne_u16_e32 vcc_lo, 0, v10
	v_mov_b64_e32 v[6:7], 0
	s_and_not1_b32 s6, s6, exec_lo
	s_and_b32 s13, vcc_lo, exec_lo
	s_delay_alu instid0(SALU_CYCLE_1)
	s_or_b32 s6, s6, s13
	s_or_b32 exec_lo, exec_lo, s7
	s_and_saveexec_b32 s7, s6
	s_cbranch_execnz .LBB42_2513
	s_branch .LBB42_2514
.LBB42_2531:
	s_mov_b32 s3, -1
                                        ; implicit-def: $vgpr6_vgpr7
	s_branch .LBB42_2536
.LBB42_2532:
	s_mov_b32 s3, -1
                                        ; implicit-def: $vgpr6_vgpr7
.LBB42_2533:
	s_delay_alu instid0(SALU_CYCLE_1)
	s_and_b32 vcc_lo, exec_lo, s3
	s_cbranch_vccz .LBB42_2535
; %bb.2534:
	global_load_u8 v6, v[2:3], off
	s_wait_loadcnt 0x0
	v_lshlrev_b32_e32 v6, 24, v6
	s_delay_alu instid0(VALU_DEP_1) | instskip(NEXT) | instid1(VALU_DEP_1)
	v_and_b32_e32 v7, 0x7f000000, v6
	v_clz_i32_u32_e32 v10, v7
	v_add_nc_u32_e32 v15, 0x1000000, v7
	v_cmp_ne_u32_e32 vcc_lo, 0, v7
	s_delay_alu instid0(VALU_DEP_3) | instskip(NEXT) | instid1(VALU_DEP_1)
	v_min_u32_e32 v10, 32, v10
	v_sub_nc_u32_e64 v10, v10, 4 clamp
	s_delay_alu instid0(VALU_DEP_1) | instskip(NEXT) | instid1(VALU_DEP_1)
	v_dual_lshlrev_b32 v11, v10, v7 :: v_dual_lshlrev_b32 v10, 23, v10
	v_lshrrev_b32_e32 v11, 4, v11
	s_delay_alu instid0(VALU_DEP_1) | instskip(NEXT) | instid1(VALU_DEP_1)
	v_dual_sub_nc_u32 v10, v11, v10 :: v_dual_ashrrev_i32 v11, 8, v15
	v_add_nc_u32_e32 v10, 0x3c000000, v10
	s_delay_alu instid0(VALU_DEP_1) | instskip(NEXT) | instid1(VALU_DEP_1)
	v_and_or_b32 v10, 0x7f800000, v11, v10
	v_cndmask_b32_e32 v7, 0, v10, vcc_lo
	s_delay_alu instid0(VALU_DEP_1) | instskip(NEXT) | instid1(VALU_DEP_1)
	v_and_or_b32 v6, 0x80000000, v6, v7
	v_cvt_f64_f32_e32 v[6:7], v6
.LBB42_2535:
	s_mov_b32 s3, 0
.LBB42_2536:
	s_delay_alu instid0(SALU_CYCLE_1)
	s_and_not1_b32 vcc_lo, exec_lo, s3
	s_cbranch_vccnz .LBB42_2538
; %bb.2537:
	global_load_u8 v6, v[2:3], off
	s_wait_loadcnt 0x0
	v_lshlrev_b32_e32 v7, 25, v6
	v_lshlrev_b16 v6, 8, v6
	s_delay_alu instid0(VALU_DEP_1) | instskip(SKIP_1) | instid1(VALU_DEP_2)
	v_and_or_b32 v11, 0x7f00, v6, 0.5
	v_bfe_i32 v6, v6, 0, 16
	v_add_f32_e32 v11, -0.5, v11
	v_lshrrev_b32_e32 v10, 4, v7
	v_cmp_gt_u32_e32 vcc_lo, 0x8000000, v7
	s_delay_alu instid0(VALU_DEP_2) | instskip(NEXT) | instid1(VALU_DEP_1)
	v_or_b32_e32 v10, 0x70000000, v10
	v_mul_f32_e32 v10, 0x7800000, v10
	s_delay_alu instid0(VALU_DEP_1) | instskip(NEXT) | instid1(VALU_DEP_1)
	v_cndmask_b32_e32 v7, v10, v11, vcc_lo
	v_and_or_b32 v6, 0x80000000, v6, v7
	s_delay_alu instid0(VALU_DEP_1)
	v_cvt_f64_f32_e32 v[6:7], v6
.LBB42_2538:
	s_mov_b32 s3, 0
	s_mov_b32 s6, -1
.LBB42_2539:
	s_and_not1_b32 vcc_lo, exec_lo, s3
	s_mov_b32 s3, 0
	s_cbranch_vccnz .LBB42_2550
; %bb.2540:
	s_cmp_gt_i32 s0, 14
	s_cbranch_scc0 .LBB42_2543
; %bb.2541:
	s_cmp_eq_u32 s0, 15
	s_cbranch_scc0 .LBB42_2546
; %bb.2542:
	global_load_u16 v6, v[2:3], off
	s_mov_b32 s2, 0
	s_mov_b32 s6, -1
	s_wait_loadcnt 0x0
	v_lshlrev_b32_e32 v6, 16, v6
	s_delay_alu instid0(VALU_DEP_1)
	v_cvt_f64_f32_e32 v[6:7], v6
	s_branch .LBB42_2548
.LBB42_2543:
	s_mov_b32 s3, -1
	s_branch .LBB42_2547
.LBB42_2544:
	s_or_saveexec_b32 s6, s6
	v_mov_b64_e32 v[6:7], 0x7ff8000020000000
	s_xor_b32 exec_lo, exec_lo, s6
	s_cbranch_execz .LBB42_2525
.LBB42_2545:
	v_cmp_ne_u16_e32 vcc_lo, 0, v10
	v_mov_b64_e32 v[6:7], 0
	s_and_not1_b32 s3, s3, exec_lo
	s_and_b32 s7, vcc_lo, exec_lo
	s_delay_alu instid0(SALU_CYCLE_1)
	s_or_b32 s3, s3, s7
	s_or_b32 exec_lo, exec_lo, s6
	s_and_saveexec_b32 s6, s3
	s_cbranch_execnz .LBB42_2526
	s_branch .LBB42_2527
.LBB42_2546:
	s_mov_b32 s2, -1
.LBB42_2547:
                                        ; implicit-def: $vgpr6_vgpr7
.LBB42_2548:
	s_and_b32 vcc_lo, exec_lo, s3
	s_mov_b32 s3, 0
	s_cbranch_vccz .LBB42_2550
; %bb.2549:
	s_cmp_lg_u32 s0, 11
	s_mov_b32 s3, -1
	s_cselect_b32 s2, -1, 0
.LBB42_2550:
	s_delay_alu instid0(SALU_CYCLE_1)
	s_and_b32 vcc_lo, exec_lo, s2
	s_cbranch_vccnz .LBB42_3086
; %bb.2551:
	s_and_not1_b32 vcc_lo, exec_lo, s3
	s_cbranch_vccnz .LBB42_2553
.LBB42_2552:
	global_load_u8 v6, v[2:3], off
	s_mov_b32 s6, -1
	s_wait_loadcnt 0x0
	v_cmp_ne_u16_e32 vcc_lo, 0, v6
	v_mov_b32_e32 v6, 0
	v_cndmask_b32_e64 v7, 0, 0x3ff00000, vcc_lo
.LBB42_2553:
	s_mov_b32 s0, 0
.LBB42_2554:
	s_delay_alu instid0(SALU_CYCLE_1)
	s_and_b32 vcc_lo, exec_lo, s0
	s_cbranch_vccz .LBB42_2603
; %bb.2555:
	s_and_b32 s0, 0xffff, s1
	s_delay_alu instid0(SALU_CYCLE_1)
	s_cmp_lt_i32 s0, 5
	s_cbranch_scc1 .LBB42_2560
; %bb.2556:
	s_cmp_lt_i32 s0, 8
	s_cbranch_scc1 .LBB42_2561
; %bb.2557:
	;; [unrolled: 3-line block ×3, first 2 shown]
	s_cmp_gt_i32 s0, 9
	s_cbranch_scc0 .LBB42_2563
; %bb.2559:
	global_load_b64 v[6:7], v[2:3], off
	s_mov_b32 s1, 0
	s_branch .LBB42_2564
.LBB42_2560:
	s_mov_b32 s1, -1
                                        ; implicit-def: $vgpr6_vgpr7
	s_branch .LBB42_2582
.LBB42_2561:
	s_mov_b32 s1, -1
                                        ; implicit-def: $vgpr6_vgpr7
	s_branch .LBB42_2570
.LBB42_2562:
	s_mov_b32 s1, -1
                                        ; implicit-def: $vgpr6_vgpr7
	s_branch .LBB42_2567
.LBB42_2563:
	s_mov_b32 s1, -1
                                        ; implicit-def: $vgpr6_vgpr7
.LBB42_2564:
	s_delay_alu instid0(SALU_CYCLE_1)
	s_and_not1_b32 vcc_lo, exec_lo, s1
	s_cbranch_vccnz .LBB42_2566
; %bb.2565:
	s_wait_loadcnt 0x0
	global_load_b32 v6, v[2:3], off
	s_wait_loadcnt 0x0
	v_cvt_f64_f32_e32 v[6:7], v6
.LBB42_2566:
	s_mov_b32 s1, 0
.LBB42_2567:
	s_delay_alu instid0(SALU_CYCLE_1)
	s_and_not1_b32 vcc_lo, exec_lo, s1
	s_cbranch_vccnz .LBB42_2569
; %bb.2568:
	s_wait_loadcnt 0x0
	global_load_b32 v6, v[2:3], off
	s_wait_loadcnt 0x0
	v_cvt_f32_f16_e32 v6, v6
	s_delay_alu instid0(VALU_DEP_1)
	v_cvt_f64_f32_e32 v[6:7], v6
.LBB42_2569:
	s_mov_b32 s1, 0
.LBB42_2570:
	s_delay_alu instid0(SALU_CYCLE_1)
	s_and_not1_b32 vcc_lo, exec_lo, s1
	s_cbranch_vccnz .LBB42_2581
; %bb.2571:
	s_cmp_lt_i32 s0, 6
	s_cbranch_scc1 .LBB42_2574
; %bb.2572:
	s_cmp_gt_i32 s0, 6
	s_cbranch_scc0 .LBB42_2575
; %bb.2573:
	s_wait_loadcnt 0x0
	global_load_b64 v[6:7], v[2:3], off
	s_mov_b32 s1, 0
	s_branch .LBB42_2576
.LBB42_2574:
	s_mov_b32 s1, -1
                                        ; implicit-def: $vgpr6_vgpr7
	s_branch .LBB42_2579
.LBB42_2575:
	s_mov_b32 s1, -1
                                        ; implicit-def: $vgpr6_vgpr7
.LBB42_2576:
	s_delay_alu instid0(SALU_CYCLE_1)
	s_and_not1_b32 vcc_lo, exec_lo, s1
	s_cbranch_vccnz .LBB42_2578
; %bb.2577:
	s_wait_loadcnt 0x0
	global_load_b32 v6, v[2:3], off
	s_wait_loadcnt 0x0
	v_cvt_f64_f32_e32 v[6:7], v6
.LBB42_2578:
	s_mov_b32 s1, 0
.LBB42_2579:
	s_delay_alu instid0(SALU_CYCLE_1)
	s_and_not1_b32 vcc_lo, exec_lo, s1
	s_cbranch_vccnz .LBB42_2581
; %bb.2580:
	s_wait_loadcnt 0x0
	global_load_u16 v6, v[2:3], off
	s_wait_loadcnt 0x0
	v_cvt_f32_f16_e32 v6, v6
	s_delay_alu instid0(VALU_DEP_1)
	v_cvt_f64_f32_e32 v[6:7], v6
.LBB42_2581:
	s_mov_b32 s1, 0
.LBB42_2582:
	s_delay_alu instid0(SALU_CYCLE_1)
	s_and_not1_b32 vcc_lo, exec_lo, s1
	s_cbranch_vccnz .LBB42_2602
; %bb.2583:
	s_cmp_lt_i32 s0, 2
	s_cbranch_scc1 .LBB42_2587
; %bb.2584:
	s_cmp_lt_i32 s0, 3
	s_cbranch_scc1 .LBB42_2588
; %bb.2585:
	s_cmp_gt_i32 s0, 3
	s_cbranch_scc0 .LBB42_2589
; %bb.2586:
	s_wait_loadcnt 0x0
	global_load_b64 v[6:7], v[2:3], off
	s_mov_b32 s1, 0
	s_wait_loadcnt 0x0
	v_cvt_f64_i32_e32 v[10:11], v7
	v_cvt_f64_u32_e32 v[6:7], v6
	s_delay_alu instid0(VALU_DEP_2) | instskip(NEXT) | instid1(VALU_DEP_1)
	v_ldexp_f64 v[10:11], v[10:11], 32
	v_add_f64_e32 v[6:7], v[10:11], v[6:7]
	s_branch .LBB42_2590
.LBB42_2587:
	s_mov_b32 s1, -1
                                        ; implicit-def: $vgpr6_vgpr7
	s_branch .LBB42_2596
.LBB42_2588:
	s_mov_b32 s1, -1
                                        ; implicit-def: $vgpr6_vgpr7
	s_branch .LBB42_2593
.LBB42_2589:
	s_mov_b32 s1, -1
                                        ; implicit-def: $vgpr6_vgpr7
.LBB42_2590:
	s_delay_alu instid0(SALU_CYCLE_1)
	s_and_not1_b32 vcc_lo, exec_lo, s1
	s_cbranch_vccnz .LBB42_2592
; %bb.2591:
	s_wait_loadcnt 0x0
	global_load_b32 v6, v[2:3], off
	s_wait_loadcnt 0x0
	v_cvt_f64_i32_e32 v[6:7], v6
.LBB42_2592:
	s_mov_b32 s1, 0
.LBB42_2593:
	s_delay_alu instid0(SALU_CYCLE_1)
	s_and_not1_b32 vcc_lo, exec_lo, s1
	s_cbranch_vccnz .LBB42_2595
; %bb.2594:
	s_wait_loadcnt 0x0
	global_load_i16 v6, v[2:3], off
	s_wait_loadcnt 0x0
	v_cvt_f64_i32_e32 v[6:7], v6
.LBB42_2595:
	s_mov_b32 s1, 0
.LBB42_2596:
	s_delay_alu instid0(SALU_CYCLE_1)
	s_and_not1_b32 vcc_lo, exec_lo, s1
	s_cbranch_vccnz .LBB42_2602
; %bb.2597:
	s_cmp_gt_i32 s0, 0
	s_mov_b32 s0, 0
	s_cbranch_scc0 .LBB42_2599
; %bb.2598:
	s_wait_loadcnt 0x0
	global_load_i8 v6, v[2:3], off
	s_wait_loadcnt 0x0
	v_cvt_f64_i32_e32 v[6:7], v6
	s_branch .LBB42_2600
.LBB42_2599:
	s_mov_b32 s0, -1
                                        ; implicit-def: $vgpr6_vgpr7
.LBB42_2600:
	s_delay_alu instid0(SALU_CYCLE_1)
	s_and_not1_b32 vcc_lo, exec_lo, s0
	s_cbranch_vccnz .LBB42_2602
; %bb.2601:
	global_load_u8 v2, v[2:3], off
	s_wait_loadcnt 0x0
	v_cvt_f64_u32_e32 v[6:7], v2
.LBB42_2602:
	s_mov_b32 s6, -1
.LBB42_2603:
	s_delay_alu instid0(SALU_CYCLE_1)
	s_and_not1_b32 vcc_lo, exec_lo, s6
	s_cbranch_vccnz .LBB42_2684
; %bb.2604:
	s_wait_loadcnt 0x0
	s_delay_alu instid0(VALU_DEP_1) | instskip(SKIP_1) | instid1(VALU_DEP_1)
	v_mul_f64_e32 v[2:3], s[8:9], v[6:7]
	s_mov_b32 s1, exec_lo
	v_cmpx_nlt_f64_e32 s[10:11], v[2:3]
	s_cbranch_execz .LBB42_2606
; %bb.2605:
	v_mul_f64_e32 v[6:7], 0x3ff71547652b82fe, v[2:3]
	s_mov_b64 s[2:3], 0x3e5ade156a5dcb37
	v_cmp_nlt_f64_e32 vcc_lo, 0x40900000, v[2:3]
	v_cmp_ngt_f64_e64 s0, 0xc090cc00, v[2:3]
	s_delay_alu instid0(VALU_DEP_3) | instskip(NEXT) | instid1(VALU_DEP_1)
	v_rndne_f64_e32 v[6:7], v[6:7]
	v_fmamk_f64 v[10:11], v[6:7], 0xbfe62e42fefa39ef, v[2:3]
	v_cvt_i32_f64_e32 v15, v[6:7]
	s_delay_alu instid0(VALU_DEP_2) | instskip(NEXT) | instid1(VALU_DEP_1)
	v_fmamk_f64 v[10:11], v[6:7], 0xbc7abc9e3b39803f, v[10:11]
	v_fmaak_f64 v[16:17], s[2:3], v[10:11], 0x3e928af3fca7ab0c
	s_delay_alu instid0(VALU_DEP_1) | instskip(NEXT) | instid1(VALU_DEP_1)
	v_fmaak_f64 v[16:17], v[10:11], v[16:17], 0x3ec71dee623fde64
	v_fmaak_f64 v[16:17], v[10:11], v[16:17], 0x3efa01997c89e6b0
	s_delay_alu instid0(VALU_DEP_1) | instskip(NEXT) | instid1(VALU_DEP_1)
	v_fmaak_f64 v[16:17], v[10:11], v[16:17], 0x3f2a01a014761f6e
	;; [unrolled: 3-line block ×4, first 2 shown]
	v_fmaak_f64 v[16:17], v[10:11], v[16:17], 0x3fe000000000000b
	s_delay_alu instid0(VALU_DEP_1) | instskip(NEXT) | instid1(VALU_DEP_1)
	v_fma_f64 v[16:17], v[10:11], v[16:17], 1.0
	v_fma_f64 v[6:7], v[10:11], v[16:17], 1.0
	s_delay_alu instid0(VALU_DEP_1) | instskip(NEXT) | instid1(VALU_DEP_1)
	v_ldexp_f64 v[6:7], v[6:7], v15
	v_cndmask_b32_e32 v7, 0x7ff00000, v7, vcc_lo
	s_and_b32 vcc_lo, s0, vcc_lo
	s_delay_alu instid0(VALU_DEP_1) | instid1(SALU_CYCLE_1)
	v_dual_cndmask_b32 v2, 0, v6, vcc_lo :: v_dual_cndmask_b32 v3, 0, v7, s0
	s_delay_alu instid0(VALU_DEP_1) | instskip(SKIP_1) | instid1(VALU_DEP_1)
	v_mul_f64_e32 v[6:7], v[12:13], v[2:3]
	v_add_f64_e32 v[2:3], 1.0, v[2:3]
	v_div_scale_f64 v[10:11], null, v[2:3], v[2:3], v[6:7]
	s_delay_alu instid0(VALU_DEP_1) | instskip(SKIP_1) | instid1(TRANS32_DEP_1)
	v_rcp_f64_e32 v[12:13], v[10:11]
	v_nop
	v_fma_f64 v[16:17], -v[10:11], v[12:13], 1.0
	s_delay_alu instid0(VALU_DEP_1) | instskip(NEXT) | instid1(VALU_DEP_1)
	v_fmac_f64_e32 v[12:13], v[12:13], v[16:17]
	v_fma_f64 v[16:17], -v[10:11], v[12:13], 1.0
	s_delay_alu instid0(VALU_DEP_1) | instskip(SKIP_1) | instid1(VALU_DEP_1)
	v_fmac_f64_e32 v[12:13], v[12:13], v[16:17]
	v_div_scale_f64 v[16:17], vcc_lo, v[6:7], v[2:3], v[6:7]
	v_mul_f64_e32 v[18:19], v[16:17], v[12:13]
	s_delay_alu instid0(VALU_DEP_1) | instskip(NEXT) | instid1(VALU_DEP_1)
	v_fma_f64 v[10:11], -v[10:11], v[18:19], v[16:17]
	v_div_fmas_f64 v[10:11], v[10:11], v[12:13], v[18:19]
	s_delay_alu instid0(VALU_DEP_1)
	v_div_fixup_f64 v[12:13], v[10:11], v[2:3], v[6:7]
.LBB42_2606:
	s_or_b32 exec_lo, exec_lo, s1
	v_mul_lo_u32 v6, s12, v14
	s_and_b32 s20, s15, 0xff
	s_delay_alu instid0(SALU_CYCLE_1) | instskip(NEXT) | instid1(VALU_DEP_1)
	s_cmp_lt_i32 s20, 11
	v_ashrrev_i32_e32 v7, 31, v6
	s_delay_alu instid0(VALU_DEP_1)
	v_add_nc_u64_e32 v[10:11], s[4:5], v[6:7]
	s_cbranch_scc1 .LBB42_2729
; %bb.2607:
	s_and_b32 s1, 0xffff, s20
	s_mov_b32 s6, -1
	s_mov_b32 s2, 0
	s_cmp_gt_i32 s1, 25
	s_mov_b32 s3, 0
	s_mov_b32 s0, 0
	s_cbranch_scc0 .LBB42_2640
; %bb.2608:
	s_cmp_gt_i32 s1, 28
	s_cbranch_scc0 .LBB42_2623
; %bb.2609:
	s_cmp_gt_i32 s1, 43
	;; [unrolled: 3-line block ×3, first 2 shown]
	s_cbranch_scc0 .LBB42_2613
; %bb.2611:
	s_mov_b32 s0, -1
	s_mov_b32 s6, 0
	s_cmp_eq_u32 s1, 46
	s_cbranch_scc0 .LBB42_2613
; %bb.2612:
	v_cvt_f32_f64_e32 v2, v[0:1]
	s_mov_b32 s0, 0
	s_mov_b32 s3, -1
	s_delay_alu instid0(VALU_DEP_1) | instskip(SKIP_1) | instid1(VALU_DEP_2)
	v_bfe_u32 v3, v2, 16, 1
	v_cmp_o_f32_e32 vcc_lo, v2, v2
	v_add3_u32 v3, v2, v3, 0x7fff
	s_delay_alu instid0(VALU_DEP_1) | instskip(NEXT) | instid1(VALU_DEP_1)
	v_lshrrev_b32_e32 v3, 16, v3
	v_cndmask_b32_e32 v2, 0x7fc0, v3, vcc_lo
	global_store_b32 v[10:11], v2, off
.LBB42_2613:
	s_and_b32 vcc_lo, exec_lo, s6
	s_cbranch_vccz .LBB42_2618
; %bb.2614:
	s_cmp_eq_u32 s1, 44
	s_mov_b32 s0, -1
	s_cbranch_scc0 .LBB42_2618
; %bb.2615:
	s_wait_xcnt 0x0
	v_cvt_f32_f64_e32 v2, v[0:1]
	v_mov_b32_e32 v3, 0xff
	s_mov_b32 s3, exec_lo
	s_delay_alu instid0(VALU_DEP_2) | instskip(NEXT) | instid1(VALU_DEP_1)
	v_bfe_u32 v7, v2, 23, 8
	v_cmpx_ne_u32_e32 0xff, v7
	s_cbranch_execz .LBB42_2617
; %bb.2616:
	v_and_b32_e32 v3, 0x400000, v2
	v_and_or_b32 v7, 0x3fffff, v2, v7
	v_lshrrev_b32_e32 v2, 23, v2
	s_delay_alu instid0(VALU_DEP_3) | instskip(NEXT) | instid1(VALU_DEP_3)
	v_cmp_ne_u32_e32 vcc_lo, 0, v3
	v_cmp_ne_u32_e64 s0, 0, v7
	s_and_b32 s0, vcc_lo, s0
	s_delay_alu instid0(SALU_CYCLE_1) | instskip(NEXT) | instid1(VALU_DEP_1)
	v_cndmask_b32_e64 v3, 0, 1, s0
	v_add_nc_u32_e32 v3, v2, v3
.LBB42_2617:
	s_or_b32 exec_lo, exec_lo, s3
	s_mov_b32 s0, 0
	s_mov_b32 s3, -1
	global_store_b8 v[10:11], v3, off
.LBB42_2618:
	s_mov_b32 s6, 0
.LBB42_2619:
	s_delay_alu instid0(SALU_CYCLE_1)
	s_and_b32 vcc_lo, exec_lo, s6
	s_cbranch_vccz .LBB42_2622
; %bb.2620:
	s_cmp_eq_u32 s1, 29
	s_mov_b32 s0, -1
	s_cbranch_scc0 .LBB42_2622
; %bb.2621:
	s_wait_xcnt 0x0
	v_trunc_f64_e32 v[2:3], v[0:1]
	s_mov_b32 s0, 0
	s_mov_b32 s3, -1
	s_delay_alu instid0(VALU_DEP_1) | instskip(NEXT) | instid1(VALU_DEP_1)
	v_ldexp_f64 v[14:15], v[2:3], 0xffffffe0
	v_floor_f64_e32 v[14:15], v[14:15]
	s_delay_alu instid0(VALU_DEP_1) | instskip(SKIP_1) | instid1(VALU_DEP_2)
	v_fmamk_f64 v[2:3], v[14:15], 0xc1f00000, v[2:3]
	v_cvt_u32_f64_e32 v15, v[14:15]
	v_cvt_u32_f64_e32 v14, v[2:3]
	global_store_b64 v[10:11], v[14:15], off
.LBB42_2622:
	s_mov_b32 s6, 0
.LBB42_2623:
	s_delay_alu instid0(SALU_CYCLE_1)
	s_and_b32 vcc_lo, exec_lo, s6
	s_cbranch_vccz .LBB42_2639
; %bb.2624:
	s_cmp_lt_i32 s1, 27
	s_mov_b32 s3, -1
	s_cbranch_scc1 .LBB42_2630
; %bb.2625:
	s_wait_xcnt 0x0
	v_cvt_u32_f64_e32 v2, v[0:1]
	s_cmp_gt_i32 s1, 27
	s_cbranch_scc0 .LBB42_2627
; %bb.2626:
	s_mov_b32 s3, 0
	global_store_b32 v[10:11], v2, off
.LBB42_2627:
	s_and_not1_b32 vcc_lo, exec_lo, s3
	s_cbranch_vccnz .LBB42_2629
; %bb.2628:
	global_store_b16 v[10:11], v2, off
.LBB42_2629:
	s_mov_b32 s3, 0
.LBB42_2630:
	s_delay_alu instid0(SALU_CYCLE_1)
	s_and_not1_b32 vcc_lo, exec_lo, s3
	s_cbranch_vccnz .LBB42_2638
; %bb.2631:
	s_wait_xcnt 0x0
	v_cvt_f32_f64_e32 v2, v[0:1]
	v_mov_b32_e32 v7, 0x80
	s_mov_b32 s3, exec_lo
	s_delay_alu instid0(VALU_DEP_2) | instskip(NEXT) | instid1(VALU_DEP_1)
	v_and_b32_e32 v3, 0x7fffffff, v2
	v_cmpx_gt_u32_e32 0x43800000, v3
	s_cbranch_execz .LBB42_2637
; %bb.2632:
	v_cmp_lt_u32_e32 vcc_lo, 0x3bffffff, v3
	s_mov_b32 s6, 0
                                        ; implicit-def: $vgpr3
	s_and_saveexec_b32 s7, vcc_lo
	s_delay_alu instid0(SALU_CYCLE_1)
	s_xor_b32 s7, exec_lo, s7
	s_cbranch_execz .LBB42_3087
; %bb.2633:
	v_bfe_u32 v3, v2, 20, 1
	s_mov_b32 s6, exec_lo
	s_delay_alu instid0(VALU_DEP_1) | instskip(NEXT) | instid1(VALU_DEP_1)
	v_add3_u32 v3, v2, v3, 0x487ffff
	v_lshrrev_b32_e32 v3, 20, v3
	s_and_not1_saveexec_b32 s7, s7
	s_cbranch_execnz .LBB42_3088
.LBB42_2634:
	s_or_b32 exec_lo, exec_lo, s7
	v_mov_b32_e32 v7, 0
	s_and_saveexec_b32 s7, s6
.LBB42_2635:
	v_lshrrev_b32_e32 v2, 24, v2
	s_delay_alu instid0(VALU_DEP_1)
	v_and_or_b32 v7, 0x80, v2, v3
.LBB42_2636:
	s_or_b32 exec_lo, exec_lo, s7
.LBB42_2637:
	s_delay_alu instid0(SALU_CYCLE_1)
	s_or_b32 exec_lo, exec_lo, s3
	global_store_b8 v[10:11], v7, off
.LBB42_2638:
	s_mov_b32 s3, -1
.LBB42_2639:
	s_mov_b32 s6, 0
.LBB42_2640:
	s_delay_alu instid0(SALU_CYCLE_1)
	s_and_b32 vcc_lo, exec_lo, s6
	s_cbranch_vccz .LBB42_2680
; %bb.2641:
	s_cmp_gt_i32 s1, 22
	s_mov_b32 s2, -1
	s_cbranch_scc0 .LBB42_2673
; %bb.2642:
	s_cmp_lt_i32 s1, 24
	s_cbranch_scc1 .LBB42_2662
; %bb.2643:
	s_cmp_gt_i32 s1, 24
	s_cbranch_scc0 .LBB42_2651
; %bb.2644:
	s_wait_xcnt 0x0
	v_cvt_f32_f64_e32 v2, v[0:1]
	v_mov_b32_e32 v7, 0x80
	s_mov_b32 s2, exec_lo
	s_delay_alu instid0(VALU_DEP_2) | instskip(NEXT) | instid1(VALU_DEP_1)
	v_and_b32_e32 v3, 0x7fffffff, v2
	v_cmpx_gt_u32_e32 0x47800000, v3
	s_cbranch_execz .LBB42_2650
; %bb.2645:
	v_cmp_lt_u32_e32 vcc_lo, 0x37ffffff, v3
	s_mov_b32 s3, 0
                                        ; implicit-def: $vgpr3
	s_and_saveexec_b32 s6, vcc_lo
	s_delay_alu instid0(SALU_CYCLE_1)
	s_xor_b32 s6, exec_lo, s6
	s_cbranch_execz .LBB42_3090
; %bb.2646:
	v_bfe_u32 v3, v2, 21, 1
	s_mov_b32 s3, exec_lo
	s_delay_alu instid0(VALU_DEP_1) | instskip(NEXT) | instid1(VALU_DEP_1)
	v_add3_u32 v3, v2, v3, 0x88fffff
	v_lshrrev_b32_e32 v3, 21, v3
	s_and_not1_saveexec_b32 s6, s6
	s_cbranch_execnz .LBB42_3091
.LBB42_2647:
	s_or_b32 exec_lo, exec_lo, s6
	v_mov_b32_e32 v7, 0
	s_and_saveexec_b32 s6, s3
.LBB42_2648:
	v_lshrrev_b32_e32 v2, 24, v2
	s_delay_alu instid0(VALU_DEP_1)
	v_and_or_b32 v7, 0x80, v2, v3
.LBB42_2649:
	s_or_b32 exec_lo, exec_lo, s6
.LBB42_2650:
	s_delay_alu instid0(SALU_CYCLE_1)
	s_or_b32 exec_lo, exec_lo, s2
	s_mov_b32 s2, 0
	global_store_b8 v[10:11], v7, off
.LBB42_2651:
	s_and_b32 vcc_lo, exec_lo, s2
	s_cbranch_vccz .LBB42_2661
; %bb.2652:
	s_wait_xcnt 0x0
	v_cvt_f32_f64_e32 v2, v[0:1]
	s_mov_b32 s2, exec_lo
                                        ; implicit-def: $vgpr3
	s_delay_alu instid0(VALU_DEP_1) | instskip(NEXT) | instid1(VALU_DEP_1)
	v_and_b32_e32 v7, 0x7fffffff, v2
	v_cmpx_gt_u32_e32 0x43f00000, v7
	s_xor_b32 s2, exec_lo, s2
	s_cbranch_execz .LBB42_2658
; %bb.2653:
	s_mov_b32 s3, exec_lo
                                        ; implicit-def: $vgpr3
	v_cmpx_lt_u32_e32 0x3c7fffff, v7
	s_xor_b32 s3, exec_lo, s3
; %bb.2654:
	v_bfe_u32 v3, v2, 20, 1
	s_delay_alu instid0(VALU_DEP_1) | instskip(NEXT) | instid1(VALU_DEP_1)
	v_add3_u32 v3, v2, v3, 0x407ffff
	v_and_b32_e32 v7, 0xff00000, v3
	v_lshrrev_b32_e32 v3, 20, v3
	s_delay_alu instid0(VALU_DEP_2) | instskip(NEXT) | instid1(VALU_DEP_2)
	v_cmp_ne_u32_e32 vcc_lo, 0x7f00000, v7
	v_cndmask_b32_e32 v3, 0x7e, v3, vcc_lo
; %bb.2655:
	s_and_not1_saveexec_b32 s3, s3
; %bb.2656:
	v_add_f32_e64 v3, 0x46800000, |v2|
; %bb.2657:
	s_or_b32 exec_lo, exec_lo, s3
                                        ; implicit-def: $vgpr7
.LBB42_2658:
	s_and_not1_saveexec_b32 s2, s2
; %bb.2659:
	v_mov_b32_e32 v3, 0x7f
	v_cmp_lt_u32_e32 vcc_lo, 0x7f800000, v7
	s_delay_alu instid0(VALU_DEP_2)
	v_cndmask_b32_e32 v3, 0x7e, v3, vcc_lo
; %bb.2660:
	s_or_b32 exec_lo, exec_lo, s2
	v_lshrrev_b32_e32 v2, 24, v2
	s_delay_alu instid0(VALU_DEP_1)
	v_and_or_b32 v2, 0x80, v2, v3
	global_store_b8 v[10:11], v2, off
.LBB42_2661:
	s_mov_b32 s2, 0
.LBB42_2662:
	s_delay_alu instid0(SALU_CYCLE_1)
	s_and_not1_b32 vcc_lo, exec_lo, s2
	s_cbranch_vccnz .LBB42_2672
; %bb.2663:
	s_wait_xcnt 0x0
	v_cvt_f32_f64_e32 v2, v[0:1]
	s_mov_b32 s2, exec_lo
                                        ; implicit-def: $vgpr3
	s_delay_alu instid0(VALU_DEP_1) | instskip(NEXT) | instid1(VALU_DEP_1)
	v_and_b32_e32 v7, 0x7fffffff, v2
	v_cmpx_gt_u32_e32 0x47800000, v7
	s_xor_b32 s2, exec_lo, s2
	s_cbranch_execz .LBB42_2669
; %bb.2664:
	s_mov_b32 s3, exec_lo
                                        ; implicit-def: $vgpr3
	v_cmpx_lt_u32_e32 0x387fffff, v7
	s_xor_b32 s3, exec_lo, s3
; %bb.2665:
	v_bfe_u32 v3, v2, 21, 1
	s_delay_alu instid0(VALU_DEP_1) | instskip(NEXT) | instid1(VALU_DEP_1)
	v_add3_u32 v3, v2, v3, 0x80fffff
	v_lshrrev_b32_e32 v3, 21, v3
; %bb.2666:
	s_and_not1_saveexec_b32 s3, s3
; %bb.2667:
	v_add_f32_e64 v3, 0x43000000, |v2|
; %bb.2668:
	s_or_b32 exec_lo, exec_lo, s3
                                        ; implicit-def: $vgpr7
.LBB42_2669:
	s_and_not1_saveexec_b32 s2, s2
; %bb.2670:
	v_mov_b32_e32 v3, 0x7f
	v_cmp_lt_u32_e32 vcc_lo, 0x7f800000, v7
	s_delay_alu instid0(VALU_DEP_2)
	v_cndmask_b32_e32 v3, 0x7c, v3, vcc_lo
; %bb.2671:
	s_or_b32 exec_lo, exec_lo, s2
	v_lshrrev_b32_e32 v2, 24, v2
	s_delay_alu instid0(VALU_DEP_1)
	v_and_or_b32 v2, 0x80, v2, v3
	global_store_b8 v[10:11], v2, off
.LBB42_2672:
	s_mov_b32 s2, 0
	s_mov_b32 s3, -1
.LBB42_2673:
	s_and_not1_b32 vcc_lo, exec_lo, s2
	s_mov_b32 s2, 0
	s_cbranch_vccnz .LBB42_2680
; %bb.2674:
	s_cmp_gt_i32 s1, 14
	s_mov_b32 s2, -1
	s_cbranch_scc0 .LBB42_2678
; %bb.2675:
	s_cmp_eq_u32 s1, 15
	s_mov_b32 s0, -1
	s_cbranch_scc0 .LBB42_2677
; %bb.2676:
	s_wait_xcnt 0x0
	v_cvt_f32_f64_e32 v2, v[0:1]
	s_mov_b32 s0, 0
	s_mov_b32 s3, -1
	s_delay_alu instid0(VALU_DEP_1) | instskip(SKIP_1) | instid1(VALU_DEP_2)
	v_bfe_u32 v3, v2, 16, 1
	v_cmp_o_f32_e32 vcc_lo, v2, v2
	v_add3_u32 v3, v2, v3, 0x7fff
	s_delay_alu instid0(VALU_DEP_1) | instskip(NEXT) | instid1(VALU_DEP_1)
	v_lshrrev_b32_e32 v3, 16, v3
	v_cndmask_b32_e32 v2, 0x7fc0, v3, vcc_lo
	global_store_b16 v[10:11], v2, off
.LBB42_2677:
	s_mov_b32 s2, 0
.LBB42_2678:
	s_delay_alu instid0(SALU_CYCLE_1)
	s_and_b32 vcc_lo, exec_lo, s2
	s_mov_b32 s2, 0
	s_cbranch_vccz .LBB42_2680
; %bb.2679:
	s_cmp_lg_u32 s1, 11
	s_mov_b32 s2, -1
	s_cselect_b32 s0, -1, 0
.LBB42_2680:
	s_delay_alu instid0(SALU_CYCLE_1)
	s_and_b32 vcc_lo, exec_lo, s0
	s_cbranch_vccnz .LBB42_3089
; %bb.2681:
	s_and_not1_b32 vcc_lo, exec_lo, s2
	s_cbranch_vccnz .LBB42_2683
.LBB42_2682:
	v_cmp_neq_f64_e32 vcc_lo, 0, v[0:1]
	s_mov_b32 s3, -1
	s_wait_xcnt 0x0
	v_cndmask_b32_e64 v2, 0, 1, vcc_lo
	global_store_b8 v[10:11], v2, off
.LBB42_2683:
	s_mov_b32 s0, 0
	s_branch .LBB42_2730
.LBB42_2684:
	s_mov_b32 s0, 0
	s_mov_b32 s2, 0
                                        ; implicit-def: $sgpr20
                                        ; implicit-def: $vgpr0_vgpr1
                                        ; implicit-def: $vgpr12_vgpr13
.LBB42_2685:
	s_and_not1_b32 s1, s19, exec_lo
	s_and_b32 s3, s16, exec_lo
	s_and_b32 s0, s0, exec_lo
	;; [unrolled: 1-line block ×3, first 2 shown]
	s_or_b32 s19, s1, s3
.LBB42_2686:
	s_wait_xcnt 0x0
	s_or_b32 exec_lo, exec_lo, s18
	s_and_saveexec_b32 s1, s19
	s_cbranch_execz .LBB42_2689
; %bb.2687:
	; divergent unreachable
	s_or_b32 exec_lo, exec_lo, s1
	s_and_saveexec_b32 s1, s16
	s_delay_alu instid0(SALU_CYCLE_1)
	s_xor_b32 s1, exec_lo, s1
	s_cbranch_execnz .LBB42_2690
.LBB42_2688:
	s_or_b32 exec_lo, exec_lo, s1
	s_and_saveexec_b32 s1, s0
	s_cbranch_execnz .LBB42_2691
	s_branch .LBB42_2728
.LBB42_2689:
	s_or_b32 exec_lo, exec_lo, s1
	s_and_saveexec_b32 s1, s16
	s_delay_alu instid0(SALU_CYCLE_1)
	s_xor_b32 s1, exec_lo, s1
	s_cbranch_execz .LBB42_2688
.LBB42_2690:
	s_wait_loadcnt 0x0
	s_delay_alu instid0(VALU_DEP_1)
	v_cmp_neq_f64_e32 vcc_lo, 0, v[12:13]
	v_cndmask_b32_e64 v2, 0, 1, vcc_lo
	global_store_b8 v[0:1], v2, off
	s_wait_xcnt 0x0
	s_or_b32 exec_lo, exec_lo, s1
	s_and_saveexec_b32 s1, s0
	s_cbranch_execz .LBB42_2728
.LBB42_2691:
	s_sext_i32_i16 s1, s20
	s_mov_b32 s0, -1
	s_cmp_lt_i32 s1, 5
	s_cbranch_scc1 .LBB42_2712
; %bb.2692:
	s_cmp_lt_i32 s1, 8
	s_cbranch_scc1 .LBB42_2702
; %bb.2693:
	;; [unrolled: 3-line block ×3, first 2 shown]
	s_cmp_gt_i32 s1, 9
	s_cbranch_scc0 .LBB42_2696
; %bb.2695:
	v_mov_b32_e32 v14, 0
	s_mov_b32 s0, 0
	s_delay_alu instid0(VALU_DEP_1)
	v_mov_b32_e32 v15, v14
	s_wait_loadcnt 0x0
	global_store_b128 v[0:1], v[12:15], off
.LBB42_2696:
	s_and_not1_b32 vcc_lo, exec_lo, s0
	s_cbranch_vccnz .LBB42_2698
; %bb.2697:
	s_wait_loadcnt 0x0
	v_cvt_f32_f64_e32 v2, v[12:13]
	v_mov_b32_e32 v3, 0
	global_store_b64 v[0:1], v[2:3], off
.LBB42_2698:
	s_mov_b32 s0, 0
.LBB42_2699:
	s_delay_alu instid0(SALU_CYCLE_1)
	s_and_not1_b32 vcc_lo, exec_lo, s0
	s_cbranch_vccnz .LBB42_2701
; %bb.2700:
	s_wait_loadcnt 0x0
	v_and_or_b32 v2, 0x1ff, v13, v12
	v_lshrrev_b32_e32 v3, 8, v13
	v_bfe_u32 v4, v13, 20, 11
	s_delay_alu instid0(VALU_DEP_3) | instskip(NEXT) | instid1(VALU_DEP_2)
	v_cmp_ne_u32_e32 vcc_lo, 0, v2
	v_sub_nc_u32_e32 v5, 0x3f1, v4
	v_add_nc_u32_e32 v4, 0xfffffc10, v4
	v_cndmask_b32_e64 v2, 0, 1, vcc_lo
	s_delay_alu instid0(VALU_DEP_1) | instskip(NEXT) | instid1(VALU_DEP_4)
	v_and_or_b32 v2, 0xffe, v3, v2
	v_med3_i32 v3, v5, 0, 13
	s_delay_alu instid0(VALU_DEP_2) | instskip(NEXT) | instid1(VALU_DEP_1)
	v_or_b32_e32 v5, 0x1000, v2
	v_lshrrev_b32_e32 v6, v3, v5
	s_delay_alu instid0(VALU_DEP_1) | instskip(NEXT) | instid1(VALU_DEP_1)
	v_lshlrev_b32_e32 v3, v3, v6
	v_cmp_ne_u32_e32 vcc_lo, v3, v5
	v_lshl_or_b32 v5, v4, 12, v2
	v_cndmask_b32_e64 v3, 0, 1, vcc_lo
	v_cmp_gt_i32_e32 vcc_lo, 1, v4
	s_delay_alu instid0(VALU_DEP_2) | instskip(NEXT) | instid1(VALU_DEP_1)
	v_or_b32_e32 v3, v6, v3
	v_cndmask_b32_e32 v3, v5, v3, vcc_lo
	s_delay_alu instid0(VALU_DEP_1) | instskip(NEXT) | instid1(VALU_DEP_1)
	v_dual_lshrrev_b32 v3, 2, v3 :: v_dual_bitop2_b32 v5, 7, v3 bitop3:0x40
	v_cmp_lt_i32_e32 vcc_lo, 5, v5
	v_cndmask_b32_e64 v6, 0, 1, vcc_lo
	v_cmp_eq_u32_e32 vcc_lo, 3, v5
	v_cndmask_b32_e64 v5, 0, 1, vcc_lo
	v_cmp_ne_u32_e32 vcc_lo, 0, v2
	s_delay_alu instid0(VALU_DEP_2) | instskip(NEXT) | instid1(VALU_DEP_1)
	v_or_b32_e32 v5, v5, v6
	v_dual_mov_b32 v6, 0x7e00 :: v_dual_add_nc_u32 v3, v3, v5
	s_delay_alu instid0(VALU_DEP_1) | instskip(SKIP_2) | instid1(VALU_DEP_4)
	v_cndmask_b32_e32 v2, 0x7c00, v6, vcc_lo
	v_cmp_gt_i32_e32 vcc_lo, 31, v4
	v_lshrrev_b32_e32 v5, 16, v13
	v_cndmask_b32_e32 v3, 0x7c00, v3, vcc_lo
	v_cmp_eq_u32_e32 vcc_lo, 0x40f, v4
	s_delay_alu instid0(VALU_DEP_2) | instskip(NEXT) | instid1(VALU_DEP_4)
	v_cndmask_b32_e32 v2, v3, v2, vcc_lo
	v_and_b32_e32 v3, 0x8000, v5
	s_delay_alu instid0(VALU_DEP_1)
	v_bitop3_b32 v2, v3, 0xffff, v2 bitop3:0xc8
	global_store_b32 v[0:1], v2, off
.LBB42_2701:
	s_mov_b32 s0, 0
.LBB42_2702:
	s_delay_alu instid0(SALU_CYCLE_1)
	s_and_not1_b32 vcc_lo, exec_lo, s0
	s_cbranch_vccnz .LBB42_2711
; %bb.2703:
	s_sext_i32_i16 s1, s20
	s_mov_b32 s0, -1
	s_cmp_lt_i32 s1, 6
	s_cbranch_scc1 .LBB42_2709
; %bb.2704:
	s_cmp_gt_i32 s1, 6
	s_cbranch_scc0 .LBB42_2706
; %bb.2705:
	s_mov_b32 s0, 0
	s_wait_loadcnt 0x0
	global_store_b64 v[0:1], v[12:13], off
.LBB42_2706:
	s_and_not1_b32 vcc_lo, exec_lo, s0
	s_cbranch_vccnz .LBB42_2708
; %bb.2707:
	s_wait_loadcnt 0x0
	v_cvt_f32_f64_e32 v2, v[12:13]
	global_store_b32 v[0:1], v2, off
.LBB42_2708:
	s_mov_b32 s0, 0
.LBB42_2709:
	s_delay_alu instid0(SALU_CYCLE_1)
	s_and_not1_b32 vcc_lo, exec_lo, s0
	s_cbranch_vccnz .LBB42_2711
; %bb.2710:
	s_wait_loadcnt 0x0
	v_and_or_b32 v2, 0x1ff, v13, v12
	v_lshrrev_b32_e32 v3, 8, v13
	v_bfe_u32 v4, v13, 20, 11
	s_delay_alu instid0(VALU_DEP_3) | instskip(NEXT) | instid1(VALU_DEP_2)
	v_cmp_ne_u32_e32 vcc_lo, 0, v2
	v_sub_nc_u32_e32 v5, 0x3f1, v4
	v_add_nc_u32_e32 v4, 0xfffffc10, v4
	v_cndmask_b32_e64 v2, 0, 1, vcc_lo
	s_delay_alu instid0(VALU_DEP_1) | instskip(NEXT) | instid1(VALU_DEP_4)
	v_and_or_b32 v2, 0xffe, v3, v2
	v_med3_i32 v3, v5, 0, 13
	s_delay_alu instid0(VALU_DEP_2) | instskip(NEXT) | instid1(VALU_DEP_1)
	v_or_b32_e32 v5, 0x1000, v2
	v_lshrrev_b32_e32 v6, v3, v5
	s_delay_alu instid0(VALU_DEP_1) | instskip(NEXT) | instid1(VALU_DEP_1)
	v_lshlrev_b32_e32 v3, v3, v6
	v_cmp_ne_u32_e32 vcc_lo, v3, v5
	v_lshl_or_b32 v5, v4, 12, v2
	v_cndmask_b32_e64 v3, 0, 1, vcc_lo
	v_cmp_gt_i32_e32 vcc_lo, 1, v4
	s_delay_alu instid0(VALU_DEP_2) | instskip(NEXT) | instid1(VALU_DEP_1)
	v_or_b32_e32 v3, v6, v3
	v_cndmask_b32_e32 v3, v5, v3, vcc_lo
	s_delay_alu instid0(VALU_DEP_1) | instskip(NEXT) | instid1(VALU_DEP_1)
	v_dual_lshrrev_b32 v3, 2, v3 :: v_dual_bitop2_b32 v5, 7, v3 bitop3:0x40
	v_cmp_lt_i32_e32 vcc_lo, 5, v5
	v_cndmask_b32_e64 v6, 0, 1, vcc_lo
	v_cmp_eq_u32_e32 vcc_lo, 3, v5
	v_cndmask_b32_e64 v5, 0, 1, vcc_lo
	v_cmp_ne_u32_e32 vcc_lo, 0, v2
	s_delay_alu instid0(VALU_DEP_2) | instskip(NEXT) | instid1(VALU_DEP_1)
	v_or_b32_e32 v5, v5, v6
	v_dual_mov_b32 v6, 0x7e00 :: v_dual_add_nc_u32 v3, v3, v5
	s_delay_alu instid0(VALU_DEP_1) | instskip(SKIP_1) | instid1(VALU_DEP_3)
	v_cndmask_b32_e32 v2, 0x7c00, v6, vcc_lo
	v_cmp_gt_i32_e32 vcc_lo, 31, v4
	v_cndmask_b32_e32 v3, 0x7c00, v3, vcc_lo
	v_cmp_eq_u32_e32 vcc_lo, 0x40f, v4
	s_delay_alu instid0(VALU_DEP_2) | instskip(NEXT) | instid1(VALU_DEP_1)
	v_dual_cndmask_b32 v2, v3, v2 :: v_dual_lshrrev_b32 v3, 16, v13
	v_and_or_b32 v2, 0x8000, v3, v2
	global_store_b16 v[0:1], v2, off
.LBB42_2711:
	s_mov_b32 s0, 0
.LBB42_2712:
	s_delay_alu instid0(SALU_CYCLE_1)
	s_and_not1_b32 vcc_lo, exec_lo, s0
	s_cbranch_vccnz .LBB42_2728
; %bb.2713:
	s_sext_i32_i16 s1, s20
	s_mov_b32 s0, -1
	s_cmp_lt_i32 s1, 2
	s_cbranch_scc1 .LBB42_2723
; %bb.2714:
	s_cmp_lt_i32 s1, 3
	s_cbranch_scc1 .LBB42_2720
; %bb.2715:
	s_cmp_gt_i32 s1, 3
	s_cbranch_scc0 .LBB42_2717
; %bb.2716:
	s_wait_loadcnt 0x0
	v_trunc_f64_e32 v[2:3], v[12:13]
	s_mov_b32 s0, 0
	s_delay_alu instid0(VALU_DEP_1) | instskip(NEXT) | instid1(VALU_DEP_1)
	v_ldexp_f64 v[4:5], v[2:3], 0xffffffe0
	v_floor_f64_e32 v[4:5], v[4:5]
	s_delay_alu instid0(VALU_DEP_1) | instskip(SKIP_1) | instid1(VALU_DEP_2)
	v_fmamk_f64 v[2:3], v[4:5], 0xc1f00000, v[2:3]
	v_cvt_i32_f64_e32 v5, v[4:5]
	v_cvt_u32_f64_e32 v4, v[2:3]
	global_store_b64 v[0:1], v[4:5], off
.LBB42_2717:
	s_and_not1_b32 vcc_lo, exec_lo, s0
	s_cbranch_vccnz .LBB42_2719
; %bb.2718:
	s_wait_loadcnt 0x0
	v_cvt_i32_f64_e32 v2, v[12:13]
	global_store_b32 v[0:1], v2, off
.LBB42_2719:
	s_mov_b32 s0, 0
.LBB42_2720:
	s_delay_alu instid0(SALU_CYCLE_1)
	s_and_not1_b32 vcc_lo, exec_lo, s0
	s_cbranch_vccnz .LBB42_2722
; %bb.2721:
	s_wait_loadcnt 0x0
	v_cvt_i32_f64_e32 v2, v[12:13]
	global_store_b16 v[0:1], v2, off
.LBB42_2722:
	s_mov_b32 s0, 0
.LBB42_2723:
	s_delay_alu instid0(SALU_CYCLE_1)
	s_and_not1_b32 vcc_lo, exec_lo, s0
	s_cbranch_vccnz .LBB42_2728
; %bb.2724:
	s_sext_i32_i16 s0, s20
	s_delay_alu instid0(SALU_CYCLE_1)
	s_cmp_gt_i32 s0, 0
	s_mov_b32 s0, -1
	s_cbranch_scc0 .LBB42_2726
; %bb.2725:
	s_wait_loadcnt 0x0
	v_cvt_i32_f64_e32 v2, v[12:13]
	s_mov_b32 s0, 0
	global_store_b8 v[0:1], v2, off
.LBB42_2726:
	s_and_not1_b32 vcc_lo, exec_lo, s0
	s_cbranch_vccnz .LBB42_2728
; %bb.2727:
	s_wait_loadcnt 0x0
	v_trunc_f64_e32 v[2:3], v[12:13]
	s_delay_alu instid0(VALU_DEP_1) | instskip(NEXT) | instid1(VALU_DEP_1)
	v_ldexp_f64 v[4:5], v[2:3], 0xffffffe0
	v_floor_f64_e32 v[4:5], v[4:5]
	s_delay_alu instid0(VALU_DEP_1) | instskip(NEXT) | instid1(VALU_DEP_1)
	v_fmamk_f64 v[2:3], v[4:5], 0xc1f00000, v[2:3]
	v_cvt_u32_f64_e32 v2, v[2:3]
	global_store_b8 v[0:1], v2, off
	s_endpgm
.LBB42_2728:
	s_endpgm
.LBB42_2729:
	s_mov_b32 s0, -1
	s_mov_b32 s3, 0
.LBB42_2730:
	s_and_b32 vcc_lo, exec_lo, s0
	s_cbranch_vccz .LBB42_2769
; %bb.2731:
	s_and_b32 s0, 0xffff, s20
	s_mov_b32 s1, -1
	s_cmp_lt_i32 s0, 5
	s_cbranch_scc1 .LBB42_2752
; %bb.2732:
	s_cmp_lt_i32 s0, 8
	s_cbranch_scc1 .LBB42_2742
; %bb.2733:
	;; [unrolled: 3-line block ×3, first 2 shown]
	s_cmp_gt_i32 s0, 9
	s_cbranch_scc0 .LBB42_2736
; %bb.2735:
	s_wait_xcnt 0x0
	v_mov_b32_e32 v2, 0
	s_mov_b32 s1, 0
	s_delay_alu instid0(VALU_DEP_1)
	v_mov_b32_e32 v3, v2
	global_store_b128 v[10:11], v[0:3], off
.LBB42_2736:
	s_and_not1_b32 vcc_lo, exec_lo, s1
	s_cbranch_vccnz .LBB42_2738
; %bb.2737:
	s_wait_xcnt 0x0
	v_cvt_f32_f64_e32 v2, v[0:1]
	v_mov_b32_e32 v3, 0
	global_store_b64 v[10:11], v[2:3], off
.LBB42_2738:
	s_mov_b32 s1, 0
.LBB42_2739:
	s_delay_alu instid0(SALU_CYCLE_1)
	s_and_not1_b32 vcc_lo, exec_lo, s1
	s_cbranch_vccnz .LBB42_2741
; %bb.2740:
	s_wait_xcnt 0x0
	v_and_or_b32 v2, 0x1ff, v1, v0
	v_lshrrev_b32_e32 v3, 8, v1
	v_bfe_u32 v7, v1, 20, 11
	s_delay_alu instid0(VALU_DEP_3) | instskip(NEXT) | instid1(VALU_DEP_2)
	v_cmp_ne_u32_e32 vcc_lo, 0, v2
	v_sub_nc_u32_e32 v14, 0x3f1, v7
	v_add_nc_u32_e32 v7, 0xfffffc10, v7
	v_cndmask_b32_e64 v2, 0, 1, vcc_lo
	s_delay_alu instid0(VALU_DEP_1) | instskip(NEXT) | instid1(VALU_DEP_4)
	v_and_or_b32 v2, 0xffe, v3, v2
	v_med3_i32 v3, v14, 0, 13
	s_delay_alu instid0(VALU_DEP_2) | instskip(NEXT) | instid1(VALU_DEP_1)
	v_or_b32_e32 v14, 0x1000, v2
	v_lshrrev_b32_e32 v15, v3, v14
	s_delay_alu instid0(VALU_DEP_1) | instskip(NEXT) | instid1(VALU_DEP_1)
	v_lshlrev_b32_e32 v3, v3, v15
	v_cmp_ne_u32_e32 vcc_lo, v3, v14
	v_lshl_or_b32 v14, v7, 12, v2
	v_cndmask_b32_e64 v3, 0, 1, vcc_lo
	v_cmp_gt_i32_e32 vcc_lo, 1, v7
	s_delay_alu instid0(VALU_DEP_2) | instskip(NEXT) | instid1(VALU_DEP_1)
	v_or_b32_e32 v3, v15, v3
	v_cndmask_b32_e32 v3, v14, v3, vcc_lo
	s_delay_alu instid0(VALU_DEP_1) | instskip(NEXT) | instid1(VALU_DEP_1)
	v_dual_lshrrev_b32 v3, 2, v3 :: v_dual_bitop2_b32 v14, 7, v3 bitop3:0x40
	v_cmp_lt_i32_e32 vcc_lo, 5, v14
	v_cndmask_b32_e64 v15, 0, 1, vcc_lo
	v_cmp_eq_u32_e32 vcc_lo, 3, v14
	v_cndmask_b32_e64 v14, 0, 1, vcc_lo
	v_cmp_ne_u32_e32 vcc_lo, 0, v2
	s_delay_alu instid0(VALU_DEP_2) | instskip(SKIP_1) | instid1(VALU_DEP_1)
	v_or_b32_e32 v14, v14, v15
	v_mov_b32_e32 v15, 0x7e00
	v_dual_cndmask_b32 v2, 0x7c00, v15 :: v_dual_add_nc_u32 v3, v3, v14
	v_cmp_gt_i32_e32 vcc_lo, 31, v7
	s_delay_alu instid0(VALU_DEP_2) | instskip(SKIP_1) | instid1(VALU_DEP_2)
	v_dual_cndmask_b32 v3, 0x7c00, v3 :: v_dual_lshrrev_b32 v14, 16, v1
	v_cmp_eq_u32_e32 vcc_lo, 0x40f, v7
	v_cndmask_b32_e32 v2, v3, v2, vcc_lo
	s_delay_alu instid0(VALU_DEP_3) | instskip(NEXT) | instid1(VALU_DEP_1)
	v_and_b32_e32 v3, 0x8000, v14
	v_bitop3_b32 v2, v3, 0xffff, v2 bitop3:0xc8
	global_store_b32 v[10:11], v2, off
.LBB42_2741:
	s_mov_b32 s1, 0
.LBB42_2742:
	s_delay_alu instid0(SALU_CYCLE_1)
	s_and_not1_b32 vcc_lo, exec_lo, s1
	s_cbranch_vccnz .LBB42_2751
; %bb.2743:
	s_cmp_lt_i32 s0, 6
	s_mov_b32 s1, -1
	s_cbranch_scc1 .LBB42_2749
; %bb.2744:
	s_cmp_gt_i32 s0, 6
	s_cbranch_scc0 .LBB42_2746
; %bb.2745:
	s_mov_b32 s1, 0
	global_store_b64 v[10:11], v[0:1], off
.LBB42_2746:
	s_and_not1_b32 vcc_lo, exec_lo, s1
	s_cbranch_vccnz .LBB42_2748
; %bb.2747:
	s_wait_xcnt 0x0
	v_cvt_f32_f64_e32 v2, v[0:1]
	global_store_b32 v[10:11], v2, off
.LBB42_2748:
	s_mov_b32 s1, 0
.LBB42_2749:
	s_delay_alu instid0(SALU_CYCLE_1)
	s_and_not1_b32 vcc_lo, exec_lo, s1
	s_cbranch_vccnz .LBB42_2751
; %bb.2750:
	s_wait_xcnt 0x0
	v_and_or_b32 v2, 0x1ff, v1, v0
	v_lshrrev_b32_e32 v3, 8, v1
	v_bfe_u32 v7, v1, 20, 11
	s_delay_alu instid0(VALU_DEP_3) | instskip(NEXT) | instid1(VALU_DEP_2)
	v_cmp_ne_u32_e32 vcc_lo, 0, v2
	v_sub_nc_u32_e32 v14, 0x3f1, v7
	v_add_nc_u32_e32 v7, 0xfffffc10, v7
	v_cndmask_b32_e64 v2, 0, 1, vcc_lo
	s_delay_alu instid0(VALU_DEP_1) | instskip(NEXT) | instid1(VALU_DEP_4)
	v_and_or_b32 v2, 0xffe, v3, v2
	v_med3_i32 v3, v14, 0, 13
	s_delay_alu instid0(VALU_DEP_2) | instskip(NEXT) | instid1(VALU_DEP_1)
	v_or_b32_e32 v14, 0x1000, v2
	v_lshrrev_b32_e32 v15, v3, v14
	s_delay_alu instid0(VALU_DEP_1) | instskip(NEXT) | instid1(VALU_DEP_1)
	v_lshlrev_b32_e32 v3, v3, v15
	v_cmp_ne_u32_e32 vcc_lo, v3, v14
	v_lshl_or_b32 v14, v7, 12, v2
	v_cndmask_b32_e64 v3, 0, 1, vcc_lo
	v_cmp_gt_i32_e32 vcc_lo, 1, v7
	s_delay_alu instid0(VALU_DEP_2) | instskip(NEXT) | instid1(VALU_DEP_1)
	v_or_b32_e32 v3, v15, v3
	v_cndmask_b32_e32 v3, v14, v3, vcc_lo
	s_delay_alu instid0(VALU_DEP_1) | instskip(NEXT) | instid1(VALU_DEP_1)
	v_dual_lshrrev_b32 v3, 2, v3 :: v_dual_bitop2_b32 v14, 7, v3 bitop3:0x40
	v_cmp_lt_i32_e32 vcc_lo, 5, v14
	v_cndmask_b32_e64 v15, 0, 1, vcc_lo
	v_cmp_eq_u32_e32 vcc_lo, 3, v14
	v_cndmask_b32_e64 v14, 0, 1, vcc_lo
	v_cmp_ne_u32_e32 vcc_lo, 0, v2
	s_delay_alu instid0(VALU_DEP_2) | instskip(SKIP_1) | instid1(VALU_DEP_1)
	v_or_b32_e32 v14, v14, v15
	v_mov_b32_e32 v15, 0x7e00
	v_dual_cndmask_b32 v2, 0x7c00, v15 :: v_dual_add_nc_u32 v3, v3, v14
	v_cmp_gt_i32_e32 vcc_lo, 31, v7
	s_delay_alu instid0(VALU_DEP_2) | instskip(SKIP_1) | instid1(VALU_DEP_2)
	v_cndmask_b32_e32 v3, 0x7c00, v3, vcc_lo
	v_cmp_eq_u32_e32 vcc_lo, 0x40f, v7
	v_dual_cndmask_b32 v2, v3, v2 :: v_dual_lshrrev_b32 v3, 16, v1
	s_delay_alu instid0(VALU_DEP_1)
	v_and_or_b32 v2, 0x8000, v3, v2
	global_store_b16 v[10:11], v2, off
.LBB42_2751:
	s_mov_b32 s1, 0
.LBB42_2752:
	s_delay_alu instid0(SALU_CYCLE_1)
	s_and_not1_b32 vcc_lo, exec_lo, s1
	s_cbranch_vccnz .LBB42_2768
; %bb.2753:
	s_cmp_lt_i32 s0, 2
	s_mov_b32 s1, -1
	s_cbranch_scc1 .LBB42_2763
; %bb.2754:
	s_cmp_lt_i32 s0, 3
	s_cbranch_scc1 .LBB42_2760
; %bb.2755:
	s_cmp_gt_i32 s0, 3
	s_cbranch_scc0 .LBB42_2757
; %bb.2756:
	s_wait_xcnt 0x0
	v_trunc_f64_e32 v[2:3], v[0:1]
	s_mov_b32 s1, 0
	s_delay_alu instid0(VALU_DEP_1) | instskip(NEXT) | instid1(VALU_DEP_1)
	v_ldexp_f64 v[14:15], v[2:3], 0xffffffe0
	v_floor_f64_e32 v[14:15], v[14:15]
	s_delay_alu instid0(VALU_DEP_1) | instskip(SKIP_1) | instid1(VALU_DEP_2)
	v_fmamk_f64 v[2:3], v[14:15], 0xc1f00000, v[2:3]
	v_cvt_i32_f64_e32 v15, v[14:15]
	v_cvt_u32_f64_e32 v14, v[2:3]
	global_store_b64 v[10:11], v[14:15], off
.LBB42_2757:
	s_and_not1_b32 vcc_lo, exec_lo, s1
	s_cbranch_vccnz .LBB42_2759
; %bb.2758:
	s_wait_xcnt 0x0
	v_cvt_i32_f64_e32 v2, v[0:1]
	global_store_b32 v[10:11], v2, off
.LBB42_2759:
	s_mov_b32 s1, 0
.LBB42_2760:
	s_delay_alu instid0(SALU_CYCLE_1)
	s_and_not1_b32 vcc_lo, exec_lo, s1
	s_cbranch_vccnz .LBB42_2762
; %bb.2761:
	s_wait_xcnt 0x0
	v_cvt_i32_f64_e32 v2, v[0:1]
	global_store_b16 v[10:11], v2, off
.LBB42_2762:
	s_mov_b32 s1, 0
.LBB42_2763:
	s_delay_alu instid0(SALU_CYCLE_1)
	s_and_not1_b32 vcc_lo, exec_lo, s1
	s_cbranch_vccnz .LBB42_2768
; %bb.2764:
	s_cmp_gt_i32 s0, 0
	s_mov_b32 s0, -1
	s_cbranch_scc0 .LBB42_2766
; %bb.2765:
	s_wait_xcnt 0x0
	v_cvt_i32_f64_e32 v2, v[0:1]
	s_mov_b32 s0, 0
	global_store_b8 v[10:11], v2, off
.LBB42_2766:
	s_and_not1_b32 vcc_lo, exec_lo, s0
	s_cbranch_vccnz .LBB42_2768
; %bb.2767:
	s_wait_xcnt 0x0
	v_trunc_f64_e32 v[0:1], v[0:1]
	s_delay_alu instid0(VALU_DEP_1) | instskip(NEXT) | instid1(VALU_DEP_1)
	v_ldexp_f64 v[2:3], v[0:1], 0xffffffe0
	v_floor_f64_e32 v[2:3], v[2:3]
	s_delay_alu instid0(VALU_DEP_1) | instskip(NEXT) | instid1(VALU_DEP_1)
	v_fmamk_f64 v[0:1], v[2:3], 0xc1f00000, v[0:1]
	v_cvt_u32_f64_e32 v0, v[0:1]
	global_store_b8 v[10:11], v0, off
.LBB42_2768:
	s_mov_b32 s3, -1
.LBB42_2769:
	s_delay_alu instid0(SALU_CYCLE_1)
	s_and_not1_b32 vcc_lo, exec_lo, s3
	s_cbranch_vccnz .LBB42_3084
; %bb.2770:
	s_lshl_b32 s1, s12, 7
	s_cmp_lt_i32 s20, 11
	s_wait_xcnt 0x0
	v_add_nc_u32_e32 v0, s1, v6
	s_delay_alu instid0(VALU_DEP_1) | instskip(NEXT) | instid1(VALU_DEP_1)
	v_ashrrev_i32_e32 v1, 31, v0
	v_add_nc_u64_e32 v[2:3], s[4:5], v[0:1]
	s_cbranch_scc1 .LBB42_2848
; %bb.2771:
	s_and_b32 s2, 0xffff, s20
	s_mov_b32 s7, -1
	s_mov_b32 s3, 0
	s_cmp_gt_i32 s2, 25
	s_mov_b32 s6, 0
	s_mov_b32 s0, 0
	s_cbranch_scc0 .LBB42_2804
; %bb.2772:
	s_cmp_gt_i32 s2, 28
	s_cbranch_scc0 .LBB42_2787
; %bb.2773:
	s_cmp_gt_i32 s2, 43
	;; [unrolled: 3-line block ×3, first 2 shown]
	s_cbranch_scc0 .LBB42_2777
; %bb.2775:
	s_mov_b32 s0, -1
	s_mov_b32 s7, 0
	s_cmp_eq_u32 s2, 46
	s_cbranch_scc0 .LBB42_2777
; %bb.2776:
	v_cvt_f32_f64_e32 v1, v[4:5]
	s_mov_b32 s0, 0
	s_mov_b32 s6, -1
	s_delay_alu instid0(VALU_DEP_1) | instskip(SKIP_1) | instid1(VALU_DEP_2)
	v_bfe_u32 v6, v1, 16, 1
	v_cmp_o_f32_e32 vcc_lo, v1, v1
	v_add3_u32 v6, v1, v6, 0x7fff
	s_delay_alu instid0(VALU_DEP_1) | instskip(NEXT) | instid1(VALU_DEP_1)
	v_lshrrev_b32_e32 v6, 16, v6
	v_cndmask_b32_e32 v1, 0x7fc0, v6, vcc_lo
	global_store_b32 v[2:3], v1, off
.LBB42_2777:
	s_and_b32 vcc_lo, exec_lo, s7
	s_cbranch_vccz .LBB42_2782
; %bb.2778:
	s_cmp_eq_u32 s2, 44
	s_mov_b32 s0, -1
	s_cbranch_scc0 .LBB42_2782
; %bb.2779:
	s_wait_xcnt 0x0
	v_cvt_f32_f64_e32 v1, v[4:5]
	v_mov_b32_e32 v6, 0xff
	s_mov_b32 s6, exec_lo
	s_delay_alu instid0(VALU_DEP_2) | instskip(NEXT) | instid1(VALU_DEP_1)
	v_bfe_u32 v7, v1, 23, 8
	v_cmpx_ne_u32_e32 0xff, v7
	s_cbranch_execz .LBB42_2781
; %bb.2780:
	v_and_b32_e32 v6, 0x400000, v1
	v_and_or_b32 v7, 0x3fffff, v1, v7
	v_lshrrev_b32_e32 v1, 23, v1
	s_delay_alu instid0(VALU_DEP_3) | instskip(NEXT) | instid1(VALU_DEP_3)
	v_cmp_ne_u32_e32 vcc_lo, 0, v6
	v_cmp_ne_u32_e64 s0, 0, v7
	s_and_b32 s0, vcc_lo, s0
	s_delay_alu instid0(SALU_CYCLE_1) | instskip(NEXT) | instid1(VALU_DEP_1)
	v_cndmask_b32_e64 v6, 0, 1, s0
	v_add_nc_u32_e32 v6, v1, v6
.LBB42_2781:
	s_or_b32 exec_lo, exec_lo, s6
	s_mov_b32 s0, 0
	s_mov_b32 s6, -1
	global_store_b8 v[2:3], v6, off
.LBB42_2782:
	s_mov_b32 s7, 0
.LBB42_2783:
	s_delay_alu instid0(SALU_CYCLE_1)
	s_and_b32 vcc_lo, exec_lo, s7
	s_cbranch_vccz .LBB42_2786
; %bb.2784:
	s_cmp_eq_u32 s2, 29
	s_mov_b32 s0, -1
	s_cbranch_scc0 .LBB42_2786
; %bb.2785:
	s_wait_xcnt 0x0
	v_trunc_f64_e32 v[6:7], v[4:5]
	s_mov_b32 s0, 0
	s_mov_b32 s6, -1
	s_delay_alu instid0(VALU_DEP_1) | instskip(NEXT) | instid1(VALU_DEP_1)
	v_ldexp_f64 v[10:11], v[6:7], 0xffffffe0
	v_floor_f64_e32 v[10:11], v[10:11]
	s_delay_alu instid0(VALU_DEP_1) | instskip(SKIP_1) | instid1(VALU_DEP_2)
	v_fmamk_f64 v[6:7], v[10:11], 0xc1f00000, v[6:7]
	v_cvt_u32_f64_e32 v11, v[10:11]
	v_cvt_u32_f64_e32 v10, v[6:7]
	global_store_b64 v[2:3], v[10:11], off
.LBB42_2786:
	s_mov_b32 s7, 0
.LBB42_2787:
	s_delay_alu instid0(SALU_CYCLE_1)
	s_and_b32 vcc_lo, exec_lo, s7
	s_cbranch_vccz .LBB42_2803
; %bb.2788:
	s_cmp_lt_i32 s2, 27
	s_mov_b32 s6, -1
	s_cbranch_scc1 .LBB42_2794
; %bb.2789:
	s_wait_xcnt 0x0
	v_cvt_u32_f64_e32 v1, v[4:5]
	s_cmp_gt_i32 s2, 27
	s_cbranch_scc0 .LBB42_2791
; %bb.2790:
	s_mov_b32 s6, 0
	global_store_b32 v[2:3], v1, off
.LBB42_2791:
	s_and_not1_b32 vcc_lo, exec_lo, s6
	s_cbranch_vccnz .LBB42_2793
; %bb.2792:
	global_store_b16 v[2:3], v1, off
.LBB42_2793:
	s_mov_b32 s6, 0
.LBB42_2794:
	s_delay_alu instid0(SALU_CYCLE_1)
	s_and_not1_b32 vcc_lo, exec_lo, s6
	s_cbranch_vccnz .LBB42_2802
; %bb.2795:
	s_wait_xcnt 0x0
	v_cvt_f32_f64_e32 v1, v[4:5]
	v_mov_b32_e32 v7, 0x80
	s_mov_b32 s6, exec_lo
	s_delay_alu instid0(VALU_DEP_2) | instskip(NEXT) | instid1(VALU_DEP_1)
	v_and_b32_e32 v6, 0x7fffffff, v1
	v_cmpx_gt_u32_e32 0x43800000, v6
	s_cbranch_execz .LBB42_2801
; %bb.2796:
	v_cmp_lt_u32_e32 vcc_lo, 0x3bffffff, v6
	s_mov_b32 s7, 0
                                        ; implicit-def: $vgpr6
	s_and_saveexec_b32 s8, vcc_lo
	s_delay_alu instid0(SALU_CYCLE_1)
	s_xor_b32 s8, exec_lo, s8
	s_cbranch_execz .LBB42_3092
; %bb.2797:
	v_bfe_u32 v6, v1, 20, 1
	s_mov_b32 s7, exec_lo
	s_delay_alu instid0(VALU_DEP_1) | instskip(NEXT) | instid1(VALU_DEP_1)
	v_add3_u32 v6, v1, v6, 0x487ffff
	v_lshrrev_b32_e32 v6, 20, v6
	s_and_not1_saveexec_b32 s8, s8
	s_cbranch_execnz .LBB42_3093
.LBB42_2798:
	s_or_b32 exec_lo, exec_lo, s8
	v_mov_b32_e32 v7, 0
	s_and_saveexec_b32 s8, s7
.LBB42_2799:
	v_lshrrev_b32_e32 v1, 24, v1
	s_delay_alu instid0(VALU_DEP_1)
	v_and_or_b32 v7, 0x80, v1, v6
.LBB42_2800:
	s_or_b32 exec_lo, exec_lo, s8
.LBB42_2801:
	s_delay_alu instid0(SALU_CYCLE_1)
	s_or_b32 exec_lo, exec_lo, s6
	global_store_b8 v[2:3], v7, off
.LBB42_2802:
	s_mov_b32 s6, -1
.LBB42_2803:
	s_mov_b32 s7, 0
.LBB42_2804:
	s_delay_alu instid0(SALU_CYCLE_1)
	s_and_b32 vcc_lo, exec_lo, s7
	s_cbranch_vccz .LBB42_2844
; %bb.2805:
	s_cmp_gt_i32 s2, 22
	s_mov_b32 s3, -1
	s_cbranch_scc0 .LBB42_2837
; %bb.2806:
	s_cmp_lt_i32 s2, 24
	s_cbranch_scc1 .LBB42_2826
; %bb.2807:
	s_cmp_gt_i32 s2, 24
	s_cbranch_scc0 .LBB42_2815
; %bb.2808:
	s_wait_xcnt 0x0
	v_cvt_f32_f64_e32 v1, v[4:5]
	v_mov_b32_e32 v7, 0x80
	s_mov_b32 s3, exec_lo
	s_delay_alu instid0(VALU_DEP_2) | instskip(NEXT) | instid1(VALU_DEP_1)
	v_and_b32_e32 v6, 0x7fffffff, v1
	v_cmpx_gt_u32_e32 0x47800000, v6
	s_cbranch_execz .LBB42_2814
; %bb.2809:
	v_cmp_lt_u32_e32 vcc_lo, 0x37ffffff, v6
	s_mov_b32 s6, 0
                                        ; implicit-def: $vgpr6
	s_and_saveexec_b32 s7, vcc_lo
	s_delay_alu instid0(SALU_CYCLE_1)
	s_xor_b32 s7, exec_lo, s7
	s_cbranch_execz .LBB42_3095
; %bb.2810:
	v_bfe_u32 v6, v1, 21, 1
	s_mov_b32 s6, exec_lo
	s_delay_alu instid0(VALU_DEP_1) | instskip(NEXT) | instid1(VALU_DEP_1)
	v_add3_u32 v6, v1, v6, 0x88fffff
	v_lshrrev_b32_e32 v6, 21, v6
	s_and_not1_saveexec_b32 s7, s7
	s_cbranch_execnz .LBB42_3096
.LBB42_2811:
	s_or_b32 exec_lo, exec_lo, s7
	v_mov_b32_e32 v7, 0
	s_and_saveexec_b32 s7, s6
.LBB42_2812:
	v_lshrrev_b32_e32 v1, 24, v1
	s_delay_alu instid0(VALU_DEP_1)
	v_and_or_b32 v7, 0x80, v1, v6
.LBB42_2813:
	s_or_b32 exec_lo, exec_lo, s7
.LBB42_2814:
	s_delay_alu instid0(SALU_CYCLE_1)
	s_or_b32 exec_lo, exec_lo, s3
	s_mov_b32 s3, 0
	global_store_b8 v[2:3], v7, off
.LBB42_2815:
	s_and_b32 vcc_lo, exec_lo, s3
	s_cbranch_vccz .LBB42_2825
; %bb.2816:
	s_wait_xcnt 0x0
	v_cvt_f32_f64_e32 v1, v[4:5]
	s_mov_b32 s3, exec_lo
                                        ; implicit-def: $vgpr6
	s_delay_alu instid0(VALU_DEP_1) | instskip(NEXT) | instid1(VALU_DEP_1)
	v_and_b32_e32 v7, 0x7fffffff, v1
	v_cmpx_gt_u32_e32 0x43f00000, v7
	s_xor_b32 s3, exec_lo, s3
	s_cbranch_execz .LBB42_2822
; %bb.2817:
	s_mov_b32 s6, exec_lo
                                        ; implicit-def: $vgpr6
	v_cmpx_lt_u32_e32 0x3c7fffff, v7
	s_xor_b32 s6, exec_lo, s6
; %bb.2818:
	v_bfe_u32 v6, v1, 20, 1
	s_delay_alu instid0(VALU_DEP_1) | instskip(NEXT) | instid1(VALU_DEP_1)
	v_add3_u32 v6, v1, v6, 0x407ffff
	v_and_b32_e32 v7, 0xff00000, v6
	v_lshrrev_b32_e32 v6, 20, v6
	s_delay_alu instid0(VALU_DEP_2) | instskip(NEXT) | instid1(VALU_DEP_2)
	v_cmp_ne_u32_e32 vcc_lo, 0x7f00000, v7
	v_cndmask_b32_e32 v6, 0x7e, v6, vcc_lo
; %bb.2819:
	s_and_not1_saveexec_b32 s6, s6
; %bb.2820:
	v_add_f32_e64 v6, 0x46800000, |v1|
; %bb.2821:
	s_or_b32 exec_lo, exec_lo, s6
                                        ; implicit-def: $vgpr7
.LBB42_2822:
	s_and_not1_saveexec_b32 s3, s3
; %bb.2823:
	v_mov_b32_e32 v6, 0x7f
	v_cmp_lt_u32_e32 vcc_lo, 0x7f800000, v7
	s_delay_alu instid0(VALU_DEP_2)
	v_cndmask_b32_e32 v6, 0x7e, v6, vcc_lo
; %bb.2824:
	s_or_b32 exec_lo, exec_lo, s3
	v_lshrrev_b32_e32 v1, 24, v1
	s_delay_alu instid0(VALU_DEP_1)
	v_and_or_b32 v1, 0x80, v1, v6
	global_store_b8 v[2:3], v1, off
.LBB42_2825:
	s_mov_b32 s3, 0
.LBB42_2826:
	s_delay_alu instid0(SALU_CYCLE_1)
	s_and_not1_b32 vcc_lo, exec_lo, s3
	s_cbranch_vccnz .LBB42_2836
; %bb.2827:
	s_wait_xcnt 0x0
	v_cvt_f32_f64_e32 v1, v[4:5]
	s_mov_b32 s3, exec_lo
                                        ; implicit-def: $vgpr6
	s_delay_alu instid0(VALU_DEP_1) | instskip(NEXT) | instid1(VALU_DEP_1)
	v_and_b32_e32 v7, 0x7fffffff, v1
	v_cmpx_gt_u32_e32 0x47800000, v7
	s_xor_b32 s3, exec_lo, s3
	s_cbranch_execz .LBB42_2833
; %bb.2828:
	s_mov_b32 s6, exec_lo
                                        ; implicit-def: $vgpr6
	v_cmpx_lt_u32_e32 0x387fffff, v7
	s_xor_b32 s6, exec_lo, s6
; %bb.2829:
	v_bfe_u32 v6, v1, 21, 1
	s_delay_alu instid0(VALU_DEP_1) | instskip(NEXT) | instid1(VALU_DEP_1)
	v_add3_u32 v6, v1, v6, 0x80fffff
	v_lshrrev_b32_e32 v6, 21, v6
; %bb.2830:
	s_and_not1_saveexec_b32 s6, s6
; %bb.2831:
	v_add_f32_e64 v6, 0x43000000, |v1|
; %bb.2832:
	s_or_b32 exec_lo, exec_lo, s6
                                        ; implicit-def: $vgpr7
.LBB42_2833:
	s_and_not1_saveexec_b32 s3, s3
; %bb.2834:
	v_mov_b32_e32 v6, 0x7f
	v_cmp_lt_u32_e32 vcc_lo, 0x7f800000, v7
	s_delay_alu instid0(VALU_DEP_2)
	v_cndmask_b32_e32 v6, 0x7c, v6, vcc_lo
; %bb.2835:
	s_or_b32 exec_lo, exec_lo, s3
	v_lshrrev_b32_e32 v1, 24, v1
	s_delay_alu instid0(VALU_DEP_1)
	v_and_or_b32 v1, 0x80, v1, v6
	global_store_b8 v[2:3], v1, off
.LBB42_2836:
	s_mov_b32 s3, 0
	s_mov_b32 s6, -1
.LBB42_2837:
	s_and_not1_b32 vcc_lo, exec_lo, s3
	s_mov_b32 s3, 0
	s_cbranch_vccnz .LBB42_2844
; %bb.2838:
	s_cmp_gt_i32 s2, 14
	s_mov_b32 s3, -1
	s_cbranch_scc0 .LBB42_2842
; %bb.2839:
	s_cmp_eq_u32 s2, 15
	s_mov_b32 s0, -1
	s_cbranch_scc0 .LBB42_2841
; %bb.2840:
	s_wait_xcnt 0x0
	v_cvt_f32_f64_e32 v1, v[4:5]
	s_mov_b32 s0, 0
	s_mov_b32 s6, -1
	s_delay_alu instid0(VALU_DEP_1) | instskip(SKIP_1) | instid1(VALU_DEP_2)
	v_bfe_u32 v6, v1, 16, 1
	v_cmp_o_f32_e32 vcc_lo, v1, v1
	v_add3_u32 v6, v1, v6, 0x7fff
	s_delay_alu instid0(VALU_DEP_1) | instskip(NEXT) | instid1(VALU_DEP_1)
	v_lshrrev_b32_e32 v6, 16, v6
	v_cndmask_b32_e32 v1, 0x7fc0, v6, vcc_lo
	global_store_b16 v[2:3], v1, off
.LBB42_2841:
	s_mov_b32 s3, 0
.LBB42_2842:
	s_delay_alu instid0(SALU_CYCLE_1)
	s_and_b32 vcc_lo, exec_lo, s3
	s_mov_b32 s3, 0
	s_cbranch_vccz .LBB42_2844
; %bb.2843:
	s_cmp_lg_u32 s2, 11
	s_mov_b32 s3, -1
	s_cselect_b32 s0, -1, 0
.LBB42_2844:
	s_delay_alu instid0(SALU_CYCLE_1)
	s_and_b32 vcc_lo, exec_lo, s0
	s_cbranch_vccnz .LBB42_3094
; %bb.2845:
	s_and_not1_b32 vcc_lo, exec_lo, s3
	s_cbranch_vccnz .LBB42_2847
.LBB42_2846:
	v_cmp_neq_f64_e32 vcc_lo, 0, v[4:5]
	s_mov_b32 s6, -1
	s_wait_xcnt 0x0
	v_cndmask_b32_e64 v1, 0, 1, vcc_lo
	global_store_b8 v[2:3], v1, off
.LBB42_2847:
	s_mov_b32 s0, 0
	s_branch .LBB42_2849
.LBB42_2848:
	s_mov_b32 s0, -1
	s_mov_b32 s6, 0
.LBB42_2849:
	s_and_b32 vcc_lo, exec_lo, s0
	s_cbranch_vccz .LBB42_2888
; %bb.2850:
	s_and_b32 s0, 0xffff, s20
	s_mov_b32 s2, -1
	s_cmp_lt_i32 s0, 5
	s_cbranch_scc1 .LBB42_2871
; %bb.2851:
	s_cmp_lt_i32 s0, 8
	s_cbranch_scc1 .LBB42_2861
; %bb.2852:
	;; [unrolled: 3-line block ×3, first 2 shown]
	s_cmp_gt_i32 s0, 9
	s_cbranch_scc0 .LBB42_2855
; %bb.2854:
	s_wait_xcnt 0x0
	v_mov_b32_e32 v6, 0
	s_mov_b32 s2, 0
	s_delay_alu instid0(VALU_DEP_1)
	v_mov_b32_e32 v7, v6
	global_store_b128 v[2:3], v[4:7], off
.LBB42_2855:
	s_and_not1_b32 vcc_lo, exec_lo, s2
	s_cbranch_vccnz .LBB42_2857
; %bb.2856:
	s_wait_xcnt 0x0
	v_cvt_f32_f64_e32 v6, v[4:5]
	v_mov_b32_e32 v7, 0
	global_store_b64 v[2:3], v[6:7], off
.LBB42_2857:
	s_mov_b32 s2, 0
.LBB42_2858:
	s_delay_alu instid0(SALU_CYCLE_1)
	s_and_not1_b32 vcc_lo, exec_lo, s2
	s_cbranch_vccnz .LBB42_2860
; %bb.2859:
	s_wait_xcnt 0x0
	v_and_or_b32 v1, 0x1ff, v5, v4
	v_lshrrev_b32_e32 v6, 8, v5
	v_bfe_u32 v7, v5, 20, 11
	s_delay_alu instid0(VALU_DEP_3) | instskip(NEXT) | instid1(VALU_DEP_2)
	v_cmp_ne_u32_e32 vcc_lo, 0, v1
	v_sub_nc_u32_e32 v10, 0x3f1, v7
	v_cndmask_b32_e64 v1, 0, 1, vcc_lo
	s_delay_alu instid0(VALU_DEP_1) | instskip(NEXT) | instid1(VALU_DEP_3)
	v_and_or_b32 v1, 0xffe, v6, v1
	v_med3_i32 v6, v10, 0, 13
	s_delay_alu instid0(VALU_DEP_2) | instskip(NEXT) | instid1(VALU_DEP_1)
	v_or_b32_e32 v10, 0x1000, v1
	v_lshrrev_b32_e32 v11, v6, v10
	s_delay_alu instid0(VALU_DEP_1) | instskip(NEXT) | instid1(VALU_DEP_1)
	v_lshlrev_b32_e32 v6, v6, v11
	v_cmp_ne_u32_e32 vcc_lo, v6, v10
	v_cndmask_b32_e64 v6, 0, 1, vcc_lo
	s_delay_alu instid0(VALU_DEP_1) | instskip(SKIP_1) | instid1(VALU_DEP_1)
	v_or_b32_e32 v6, v11, v6
	v_add_nc_u32_e32 v7, 0xfffffc10, v7
	v_lshl_or_b32 v10, v7, 12, v1
	v_cmp_gt_i32_e32 vcc_lo, 1, v7
	s_delay_alu instid0(VALU_DEP_2) | instskip(NEXT) | instid1(VALU_DEP_1)
	v_cndmask_b32_e32 v6, v10, v6, vcc_lo
	v_dual_lshrrev_b32 v6, 2, v6 :: v_dual_bitop2_b32 v10, 7, v6 bitop3:0x40
	s_delay_alu instid0(VALU_DEP_1) | instskip(SKIP_4) | instid1(VALU_DEP_2)
	v_cmp_lt_i32_e32 vcc_lo, 5, v10
	v_cndmask_b32_e64 v11, 0, 1, vcc_lo
	v_cmp_eq_u32_e32 vcc_lo, 3, v10
	v_cndmask_b32_e64 v10, 0, 1, vcc_lo
	v_cmp_ne_u32_e32 vcc_lo, 0, v1
	v_or_b32_e32 v10, v10, v11
	s_delay_alu instid0(VALU_DEP_1) | instskip(NEXT) | instid1(VALU_DEP_1)
	v_dual_mov_b32 v11, 0x7e00 :: v_dual_add_nc_u32 v6, v6, v10
	v_cndmask_b32_e32 v1, 0x7c00, v11, vcc_lo
	v_cmp_gt_i32_e32 vcc_lo, 31, v7
	v_lshrrev_b32_e32 v10, 16, v5
	s_delay_alu instid0(VALU_DEP_4) | instskip(SKIP_1) | instid1(VALU_DEP_2)
	v_cndmask_b32_e32 v6, 0x7c00, v6, vcc_lo
	v_cmp_eq_u32_e32 vcc_lo, 0x40f, v7
	v_cndmask_b32_e32 v1, v6, v1, vcc_lo
	s_delay_alu instid0(VALU_DEP_4) | instskip(NEXT) | instid1(VALU_DEP_1)
	v_and_b32_e32 v6, 0x8000, v10
	v_bitop3_b32 v1, v6, 0xffff, v1 bitop3:0xc8
	global_store_b32 v[2:3], v1, off
.LBB42_2860:
	s_mov_b32 s2, 0
.LBB42_2861:
	s_delay_alu instid0(SALU_CYCLE_1)
	s_and_not1_b32 vcc_lo, exec_lo, s2
	s_cbranch_vccnz .LBB42_2870
; %bb.2862:
	s_cmp_lt_i32 s0, 6
	s_mov_b32 s2, -1
	s_cbranch_scc1 .LBB42_2868
; %bb.2863:
	s_cmp_gt_i32 s0, 6
	s_cbranch_scc0 .LBB42_2865
; %bb.2864:
	s_mov_b32 s2, 0
	global_store_b64 v[2:3], v[4:5], off
.LBB42_2865:
	s_and_not1_b32 vcc_lo, exec_lo, s2
	s_cbranch_vccnz .LBB42_2867
; %bb.2866:
	s_wait_xcnt 0x0
	v_cvt_f32_f64_e32 v1, v[4:5]
	global_store_b32 v[2:3], v1, off
.LBB42_2867:
	s_mov_b32 s2, 0
.LBB42_2868:
	s_delay_alu instid0(SALU_CYCLE_1)
	s_and_not1_b32 vcc_lo, exec_lo, s2
	s_cbranch_vccnz .LBB42_2870
; %bb.2869:
	s_wait_xcnt 0x0
	v_and_or_b32 v1, 0x1ff, v5, v4
	v_lshrrev_b32_e32 v6, 8, v5
	v_bfe_u32 v7, v5, 20, 11
	s_delay_alu instid0(VALU_DEP_3) | instskip(NEXT) | instid1(VALU_DEP_2)
	v_cmp_ne_u32_e32 vcc_lo, 0, v1
	v_sub_nc_u32_e32 v10, 0x3f1, v7
	v_cndmask_b32_e64 v1, 0, 1, vcc_lo
	s_delay_alu instid0(VALU_DEP_1) | instskip(NEXT) | instid1(VALU_DEP_3)
	v_and_or_b32 v1, 0xffe, v6, v1
	v_med3_i32 v6, v10, 0, 13
	s_delay_alu instid0(VALU_DEP_2) | instskip(NEXT) | instid1(VALU_DEP_1)
	v_or_b32_e32 v10, 0x1000, v1
	v_lshrrev_b32_e32 v11, v6, v10
	s_delay_alu instid0(VALU_DEP_1) | instskip(NEXT) | instid1(VALU_DEP_1)
	v_lshlrev_b32_e32 v6, v6, v11
	v_cmp_ne_u32_e32 vcc_lo, v6, v10
	v_cndmask_b32_e64 v6, 0, 1, vcc_lo
	s_delay_alu instid0(VALU_DEP_1) | instskip(SKIP_1) | instid1(VALU_DEP_1)
	v_or_b32_e32 v6, v11, v6
	v_add_nc_u32_e32 v7, 0xfffffc10, v7
	v_lshl_or_b32 v10, v7, 12, v1
	v_cmp_gt_i32_e32 vcc_lo, 1, v7
	s_delay_alu instid0(VALU_DEP_2) | instskip(NEXT) | instid1(VALU_DEP_1)
	v_cndmask_b32_e32 v6, v10, v6, vcc_lo
	v_dual_lshrrev_b32 v6, 2, v6 :: v_dual_bitop2_b32 v10, 7, v6 bitop3:0x40
	s_delay_alu instid0(VALU_DEP_1) | instskip(SKIP_4) | instid1(VALU_DEP_2)
	v_cmp_lt_i32_e32 vcc_lo, 5, v10
	v_cndmask_b32_e64 v11, 0, 1, vcc_lo
	v_cmp_eq_u32_e32 vcc_lo, 3, v10
	v_cndmask_b32_e64 v10, 0, 1, vcc_lo
	v_cmp_ne_u32_e32 vcc_lo, 0, v1
	v_or_b32_e32 v10, v10, v11
	s_delay_alu instid0(VALU_DEP_1) | instskip(NEXT) | instid1(VALU_DEP_1)
	v_dual_mov_b32 v11, 0x7e00 :: v_dual_add_nc_u32 v6, v6, v10
	v_cndmask_b32_e32 v1, 0x7c00, v11, vcc_lo
	v_cmp_gt_i32_e32 vcc_lo, 31, v7
	s_delay_alu instid0(VALU_DEP_3) | instskip(SKIP_1) | instid1(VALU_DEP_2)
	v_cndmask_b32_e32 v6, 0x7c00, v6, vcc_lo
	v_cmp_eq_u32_e32 vcc_lo, 0x40f, v7
	v_cndmask_b32_e32 v1, v6, v1, vcc_lo
	v_lshrrev_b32_e32 v6, 16, v5
	s_delay_alu instid0(VALU_DEP_1)
	v_and_or_b32 v1, 0x8000, v6, v1
	global_store_b16 v[2:3], v1, off
.LBB42_2870:
	s_mov_b32 s2, 0
.LBB42_2871:
	s_delay_alu instid0(SALU_CYCLE_1)
	s_and_not1_b32 vcc_lo, exec_lo, s2
	s_cbranch_vccnz .LBB42_2887
; %bb.2872:
	s_cmp_lt_i32 s0, 2
	s_mov_b32 s2, -1
	s_cbranch_scc1 .LBB42_2882
; %bb.2873:
	s_cmp_lt_i32 s0, 3
	s_cbranch_scc1 .LBB42_2879
; %bb.2874:
	s_cmp_gt_i32 s0, 3
	s_cbranch_scc0 .LBB42_2876
; %bb.2875:
	s_wait_xcnt 0x0
	v_trunc_f64_e32 v[6:7], v[4:5]
	s_mov_b32 s2, 0
	s_delay_alu instid0(VALU_DEP_1) | instskip(NEXT) | instid1(VALU_DEP_1)
	v_ldexp_f64 v[10:11], v[6:7], 0xffffffe0
	v_floor_f64_e32 v[10:11], v[10:11]
	s_delay_alu instid0(VALU_DEP_1) | instskip(SKIP_1) | instid1(VALU_DEP_2)
	v_fmamk_f64 v[6:7], v[10:11], 0xc1f00000, v[6:7]
	v_cvt_i32_f64_e32 v11, v[10:11]
	v_cvt_u32_f64_e32 v10, v[6:7]
	global_store_b64 v[2:3], v[10:11], off
.LBB42_2876:
	s_and_not1_b32 vcc_lo, exec_lo, s2
	s_cbranch_vccnz .LBB42_2878
; %bb.2877:
	s_wait_xcnt 0x0
	v_cvt_i32_f64_e32 v1, v[4:5]
	global_store_b32 v[2:3], v1, off
.LBB42_2878:
	s_mov_b32 s2, 0
.LBB42_2879:
	s_delay_alu instid0(SALU_CYCLE_1)
	s_and_not1_b32 vcc_lo, exec_lo, s2
	s_cbranch_vccnz .LBB42_2881
; %bb.2880:
	s_wait_xcnt 0x0
	v_cvt_i32_f64_e32 v1, v[4:5]
	global_store_b16 v[2:3], v1, off
.LBB42_2881:
	s_mov_b32 s2, 0
.LBB42_2882:
	s_delay_alu instid0(SALU_CYCLE_1)
	s_and_not1_b32 vcc_lo, exec_lo, s2
	s_cbranch_vccnz .LBB42_2887
; %bb.2883:
	s_cmp_gt_i32 s0, 0
	s_mov_b32 s0, -1
	s_cbranch_scc0 .LBB42_2885
; %bb.2884:
	s_wait_xcnt 0x0
	v_cvt_i32_f64_e32 v1, v[4:5]
	s_mov_b32 s0, 0
	global_store_b8 v[2:3], v1, off
.LBB42_2885:
	s_and_not1_b32 vcc_lo, exec_lo, s0
	s_cbranch_vccnz .LBB42_2887
; %bb.2886:
	s_wait_xcnt 0x0
	v_trunc_f64_e32 v[4:5], v[4:5]
	s_delay_alu instid0(VALU_DEP_1) | instskip(NEXT) | instid1(VALU_DEP_1)
	v_ldexp_f64 v[6:7], v[4:5], 0xffffffe0
	v_floor_f64_e32 v[6:7], v[6:7]
	s_delay_alu instid0(VALU_DEP_1) | instskip(NEXT) | instid1(VALU_DEP_1)
	v_fmamk_f64 v[4:5], v[6:7], 0xc1f00000, v[4:5]
	v_cvt_u32_f64_e32 v1, v[4:5]
	global_store_b8 v[2:3], v1, off
.LBB42_2887:
	s_mov_b32 s6, -1
.LBB42_2888:
	s_delay_alu instid0(SALU_CYCLE_1)
	s_and_not1_b32 vcc_lo, exec_lo, s6
	s_cbranch_vccnz .LBB42_3084
; %bb.2889:
	v_add_nc_u32_e32 v0, s1, v0
	s_cmp_lt_i32 s20, 11
	s_wait_xcnt 0x0
	s_delay_alu instid0(VALU_DEP_1) | instskip(NEXT) | instid1(VALU_DEP_1)
	v_ashrrev_i32_e32 v1, 31, v0
	v_add_nc_u64_e32 v[2:3], s[4:5], v[0:1]
	s_cbranch_scc1 .LBB42_2967
; %bb.2890:
	s_and_b32 s2, 0xffff, s20
	s_mov_b32 s7, -1
	s_mov_b32 s3, 0
	s_cmp_gt_i32 s2, 25
	s_mov_b32 s6, 0
	s_mov_b32 s0, 0
	s_cbranch_scc0 .LBB42_2923
; %bb.2891:
	s_cmp_gt_i32 s2, 28
	s_cbranch_scc0 .LBB42_2906
; %bb.2892:
	s_cmp_gt_i32 s2, 43
	s_cbranch_scc0 .LBB42_2902
; %bb.2893:
	s_cmp_gt_i32 s2, 45
	s_cbranch_scc0 .LBB42_2896
; %bb.2894:
	s_mov_b32 s0, -1
	s_mov_b32 s7, 0
	s_cmp_eq_u32 s2, 46
	s_cbranch_scc0 .LBB42_2896
; %bb.2895:
	v_cvt_f32_f64_e32 v1, v[8:9]
	s_mov_b32 s0, 0
	s_mov_b32 s6, -1
	s_delay_alu instid0(VALU_DEP_1) | instskip(SKIP_1) | instid1(VALU_DEP_2)
	v_bfe_u32 v4, v1, 16, 1
	v_cmp_o_f32_e32 vcc_lo, v1, v1
	v_add3_u32 v4, v1, v4, 0x7fff
	s_delay_alu instid0(VALU_DEP_1) | instskip(NEXT) | instid1(VALU_DEP_1)
	v_lshrrev_b32_e32 v4, 16, v4
	v_cndmask_b32_e32 v1, 0x7fc0, v4, vcc_lo
	global_store_b32 v[2:3], v1, off
.LBB42_2896:
	s_and_b32 vcc_lo, exec_lo, s7
	s_cbranch_vccz .LBB42_2901
; %bb.2897:
	s_cmp_eq_u32 s2, 44
	s_mov_b32 s0, -1
	s_cbranch_scc0 .LBB42_2901
; %bb.2898:
	s_wait_xcnt 0x0
	v_cvt_f32_f64_e32 v1, v[8:9]
	v_mov_b32_e32 v4, 0xff
	s_mov_b32 s6, exec_lo
	s_delay_alu instid0(VALU_DEP_2) | instskip(NEXT) | instid1(VALU_DEP_1)
	v_bfe_u32 v5, v1, 23, 8
	v_cmpx_ne_u32_e32 0xff, v5
	s_cbranch_execz .LBB42_2900
; %bb.2899:
	v_and_b32_e32 v4, 0x400000, v1
	v_and_or_b32 v5, 0x3fffff, v1, v5
	v_lshrrev_b32_e32 v1, 23, v1
	s_delay_alu instid0(VALU_DEP_3) | instskip(NEXT) | instid1(VALU_DEP_3)
	v_cmp_ne_u32_e32 vcc_lo, 0, v4
	v_cmp_ne_u32_e64 s0, 0, v5
	s_and_b32 s0, vcc_lo, s0
	s_delay_alu instid0(SALU_CYCLE_1) | instskip(NEXT) | instid1(VALU_DEP_1)
	v_cndmask_b32_e64 v4, 0, 1, s0
	v_add_nc_u32_e32 v4, v1, v4
.LBB42_2900:
	s_or_b32 exec_lo, exec_lo, s6
	s_mov_b32 s0, 0
	s_mov_b32 s6, -1
	global_store_b8 v[2:3], v4, off
.LBB42_2901:
	s_mov_b32 s7, 0
.LBB42_2902:
	s_delay_alu instid0(SALU_CYCLE_1)
	s_and_b32 vcc_lo, exec_lo, s7
	s_cbranch_vccz .LBB42_2905
; %bb.2903:
	s_cmp_eq_u32 s2, 29
	s_mov_b32 s0, -1
	s_cbranch_scc0 .LBB42_2905
; %bb.2904:
	s_wait_xcnt 0x0
	v_trunc_f64_e32 v[4:5], v[8:9]
	s_mov_b32 s0, 0
	s_mov_b32 s6, -1
	s_delay_alu instid0(VALU_DEP_1) | instskip(NEXT) | instid1(VALU_DEP_1)
	v_ldexp_f64 v[6:7], v[4:5], 0xffffffe0
	v_floor_f64_e32 v[6:7], v[6:7]
	s_delay_alu instid0(VALU_DEP_1) | instskip(SKIP_1) | instid1(VALU_DEP_2)
	v_fmamk_f64 v[4:5], v[6:7], 0xc1f00000, v[4:5]
	v_cvt_u32_f64_e32 v7, v[6:7]
	v_cvt_u32_f64_e32 v6, v[4:5]
	global_store_b64 v[2:3], v[6:7], off
.LBB42_2905:
	s_mov_b32 s7, 0
.LBB42_2906:
	s_delay_alu instid0(SALU_CYCLE_1)
	s_and_b32 vcc_lo, exec_lo, s7
	s_cbranch_vccz .LBB42_2922
; %bb.2907:
	s_cmp_lt_i32 s2, 27
	s_mov_b32 s6, -1
	s_cbranch_scc1 .LBB42_2913
; %bb.2908:
	s_wait_xcnt 0x0
	v_cvt_u32_f64_e32 v1, v[8:9]
	s_cmp_gt_i32 s2, 27
	s_cbranch_scc0 .LBB42_2910
; %bb.2909:
	s_mov_b32 s6, 0
	global_store_b32 v[2:3], v1, off
.LBB42_2910:
	s_and_not1_b32 vcc_lo, exec_lo, s6
	s_cbranch_vccnz .LBB42_2912
; %bb.2911:
	global_store_b16 v[2:3], v1, off
.LBB42_2912:
	s_mov_b32 s6, 0
.LBB42_2913:
	s_delay_alu instid0(SALU_CYCLE_1)
	s_and_not1_b32 vcc_lo, exec_lo, s6
	s_cbranch_vccnz .LBB42_2921
; %bb.2914:
	s_wait_xcnt 0x0
	v_cvt_f32_f64_e32 v1, v[8:9]
	v_mov_b32_e32 v5, 0x80
	s_mov_b32 s6, exec_lo
	s_delay_alu instid0(VALU_DEP_2) | instskip(NEXT) | instid1(VALU_DEP_1)
	v_and_b32_e32 v4, 0x7fffffff, v1
	v_cmpx_gt_u32_e32 0x43800000, v4
	s_cbranch_execz .LBB42_2920
; %bb.2915:
	v_cmp_lt_u32_e32 vcc_lo, 0x3bffffff, v4
	s_mov_b32 s7, 0
                                        ; implicit-def: $vgpr4
	s_and_saveexec_b32 s8, vcc_lo
	s_delay_alu instid0(SALU_CYCLE_1)
	s_xor_b32 s8, exec_lo, s8
	s_cbranch_execz .LBB42_3097
; %bb.2916:
	v_bfe_u32 v4, v1, 20, 1
	s_mov_b32 s7, exec_lo
	s_delay_alu instid0(VALU_DEP_1) | instskip(NEXT) | instid1(VALU_DEP_1)
	v_add3_u32 v4, v1, v4, 0x487ffff
	v_lshrrev_b32_e32 v4, 20, v4
	s_and_not1_saveexec_b32 s8, s8
	s_cbranch_execnz .LBB42_3098
.LBB42_2917:
	s_or_b32 exec_lo, exec_lo, s8
	v_mov_b32_e32 v5, 0
	s_and_saveexec_b32 s8, s7
.LBB42_2918:
	v_lshrrev_b32_e32 v1, 24, v1
	s_delay_alu instid0(VALU_DEP_1)
	v_and_or_b32 v5, 0x80, v1, v4
.LBB42_2919:
	s_or_b32 exec_lo, exec_lo, s8
.LBB42_2920:
	s_delay_alu instid0(SALU_CYCLE_1)
	s_or_b32 exec_lo, exec_lo, s6
	global_store_b8 v[2:3], v5, off
.LBB42_2921:
	s_mov_b32 s6, -1
.LBB42_2922:
	s_mov_b32 s7, 0
.LBB42_2923:
	s_delay_alu instid0(SALU_CYCLE_1)
	s_and_b32 vcc_lo, exec_lo, s7
	s_cbranch_vccz .LBB42_2963
; %bb.2924:
	s_cmp_gt_i32 s2, 22
	s_mov_b32 s3, -1
	s_cbranch_scc0 .LBB42_2956
; %bb.2925:
	s_cmp_lt_i32 s2, 24
	s_cbranch_scc1 .LBB42_2945
; %bb.2926:
	s_cmp_gt_i32 s2, 24
	s_cbranch_scc0 .LBB42_2934
; %bb.2927:
	s_wait_xcnt 0x0
	v_cvt_f32_f64_e32 v1, v[8:9]
	v_mov_b32_e32 v5, 0x80
	s_mov_b32 s3, exec_lo
	s_delay_alu instid0(VALU_DEP_2) | instskip(NEXT) | instid1(VALU_DEP_1)
	v_and_b32_e32 v4, 0x7fffffff, v1
	v_cmpx_gt_u32_e32 0x47800000, v4
	s_cbranch_execz .LBB42_2933
; %bb.2928:
	v_cmp_lt_u32_e32 vcc_lo, 0x37ffffff, v4
	s_mov_b32 s6, 0
                                        ; implicit-def: $vgpr4
	s_and_saveexec_b32 s7, vcc_lo
	s_delay_alu instid0(SALU_CYCLE_1)
	s_xor_b32 s7, exec_lo, s7
	s_cbranch_execz .LBB42_3100
; %bb.2929:
	v_bfe_u32 v4, v1, 21, 1
	s_mov_b32 s6, exec_lo
	s_delay_alu instid0(VALU_DEP_1) | instskip(NEXT) | instid1(VALU_DEP_1)
	v_add3_u32 v4, v1, v4, 0x88fffff
	v_lshrrev_b32_e32 v4, 21, v4
	s_and_not1_saveexec_b32 s7, s7
	s_cbranch_execnz .LBB42_3101
.LBB42_2930:
	s_or_b32 exec_lo, exec_lo, s7
	v_mov_b32_e32 v5, 0
	s_and_saveexec_b32 s7, s6
.LBB42_2931:
	v_lshrrev_b32_e32 v1, 24, v1
	s_delay_alu instid0(VALU_DEP_1)
	v_and_or_b32 v5, 0x80, v1, v4
.LBB42_2932:
	s_or_b32 exec_lo, exec_lo, s7
.LBB42_2933:
	s_delay_alu instid0(SALU_CYCLE_1)
	s_or_b32 exec_lo, exec_lo, s3
	s_mov_b32 s3, 0
	global_store_b8 v[2:3], v5, off
.LBB42_2934:
	s_and_b32 vcc_lo, exec_lo, s3
	s_cbranch_vccz .LBB42_2944
; %bb.2935:
	s_wait_xcnt 0x0
	v_cvt_f32_f64_e32 v1, v[8:9]
	s_mov_b32 s3, exec_lo
                                        ; implicit-def: $vgpr4
	s_delay_alu instid0(VALU_DEP_1) | instskip(NEXT) | instid1(VALU_DEP_1)
	v_and_b32_e32 v5, 0x7fffffff, v1
	v_cmpx_gt_u32_e32 0x43f00000, v5
	s_xor_b32 s3, exec_lo, s3
	s_cbranch_execz .LBB42_2941
; %bb.2936:
	s_mov_b32 s6, exec_lo
                                        ; implicit-def: $vgpr4
	v_cmpx_lt_u32_e32 0x3c7fffff, v5
	s_xor_b32 s6, exec_lo, s6
; %bb.2937:
	v_bfe_u32 v4, v1, 20, 1
	s_delay_alu instid0(VALU_DEP_1) | instskip(NEXT) | instid1(VALU_DEP_1)
	v_add3_u32 v4, v1, v4, 0x407ffff
	v_and_b32_e32 v5, 0xff00000, v4
	v_lshrrev_b32_e32 v4, 20, v4
	s_delay_alu instid0(VALU_DEP_2) | instskip(NEXT) | instid1(VALU_DEP_2)
	v_cmp_ne_u32_e32 vcc_lo, 0x7f00000, v5
	v_cndmask_b32_e32 v4, 0x7e, v4, vcc_lo
; %bb.2938:
	s_and_not1_saveexec_b32 s6, s6
; %bb.2939:
	v_add_f32_e64 v4, 0x46800000, |v1|
; %bb.2940:
	s_or_b32 exec_lo, exec_lo, s6
                                        ; implicit-def: $vgpr5
.LBB42_2941:
	s_and_not1_saveexec_b32 s3, s3
; %bb.2942:
	v_mov_b32_e32 v4, 0x7f
	v_cmp_lt_u32_e32 vcc_lo, 0x7f800000, v5
	s_delay_alu instid0(VALU_DEP_2)
	v_cndmask_b32_e32 v4, 0x7e, v4, vcc_lo
; %bb.2943:
	s_or_b32 exec_lo, exec_lo, s3
	v_lshrrev_b32_e32 v1, 24, v1
	s_delay_alu instid0(VALU_DEP_1)
	v_and_or_b32 v1, 0x80, v1, v4
	global_store_b8 v[2:3], v1, off
.LBB42_2944:
	s_mov_b32 s3, 0
.LBB42_2945:
	s_delay_alu instid0(SALU_CYCLE_1)
	s_and_not1_b32 vcc_lo, exec_lo, s3
	s_cbranch_vccnz .LBB42_2955
; %bb.2946:
	s_wait_xcnt 0x0
	v_cvt_f32_f64_e32 v1, v[8:9]
	s_mov_b32 s3, exec_lo
                                        ; implicit-def: $vgpr4
	s_delay_alu instid0(VALU_DEP_1) | instskip(NEXT) | instid1(VALU_DEP_1)
	v_and_b32_e32 v5, 0x7fffffff, v1
	v_cmpx_gt_u32_e32 0x47800000, v5
	s_xor_b32 s3, exec_lo, s3
	s_cbranch_execz .LBB42_2952
; %bb.2947:
	s_mov_b32 s6, exec_lo
                                        ; implicit-def: $vgpr4
	v_cmpx_lt_u32_e32 0x387fffff, v5
	s_xor_b32 s6, exec_lo, s6
; %bb.2948:
	v_bfe_u32 v4, v1, 21, 1
	s_delay_alu instid0(VALU_DEP_1) | instskip(NEXT) | instid1(VALU_DEP_1)
	v_add3_u32 v4, v1, v4, 0x80fffff
	v_lshrrev_b32_e32 v4, 21, v4
; %bb.2949:
	s_and_not1_saveexec_b32 s6, s6
; %bb.2950:
	v_add_f32_e64 v4, 0x43000000, |v1|
; %bb.2951:
	s_or_b32 exec_lo, exec_lo, s6
                                        ; implicit-def: $vgpr5
.LBB42_2952:
	s_and_not1_saveexec_b32 s3, s3
; %bb.2953:
	v_mov_b32_e32 v4, 0x7f
	v_cmp_lt_u32_e32 vcc_lo, 0x7f800000, v5
	s_delay_alu instid0(VALU_DEP_2)
	v_cndmask_b32_e32 v4, 0x7c, v4, vcc_lo
; %bb.2954:
	s_or_b32 exec_lo, exec_lo, s3
	v_lshrrev_b32_e32 v1, 24, v1
	s_delay_alu instid0(VALU_DEP_1)
	v_and_or_b32 v1, 0x80, v1, v4
	global_store_b8 v[2:3], v1, off
.LBB42_2955:
	s_mov_b32 s3, 0
	s_mov_b32 s6, -1
.LBB42_2956:
	s_and_not1_b32 vcc_lo, exec_lo, s3
	s_mov_b32 s3, 0
	s_cbranch_vccnz .LBB42_2963
; %bb.2957:
	s_cmp_gt_i32 s2, 14
	s_mov_b32 s3, -1
	s_cbranch_scc0 .LBB42_2961
; %bb.2958:
	s_cmp_eq_u32 s2, 15
	s_mov_b32 s0, -1
	s_cbranch_scc0 .LBB42_2960
; %bb.2959:
	s_wait_xcnt 0x0
	v_cvt_f32_f64_e32 v1, v[8:9]
	s_mov_b32 s0, 0
	s_mov_b32 s6, -1
	s_delay_alu instid0(VALU_DEP_1) | instskip(SKIP_1) | instid1(VALU_DEP_2)
	v_bfe_u32 v4, v1, 16, 1
	v_cmp_o_f32_e32 vcc_lo, v1, v1
	v_add3_u32 v4, v1, v4, 0x7fff
	s_delay_alu instid0(VALU_DEP_1) | instskip(NEXT) | instid1(VALU_DEP_1)
	v_lshrrev_b32_e32 v4, 16, v4
	v_cndmask_b32_e32 v1, 0x7fc0, v4, vcc_lo
	global_store_b16 v[2:3], v1, off
.LBB42_2960:
	s_mov_b32 s3, 0
.LBB42_2961:
	s_delay_alu instid0(SALU_CYCLE_1)
	s_and_b32 vcc_lo, exec_lo, s3
	s_mov_b32 s3, 0
	s_cbranch_vccz .LBB42_2963
; %bb.2962:
	s_cmp_lg_u32 s2, 11
	s_mov_b32 s3, -1
	s_cselect_b32 s0, -1, 0
.LBB42_2963:
	s_delay_alu instid0(SALU_CYCLE_1)
	s_and_b32 vcc_lo, exec_lo, s0
	s_cbranch_vccnz .LBB42_3099
; %bb.2964:
	s_and_not1_b32 vcc_lo, exec_lo, s3
	s_cbranch_vccnz .LBB42_2966
.LBB42_2965:
	v_cmp_neq_f64_e32 vcc_lo, 0, v[8:9]
	s_mov_b32 s6, -1
	s_wait_xcnt 0x0
	v_cndmask_b32_e64 v1, 0, 1, vcc_lo
	global_store_b8 v[2:3], v1, off
.LBB42_2966:
	s_mov_b32 s0, 0
	s_branch .LBB42_2968
.LBB42_2967:
	s_mov_b32 s0, -1
	s_mov_b32 s6, 0
.LBB42_2968:
	s_and_b32 vcc_lo, exec_lo, s0
	s_cbranch_vccz .LBB42_3007
; %bb.2969:
	s_and_b32 s0, 0xffff, s20
	s_mov_b32 s2, -1
	s_cmp_lt_i32 s0, 5
	s_cbranch_scc1 .LBB42_2990
; %bb.2970:
	s_cmp_lt_i32 s0, 8
	s_cbranch_scc1 .LBB42_2980
; %bb.2971:
	;; [unrolled: 3-line block ×3, first 2 shown]
	s_cmp_gt_i32 s0, 9
	s_cbranch_scc0 .LBB42_2974
; %bb.2973:
	v_mov_b32_e32 v10, 0
	s_mov_b32 s2, 0
	s_delay_alu instid0(VALU_DEP_1)
	v_mov_b32_e32 v11, v10
	global_store_b128 v[2:3], v[8:11], off
.LBB42_2974:
	s_and_not1_b32 vcc_lo, exec_lo, s2
	s_cbranch_vccnz .LBB42_2976
; %bb.2975:
	s_wait_xcnt 0x0
	v_cvt_f32_f64_e32 v4, v[8:9]
	v_mov_b32_e32 v5, 0
	global_store_b64 v[2:3], v[4:5], off
.LBB42_2976:
	s_mov_b32 s2, 0
.LBB42_2977:
	s_delay_alu instid0(SALU_CYCLE_1)
	s_and_not1_b32 vcc_lo, exec_lo, s2
	s_cbranch_vccnz .LBB42_2979
; %bb.2978:
	s_wait_xcnt 0x0
	v_and_or_b32 v1, 0x1ff, v9, v8
	v_lshrrev_b32_e32 v4, 8, v9
	v_bfe_u32 v5, v9, 20, 11
	s_delay_alu instid0(VALU_DEP_3) | instskip(NEXT) | instid1(VALU_DEP_2)
	v_cmp_ne_u32_e32 vcc_lo, 0, v1
	v_sub_nc_u32_e32 v6, 0x3f1, v5
	v_add_nc_u32_e32 v5, 0xfffffc10, v5
	v_cndmask_b32_e64 v1, 0, 1, vcc_lo
	s_delay_alu instid0(VALU_DEP_1) | instskip(NEXT) | instid1(VALU_DEP_4)
	v_and_or_b32 v1, 0xffe, v4, v1
	v_med3_i32 v4, v6, 0, 13
	s_delay_alu instid0(VALU_DEP_2) | instskip(NEXT) | instid1(VALU_DEP_1)
	v_or_b32_e32 v6, 0x1000, v1
	v_lshrrev_b32_e32 v7, v4, v6
	s_delay_alu instid0(VALU_DEP_1) | instskip(NEXT) | instid1(VALU_DEP_1)
	v_lshlrev_b32_e32 v4, v4, v7
	v_cmp_ne_u32_e32 vcc_lo, v4, v6
	v_lshl_or_b32 v6, v5, 12, v1
	v_cndmask_b32_e64 v4, 0, 1, vcc_lo
	v_cmp_gt_i32_e32 vcc_lo, 1, v5
	s_delay_alu instid0(VALU_DEP_2) | instskip(NEXT) | instid1(VALU_DEP_1)
	v_or_b32_e32 v4, v7, v4
	v_cndmask_b32_e32 v4, v6, v4, vcc_lo
	s_delay_alu instid0(VALU_DEP_1) | instskip(NEXT) | instid1(VALU_DEP_1)
	v_dual_lshrrev_b32 v4, 2, v4 :: v_dual_bitop2_b32 v6, 7, v4 bitop3:0x40
	v_cmp_lt_i32_e32 vcc_lo, 5, v6
	v_cndmask_b32_e64 v7, 0, 1, vcc_lo
	v_cmp_eq_u32_e32 vcc_lo, 3, v6
	v_cndmask_b32_e64 v6, 0, 1, vcc_lo
	v_cmp_ne_u32_e32 vcc_lo, 0, v1
	s_delay_alu instid0(VALU_DEP_2) | instskip(NEXT) | instid1(VALU_DEP_1)
	v_or_b32_e32 v6, v6, v7
	v_dual_mov_b32 v7, 0x7e00 :: v_dual_add_nc_u32 v4, v4, v6
	s_delay_alu instid0(VALU_DEP_1) | instskip(SKIP_2) | instid1(VALU_DEP_4)
	v_cndmask_b32_e32 v1, 0x7c00, v7, vcc_lo
	v_cmp_gt_i32_e32 vcc_lo, 31, v5
	v_lshrrev_b32_e32 v6, 16, v9
	v_cndmask_b32_e32 v4, 0x7c00, v4, vcc_lo
	v_cmp_eq_u32_e32 vcc_lo, 0x40f, v5
	s_delay_alu instid0(VALU_DEP_2) | instskip(NEXT) | instid1(VALU_DEP_4)
	v_cndmask_b32_e32 v1, v4, v1, vcc_lo
	v_and_b32_e32 v4, 0x8000, v6
	s_delay_alu instid0(VALU_DEP_1)
	v_bitop3_b32 v1, v4, 0xffff, v1 bitop3:0xc8
	global_store_b32 v[2:3], v1, off
.LBB42_2979:
	s_mov_b32 s2, 0
.LBB42_2980:
	s_delay_alu instid0(SALU_CYCLE_1)
	s_and_not1_b32 vcc_lo, exec_lo, s2
	s_cbranch_vccnz .LBB42_2989
; %bb.2981:
	s_cmp_lt_i32 s0, 6
	s_mov_b32 s2, -1
	s_cbranch_scc1 .LBB42_2987
; %bb.2982:
	s_cmp_gt_i32 s0, 6
	s_cbranch_scc0 .LBB42_2984
; %bb.2983:
	s_mov_b32 s2, 0
	global_store_b64 v[2:3], v[8:9], off
.LBB42_2984:
	s_and_not1_b32 vcc_lo, exec_lo, s2
	s_cbranch_vccnz .LBB42_2986
; %bb.2985:
	s_wait_xcnt 0x0
	v_cvt_f32_f64_e32 v1, v[8:9]
	global_store_b32 v[2:3], v1, off
.LBB42_2986:
	s_mov_b32 s2, 0
.LBB42_2987:
	s_delay_alu instid0(SALU_CYCLE_1)
	s_and_not1_b32 vcc_lo, exec_lo, s2
	s_cbranch_vccnz .LBB42_2989
; %bb.2988:
	s_wait_xcnt 0x0
	v_and_or_b32 v1, 0x1ff, v9, v8
	v_lshrrev_b32_e32 v4, 8, v9
	v_bfe_u32 v5, v9, 20, 11
	s_delay_alu instid0(VALU_DEP_3) | instskip(NEXT) | instid1(VALU_DEP_2)
	v_cmp_ne_u32_e32 vcc_lo, 0, v1
	v_sub_nc_u32_e32 v6, 0x3f1, v5
	v_add_nc_u32_e32 v5, 0xfffffc10, v5
	v_cndmask_b32_e64 v1, 0, 1, vcc_lo
	s_delay_alu instid0(VALU_DEP_1) | instskip(NEXT) | instid1(VALU_DEP_4)
	v_and_or_b32 v1, 0xffe, v4, v1
	v_med3_i32 v4, v6, 0, 13
	s_delay_alu instid0(VALU_DEP_2) | instskip(NEXT) | instid1(VALU_DEP_1)
	v_or_b32_e32 v6, 0x1000, v1
	v_lshrrev_b32_e32 v7, v4, v6
	s_delay_alu instid0(VALU_DEP_1) | instskip(NEXT) | instid1(VALU_DEP_1)
	v_lshlrev_b32_e32 v4, v4, v7
	v_cmp_ne_u32_e32 vcc_lo, v4, v6
	v_lshl_or_b32 v6, v5, 12, v1
	v_cndmask_b32_e64 v4, 0, 1, vcc_lo
	v_cmp_gt_i32_e32 vcc_lo, 1, v5
	s_delay_alu instid0(VALU_DEP_2) | instskip(NEXT) | instid1(VALU_DEP_1)
	v_or_b32_e32 v4, v7, v4
	v_cndmask_b32_e32 v4, v6, v4, vcc_lo
	s_delay_alu instid0(VALU_DEP_1) | instskip(NEXT) | instid1(VALU_DEP_1)
	v_dual_lshrrev_b32 v4, 2, v4 :: v_dual_bitop2_b32 v6, 7, v4 bitop3:0x40
	v_cmp_lt_i32_e32 vcc_lo, 5, v6
	v_cndmask_b32_e64 v7, 0, 1, vcc_lo
	v_cmp_eq_u32_e32 vcc_lo, 3, v6
	v_cndmask_b32_e64 v6, 0, 1, vcc_lo
	v_cmp_ne_u32_e32 vcc_lo, 0, v1
	s_delay_alu instid0(VALU_DEP_2) | instskip(NEXT) | instid1(VALU_DEP_1)
	v_or_b32_e32 v6, v6, v7
	v_dual_mov_b32 v7, 0x7e00 :: v_dual_add_nc_u32 v4, v4, v6
	s_delay_alu instid0(VALU_DEP_1) | instskip(SKIP_1) | instid1(VALU_DEP_3)
	v_cndmask_b32_e32 v1, 0x7c00, v7, vcc_lo
	v_cmp_gt_i32_e32 vcc_lo, 31, v5
	v_cndmask_b32_e32 v4, 0x7c00, v4, vcc_lo
	v_cmp_eq_u32_e32 vcc_lo, 0x40f, v5
	s_delay_alu instid0(VALU_DEP_2) | instskip(SKIP_1) | instid1(VALU_DEP_1)
	v_cndmask_b32_e32 v1, v4, v1, vcc_lo
	v_lshrrev_b32_e32 v4, 16, v9
	v_and_or_b32 v1, 0x8000, v4, v1
	global_store_b16 v[2:3], v1, off
.LBB42_2989:
	s_mov_b32 s2, 0
.LBB42_2990:
	s_delay_alu instid0(SALU_CYCLE_1)
	s_and_not1_b32 vcc_lo, exec_lo, s2
	s_cbranch_vccnz .LBB42_3006
; %bb.2991:
	s_cmp_lt_i32 s0, 2
	s_mov_b32 s2, -1
	s_cbranch_scc1 .LBB42_3001
; %bb.2992:
	s_cmp_lt_i32 s0, 3
	s_cbranch_scc1 .LBB42_2998
; %bb.2993:
	s_cmp_gt_i32 s0, 3
	s_cbranch_scc0 .LBB42_2995
; %bb.2994:
	s_wait_xcnt 0x0
	v_trunc_f64_e32 v[4:5], v[8:9]
	s_mov_b32 s2, 0
	s_delay_alu instid0(VALU_DEP_1) | instskip(NEXT) | instid1(VALU_DEP_1)
	v_ldexp_f64 v[6:7], v[4:5], 0xffffffe0
	v_floor_f64_e32 v[6:7], v[6:7]
	s_delay_alu instid0(VALU_DEP_1) | instskip(SKIP_1) | instid1(VALU_DEP_2)
	v_fmamk_f64 v[4:5], v[6:7], 0xc1f00000, v[4:5]
	v_cvt_i32_f64_e32 v7, v[6:7]
	v_cvt_u32_f64_e32 v6, v[4:5]
	global_store_b64 v[2:3], v[6:7], off
.LBB42_2995:
	s_and_not1_b32 vcc_lo, exec_lo, s2
	s_cbranch_vccnz .LBB42_2997
; %bb.2996:
	s_wait_xcnt 0x0
	v_cvt_i32_f64_e32 v1, v[8:9]
	global_store_b32 v[2:3], v1, off
.LBB42_2997:
	s_mov_b32 s2, 0
.LBB42_2998:
	s_delay_alu instid0(SALU_CYCLE_1)
	s_and_not1_b32 vcc_lo, exec_lo, s2
	s_cbranch_vccnz .LBB42_3000
; %bb.2999:
	s_wait_xcnt 0x0
	v_cvt_i32_f64_e32 v1, v[8:9]
	global_store_b16 v[2:3], v1, off
.LBB42_3000:
	s_mov_b32 s2, 0
.LBB42_3001:
	s_delay_alu instid0(SALU_CYCLE_1)
	s_and_not1_b32 vcc_lo, exec_lo, s2
	s_cbranch_vccnz .LBB42_3006
; %bb.3002:
	s_cmp_gt_i32 s0, 0
	s_mov_b32 s0, -1
	s_cbranch_scc0 .LBB42_3004
; %bb.3003:
	s_wait_xcnt 0x0
	v_cvt_i32_f64_e32 v1, v[8:9]
	s_mov_b32 s0, 0
	global_store_b8 v[2:3], v1, off
.LBB42_3004:
	s_and_not1_b32 vcc_lo, exec_lo, s0
	s_cbranch_vccnz .LBB42_3006
; %bb.3005:
	s_wait_xcnt 0x0
	v_trunc_f64_e32 v[4:5], v[8:9]
	s_delay_alu instid0(VALU_DEP_1) | instskip(NEXT) | instid1(VALU_DEP_1)
	v_ldexp_f64 v[6:7], v[4:5], 0xffffffe0
	v_floor_f64_e32 v[6:7], v[6:7]
	s_delay_alu instid0(VALU_DEP_1) | instskip(NEXT) | instid1(VALU_DEP_1)
	v_fmamk_f64 v[4:5], v[6:7], 0xc1f00000, v[4:5]
	v_cvt_u32_f64_e32 v1, v[4:5]
	global_store_b8 v[2:3], v1, off
.LBB42_3006:
	s_mov_b32 s6, -1
.LBB42_3007:
	s_delay_alu instid0(SALU_CYCLE_1)
	s_and_not1_b32 vcc_lo, exec_lo, s6
	s_cbranch_vccnz .LBB42_3084
; %bb.3008:
	v_add_nc_u32_e32 v0, s1, v0
	s_cmp_lt_i32 s20, 11
	s_wait_xcnt 0x0
	s_delay_alu instid0(VALU_DEP_1) | instskip(NEXT) | instid1(VALU_DEP_1)
	v_ashrrev_i32_e32 v1, 31, v0
	v_add_nc_u64_e32 v[0:1], s[4:5], v[0:1]
	s_cbranch_scc1 .LBB42_3085
; %bb.3009:
	s_and_b32 s1, 0xffff, s20
	s_mov_b32 s3, -1
	s_mov_b32 s2, 0
	s_cmp_gt_i32 s1, 25
	s_mov_b32 s0, 0
	s_cbranch_scc0 .LBB42_3042
; %bb.3010:
	s_cmp_gt_i32 s1, 28
	s_cbranch_scc0 .LBB42_3026
; %bb.3011:
	s_cmp_gt_i32 s1, 43
	;; [unrolled: 3-line block ×3, first 2 shown]
	s_cbranch_scc0 .LBB42_3016
; %bb.3013:
	s_cmp_eq_u32 s1, 46
	s_mov_b32 s0, -1
	s_cbranch_scc0 .LBB42_3015
; %bb.3014:
	v_cvt_f32_f64_e32 v2, v[12:13]
	s_mov_b32 s0, 0
	s_delay_alu instid0(VALU_DEP_1) | instskip(SKIP_1) | instid1(VALU_DEP_2)
	v_bfe_u32 v3, v2, 16, 1
	v_cmp_o_f32_e32 vcc_lo, v2, v2
	v_add3_u32 v3, v2, v3, 0x7fff
	s_delay_alu instid0(VALU_DEP_1) | instskip(NEXT) | instid1(VALU_DEP_1)
	v_lshrrev_b32_e32 v3, 16, v3
	v_cndmask_b32_e32 v2, 0x7fc0, v3, vcc_lo
	global_store_b32 v[0:1], v2, off
.LBB42_3015:
	s_mov_b32 s3, 0
.LBB42_3016:
	s_delay_alu instid0(SALU_CYCLE_1)
	s_and_b32 vcc_lo, exec_lo, s3
	s_cbranch_vccz .LBB42_3021
; %bb.3017:
	s_cmp_eq_u32 s1, 44
	s_mov_b32 s0, -1
	s_cbranch_scc0 .LBB42_3021
; %bb.3018:
	s_wait_xcnt 0x0
	v_cvt_f32_f64_e32 v2, v[12:13]
	v_mov_b32_e32 v3, 0xff
	s_mov_b32 s3, exec_lo
	s_delay_alu instid0(VALU_DEP_2) | instskip(NEXT) | instid1(VALU_DEP_1)
	v_bfe_u32 v4, v2, 23, 8
	v_cmpx_ne_u32_e32 0xff, v4
	s_cbranch_execz .LBB42_3020
; %bb.3019:
	v_and_b32_e32 v3, 0x400000, v2
	v_and_or_b32 v4, 0x3fffff, v2, v4
	v_lshrrev_b32_e32 v2, 23, v2
	s_delay_alu instid0(VALU_DEP_3) | instskip(NEXT) | instid1(VALU_DEP_3)
	v_cmp_ne_u32_e32 vcc_lo, 0, v3
	v_cmp_ne_u32_e64 s0, 0, v4
	s_and_b32 s0, vcc_lo, s0
	s_delay_alu instid0(SALU_CYCLE_1) | instskip(NEXT) | instid1(VALU_DEP_1)
	v_cndmask_b32_e64 v3, 0, 1, s0
	v_add_nc_u32_e32 v3, v2, v3
.LBB42_3020:
	s_or_b32 exec_lo, exec_lo, s3
	s_mov_b32 s0, 0
	global_store_b8 v[0:1], v3, off
.LBB42_3021:
	s_mov_b32 s3, 0
.LBB42_3022:
	s_delay_alu instid0(SALU_CYCLE_1)
	s_and_b32 vcc_lo, exec_lo, s3
	s_cbranch_vccz .LBB42_3025
; %bb.3023:
	s_cmp_eq_u32 s1, 29
	s_mov_b32 s0, -1
	s_cbranch_scc0 .LBB42_3025
; %bb.3024:
	s_wait_xcnt 0x0
	v_trunc_f64_e32 v[2:3], v[12:13]
	s_mov_b32 s0, 0
	s_delay_alu instid0(VALU_DEP_1) | instskip(NEXT) | instid1(VALU_DEP_1)
	v_ldexp_f64 v[4:5], v[2:3], 0xffffffe0
	v_floor_f64_e32 v[4:5], v[4:5]
	s_delay_alu instid0(VALU_DEP_1) | instskip(SKIP_1) | instid1(VALU_DEP_2)
	v_fmamk_f64 v[2:3], v[4:5], 0xc1f00000, v[2:3]
	v_cvt_u32_f64_e32 v5, v[4:5]
	v_cvt_u32_f64_e32 v4, v[2:3]
	global_store_b64 v[0:1], v[4:5], off
.LBB42_3025:
	s_mov_b32 s3, 0
.LBB42_3026:
	s_delay_alu instid0(SALU_CYCLE_1)
	s_and_b32 vcc_lo, exec_lo, s3
	s_cbranch_vccz .LBB42_3041
; %bb.3027:
	s_cmp_lt_i32 s1, 27
	s_mov_b32 s3, -1
	s_cbranch_scc1 .LBB42_3033
; %bb.3028:
	s_wait_xcnt 0x0
	v_cvt_u32_f64_e32 v2, v[12:13]
	s_cmp_gt_i32 s1, 27
	s_cbranch_scc0 .LBB42_3030
; %bb.3029:
	s_mov_b32 s3, 0
	global_store_b32 v[0:1], v2, off
.LBB42_3030:
	s_and_not1_b32 vcc_lo, exec_lo, s3
	s_cbranch_vccnz .LBB42_3032
; %bb.3031:
	global_store_b16 v[0:1], v2, off
.LBB42_3032:
	s_mov_b32 s3, 0
.LBB42_3033:
	s_delay_alu instid0(SALU_CYCLE_1)
	s_and_not1_b32 vcc_lo, exec_lo, s3
	s_cbranch_vccnz .LBB42_3041
; %bb.3034:
	s_wait_xcnt 0x0
	v_cvt_f32_f64_e32 v2, v[12:13]
	v_mov_b32_e32 v4, 0x80
	s_mov_b32 s3, exec_lo
	s_delay_alu instid0(VALU_DEP_2) | instskip(NEXT) | instid1(VALU_DEP_1)
	v_and_b32_e32 v3, 0x7fffffff, v2
	v_cmpx_gt_u32_e32 0x43800000, v3
	s_cbranch_execz .LBB42_3040
; %bb.3035:
	v_cmp_lt_u32_e32 vcc_lo, 0x3bffffff, v3
	s_mov_b32 s4, 0
                                        ; implicit-def: $vgpr3
	s_and_saveexec_b32 s5, vcc_lo
	s_delay_alu instid0(SALU_CYCLE_1)
	s_xor_b32 s5, exec_lo, s5
	s_cbranch_execz .LBB42_3102
; %bb.3036:
	v_bfe_u32 v3, v2, 20, 1
	s_mov_b32 s4, exec_lo
	s_delay_alu instid0(VALU_DEP_1) | instskip(NEXT) | instid1(VALU_DEP_1)
	v_add3_u32 v3, v2, v3, 0x487ffff
	v_lshrrev_b32_e32 v3, 20, v3
	s_and_not1_saveexec_b32 s5, s5
	s_cbranch_execnz .LBB42_3103
.LBB42_3037:
	s_or_b32 exec_lo, exec_lo, s5
	v_mov_b32_e32 v4, 0
	s_and_saveexec_b32 s5, s4
.LBB42_3038:
	v_lshrrev_b32_e32 v2, 24, v2
	s_delay_alu instid0(VALU_DEP_1)
	v_and_or_b32 v4, 0x80, v2, v3
.LBB42_3039:
	s_or_b32 exec_lo, exec_lo, s5
.LBB42_3040:
	s_delay_alu instid0(SALU_CYCLE_1)
	s_or_b32 exec_lo, exec_lo, s3
	global_store_b8 v[0:1], v4, off
.LBB42_3041:
	s_mov_b32 s3, 0
.LBB42_3042:
	s_delay_alu instid0(SALU_CYCLE_1)
	s_and_b32 vcc_lo, exec_lo, s3
	s_cbranch_vccz .LBB42_3082
; %bb.3043:
	s_cmp_gt_i32 s1, 22
	s_mov_b32 s2, -1
	s_cbranch_scc0 .LBB42_3075
; %bb.3044:
	s_cmp_lt_i32 s1, 24
	s_cbranch_scc1 .LBB42_3064
; %bb.3045:
	s_cmp_gt_i32 s1, 24
	s_cbranch_scc0 .LBB42_3053
; %bb.3046:
	s_wait_xcnt 0x0
	v_cvt_f32_f64_e32 v2, v[12:13]
	v_mov_b32_e32 v4, 0x80
	s_mov_b32 s2, exec_lo
	s_delay_alu instid0(VALU_DEP_2) | instskip(NEXT) | instid1(VALU_DEP_1)
	v_and_b32_e32 v3, 0x7fffffff, v2
	v_cmpx_gt_u32_e32 0x47800000, v3
	s_cbranch_execz .LBB42_3052
; %bb.3047:
	v_cmp_lt_u32_e32 vcc_lo, 0x37ffffff, v3
	s_mov_b32 s3, 0
                                        ; implicit-def: $vgpr3
	s_and_saveexec_b32 s4, vcc_lo
	s_delay_alu instid0(SALU_CYCLE_1)
	s_xor_b32 s4, exec_lo, s4
	s_cbranch_execz .LBB42_3105
; %bb.3048:
	v_bfe_u32 v3, v2, 21, 1
	s_mov_b32 s3, exec_lo
	s_delay_alu instid0(VALU_DEP_1) | instskip(NEXT) | instid1(VALU_DEP_1)
	v_add3_u32 v3, v2, v3, 0x88fffff
	v_lshrrev_b32_e32 v3, 21, v3
	s_and_not1_saveexec_b32 s4, s4
	s_cbranch_execnz .LBB42_3106
.LBB42_3049:
	s_or_b32 exec_lo, exec_lo, s4
	v_mov_b32_e32 v4, 0
	s_and_saveexec_b32 s4, s3
.LBB42_3050:
	v_lshrrev_b32_e32 v2, 24, v2
	s_delay_alu instid0(VALU_DEP_1)
	v_and_or_b32 v4, 0x80, v2, v3
.LBB42_3051:
	s_or_b32 exec_lo, exec_lo, s4
.LBB42_3052:
	s_delay_alu instid0(SALU_CYCLE_1)
	s_or_b32 exec_lo, exec_lo, s2
	s_mov_b32 s2, 0
	global_store_b8 v[0:1], v4, off
.LBB42_3053:
	s_and_b32 vcc_lo, exec_lo, s2
	s_cbranch_vccz .LBB42_3063
; %bb.3054:
	s_wait_xcnt 0x0
	v_cvt_f32_f64_e32 v2, v[12:13]
	s_mov_b32 s2, exec_lo
                                        ; implicit-def: $vgpr3
	s_delay_alu instid0(VALU_DEP_1) | instskip(NEXT) | instid1(VALU_DEP_1)
	v_and_b32_e32 v4, 0x7fffffff, v2
	v_cmpx_gt_u32_e32 0x43f00000, v4
	s_xor_b32 s2, exec_lo, s2
	s_cbranch_execz .LBB42_3060
; %bb.3055:
	s_mov_b32 s3, exec_lo
                                        ; implicit-def: $vgpr3
	v_cmpx_lt_u32_e32 0x3c7fffff, v4
	s_xor_b32 s3, exec_lo, s3
; %bb.3056:
	v_bfe_u32 v3, v2, 20, 1
	s_delay_alu instid0(VALU_DEP_1) | instskip(NEXT) | instid1(VALU_DEP_1)
	v_add3_u32 v3, v2, v3, 0x407ffff
	v_and_b32_e32 v4, 0xff00000, v3
	v_lshrrev_b32_e32 v3, 20, v3
	s_delay_alu instid0(VALU_DEP_2) | instskip(NEXT) | instid1(VALU_DEP_2)
	v_cmp_ne_u32_e32 vcc_lo, 0x7f00000, v4
	v_cndmask_b32_e32 v3, 0x7e, v3, vcc_lo
; %bb.3057:
	s_and_not1_saveexec_b32 s3, s3
; %bb.3058:
	v_add_f32_e64 v3, 0x46800000, |v2|
; %bb.3059:
	s_or_b32 exec_lo, exec_lo, s3
                                        ; implicit-def: $vgpr4
.LBB42_3060:
	s_and_not1_saveexec_b32 s2, s2
; %bb.3061:
	v_mov_b32_e32 v3, 0x7f
	v_cmp_lt_u32_e32 vcc_lo, 0x7f800000, v4
	s_delay_alu instid0(VALU_DEP_2)
	v_cndmask_b32_e32 v3, 0x7e, v3, vcc_lo
; %bb.3062:
	s_or_b32 exec_lo, exec_lo, s2
	v_lshrrev_b32_e32 v2, 24, v2
	s_delay_alu instid0(VALU_DEP_1)
	v_and_or_b32 v2, 0x80, v2, v3
	global_store_b8 v[0:1], v2, off
.LBB42_3063:
	s_mov_b32 s2, 0
.LBB42_3064:
	s_delay_alu instid0(SALU_CYCLE_1)
	s_and_not1_b32 vcc_lo, exec_lo, s2
	s_cbranch_vccnz .LBB42_3074
; %bb.3065:
	s_wait_xcnt 0x0
	v_cvt_f32_f64_e32 v2, v[12:13]
	s_mov_b32 s2, exec_lo
                                        ; implicit-def: $vgpr3
	s_delay_alu instid0(VALU_DEP_1) | instskip(NEXT) | instid1(VALU_DEP_1)
	v_and_b32_e32 v4, 0x7fffffff, v2
	v_cmpx_gt_u32_e32 0x47800000, v4
	s_xor_b32 s2, exec_lo, s2
	s_cbranch_execz .LBB42_3071
; %bb.3066:
	s_mov_b32 s3, exec_lo
                                        ; implicit-def: $vgpr3
	v_cmpx_lt_u32_e32 0x387fffff, v4
	s_xor_b32 s3, exec_lo, s3
; %bb.3067:
	v_bfe_u32 v3, v2, 21, 1
	s_delay_alu instid0(VALU_DEP_1) | instskip(NEXT) | instid1(VALU_DEP_1)
	v_add3_u32 v3, v2, v3, 0x80fffff
	v_lshrrev_b32_e32 v3, 21, v3
; %bb.3068:
	s_and_not1_saveexec_b32 s3, s3
; %bb.3069:
	v_add_f32_e64 v3, 0x43000000, |v2|
; %bb.3070:
	s_or_b32 exec_lo, exec_lo, s3
                                        ; implicit-def: $vgpr4
.LBB42_3071:
	s_and_not1_saveexec_b32 s2, s2
; %bb.3072:
	v_mov_b32_e32 v3, 0x7f
	v_cmp_lt_u32_e32 vcc_lo, 0x7f800000, v4
	s_delay_alu instid0(VALU_DEP_2)
	v_cndmask_b32_e32 v3, 0x7c, v3, vcc_lo
; %bb.3073:
	s_or_b32 exec_lo, exec_lo, s2
	v_lshrrev_b32_e32 v2, 24, v2
	s_delay_alu instid0(VALU_DEP_1)
	v_and_or_b32 v2, 0x80, v2, v3
	global_store_b8 v[0:1], v2, off
.LBB42_3074:
	s_mov_b32 s2, 0
.LBB42_3075:
	s_delay_alu instid0(SALU_CYCLE_1)
	s_and_not1_b32 vcc_lo, exec_lo, s2
	s_mov_b32 s2, 0
	s_cbranch_vccnz .LBB42_3082
; %bb.3076:
	s_cmp_gt_i32 s1, 14
	s_mov_b32 s2, -1
	s_cbranch_scc0 .LBB42_3080
; %bb.3077:
	s_cmp_eq_u32 s1, 15
	s_mov_b32 s0, -1
	s_cbranch_scc0 .LBB42_3079
; %bb.3078:
	s_wait_xcnt 0x0
	v_cvt_f32_f64_e32 v2, v[12:13]
	s_mov_b32 s0, 0
	s_delay_alu instid0(VALU_DEP_1) | instskip(SKIP_1) | instid1(VALU_DEP_2)
	v_bfe_u32 v3, v2, 16, 1
	v_cmp_o_f32_e32 vcc_lo, v2, v2
	v_add3_u32 v3, v2, v3, 0x7fff
	s_delay_alu instid0(VALU_DEP_1) | instskip(NEXT) | instid1(VALU_DEP_1)
	v_lshrrev_b32_e32 v3, 16, v3
	v_cndmask_b32_e32 v2, 0x7fc0, v3, vcc_lo
	global_store_b16 v[0:1], v2, off
.LBB42_3079:
	s_mov_b32 s2, 0
.LBB42_3080:
	s_delay_alu instid0(SALU_CYCLE_1)
	s_and_b32 vcc_lo, exec_lo, s2
	s_mov_b32 s2, 0
	s_cbranch_vccz .LBB42_3082
; %bb.3081:
	s_cmp_lg_u32 s1, 11
	s_mov_b32 s2, -1
	s_cselect_b32 s0, -1, 0
.LBB42_3082:
	s_delay_alu instid0(SALU_CYCLE_1)
	s_and_b32 vcc_lo, exec_lo, s0
	s_cbranch_vccnz .LBB42_3104
.LBB42_3083:
	s_mov_b32 s0, 0
	s_branch .LBB42_2685
.LBB42_3084:
	s_mov_b32 s0, 0
	s_mov_b32 s2, 0
                                        ; implicit-def: $sgpr20
                                        ; implicit-def: $vgpr0_vgpr1
	s_branch .LBB42_2685
.LBB42_3085:
	s_mov_b32 s2, 0
	s_mov_b32 s0, -1
	s_branch .LBB42_2685
.LBB42_3086:
	s_or_b32 s16, s16, exec_lo
	s_trap 2
	s_cbranch_execz .LBB42_2552
	s_branch .LBB42_2553
.LBB42_3087:
	s_and_not1_saveexec_b32 s7, s7
	s_cbranch_execz .LBB42_2634
.LBB42_3088:
	v_add_f32_e64 v3, 0x46000000, |v2|
	s_and_not1_b32 s6, s6, exec_lo
	s_delay_alu instid0(VALU_DEP_1) | instskip(NEXT) | instid1(VALU_DEP_1)
	v_and_b32_e32 v3, 0xff, v3
	v_cmp_ne_u32_e32 vcc_lo, 0, v3
	s_and_b32 s8, vcc_lo, exec_lo
	s_delay_alu instid0(SALU_CYCLE_1)
	s_or_b32 s6, s6, s8
	s_or_b32 exec_lo, exec_lo, s7
	v_mov_b32_e32 v7, 0
	s_and_saveexec_b32 s7, s6
	s_cbranch_execnz .LBB42_2635
	s_branch .LBB42_2636
.LBB42_3089:
	s_or_b32 s16, s16, exec_lo
	s_trap 2
	s_cbranch_execz .LBB42_2682
	s_branch .LBB42_2683
.LBB42_3090:
	s_and_not1_saveexec_b32 s6, s6
	s_cbranch_execz .LBB42_2647
.LBB42_3091:
	v_add_f32_e64 v3, 0x42800000, |v2|
	s_and_not1_b32 s3, s3, exec_lo
	s_delay_alu instid0(VALU_DEP_1) | instskip(NEXT) | instid1(VALU_DEP_1)
	v_and_b32_e32 v3, 0xff, v3
	v_cmp_ne_u32_e32 vcc_lo, 0, v3
	s_and_b32 s7, vcc_lo, exec_lo
	s_delay_alu instid0(SALU_CYCLE_1)
	s_or_b32 s3, s3, s7
	s_or_b32 exec_lo, exec_lo, s6
	v_mov_b32_e32 v7, 0
	s_and_saveexec_b32 s6, s3
	s_cbranch_execnz .LBB42_2648
	s_branch .LBB42_2649
.LBB42_3092:
	s_and_not1_saveexec_b32 s8, s8
	s_cbranch_execz .LBB42_2798
.LBB42_3093:
	v_add_f32_e64 v6, 0x46000000, |v1|
	s_and_not1_b32 s7, s7, exec_lo
	s_delay_alu instid0(VALU_DEP_1) | instskip(NEXT) | instid1(VALU_DEP_1)
	v_and_b32_e32 v6, 0xff, v6
	v_cmp_ne_u32_e32 vcc_lo, 0, v6
	s_and_b32 s9, vcc_lo, exec_lo
	s_delay_alu instid0(SALU_CYCLE_1)
	s_or_b32 s7, s7, s9
	s_or_b32 exec_lo, exec_lo, s8
	v_mov_b32_e32 v7, 0
	s_and_saveexec_b32 s8, s7
	s_cbranch_execnz .LBB42_2799
	s_branch .LBB42_2800
.LBB42_3094:
	s_or_b32 s16, s16, exec_lo
	s_trap 2
	s_cbranch_execz .LBB42_2846
	s_branch .LBB42_2847
.LBB42_3095:
	s_and_not1_saveexec_b32 s7, s7
	s_cbranch_execz .LBB42_2811
.LBB42_3096:
	v_add_f32_e64 v6, 0x42800000, |v1|
	s_and_not1_b32 s6, s6, exec_lo
	s_delay_alu instid0(VALU_DEP_1) | instskip(NEXT) | instid1(VALU_DEP_1)
	v_and_b32_e32 v6, 0xff, v6
	v_cmp_ne_u32_e32 vcc_lo, 0, v6
	s_and_b32 s8, vcc_lo, exec_lo
	s_delay_alu instid0(SALU_CYCLE_1)
	s_or_b32 s6, s6, s8
	s_or_b32 exec_lo, exec_lo, s7
	v_mov_b32_e32 v7, 0
	s_and_saveexec_b32 s7, s6
	s_cbranch_execnz .LBB42_2812
	s_branch .LBB42_2813
.LBB42_3097:
	s_and_not1_saveexec_b32 s8, s8
	s_cbranch_execz .LBB42_2917
.LBB42_3098:
	v_add_f32_e64 v4, 0x46000000, |v1|
	s_and_not1_b32 s7, s7, exec_lo
	s_delay_alu instid0(VALU_DEP_1) | instskip(NEXT) | instid1(VALU_DEP_1)
	v_and_b32_e32 v4, 0xff, v4
	v_cmp_ne_u32_e32 vcc_lo, 0, v4
	s_and_b32 s9, vcc_lo, exec_lo
	s_delay_alu instid0(SALU_CYCLE_1)
	s_or_b32 s7, s7, s9
	s_or_b32 exec_lo, exec_lo, s8
	v_mov_b32_e32 v5, 0
	s_and_saveexec_b32 s8, s7
	s_cbranch_execnz .LBB42_2918
	s_branch .LBB42_2919
.LBB42_3099:
	s_or_b32 s16, s16, exec_lo
	s_trap 2
	s_cbranch_execz .LBB42_2965
	s_branch .LBB42_2966
.LBB42_3100:
	s_and_not1_saveexec_b32 s7, s7
	s_cbranch_execz .LBB42_2930
.LBB42_3101:
	v_add_f32_e64 v4, 0x42800000, |v1|
	s_and_not1_b32 s6, s6, exec_lo
	s_delay_alu instid0(VALU_DEP_1) | instskip(NEXT) | instid1(VALU_DEP_1)
	v_and_b32_e32 v4, 0xff, v4
	v_cmp_ne_u32_e32 vcc_lo, 0, v4
	s_and_b32 s8, vcc_lo, exec_lo
	s_delay_alu instid0(SALU_CYCLE_1)
	s_or_b32 s6, s6, s8
	s_or_b32 exec_lo, exec_lo, s7
	v_mov_b32_e32 v5, 0
	s_and_saveexec_b32 s7, s6
	s_cbranch_execnz .LBB42_2931
	s_branch .LBB42_2932
.LBB42_3102:
	s_and_not1_saveexec_b32 s5, s5
	s_cbranch_execz .LBB42_3037
.LBB42_3103:
	v_add_f32_e64 v3, 0x46000000, |v2|
	s_and_not1_b32 s4, s4, exec_lo
	s_delay_alu instid0(VALU_DEP_1) | instskip(NEXT) | instid1(VALU_DEP_1)
	v_and_b32_e32 v3, 0xff, v3
	v_cmp_ne_u32_e32 vcc_lo, 0, v3
	s_and_b32 s6, vcc_lo, exec_lo
	s_delay_alu instid0(SALU_CYCLE_1)
	s_or_b32 s4, s4, s6
	s_or_b32 exec_lo, exec_lo, s5
	v_mov_b32_e32 v4, 0
	s_and_saveexec_b32 s5, s4
	s_cbranch_execnz .LBB42_3038
	s_branch .LBB42_3039
.LBB42_3104:
	s_mov_b32 s2, 0
	s_or_b32 s16, s16, exec_lo
	s_trap 2
	s_branch .LBB42_3083
.LBB42_3105:
	s_and_not1_saveexec_b32 s4, s4
	s_cbranch_execz .LBB42_3049
.LBB42_3106:
	v_add_f32_e64 v3, 0x42800000, |v2|
	s_and_not1_b32 s3, s3, exec_lo
	s_delay_alu instid0(VALU_DEP_1) | instskip(NEXT) | instid1(VALU_DEP_1)
	v_and_b32_e32 v3, 0xff, v3
	v_cmp_ne_u32_e32 vcc_lo, 0, v3
	s_and_b32 s5, vcc_lo, exec_lo
	s_delay_alu instid0(SALU_CYCLE_1)
	s_or_b32 s3, s3, s5
	s_or_b32 exec_lo, exec_lo, s4
	v_mov_b32_e32 v4, 0
	s_and_saveexec_b32 s4, s3
	s_cbranch_execnz .LBB42_3050
	s_branch .LBB42_3051
	.section	.rodata,"a",@progbits
	.p2align	6, 0x0
	.amdhsa_kernel _ZN2at6native32elementwise_kernel_manual_unrollILi128ELi4EZNS0_15gpu_kernel_implIZZZNS0_12_GLOBAL__N_124softplus_backward_kernelERNS_18TensorIteratorBaseERKN3c106ScalarES9_ENKUlvE_clEvENKUlvE_clEvEUlddE_EEvS5_RKT_EUlibE_EEviT1_
		.amdhsa_group_segment_fixed_size 0
		.amdhsa_private_segment_fixed_size 0
		.amdhsa_kernarg_size 72
		.amdhsa_user_sgpr_count 2
		.amdhsa_user_sgpr_dispatch_ptr 0
		.amdhsa_user_sgpr_queue_ptr 0
		.amdhsa_user_sgpr_kernarg_segment_ptr 1
		.amdhsa_user_sgpr_dispatch_id 0
		.amdhsa_user_sgpr_kernarg_preload_length 0
		.amdhsa_user_sgpr_kernarg_preload_offset 0
		.amdhsa_user_sgpr_private_segment_size 0
		.amdhsa_wavefront_size32 1
		.amdhsa_uses_dynamic_stack 0
		.amdhsa_enable_private_segment 0
		.amdhsa_system_sgpr_workgroup_id_x 1
		.amdhsa_system_sgpr_workgroup_id_y 0
		.amdhsa_system_sgpr_workgroup_id_z 0
		.amdhsa_system_sgpr_workgroup_info 0
		.amdhsa_system_vgpr_workitem_id 0
		.amdhsa_next_free_vgpr 22
		.amdhsa_next_free_sgpr 39
		.amdhsa_named_barrier_count 0
		.amdhsa_reserve_vcc 1
		.amdhsa_float_round_mode_32 0
		.amdhsa_float_round_mode_16_64 0
		.amdhsa_float_denorm_mode_32 3
		.amdhsa_float_denorm_mode_16_64 3
		.amdhsa_fp16_overflow 0
		.amdhsa_memory_ordered 1
		.amdhsa_forward_progress 1
		.amdhsa_inst_pref_size 255
		.amdhsa_round_robin_scheduling 0
		.amdhsa_exception_fp_ieee_invalid_op 0
		.amdhsa_exception_fp_denorm_src 0
		.amdhsa_exception_fp_ieee_div_zero 0
		.amdhsa_exception_fp_ieee_overflow 0
		.amdhsa_exception_fp_ieee_underflow 0
		.amdhsa_exception_fp_ieee_inexact 0
		.amdhsa_exception_int_div_zero 0
	.end_amdhsa_kernel
	.section	.text._ZN2at6native32elementwise_kernel_manual_unrollILi128ELi4EZNS0_15gpu_kernel_implIZZZNS0_12_GLOBAL__N_124softplus_backward_kernelERNS_18TensorIteratorBaseERKN3c106ScalarES9_ENKUlvE_clEvENKUlvE_clEvEUlddE_EEvS5_RKT_EUlibE_EEviT1_,"axG",@progbits,_ZN2at6native32elementwise_kernel_manual_unrollILi128ELi4EZNS0_15gpu_kernel_implIZZZNS0_12_GLOBAL__N_124softplus_backward_kernelERNS_18TensorIteratorBaseERKN3c106ScalarES9_ENKUlvE_clEvENKUlvE_clEvEUlddE_EEvS5_RKT_EUlibE_EEviT1_,comdat
.Lfunc_end42:
	.size	_ZN2at6native32elementwise_kernel_manual_unrollILi128ELi4EZNS0_15gpu_kernel_implIZZZNS0_12_GLOBAL__N_124softplus_backward_kernelERNS_18TensorIteratorBaseERKN3c106ScalarES9_ENKUlvE_clEvENKUlvE_clEvEUlddE_EEvS5_RKT_EUlibE_EEviT1_, .Lfunc_end42-_ZN2at6native32elementwise_kernel_manual_unrollILi128ELi4EZNS0_15gpu_kernel_implIZZZNS0_12_GLOBAL__N_124softplus_backward_kernelERNS_18TensorIteratorBaseERKN3c106ScalarES9_ENKUlvE_clEvENKUlvE_clEvEUlddE_EEvS5_RKT_EUlibE_EEviT1_
                                        ; -- End function
	.set _ZN2at6native32elementwise_kernel_manual_unrollILi128ELi4EZNS0_15gpu_kernel_implIZZZNS0_12_GLOBAL__N_124softplus_backward_kernelERNS_18TensorIteratorBaseERKN3c106ScalarES9_ENKUlvE_clEvENKUlvE_clEvEUlddE_EEvS5_RKT_EUlibE_EEviT1_.num_vgpr, 22
	.set _ZN2at6native32elementwise_kernel_manual_unrollILi128ELi4EZNS0_15gpu_kernel_implIZZZNS0_12_GLOBAL__N_124softplus_backward_kernelERNS_18TensorIteratorBaseERKN3c106ScalarES9_ENKUlvE_clEvENKUlvE_clEvEUlddE_EEvS5_RKT_EUlibE_EEviT1_.num_agpr, 0
	.set _ZN2at6native32elementwise_kernel_manual_unrollILi128ELi4EZNS0_15gpu_kernel_implIZZZNS0_12_GLOBAL__N_124softplus_backward_kernelERNS_18TensorIteratorBaseERKN3c106ScalarES9_ENKUlvE_clEvENKUlvE_clEvEUlddE_EEvS5_RKT_EUlibE_EEviT1_.numbered_sgpr, 39
	.set _ZN2at6native32elementwise_kernel_manual_unrollILi128ELi4EZNS0_15gpu_kernel_implIZZZNS0_12_GLOBAL__N_124softplus_backward_kernelERNS_18TensorIteratorBaseERKN3c106ScalarES9_ENKUlvE_clEvENKUlvE_clEvEUlddE_EEvS5_RKT_EUlibE_EEviT1_.num_named_barrier, 0
	.set _ZN2at6native32elementwise_kernel_manual_unrollILi128ELi4EZNS0_15gpu_kernel_implIZZZNS0_12_GLOBAL__N_124softplus_backward_kernelERNS_18TensorIteratorBaseERKN3c106ScalarES9_ENKUlvE_clEvENKUlvE_clEvEUlddE_EEvS5_RKT_EUlibE_EEviT1_.private_seg_size, 0
	.set _ZN2at6native32elementwise_kernel_manual_unrollILi128ELi4EZNS0_15gpu_kernel_implIZZZNS0_12_GLOBAL__N_124softplus_backward_kernelERNS_18TensorIteratorBaseERKN3c106ScalarES9_ENKUlvE_clEvENKUlvE_clEvEUlddE_EEvS5_RKT_EUlibE_EEviT1_.uses_vcc, 1
	.set _ZN2at6native32elementwise_kernel_manual_unrollILi128ELi4EZNS0_15gpu_kernel_implIZZZNS0_12_GLOBAL__N_124softplus_backward_kernelERNS_18TensorIteratorBaseERKN3c106ScalarES9_ENKUlvE_clEvENKUlvE_clEvEUlddE_EEvS5_RKT_EUlibE_EEviT1_.uses_flat_scratch, 0
	.set _ZN2at6native32elementwise_kernel_manual_unrollILi128ELi4EZNS0_15gpu_kernel_implIZZZNS0_12_GLOBAL__N_124softplus_backward_kernelERNS_18TensorIteratorBaseERKN3c106ScalarES9_ENKUlvE_clEvENKUlvE_clEvEUlddE_EEvS5_RKT_EUlibE_EEviT1_.has_dyn_sized_stack, 0
	.set _ZN2at6native32elementwise_kernel_manual_unrollILi128ELi4EZNS0_15gpu_kernel_implIZZZNS0_12_GLOBAL__N_124softplus_backward_kernelERNS_18TensorIteratorBaseERKN3c106ScalarES9_ENKUlvE_clEvENKUlvE_clEvEUlddE_EEvS5_RKT_EUlibE_EEviT1_.has_recursion, 0
	.set _ZN2at6native32elementwise_kernel_manual_unrollILi128ELi4EZNS0_15gpu_kernel_implIZZZNS0_12_GLOBAL__N_124softplus_backward_kernelERNS_18TensorIteratorBaseERKN3c106ScalarES9_ENKUlvE_clEvENKUlvE_clEvEUlddE_EEvS5_RKT_EUlibE_EEviT1_.has_indirect_call, 0
	.section	.AMDGPU.csdata,"",@progbits
; Kernel info:
; codeLenInByte = 63748
; TotalNumSgprs: 41
; NumVgprs: 22
; ScratchSize: 0
; MemoryBound: 1
; FloatMode: 240
; IeeeMode: 1
; LDSByteSize: 0 bytes/workgroup (compile time only)
; SGPRBlocks: 0
; VGPRBlocks: 1
; NumSGPRsForWavesPerEU: 41
; NumVGPRsForWavesPerEU: 22
; NamedBarCnt: 0
; Occupancy: 16
; WaveLimiterHint : 0
; COMPUTE_PGM_RSRC2:SCRATCH_EN: 0
; COMPUTE_PGM_RSRC2:USER_SGPR: 2
; COMPUTE_PGM_RSRC2:TRAP_HANDLER: 0
; COMPUTE_PGM_RSRC2:TGID_X_EN: 1
; COMPUTE_PGM_RSRC2:TGID_Y_EN: 0
; COMPUTE_PGM_RSRC2:TGID_Z_EN: 0
; COMPUTE_PGM_RSRC2:TIDIG_COMP_CNT: 0
	.section	.text._ZN2at6native32elementwise_kernel_manual_unrollILi128ELi4EZNS0_15gpu_kernel_implIZZZNS0_12_GLOBAL__N_124softplus_backward_kernelERNS_18TensorIteratorBaseERKN3c106ScalarES9_ENKUlvE_clEvENKUlvE_clEvEUlddE_EEvS5_RKT_EUlibE0_EEviT1_,"axG",@progbits,_ZN2at6native32elementwise_kernel_manual_unrollILi128ELi4EZNS0_15gpu_kernel_implIZZZNS0_12_GLOBAL__N_124softplus_backward_kernelERNS_18TensorIteratorBaseERKN3c106ScalarES9_ENKUlvE_clEvENKUlvE_clEvEUlddE_EEvS5_RKT_EUlibE0_EEviT1_,comdat
	.globl	_ZN2at6native32elementwise_kernel_manual_unrollILi128ELi4EZNS0_15gpu_kernel_implIZZZNS0_12_GLOBAL__N_124softplus_backward_kernelERNS_18TensorIteratorBaseERKN3c106ScalarES9_ENKUlvE_clEvENKUlvE_clEvEUlddE_EEvS5_RKT_EUlibE0_EEviT1_ ; -- Begin function _ZN2at6native32elementwise_kernel_manual_unrollILi128ELi4EZNS0_15gpu_kernel_implIZZZNS0_12_GLOBAL__N_124softplus_backward_kernelERNS_18TensorIteratorBaseERKN3c106ScalarES9_ENKUlvE_clEvENKUlvE_clEvEUlddE_EEvS5_RKT_EUlibE0_EEviT1_
	.p2align	8
	.type	_ZN2at6native32elementwise_kernel_manual_unrollILi128ELi4EZNS0_15gpu_kernel_implIZZZNS0_12_GLOBAL__N_124softplus_backward_kernelERNS_18TensorIteratorBaseERKN3c106ScalarES9_ENKUlvE_clEvENKUlvE_clEvEUlddE_EEvS5_RKT_EUlibE0_EEviT1_,@function
_ZN2at6native32elementwise_kernel_manual_unrollILi128ELi4EZNS0_15gpu_kernel_implIZZZNS0_12_GLOBAL__N_124softplus_backward_kernelERNS_18TensorIteratorBaseERKN3c106ScalarES9_ENKUlvE_clEvENKUlvE_clEvEUlddE_EEvS5_RKT_EUlibE0_EEviT1_: ; @_ZN2at6native32elementwise_kernel_manual_unrollILi128ELi4EZNS0_15gpu_kernel_implIZZZNS0_12_GLOBAL__N_124softplus_backward_kernelERNS_18TensorIteratorBaseERKN3c106ScalarES9_ENKUlvE_clEvENKUlvE_clEvEUlddE_EEvS5_RKT_EUlibE0_EEviT1_
; %bb.0:
	s_clause 0x1
	s_load_b32 s23, s[0:1], 0x8
	s_load_b32 s40, s[0:1], 0x0
	s_bfe_u32 s2, ttmp6, 0x4000c
	s_and_b32 s3, ttmp6, 15
	s_add_co_i32 s2, s2, 1
	s_getreg_b32 s4, hwreg(HW_REG_IB_STS2, 6, 4)
	s_mul_i32 s2, ttmp9, s2
	s_mov_b32 s34, 0
	s_add_co_i32 s3, s3, s2
	s_cmp_eq_u32 s4, 0
	s_mov_b32 s46, -1
	s_cselect_b32 s2, ttmp9, s3
	s_mov_b32 s14, 0
	v_lshl_or_b32 v4, s2, 9, v0
	s_add_nc_u64 s[2:3], s[0:1], 8
	s_wait_xcnt 0x0
	s_mov_b32 s0, exec_lo
	s_delay_alu instid0(VALU_DEP_1) | instskip(SKIP_2) | instid1(SALU_CYCLE_1)
	v_or_b32_e32 v3, 0x180, v4
	s_wait_kmcnt 0x0
	s_add_co_i32 s33, s23, -1
	s_cmp_gt_u32 s33, 1
	s_cselect_b32 s35, -1, 0
	v_cmpx_le_i32_e64 s40, v3
	s_xor_b32 s36, exec_lo, s0
	s_cbranch_execz .LBB43_1601
; %bb.1:
	s_clause 0x5
	s_load_b128 s[12:15], s[2:3], 0x4
	s_load_b64 s[0:1], s[2:3], 0x14
	s_load_b96 s[20:22], s[2:3], 0x1a8
	s_load_b128 s[16:19], s[2:3], 0xc4
	s_load_b64 s[26:27], s[2:3], 0xd4
	s_load_b256 s[4:11], s[2:3], 0x188
	s_cmp_lg_u32 s23, 0
	s_mov_b32 s25, 0
	s_cselect_b32 s41, -1, 0
	s_min_u32 s39, s33, 15
	s_cmp_gt_u32 s23, 1
	s_mov_b32 s29, s25
	s_mov_b32 s44, s25
	;; [unrolled: 1-line block ×3, first 2 shown]
	s_cselect_b32 s38, -1, 0
	s_mov_b32 s42, s25
	s_mov_b32 s45, exec_lo
	s_wait_kmcnt 0x0
	s_mov_b32 s24, s13
	s_mov_b32 s28, s0
	s_lshr_b32 s37, s22, 8
	s_lshr_b32 s13, s22, 16
	v_cmpx_gt_i32_e64 s40, v4
	s_cbranch_execz .LBB43_395
; %bb.2:
	s_and_not1_b32 vcc_lo, exec_lo, s35
	s_cbranch_vccnz .LBB43_8
; %bb.3:
	s_and_not1_b32 vcc_lo, exec_lo, s41
	s_cbranch_vccnz .LBB43_9
; %bb.4:
	v_dual_mov_b32 v2, 0 :: v_dual_mov_b32 v1, v4
	v_dual_mov_b32 v0, 0 :: v_dual_mov_b32 v6, 0
	s_add_co_i32 s0, s39, 1
	s_mov_b64 s[30:31], 0xffffffffffffffe8
	s_and_b32 s0, s0, 30
	s_add_nc_u64 s[30:31], s[2:3], s[30:31]
.LBB43_5:                               ; =>This Inner Loop Header: Depth=1
	s_clause 0x3
	s_load_b128 s[48:51], s[30:31], 0x1c
	s_load_b64 s[42:43], s[30:31], 0x2c
	s_load_b128 s[52:55], s[30:31], 0xdc
	s_load_b64 s[46:47], s[30:31], 0xec
	s_add_co_i32 s0, s0, -2
	s_wait_xcnt 0x0
	s_add_nc_u64 s[30:31], s[30:31], 24
	s_cmp_lg_u32 s0, 0
	s_wait_kmcnt 0x0
	v_mul_hi_u32 v3, s49, v1
	s_delay_alu instid0(VALU_DEP_1) | instskip(NEXT) | instid1(VALU_DEP_1)
	v_add_nc_u32_e32 v3, v1, v3
	v_lshrrev_b32_e32 v3, s50, v3
	s_delay_alu instid0(VALU_DEP_1) | instskip(SKIP_1) | instid1(VALU_DEP_1)
	v_mul_hi_u32 v5, s42, v3
	v_mul_lo_u32 v7, v3, s48
	v_dual_add_nc_u32 v5, v3, v5 :: v_dual_sub_nc_u32 v7, v1, v7
	s_delay_alu instid0(VALU_DEP_1) | instskip(NEXT) | instid1(VALU_DEP_2)
	v_lshrrev_b32_e32 v1, s43, v5
	v_mad_u32 v2, v7, s52, v2
	v_mad_u32 v6, v7, s54, v6
	;; [unrolled: 1-line block ×3, first 2 shown]
	s_delay_alu instid0(VALU_DEP_4) | instskip(NEXT) | instid1(VALU_DEP_1)
	v_mul_lo_u32 v5, v1, s51
	v_sub_nc_u32_e32 v3, v3, v5
	s_delay_alu instid0(VALU_DEP_1)
	v_mad_u32 v2, v3, s55, v2
	v_mad_u32 v6, v3, s47, v6
	;; [unrolled: 1-line block ×3, first 2 shown]
	s_cbranch_scc1 .LBB43_5
; %bb.6:
	s_bitcmp1_b32 s39, 0
	s_cselect_b32 s0, -1, 0
	s_delay_alu instid0(SALU_CYCLE_1)
	s_and_b32 vcc_lo, exec_lo, s0
	s_cbranch_vccnz .LBB43_10
; %bb.7:
	s_clause 0x1
	s_load_b96 s[48:50], s[30:31], 0x1c
	s_load_b96 s[52:54], s[30:31], 0xdc
	s_wait_kmcnt 0x0
	v_mul_hi_u32 v3, s49, v1
	s_delay_alu instid0(VALU_DEP_1) | instskip(NEXT) | instid1(VALU_DEP_1)
	v_add_nc_u32_e32 v3, v1, v3
	v_lshrrev_b32_e32 v3, s50, v3
	s_delay_alu instid0(VALU_DEP_1) | instskip(NEXT) | instid1(VALU_DEP_1)
	v_mul_lo_u32 v3, v3, s48
	v_sub_nc_u32_e32 v1, v1, v3
	s_delay_alu instid0(VALU_DEP_1)
	v_mad_u32 v2, v1, s52, v2
	v_mad_u32 v0, v1, s53, v0
	;; [unrolled: 1-line block ×3, first 2 shown]
	s_cbranch_execz .LBB43_11
	s_branch .LBB43_13
.LBB43_8:
                                        ; implicit-def: $vgpr6
                                        ; implicit-def: $vgpr0
                                        ; implicit-def: $vgpr2
	s_branch .LBB43_11
.LBB43_9:
	v_dual_mov_b32 v6, 0 :: v_dual_mov_b32 v0, 0
	v_mov_b32_e32 v2, 0
.LBB43_10:
	s_cbranch_execnz .LBB43_13
.LBB43_11:
	v_mov_b32_e32 v5, 0
	s_and_not1_b32 vcc_lo, exec_lo, s38
	s_delay_alu instid0(VALU_DEP_1) | instskip(NEXT) | instid1(VALU_DEP_1)
	v_mul_u64_e32 v[0:1], s[24:25], v[4:5]
	v_add_nc_u32_e32 v0, v4, v1
	s_delay_alu instid0(VALU_DEP_1) | instskip(NEXT) | instid1(VALU_DEP_1)
	v_lshrrev_b32_e32 v8, s14, v0
	v_mul_lo_u32 v0, v8, s12
	s_delay_alu instid0(VALU_DEP_1) | instskip(NEXT) | instid1(VALU_DEP_1)
	v_sub_nc_u32_e32 v0, v4, v0
	v_mul_lo_u32 v2, v0, s16
	v_mul_lo_u32 v6, v0, s18
	;; [unrolled: 1-line block ×3, first 2 shown]
	s_cbranch_vccnz .LBB43_13
; %bb.12:
	v_mov_b32_e32 v9, v5
	s_delay_alu instid0(VALU_DEP_1) | instskip(NEXT) | instid1(VALU_DEP_1)
	v_mul_u64_e32 v[10:11], s[28:29], v[8:9]
	v_add_nc_u32_e32 v1, v8, v11
	s_delay_alu instid0(VALU_DEP_1) | instskip(NEXT) | instid1(VALU_DEP_1)
	v_lshrrev_b32_e32 v1, s1, v1
	v_mul_lo_u32 v1, v1, s15
	s_delay_alu instid0(VALU_DEP_1) | instskip(NEXT) | instid1(VALU_DEP_1)
	v_sub_nc_u32_e32 v1, v8, v1
	v_mad_u32 v2, v1, s19, v2
	v_mad_u32 v0, v1, s26, v0
	;; [unrolled: 1-line block ×3, first 2 shown]
.LBB43_13:
	v_mov_b32_e32 v1, 0
	s_and_b32 s0, s37, 0xff
	s_delay_alu instid0(SALU_CYCLE_1) | instskip(NEXT) | instid1(VALU_DEP_1)
	s_cmp_lt_i32 s0, 11
	v_add_nc_u64_e32 v[8:9], s[6:7], v[0:1]
	s_cbranch_scc1 .LBB43_20
; %bb.14:
	s_and_b32 s31, 0xffff, s0
	s_delay_alu instid0(SALU_CYCLE_1)
	s_cmp_gt_i32 s31, 25
	s_cbranch_scc0 .LBB43_29
; %bb.15:
	s_cmp_gt_i32 s31, 28
	s_cbranch_scc0 .LBB43_41
; %bb.16:
	;; [unrolled: 3-line block ×4, first 2 shown]
	s_cmp_eq_u32 s31, 46
	s_mov_b32 s43, 0
	s_cbranch_scc0 .LBB43_50
; %bb.19:
	global_load_b32 v0, v[8:9], off
	s_mov_b32 s42, -1
	s_mov_b32 s30, 0
	s_wait_loadcnt 0x0
	v_lshlrev_b32_e32 v0, 16, v0
	s_delay_alu instid0(VALU_DEP_1)
	v_cvt_f64_f32_e32 v[0:1], v0
	s_branch .LBB43_52
.LBB43_20:
	s_mov_b32 s30, 0
	s_mov_b32 s42, 0
                                        ; implicit-def: $vgpr0_vgpr1
	s_cbranch_execnz .LBB43_118
.LBB43_21:
	s_and_not1_b32 vcc_lo, exec_lo, s42
	s_cbranch_vccnz .LBB43_165
.LBB43_22:
	v_mov_b32_e32 v7, 0
	s_and_b32 s0, s13, 0xff
	s_delay_alu instid0(SALU_CYCLE_1) | instskip(NEXT) | instid1(VALU_DEP_1)
	s_cmp_lt_i32 s0, 11
	v_add_nc_u64_e32 v[6:7], s[8:9], v[6:7]
	s_cbranch_scc1 .LBB43_30
; %bb.23:
	s_and_b32 s42, 0xffff, s0
	s_delay_alu instid0(SALU_CYCLE_1)
	s_cmp_gt_i32 s42, 25
	s_cbranch_scc0 .LBB43_42
; %bb.24:
	s_cmp_gt_i32 s42, 28
	s_cbranch_scc0 .LBB43_45
; %bb.25:
	;; [unrolled: 3-line block ×4, first 2 shown]
	s_cmp_eq_u32 s42, 46
	s_mov_b32 s44, 0
	s_cbranch_scc0 .LBB43_166
; %bb.28:
	global_load_b32 v3, v[6:7], off
	s_mov_b32 s43, -1
	s_mov_b32 s31, 0
	s_wait_loadcnt 0x0
	v_lshlrev_b32_e32 v3, 16, v3
	s_delay_alu instid0(VALU_DEP_1)
	v_cvt_f64_f32_e32 v[8:9], v3
	s_branch .LBB43_168
.LBB43_29:
	s_mov_b32 s30, 0
	s_mov_b32 s42, 0
                                        ; implicit-def: $vgpr0_vgpr1
	s_cbranch_execnz .LBB43_83
	s_branch .LBB43_117
.LBB43_30:
	s_mov_b32 s31, 0
	s_mov_b32 s43, 0
                                        ; implicit-def: $vgpr8_vgpr9
	s_cbranch_execnz .LBB43_344
.LBB43_31:
	s_and_not1_b32 vcc_lo, exec_lo, s43
	s_cbranch_vccnz .LBB43_392
.LBB43_32:
	s_wait_loadcnt 0x0
	s_delay_alu instid0(VALU_DEP_1) | instskip(SKIP_1) | instid1(VALU_DEP_1)
	v_mul_f64_e32 v[6:7], s[10:11], v[8:9]
	s_mov_b32 s42, exec_lo
	v_cmpx_nlt_f64_e32 s[20:21], v[6:7]
	s_cbranch_execz .LBB43_34
; %bb.33:
	v_mul_f64_e32 v[8:9], 0x3ff71547652b82fe, v[6:7]
	s_mov_b64 s[46:47], 0x3e5ade156a5dcb37
	v_cmp_nlt_f64_e32 vcc_lo, 0x40900000, v[6:7]
	v_cmp_ngt_f64_e64 s0, 0xc090cc00, v[6:7]
	s_delay_alu instid0(VALU_DEP_3) | instskip(NEXT) | instid1(VALU_DEP_1)
	v_rndne_f64_e32 v[8:9], v[8:9]
	v_fmamk_f64 v[10:11], v[8:9], 0xbfe62e42fefa39ef, v[6:7]
	v_cvt_i32_f64_e32 v3, v[8:9]
	s_delay_alu instid0(VALU_DEP_2) | instskip(NEXT) | instid1(VALU_DEP_1)
	v_fmamk_f64 v[10:11], v[8:9], 0xbc7abc9e3b39803f, v[10:11]
	v_fmaak_f64 v[12:13], s[46:47], v[10:11], 0x3e928af3fca7ab0c
	s_delay_alu instid0(VALU_DEP_1) | instskip(NEXT) | instid1(VALU_DEP_1)
	v_fmaak_f64 v[12:13], v[10:11], v[12:13], 0x3ec71dee623fde64
	v_fmaak_f64 v[12:13], v[10:11], v[12:13], 0x3efa01997c89e6b0
	s_delay_alu instid0(VALU_DEP_1) | instskip(NEXT) | instid1(VALU_DEP_1)
	v_fmaak_f64 v[12:13], v[10:11], v[12:13], 0x3f2a01a014761f6e
	;; [unrolled: 3-line block ×4, first 2 shown]
	v_fmaak_f64 v[12:13], v[10:11], v[12:13], 0x3fe000000000000b
	s_delay_alu instid0(VALU_DEP_1) | instskip(NEXT) | instid1(VALU_DEP_1)
	v_fma_f64 v[12:13], v[10:11], v[12:13], 1.0
	v_fma_f64 v[8:9], v[10:11], v[12:13], 1.0
	s_delay_alu instid0(VALU_DEP_1) | instskip(NEXT) | instid1(VALU_DEP_1)
	v_ldexp_f64 v[8:9], v[8:9], v3
	v_cndmask_b32_e32 v3, 0x7ff00000, v9, vcc_lo
	s_and_b32 vcc_lo, s0, vcc_lo
	s_delay_alu instid0(VALU_DEP_1) | instid1(SALU_CYCLE_1)
	v_dual_cndmask_b32 v6, 0, v8, vcc_lo :: v_dual_cndmask_b32 v7, 0, v3, s0
	s_delay_alu instid0(VALU_DEP_1) | instskip(SKIP_1) | instid1(VALU_DEP_1)
	v_mul_f64_e32 v[0:1], v[0:1], v[6:7]
	v_add_f64_e32 v[6:7], 1.0, v[6:7]
	v_div_scale_f64 v[8:9], null, v[6:7], v[6:7], v[0:1]
	s_delay_alu instid0(VALU_DEP_1) | instskip(SKIP_1) | instid1(TRANS32_DEP_1)
	v_rcp_f64_e32 v[10:11], v[8:9]
	v_nop
	v_fma_f64 v[12:13], -v[8:9], v[10:11], 1.0
	s_delay_alu instid0(VALU_DEP_1) | instskip(NEXT) | instid1(VALU_DEP_1)
	v_fmac_f64_e32 v[10:11], v[10:11], v[12:13]
	v_fma_f64 v[12:13], -v[8:9], v[10:11], 1.0
	s_delay_alu instid0(VALU_DEP_1) | instskip(SKIP_1) | instid1(VALU_DEP_1)
	v_fmac_f64_e32 v[10:11], v[10:11], v[12:13]
	v_div_scale_f64 v[12:13], vcc_lo, v[0:1], v[6:7], v[0:1]
	v_mul_f64_e32 v[14:15], v[12:13], v[10:11]
	s_delay_alu instid0(VALU_DEP_1) | instskip(NEXT) | instid1(VALU_DEP_1)
	v_fma_f64 v[8:9], -v[8:9], v[14:15], v[12:13]
	v_div_fmas_f64 v[8:9], v[8:9], v[10:11], v[14:15]
	s_delay_alu instid0(VALU_DEP_1)
	v_div_fixup_f64 v[0:1], v[8:9], v[6:7], v[0:1]
.LBB43_34:
	s_or_b32 exec_lo, exec_lo, s42
	v_mov_b32_e32 v3, 0
	s_and_b32 s42, s22, 0xff
	s_delay_alu instid0(SALU_CYCLE_1) | instskip(NEXT) | instid1(VALU_DEP_1)
	s_cmp_lt_i32 s42, 11
	v_add_nc_u64_e32 v[6:7], s[4:5], v[2:3]
	s_cbranch_scc1 .LBB43_43
; %bb.35:
	s_and_b32 s43, 0xffff, s42
	s_delay_alu instid0(SALU_CYCLE_1)
	s_cmp_gt_i32 s43, 25
	s_cbranch_scc0 .LBB43_46
; %bb.36:
	s_cmp_gt_i32 s43, 28
	s_cbranch_scc0 .LBB43_49
; %bb.37:
	s_cmp_gt_i32 s43, 43
	s_cbranch_scc0 .LBB43_56
; %bb.38:
	s_cmp_gt_i32 s43, 45
	s_cbranch_scc0 .LBB43_171
; %bb.39:
	s_mov_b32 s46, 0
	s_mov_b32 s0, -1
	s_cmp_eq_u32 s43, 46
	s_mov_b32 s44, 0
	s_cbranch_scc0 .LBB43_172
; %bb.40:
	s_delay_alu instid0(VALU_DEP_3) | instskip(SKIP_2) | instid1(VALU_DEP_1)
	v_cvt_f32_f64_e32 v2, v[0:1]
	s_mov_b32 s44, -1
	s_mov_b32 s0, 0
	v_bfe_u32 v3, v2, 16, 1
	v_cmp_o_f32_e32 vcc_lo, v2, v2
	s_delay_alu instid0(VALU_DEP_2) | instskip(NEXT) | instid1(VALU_DEP_1)
	v_add3_u32 v3, v2, v3, 0x7fff
	v_lshrrev_b32_e32 v3, 16, v3
	s_delay_alu instid0(VALU_DEP_1)
	v_cndmask_b32_e32 v2, 0x7fc0, v3, vcc_lo
	global_store_b32 v[6:7], v2, off
	s_branch .LBB43_172
.LBB43_41:
	s_mov_b32 s43, -1
	s_mov_b32 s30, 0
	s_mov_b32 s42, 0
                                        ; implicit-def: $vgpr0_vgpr1
	s_branch .LBB43_64
.LBB43_42:
	s_mov_b32 s44, -1
	s_mov_b32 s31, 0
	s_mov_b32 s43, 0
                                        ; implicit-def: $vgpr8_vgpr9
	s_branch .LBB43_308
.LBB43_43:
	s_mov_b32 s43, -1
	s_mov_b32 s0, 0
	s_mov_b32 s44, 0
	s_branch .LBB43_241
.LBB43_44:
	s_mov_b32 s43, -1
	s_mov_b32 s30, 0
	s_mov_b32 s42, 0
                                        ; implicit-def: $vgpr0_vgpr1
	s_branch .LBB43_59
.LBB43_45:
	s_mov_b32 s44, -1
	s_mov_b32 s31, 0
	s_mov_b32 s43, 0
                                        ; implicit-def: $vgpr8_vgpr9
	s_branch .LBB43_289
.LBB43_46:
	s_mov_b32 s46, -1
	s_mov_b32 s0, 0
	s_mov_b32 s44, 0
	s_branch .LBB43_199
.LBB43_47:
	s_mov_b32 s43, -1
	s_mov_b32 s30, 0
	s_branch .LBB43_51
.LBB43_48:
	s_mov_b32 s44, -1
	s_mov_b32 s31, 0
	s_mov_b32 s43, 0
                                        ; implicit-def: $vgpr8_vgpr9
	s_branch .LBB43_284
.LBB43_49:
	s_mov_b32 s46, -1
	s_mov_b32 s0, 0
	s_mov_b32 s44, 0
	s_branch .LBB43_182
.LBB43_50:
	s_mov_b32 s30, -1
.LBB43_51:
	s_mov_b32 s42, 0
                                        ; implicit-def: $vgpr0_vgpr1
.LBB43_52:
	s_and_b32 vcc_lo, exec_lo, s43
	s_cbranch_vccz .LBB43_58
; %bb.53:
	s_cmp_eq_u32 s31, 44
	s_cbranch_scc0 .LBB43_57
; %bb.54:
	global_load_u8 v3, v[8:9], off
	s_mov_b32 s30, 0
	s_mov_b32 s42, -1
	s_wait_loadcnt 0x0
	v_cmp_ne_u32_e32 vcc_lo, 0xff, v3
	v_lshlrev_b32_e32 v0, 23, v3
	s_delay_alu instid0(VALU_DEP_1) | instskip(NEXT) | instid1(VALU_DEP_1)
	v_cvt_f64_f32_e32 v[0:1], v0
	v_cndmask_b32_e32 v0, 0x20000000, v0, vcc_lo
	s_delay_alu instid0(VALU_DEP_2) | instskip(SKIP_1) | instid1(VALU_DEP_2)
	v_cndmask_b32_e32 v1, 0x7ff80000, v1, vcc_lo
	v_cmp_ne_u32_e32 vcc_lo, 0, v3
	v_cndmask_b32_e32 v1, 0x38000000, v1, vcc_lo
	s_delay_alu instid0(VALU_DEP_4)
	v_cndmask_b32_e32 v0, 0, v0, vcc_lo
	s_branch .LBB43_58
.LBB43_55:
	s_mov_b32 s44, -1
	s_mov_b32 s31, 0
	s_branch .LBB43_167
.LBB43_56:
	s_mov_b32 s46, -1
	s_mov_b32 s0, 0
	s_mov_b32 s44, 0
	s_branch .LBB43_178
.LBB43_57:
	s_mov_b32 s30, -1
                                        ; implicit-def: $vgpr0_vgpr1
.LBB43_58:
	s_mov_b32 s43, 0
.LBB43_59:
	s_delay_alu instid0(SALU_CYCLE_1)
	s_and_b32 vcc_lo, exec_lo, s43
	s_cbranch_vccz .LBB43_63
; %bb.60:
	s_cmp_eq_u32 s31, 29
	s_cbranch_scc0 .LBB43_62
; %bb.61:
	global_load_b64 v[0:1], v[8:9], off
	s_mov_b32 s42, -1
	s_mov_b32 s30, 0
	s_mov_b32 s43, 0
	s_wait_loadcnt 0x0
	v_cvt_f64_u32_e32 v[10:11], v1
	v_cvt_f64_u32_e32 v[0:1], v0
	s_delay_alu instid0(VALU_DEP_2) | instskip(NEXT) | instid1(VALU_DEP_1)
	v_ldexp_f64 v[10:11], v[10:11], 32
	v_add_f64_e32 v[0:1], v[10:11], v[0:1]
	s_branch .LBB43_64
.LBB43_62:
	s_mov_b32 s30, -1
                                        ; implicit-def: $vgpr0_vgpr1
.LBB43_63:
	s_mov_b32 s43, 0
.LBB43_64:
	s_delay_alu instid0(SALU_CYCLE_1)
	s_and_b32 vcc_lo, exec_lo, s43
	s_cbranch_vccz .LBB43_82
; %bb.65:
	s_cmp_lt_i32 s31, 27
	s_cbranch_scc1 .LBB43_68
; %bb.66:
	s_cmp_gt_i32 s31, 27
	s_cbranch_scc0 .LBB43_69
; %bb.67:
	global_load_b32 v0, v[8:9], off
	s_mov_b32 s42, 0
	s_wait_loadcnt 0x0
	v_cvt_f64_u32_e32 v[0:1], v0
	s_branch .LBB43_70
.LBB43_68:
	s_mov_b32 s42, -1
                                        ; implicit-def: $vgpr0_vgpr1
	s_branch .LBB43_73
.LBB43_69:
	s_mov_b32 s42, -1
                                        ; implicit-def: $vgpr0_vgpr1
.LBB43_70:
	s_delay_alu instid0(SALU_CYCLE_1)
	s_and_not1_b32 vcc_lo, exec_lo, s42
	s_cbranch_vccnz .LBB43_72
; %bb.71:
	global_load_u16 v0, v[8:9], off
	s_wait_loadcnt 0x0
	v_cvt_f64_u32_e32 v[0:1], v0
.LBB43_72:
	s_mov_b32 s42, 0
.LBB43_73:
	s_delay_alu instid0(SALU_CYCLE_1)
	s_and_not1_b32 vcc_lo, exec_lo, s42
	s_cbranch_vccnz .LBB43_81
; %bb.74:
	global_load_u8 v3, v[8:9], off
	s_mov_b32 s42, 0
	s_mov_b32 s43, exec_lo
	s_wait_loadcnt 0x0
	v_cmpx_lt_i16_e32 0x7f, v3
	s_xor_b32 s43, exec_lo, s43
	s_cbranch_execz .LBB43_94
; %bb.75:
	s_mov_b32 s42, -1
	s_mov_b32 s44, exec_lo
	v_cmpx_eq_u16_e32 0x80, v3
; %bb.76:
	s_xor_b32 s42, exec_lo, -1
; %bb.77:
	s_or_b32 exec_lo, exec_lo, s44
	s_delay_alu instid0(SALU_CYCLE_1)
	s_and_b32 s42, s42, exec_lo
	s_or_saveexec_b32 s43, s43
	v_mov_b64_e32 v[0:1], 0x7ff8000020000000
	s_xor_b32 exec_lo, exec_lo, s43
	s_cbranch_execnz .LBB43_95
.LBB43_78:
	s_or_b32 exec_lo, exec_lo, s43
	s_and_saveexec_b32 s43, s42
	s_cbranch_execz .LBB43_80
.LBB43_79:
	v_and_b32_e32 v0, 0xffff, v3
	s_delay_alu instid0(VALU_DEP_1) | instskip(SKIP_1) | instid1(VALU_DEP_2)
	v_and_b32_e32 v1, 7, v0
	v_bfe_u32 v10, v0, 3, 4
	v_clz_i32_u32_e32 v5, v1
	s_delay_alu instid0(VALU_DEP_2) | instskip(NEXT) | instid1(VALU_DEP_2)
	v_cmp_eq_u32_e32 vcc_lo, 0, v10
	v_min_u32_e32 v5, 32, v5
	s_delay_alu instid0(VALU_DEP_1) | instskip(NEXT) | instid1(VALU_DEP_1)
	v_subrev_nc_u32_e32 v7, 28, v5
	v_dual_lshlrev_b32 v0, v7, v0 :: v_dual_sub_nc_u32 v5, 29, v5
	s_delay_alu instid0(VALU_DEP_1) | instskip(NEXT) | instid1(VALU_DEP_1)
	v_dual_lshlrev_b32 v3, 24, v3 :: v_dual_bitop2_b32 v0, 7, v0 bitop3:0x40
	v_dual_cndmask_b32 v5, v10, v5 :: v_dual_cndmask_b32 v0, v1, v0
	s_delay_alu instid0(VALU_DEP_2) | instskip(NEXT) | instid1(VALU_DEP_2)
	v_and_b32_e32 v1, 0x80000000, v3
	v_lshl_add_u32 v3, v5, 23, 0x3b800000
	s_delay_alu instid0(VALU_DEP_3) | instskip(NEXT) | instid1(VALU_DEP_1)
	v_lshlrev_b32_e32 v0, 20, v0
	v_or3_b32 v0, v1, v3, v0
	s_delay_alu instid0(VALU_DEP_1)
	v_cvt_f64_f32_e32 v[0:1], v0
.LBB43_80:
	s_or_b32 exec_lo, exec_lo, s43
.LBB43_81:
	s_mov_b32 s42, -1
.LBB43_82:
	s_branch .LBB43_117
.LBB43_83:
	s_cmp_gt_i32 s31, 22
	s_cbranch_scc0 .LBB43_93
; %bb.84:
	s_cmp_lt_i32 s31, 24
	s_cbranch_scc1 .LBB43_96
; %bb.85:
	s_cmp_gt_i32 s31, 24
	s_cbranch_scc0 .LBB43_97
; %bb.86:
	global_load_u8 v3, v[8:9], off
	s_mov_b32 s42, 0
	s_mov_b32 s43, exec_lo
	s_wait_loadcnt 0x0
	v_cmpx_lt_i16_e32 0x7f, v3
	s_xor_b32 s43, exec_lo, s43
	s_cbranch_execz .LBB43_109
; %bb.87:
	s_mov_b32 s42, -1
	s_mov_b32 s44, exec_lo
	v_cmpx_eq_u16_e32 0x80, v3
; %bb.88:
	s_xor_b32 s42, exec_lo, -1
; %bb.89:
	s_or_b32 exec_lo, exec_lo, s44
	s_delay_alu instid0(SALU_CYCLE_1)
	s_and_b32 s42, s42, exec_lo
	s_or_saveexec_b32 s43, s43
	v_mov_b64_e32 v[0:1], 0x7ff8000020000000
	s_xor_b32 exec_lo, exec_lo, s43
	s_cbranch_execnz .LBB43_110
.LBB43_90:
	s_or_b32 exec_lo, exec_lo, s43
	s_and_saveexec_b32 s43, s42
	s_cbranch_execz .LBB43_92
.LBB43_91:
	v_and_b32_e32 v0, 0xffff, v3
	s_delay_alu instid0(VALU_DEP_1) | instskip(SKIP_1) | instid1(VALU_DEP_2)
	v_and_b32_e32 v1, 3, v0
	v_bfe_u32 v10, v0, 2, 5
	v_clz_i32_u32_e32 v5, v1
	s_delay_alu instid0(VALU_DEP_2) | instskip(NEXT) | instid1(VALU_DEP_2)
	v_cmp_eq_u32_e32 vcc_lo, 0, v10
	v_min_u32_e32 v5, 32, v5
	s_delay_alu instid0(VALU_DEP_1) | instskip(NEXT) | instid1(VALU_DEP_1)
	v_subrev_nc_u32_e32 v7, 29, v5
	v_dual_lshlrev_b32 v0, v7, v0 :: v_dual_sub_nc_u32 v5, 30, v5
	s_delay_alu instid0(VALU_DEP_1) | instskip(NEXT) | instid1(VALU_DEP_1)
	v_dual_lshlrev_b32 v3, 24, v3 :: v_dual_bitop2_b32 v0, 3, v0 bitop3:0x40
	v_dual_cndmask_b32 v5, v10, v5 :: v_dual_cndmask_b32 v0, v1, v0
	s_delay_alu instid0(VALU_DEP_2) | instskip(NEXT) | instid1(VALU_DEP_2)
	v_and_b32_e32 v1, 0x80000000, v3
	v_lshl_add_u32 v3, v5, 23, 0x37800000
	s_delay_alu instid0(VALU_DEP_3) | instskip(NEXT) | instid1(VALU_DEP_1)
	v_lshlrev_b32_e32 v0, 21, v0
	v_or3_b32 v0, v1, v3, v0
	s_delay_alu instid0(VALU_DEP_1)
	v_cvt_f64_f32_e32 v[0:1], v0
.LBB43_92:
	s_or_b32 exec_lo, exec_lo, s43
	s_mov_b32 s42, 0
	s_branch .LBB43_98
.LBB43_93:
	s_mov_b32 s43, -1
                                        ; implicit-def: $vgpr0_vgpr1
	s_branch .LBB43_104
.LBB43_94:
	s_or_saveexec_b32 s43, s43
	v_mov_b64_e32 v[0:1], 0x7ff8000020000000
	s_xor_b32 exec_lo, exec_lo, s43
	s_cbranch_execz .LBB43_78
.LBB43_95:
	v_cmp_ne_u16_e32 vcc_lo, 0, v3
	v_mov_b64_e32 v[0:1], 0
	s_and_not1_b32 s42, s42, exec_lo
	s_and_b32 s44, vcc_lo, exec_lo
	s_delay_alu instid0(SALU_CYCLE_1)
	s_or_b32 s42, s42, s44
	s_or_b32 exec_lo, exec_lo, s43
	s_and_saveexec_b32 s43, s42
	s_cbranch_execnz .LBB43_79
	s_branch .LBB43_80
.LBB43_96:
	s_mov_b32 s42, -1
                                        ; implicit-def: $vgpr0_vgpr1
	s_branch .LBB43_101
.LBB43_97:
	s_mov_b32 s42, -1
                                        ; implicit-def: $vgpr0_vgpr1
.LBB43_98:
	s_delay_alu instid0(SALU_CYCLE_1)
	s_and_b32 vcc_lo, exec_lo, s42
	s_cbranch_vccz .LBB43_100
; %bb.99:
	global_load_u8 v0, v[8:9], off
	s_wait_loadcnt 0x0
	v_lshlrev_b32_e32 v0, 24, v0
	s_delay_alu instid0(VALU_DEP_1) | instskip(NEXT) | instid1(VALU_DEP_1)
	v_and_b32_e32 v1, 0x7f000000, v0
	v_clz_i32_u32_e32 v3, v1
	v_add_nc_u32_e32 v7, 0x1000000, v1
	v_cmp_ne_u32_e32 vcc_lo, 0, v1
	s_delay_alu instid0(VALU_DEP_3) | instskip(NEXT) | instid1(VALU_DEP_1)
	v_min_u32_e32 v3, 32, v3
	v_sub_nc_u32_e64 v3, v3, 4 clamp
	s_delay_alu instid0(VALU_DEP_1) | instskip(NEXT) | instid1(VALU_DEP_1)
	v_dual_lshlrev_b32 v5, v3, v1 :: v_dual_lshlrev_b32 v3, 23, v3
	v_lshrrev_b32_e32 v5, 4, v5
	s_delay_alu instid0(VALU_DEP_1) | instskip(SKIP_1) | instid1(VALU_DEP_2)
	v_sub_nc_u32_e32 v3, v5, v3
	v_ashrrev_i32_e32 v5, 8, v7
	v_add_nc_u32_e32 v3, 0x3c000000, v3
	s_delay_alu instid0(VALU_DEP_1) | instskip(NEXT) | instid1(VALU_DEP_1)
	v_and_or_b32 v3, 0x7f800000, v5, v3
	v_cndmask_b32_e32 v1, 0, v3, vcc_lo
	s_delay_alu instid0(VALU_DEP_1) | instskip(NEXT) | instid1(VALU_DEP_1)
	v_and_or_b32 v0, 0x80000000, v0, v1
	v_cvt_f64_f32_e32 v[0:1], v0
.LBB43_100:
	s_mov_b32 s42, 0
.LBB43_101:
	s_delay_alu instid0(SALU_CYCLE_1)
	s_and_not1_b32 vcc_lo, exec_lo, s42
	s_cbranch_vccnz .LBB43_103
; %bb.102:
	global_load_u8 v0, v[8:9], off
	s_wait_loadcnt 0x0
	v_lshlrev_b32_e32 v1, 25, v0
	v_lshlrev_b16 v0, 8, v0
	s_delay_alu instid0(VALU_DEP_1) | instskip(SKIP_1) | instid1(VALU_DEP_2)
	v_and_or_b32 v5, 0x7f00, v0, 0.5
	v_bfe_i32 v0, v0, 0, 16
	v_add_f32_e32 v5, -0.5, v5
	v_lshrrev_b32_e32 v3, 4, v1
	v_cmp_gt_u32_e32 vcc_lo, 0x8000000, v1
	s_delay_alu instid0(VALU_DEP_2) | instskip(NEXT) | instid1(VALU_DEP_1)
	v_or_b32_e32 v3, 0x70000000, v3
	v_mul_f32_e32 v3, 0x7800000, v3
	s_delay_alu instid0(VALU_DEP_1) | instskip(NEXT) | instid1(VALU_DEP_1)
	v_cndmask_b32_e32 v1, v3, v5, vcc_lo
	v_and_or_b32 v0, 0x80000000, v0, v1
	s_delay_alu instid0(VALU_DEP_1)
	v_cvt_f64_f32_e32 v[0:1], v0
.LBB43_103:
	s_mov_b32 s43, 0
	s_mov_b32 s42, -1
.LBB43_104:
	s_and_not1_b32 vcc_lo, exec_lo, s43
	s_cbranch_vccnz .LBB43_117
; %bb.105:
	s_cmp_gt_i32 s31, 14
	s_cbranch_scc0 .LBB43_108
; %bb.106:
	s_cmp_eq_u32 s31, 15
	s_cbranch_scc0 .LBB43_111
; %bb.107:
	global_load_u16 v0, v[8:9], off
	s_mov_b32 s42, -1
	s_mov_b32 s30, 0
	s_wait_loadcnt 0x0
	v_lshlrev_b32_e32 v0, 16, v0
	s_delay_alu instid0(VALU_DEP_1)
	v_cvt_f64_f32_e32 v[0:1], v0
	s_branch .LBB43_112
.LBB43_108:
	s_mov_b32 s43, -1
                                        ; implicit-def: $vgpr0_vgpr1
	s_branch .LBB43_113
.LBB43_109:
	s_or_saveexec_b32 s43, s43
	v_mov_b64_e32 v[0:1], 0x7ff8000020000000
	s_xor_b32 exec_lo, exec_lo, s43
	s_cbranch_execz .LBB43_90
.LBB43_110:
	v_cmp_ne_u16_e32 vcc_lo, 0, v3
	v_mov_b64_e32 v[0:1], 0
	s_and_not1_b32 s42, s42, exec_lo
	s_and_b32 s44, vcc_lo, exec_lo
	s_delay_alu instid0(SALU_CYCLE_1)
	s_or_b32 s42, s42, s44
	s_or_b32 exec_lo, exec_lo, s43
	s_and_saveexec_b32 s43, s42
	s_cbranch_execnz .LBB43_91
	s_branch .LBB43_92
.LBB43_111:
	s_mov_b32 s30, -1
                                        ; implicit-def: $vgpr0_vgpr1
.LBB43_112:
	s_mov_b32 s43, 0
.LBB43_113:
	s_delay_alu instid0(SALU_CYCLE_1)
	s_and_b32 vcc_lo, exec_lo, s43
	s_cbranch_vccz .LBB43_117
; %bb.114:
	s_cmp_eq_u32 s31, 11
	s_cbranch_scc0 .LBB43_116
; %bb.115:
	global_load_u8 v0, v[8:9], off
	s_mov_b32 s30, 0
	s_mov_b32 s42, -1
	s_wait_loadcnt 0x0
	v_cmp_ne_u16_e32 vcc_lo, 0, v0
	v_mov_b32_e32 v0, 0
	v_cndmask_b32_e64 v1, 0, 0x3ff00000, vcc_lo
	s_branch .LBB43_117
.LBB43_116:
	s_mov_b32 s30, -1
                                        ; implicit-def: $vgpr0_vgpr1
.LBB43_117:
	s_branch .LBB43_21
.LBB43_118:
	s_and_b32 s0, 0xffff, s0
	s_delay_alu instid0(SALU_CYCLE_1)
	s_cmp_lt_i32 s0, 5
	s_cbranch_scc1 .LBB43_123
; %bb.119:
	s_cmp_lt_i32 s0, 8
	s_cbranch_scc1 .LBB43_124
; %bb.120:
	;; [unrolled: 3-line block ×3, first 2 shown]
	s_cmp_gt_i32 s0, 9
	s_cbranch_scc0 .LBB43_126
; %bb.122:
	global_load_b64 v[0:1], v[8:9], off
	s_mov_b32 s31, 0
	s_branch .LBB43_127
.LBB43_123:
                                        ; implicit-def: $vgpr0_vgpr1
	s_branch .LBB43_145
.LBB43_124:
	s_mov_b32 s31, -1
                                        ; implicit-def: $vgpr0_vgpr1
	s_branch .LBB43_133
.LBB43_125:
	s_mov_b32 s31, -1
                                        ; implicit-def: $vgpr0_vgpr1
	s_branch .LBB43_130
.LBB43_126:
	s_mov_b32 s31, -1
                                        ; implicit-def: $vgpr0_vgpr1
.LBB43_127:
	s_delay_alu instid0(SALU_CYCLE_1)
	s_and_not1_b32 vcc_lo, exec_lo, s31
	s_cbranch_vccnz .LBB43_129
; %bb.128:
	s_wait_loadcnt 0x0
	global_load_b32 v0, v[8:9], off
	s_wait_loadcnt 0x0
	v_cvt_f64_f32_e32 v[0:1], v0
.LBB43_129:
	s_mov_b32 s31, 0
.LBB43_130:
	s_delay_alu instid0(SALU_CYCLE_1)
	s_and_not1_b32 vcc_lo, exec_lo, s31
	s_cbranch_vccnz .LBB43_132
; %bb.131:
	s_wait_loadcnt 0x0
	global_load_b32 v0, v[8:9], off
	s_wait_loadcnt 0x0
	v_cvt_f32_f16_e32 v0, v0
	s_delay_alu instid0(VALU_DEP_1)
	v_cvt_f64_f32_e32 v[0:1], v0
.LBB43_132:
	s_mov_b32 s31, 0
.LBB43_133:
	s_delay_alu instid0(SALU_CYCLE_1)
	s_and_not1_b32 vcc_lo, exec_lo, s31
	s_cbranch_vccnz .LBB43_144
; %bb.134:
	s_cmp_lt_i32 s0, 6
	s_cbranch_scc1 .LBB43_137
; %bb.135:
	s_cmp_gt_i32 s0, 6
	s_cbranch_scc0 .LBB43_138
; %bb.136:
	s_wait_loadcnt 0x0
	global_load_b64 v[0:1], v[8:9], off
	s_mov_b32 s31, 0
	s_branch .LBB43_139
.LBB43_137:
	s_mov_b32 s31, -1
                                        ; implicit-def: $vgpr0_vgpr1
	s_branch .LBB43_142
.LBB43_138:
	s_mov_b32 s31, -1
                                        ; implicit-def: $vgpr0_vgpr1
.LBB43_139:
	s_delay_alu instid0(SALU_CYCLE_1)
	s_and_not1_b32 vcc_lo, exec_lo, s31
	s_cbranch_vccnz .LBB43_141
; %bb.140:
	s_wait_loadcnt 0x0
	global_load_b32 v0, v[8:9], off
	s_wait_loadcnt 0x0
	v_cvt_f64_f32_e32 v[0:1], v0
.LBB43_141:
	s_mov_b32 s31, 0
.LBB43_142:
	s_delay_alu instid0(SALU_CYCLE_1)
	s_and_not1_b32 vcc_lo, exec_lo, s31
	s_cbranch_vccnz .LBB43_144
; %bb.143:
	s_wait_loadcnt 0x0
	global_load_u16 v0, v[8:9], off
	s_wait_loadcnt 0x0
	v_cvt_f32_f16_e32 v0, v0
	s_delay_alu instid0(VALU_DEP_1)
	v_cvt_f64_f32_e32 v[0:1], v0
.LBB43_144:
	s_cbranch_execnz .LBB43_164
.LBB43_145:
	s_cmp_lt_i32 s0, 2
	s_cbranch_scc1 .LBB43_149
; %bb.146:
	s_cmp_lt_i32 s0, 3
	s_cbranch_scc1 .LBB43_150
; %bb.147:
	s_cmp_gt_i32 s0, 3
	s_cbranch_scc0 .LBB43_151
; %bb.148:
	s_wait_loadcnt 0x0
	global_load_b64 v[0:1], v[8:9], off
	s_mov_b32 s31, 0
	s_wait_loadcnt 0x0
	v_cvt_f64_i32_e32 v[10:11], v1
	v_cvt_f64_u32_e32 v[0:1], v0
	s_delay_alu instid0(VALU_DEP_2) | instskip(NEXT) | instid1(VALU_DEP_1)
	v_ldexp_f64 v[10:11], v[10:11], 32
	v_add_f64_e32 v[0:1], v[10:11], v[0:1]
	s_branch .LBB43_152
.LBB43_149:
	s_mov_b32 s31, -1
                                        ; implicit-def: $vgpr0_vgpr1
	s_branch .LBB43_158
.LBB43_150:
	s_mov_b32 s31, -1
                                        ; implicit-def: $vgpr0_vgpr1
	s_branch .LBB43_155
.LBB43_151:
	s_mov_b32 s31, -1
                                        ; implicit-def: $vgpr0_vgpr1
.LBB43_152:
	s_delay_alu instid0(SALU_CYCLE_1)
	s_and_not1_b32 vcc_lo, exec_lo, s31
	s_cbranch_vccnz .LBB43_154
; %bb.153:
	s_wait_loadcnt 0x0
	global_load_b32 v0, v[8:9], off
	s_wait_loadcnt 0x0
	v_cvt_f64_i32_e32 v[0:1], v0
.LBB43_154:
	s_mov_b32 s31, 0
.LBB43_155:
	s_delay_alu instid0(SALU_CYCLE_1)
	s_and_not1_b32 vcc_lo, exec_lo, s31
	s_cbranch_vccnz .LBB43_157
; %bb.156:
	s_wait_loadcnt 0x0
	global_load_i16 v0, v[8:9], off
	s_wait_loadcnt 0x0
	v_cvt_f64_i32_e32 v[0:1], v0
.LBB43_157:
	s_mov_b32 s31, 0
.LBB43_158:
	s_delay_alu instid0(SALU_CYCLE_1)
	s_and_not1_b32 vcc_lo, exec_lo, s31
	s_cbranch_vccnz .LBB43_164
; %bb.159:
	s_cmp_gt_i32 s0, 0
	s_mov_b32 s0, 0
	s_cbranch_scc0 .LBB43_161
; %bb.160:
	s_wait_loadcnt 0x0
	global_load_i8 v0, v[8:9], off
	s_wait_loadcnt 0x0
	v_cvt_f64_i32_e32 v[0:1], v0
	s_branch .LBB43_162
.LBB43_161:
	s_mov_b32 s0, -1
                                        ; implicit-def: $vgpr0_vgpr1
.LBB43_162:
	s_delay_alu instid0(SALU_CYCLE_1)
	s_and_not1_b32 vcc_lo, exec_lo, s0
	s_cbranch_vccnz .LBB43_164
; %bb.163:
	s_wait_loadcnt 0x0
	global_load_u8 v0, v[8:9], off
	s_wait_loadcnt 0x0
	v_cvt_f64_u32_e32 v[0:1], v0
.LBB43_164:
	s_branch .LBB43_22
.LBB43_165:
	s_mov_b32 s0, 0
	s_mov_b32 s31, 0
	s_branch .LBB43_393
.LBB43_166:
	s_mov_b32 s31, -1
.LBB43_167:
	s_mov_b32 s43, 0
                                        ; implicit-def: $vgpr8_vgpr9
.LBB43_168:
	s_and_b32 vcc_lo, exec_lo, s44
	s_cbranch_vccz .LBB43_283
; %bb.169:
	s_cmp_eq_u32 s42, 44
	s_cbranch_scc0 .LBB43_282
; %bb.170:
	global_load_u8 v3, v[6:7], off
	s_mov_b32 s31, 0
	s_mov_b32 s43, -1
	s_wait_loadcnt 0x0
	v_cmp_ne_u32_e32 vcc_lo, 0xff, v3
	v_lshlrev_b32_e32 v5, 23, v3
	s_delay_alu instid0(VALU_DEP_1) | instskip(NEXT) | instid1(VALU_DEP_1)
	v_cvt_f64_f32_e32 v[8:9], v5
	v_cndmask_b32_e32 v5, 0x20000000, v8, vcc_lo
	s_delay_alu instid0(VALU_DEP_2) | instskip(SKIP_1) | instid1(VALU_DEP_2)
	v_cndmask_b32_e32 v8, 0x7ff80000, v9, vcc_lo
	v_cmp_ne_u32_e32 vcc_lo, 0, v3
	v_cndmask_b32_e32 v9, 0x38000000, v8, vcc_lo
	s_delay_alu instid0(VALU_DEP_4)
	v_cndmask_b32_e32 v8, 0, v5, vcc_lo
	s_branch .LBB43_283
.LBB43_171:
	s_mov_b32 s46, -1
	s_mov_b32 s0, 0
	s_mov_b32 s44, 0
.LBB43_172:
	s_and_b32 vcc_lo, exec_lo, s46
	s_cbranch_vccz .LBB43_177
; %bb.173:
	s_cmp_eq_u32 s43, 44
	s_mov_b32 s0, -1
	s_cbranch_scc0 .LBB43_177
; %bb.174:
	s_wait_xcnt 0x0
	s_delay_alu instid0(VALU_DEP_3) | instskip(SKIP_2) | instid1(VALU_DEP_2)
	v_cvt_f32_f64_e32 v2, v[0:1]
	v_mov_b32_e32 v3, 0xff
	s_mov_b32 s44, exec_lo
	v_bfe_u32 v5, v2, 23, 8
	s_delay_alu instid0(VALU_DEP_1)
	v_cmpx_ne_u32_e32 0xff, v5
	s_cbranch_execz .LBB43_176
; %bb.175:
	v_and_b32_e32 v3, 0x400000, v2
	v_and_or_b32 v5, 0x3fffff, v2, v5
	v_lshrrev_b32_e32 v2, 23, v2
	s_delay_alu instid0(VALU_DEP_3) | instskip(NEXT) | instid1(VALU_DEP_3)
	v_cmp_ne_u32_e32 vcc_lo, 0, v3
	v_cmp_ne_u32_e64 s0, 0, v5
	s_and_b32 s0, vcc_lo, s0
	s_delay_alu instid0(SALU_CYCLE_1) | instskip(NEXT) | instid1(VALU_DEP_1)
	v_cndmask_b32_e64 v3, 0, 1, s0
	v_add_nc_u32_e32 v3, v2, v3
.LBB43_176:
	s_or_b32 exec_lo, exec_lo, s44
	s_mov_b32 s44, -1
	s_mov_b32 s0, 0
	global_store_b8 v[6:7], v3, off
.LBB43_177:
	s_mov_b32 s46, 0
.LBB43_178:
	s_delay_alu instid0(SALU_CYCLE_1)
	s_and_b32 vcc_lo, exec_lo, s46
	s_cbranch_vccz .LBB43_181
; %bb.179:
	s_cmp_eq_u32 s43, 29
	s_mov_b32 s0, -1
	s_cbranch_scc0 .LBB43_181
; %bb.180:
	s_wait_xcnt 0x0
	s_delay_alu instid0(VALU_DEP_3) | instskip(SKIP_3) | instid1(VALU_DEP_1)
	v_trunc_f64_e32 v[2:3], v[0:1]
	s_mov_b32 s44, -1
	s_mov_b32 s0, 0
	s_mov_b32 s46, 0
	v_ldexp_f64 v[8:9], v[2:3], 0xffffffe0
	s_delay_alu instid0(VALU_DEP_1) | instskip(NEXT) | instid1(VALU_DEP_1)
	v_floor_f64_e32 v[8:9], v[8:9]
	v_fmamk_f64 v[2:3], v[8:9], 0xc1f00000, v[2:3]
	v_cvt_u32_f64_e32 v9, v[8:9]
	s_delay_alu instid0(VALU_DEP_2)
	v_cvt_u32_f64_e32 v8, v[2:3]
	global_store_b64 v[6:7], v[8:9], off
	s_branch .LBB43_182
.LBB43_181:
	s_mov_b32 s46, 0
.LBB43_182:
	s_delay_alu instid0(SALU_CYCLE_1)
	s_and_b32 vcc_lo, exec_lo, s46
	s_cbranch_vccz .LBB43_198
; %bb.183:
	s_cmp_lt_i32 s43, 27
	s_mov_b32 s44, -1
	s_cbranch_scc1 .LBB43_189
; %bb.184:
	s_wait_xcnt 0x0
	s_delay_alu instid0(VALU_DEP_3)
	v_cvt_u32_f64_e32 v2, v[0:1]
	s_cmp_gt_i32 s43, 27
	s_cbranch_scc0 .LBB43_186
; %bb.185:
	s_mov_b32 s44, 0
	global_store_b32 v[6:7], v2, off
.LBB43_186:
	s_and_not1_b32 vcc_lo, exec_lo, s44
	s_cbranch_vccnz .LBB43_188
; %bb.187:
	global_store_b16 v[6:7], v2, off
.LBB43_188:
	s_mov_b32 s44, 0
.LBB43_189:
	s_delay_alu instid0(SALU_CYCLE_1)
	s_and_not1_b32 vcc_lo, exec_lo, s44
	s_cbranch_vccnz .LBB43_197
; %bb.190:
	s_wait_xcnt 0x0
	s_delay_alu instid0(VALU_DEP_3) | instskip(SKIP_2) | instid1(VALU_DEP_2)
	v_cvt_f32_f64_e32 v2, v[0:1]
	v_mov_b32_e32 v5, 0x80
	s_mov_b32 s44, exec_lo
	v_and_b32_e32 v3, 0x7fffffff, v2
	s_delay_alu instid0(VALU_DEP_1)
	v_cmpx_gt_u32_e32 0x43800000, v3
	s_cbranch_execz .LBB43_196
; %bb.191:
	v_cmp_lt_u32_e32 vcc_lo, 0x3bffffff, v3
	s_mov_b32 s46, 0
                                        ; implicit-def: $vgpr3
	s_and_saveexec_b32 s47, vcc_lo
	s_delay_alu instid0(SALU_CYCLE_1)
	s_xor_b32 s47, exec_lo, s47
	s_cbranch_execz .LBB43_435
; %bb.192:
	v_bfe_u32 v3, v2, 20, 1
	s_mov_b32 s46, exec_lo
	s_delay_alu instid0(VALU_DEP_1) | instskip(NEXT) | instid1(VALU_DEP_1)
	v_add3_u32 v3, v2, v3, 0x487ffff
	v_lshrrev_b32_e32 v3, 20, v3
	s_and_not1_saveexec_b32 s47, s47
	s_cbranch_execnz .LBB43_436
.LBB43_193:
	s_or_b32 exec_lo, exec_lo, s47
	v_mov_b32_e32 v5, 0
	s_and_saveexec_b32 s47, s46
.LBB43_194:
	v_lshrrev_b32_e32 v2, 24, v2
	s_delay_alu instid0(VALU_DEP_1)
	v_and_or_b32 v5, 0x80, v2, v3
.LBB43_195:
	s_or_b32 exec_lo, exec_lo, s47
.LBB43_196:
	s_delay_alu instid0(SALU_CYCLE_1)
	s_or_b32 exec_lo, exec_lo, s44
	global_store_b8 v[6:7], v5, off
.LBB43_197:
	s_mov_b32 s44, -1
.LBB43_198:
	s_mov_b32 s46, 0
.LBB43_199:
	s_delay_alu instid0(SALU_CYCLE_1)
	s_and_b32 vcc_lo, exec_lo, s46
	s_cbranch_vccz .LBB43_240
; %bb.200:
	s_cmp_gt_i32 s43, 22
	s_mov_b32 s46, -1
	s_cbranch_scc0 .LBB43_232
; %bb.201:
	s_cmp_lt_i32 s43, 24
	s_mov_b32 s44, -1
	s_cbranch_scc1 .LBB43_221
; %bb.202:
	s_cmp_gt_i32 s43, 24
	s_cbranch_scc0 .LBB43_210
; %bb.203:
	s_wait_xcnt 0x0
	s_delay_alu instid0(VALU_DEP_3) | instskip(SKIP_2) | instid1(VALU_DEP_2)
	v_cvt_f32_f64_e32 v2, v[0:1]
	v_mov_b32_e32 v5, 0x80
	s_mov_b32 s44, exec_lo
	v_and_b32_e32 v3, 0x7fffffff, v2
	s_delay_alu instid0(VALU_DEP_1)
	v_cmpx_gt_u32_e32 0x47800000, v3
	s_cbranch_execz .LBB43_209
; %bb.204:
	v_cmp_lt_u32_e32 vcc_lo, 0x37ffffff, v3
	s_mov_b32 s46, 0
                                        ; implicit-def: $vgpr3
	s_and_saveexec_b32 s47, vcc_lo
	s_delay_alu instid0(SALU_CYCLE_1)
	s_xor_b32 s47, exec_lo, s47
	s_cbranch_execz .LBB43_554
; %bb.205:
	v_bfe_u32 v3, v2, 21, 1
	s_mov_b32 s46, exec_lo
	s_delay_alu instid0(VALU_DEP_1) | instskip(NEXT) | instid1(VALU_DEP_1)
	v_add3_u32 v3, v2, v3, 0x88fffff
	v_lshrrev_b32_e32 v3, 21, v3
	s_and_not1_saveexec_b32 s47, s47
	s_cbranch_execnz .LBB43_555
.LBB43_206:
	s_or_b32 exec_lo, exec_lo, s47
	v_mov_b32_e32 v5, 0
	s_and_saveexec_b32 s47, s46
.LBB43_207:
	v_lshrrev_b32_e32 v2, 24, v2
	s_delay_alu instid0(VALU_DEP_1)
	v_and_or_b32 v5, 0x80, v2, v3
.LBB43_208:
	s_or_b32 exec_lo, exec_lo, s47
.LBB43_209:
	s_delay_alu instid0(SALU_CYCLE_1)
	s_or_b32 exec_lo, exec_lo, s44
	s_mov_b32 s44, 0
	global_store_b8 v[6:7], v5, off
.LBB43_210:
	s_and_b32 vcc_lo, exec_lo, s44
	s_cbranch_vccz .LBB43_220
; %bb.211:
	s_wait_xcnt 0x0
	s_delay_alu instid0(VALU_DEP_3) | instskip(SKIP_1) | instid1(VALU_DEP_1)
	v_cvt_f32_f64_e32 v2, v[0:1]
	s_mov_b32 s44, exec_lo
                                        ; implicit-def: $vgpr3
	v_and_b32_e32 v5, 0x7fffffff, v2
	s_delay_alu instid0(VALU_DEP_1)
	v_cmpx_gt_u32_e32 0x43f00000, v5
	s_xor_b32 s44, exec_lo, s44
	s_cbranch_execz .LBB43_217
; %bb.212:
	s_mov_b32 s46, exec_lo
                                        ; implicit-def: $vgpr3
	v_cmpx_lt_u32_e32 0x3c7fffff, v5
	s_xor_b32 s46, exec_lo, s46
; %bb.213:
	v_bfe_u32 v3, v2, 20, 1
	s_delay_alu instid0(VALU_DEP_1) | instskip(NEXT) | instid1(VALU_DEP_1)
	v_add3_u32 v3, v2, v3, 0x407ffff
	v_and_b32_e32 v5, 0xff00000, v3
	v_lshrrev_b32_e32 v3, 20, v3
	s_delay_alu instid0(VALU_DEP_2) | instskip(NEXT) | instid1(VALU_DEP_2)
	v_cmp_ne_u32_e32 vcc_lo, 0x7f00000, v5
	v_cndmask_b32_e32 v3, 0x7e, v3, vcc_lo
; %bb.214:
	s_and_not1_saveexec_b32 s46, s46
; %bb.215:
	v_add_f32_e64 v3, 0x46800000, |v2|
; %bb.216:
	s_or_b32 exec_lo, exec_lo, s46
                                        ; implicit-def: $vgpr5
.LBB43_217:
	s_and_not1_saveexec_b32 s44, s44
; %bb.218:
	v_mov_b32_e32 v3, 0x7f
	v_cmp_lt_u32_e32 vcc_lo, 0x7f800000, v5
	s_delay_alu instid0(VALU_DEP_2)
	v_cndmask_b32_e32 v3, 0x7e, v3, vcc_lo
; %bb.219:
	s_or_b32 exec_lo, exec_lo, s44
	v_lshrrev_b32_e32 v2, 24, v2
	s_delay_alu instid0(VALU_DEP_1)
	v_and_or_b32 v2, 0x80, v2, v3
	global_store_b8 v[6:7], v2, off
.LBB43_220:
	s_mov_b32 s44, 0
.LBB43_221:
	s_delay_alu instid0(SALU_CYCLE_1)
	s_and_not1_b32 vcc_lo, exec_lo, s44
	s_cbranch_vccnz .LBB43_231
; %bb.222:
	s_wait_xcnt 0x0
	s_delay_alu instid0(VALU_DEP_3) | instskip(SKIP_1) | instid1(VALU_DEP_1)
	v_cvt_f32_f64_e32 v2, v[0:1]
	s_mov_b32 s44, exec_lo
                                        ; implicit-def: $vgpr3
	v_and_b32_e32 v5, 0x7fffffff, v2
	s_delay_alu instid0(VALU_DEP_1)
	v_cmpx_gt_u32_e32 0x47800000, v5
	s_xor_b32 s44, exec_lo, s44
	s_cbranch_execz .LBB43_228
; %bb.223:
	s_mov_b32 s46, exec_lo
                                        ; implicit-def: $vgpr3
	v_cmpx_lt_u32_e32 0x387fffff, v5
	s_xor_b32 s46, exec_lo, s46
; %bb.224:
	v_bfe_u32 v3, v2, 21, 1
	s_delay_alu instid0(VALU_DEP_1) | instskip(NEXT) | instid1(VALU_DEP_1)
	v_add3_u32 v3, v2, v3, 0x80fffff
	v_lshrrev_b32_e32 v3, 21, v3
; %bb.225:
	s_and_not1_saveexec_b32 s46, s46
; %bb.226:
	v_add_f32_e64 v3, 0x43000000, |v2|
; %bb.227:
	s_or_b32 exec_lo, exec_lo, s46
                                        ; implicit-def: $vgpr5
.LBB43_228:
	s_and_not1_saveexec_b32 s44, s44
; %bb.229:
	v_mov_b32_e32 v3, 0x7f
	v_cmp_lt_u32_e32 vcc_lo, 0x7f800000, v5
	s_delay_alu instid0(VALU_DEP_2)
	v_cndmask_b32_e32 v3, 0x7c, v3, vcc_lo
; %bb.230:
	s_or_b32 exec_lo, exec_lo, s44
	v_lshrrev_b32_e32 v2, 24, v2
	s_delay_alu instid0(VALU_DEP_1)
	v_and_or_b32 v2, 0x80, v2, v3
	global_store_b8 v[6:7], v2, off
.LBB43_231:
	s_mov_b32 s46, 0
	s_mov_b32 s44, -1
.LBB43_232:
	s_and_not1_b32 vcc_lo, exec_lo, s46
	s_cbranch_vccnz .LBB43_240
; %bb.233:
	s_cmp_gt_i32 s43, 14
	s_mov_b32 s46, -1
	s_cbranch_scc0 .LBB43_237
; %bb.234:
	s_cmp_eq_u32 s43, 15
	s_mov_b32 s0, -1
	s_cbranch_scc0 .LBB43_236
; %bb.235:
	s_wait_xcnt 0x0
	s_delay_alu instid0(VALU_DEP_3) | instskip(SKIP_2) | instid1(VALU_DEP_1)
	v_cvt_f32_f64_e32 v2, v[0:1]
	s_mov_b32 s44, -1
	s_mov_b32 s0, 0
	v_bfe_u32 v3, v2, 16, 1
	v_cmp_o_f32_e32 vcc_lo, v2, v2
	s_delay_alu instid0(VALU_DEP_2) | instskip(NEXT) | instid1(VALU_DEP_1)
	v_add3_u32 v3, v2, v3, 0x7fff
	v_lshrrev_b32_e32 v3, 16, v3
	s_delay_alu instid0(VALU_DEP_1)
	v_cndmask_b32_e32 v2, 0x7fc0, v3, vcc_lo
	global_store_b16 v[6:7], v2, off
.LBB43_236:
	s_mov_b32 s46, 0
.LBB43_237:
	s_delay_alu instid0(SALU_CYCLE_1)
	s_and_b32 vcc_lo, exec_lo, s46
	s_cbranch_vccz .LBB43_240
; %bb.238:
	s_cmp_eq_u32 s43, 11
	s_mov_b32 s0, -1
	s_cbranch_scc0 .LBB43_240
; %bb.239:
	s_delay_alu instid0(VALU_DEP_3)
	v_cmp_neq_f64_e32 vcc_lo, 0, v[0:1]
	s_mov_b32 s44, -1
	s_mov_b32 s0, 0
	s_wait_xcnt 0x0
	v_cndmask_b32_e64 v2, 0, 1, vcc_lo
	global_store_b8 v[6:7], v2, off
.LBB43_240:
	s_mov_b32 s43, 0
.LBB43_241:
	s_delay_alu instid0(SALU_CYCLE_1)
	s_and_b32 vcc_lo, exec_lo, s43
	s_cbranch_vccz .LBB43_280
; %bb.242:
	s_and_b32 s42, 0xffff, s42
	s_mov_b32 s43, -1
	s_cmp_lt_i32 s42, 5
	s_cbranch_scc1 .LBB43_263
; %bb.243:
	s_cmp_lt_i32 s42, 8
	s_cbranch_scc1 .LBB43_253
; %bb.244:
	;; [unrolled: 3-line block ×3, first 2 shown]
	s_cmp_gt_i32 s42, 9
	s_cbranch_scc0 .LBB43_247
; %bb.246:
	s_wait_xcnt 0x0
	v_mov_b32_e32 v2, 0
	s_mov_b32 s43, 0
	s_delay_alu instid0(VALU_DEP_1)
	v_mov_b32_e32 v3, v2
	global_store_b128 v[6:7], v[0:3], off
.LBB43_247:
	s_and_not1_b32 vcc_lo, exec_lo, s43
	s_cbranch_vccnz .LBB43_249
; %bb.248:
	s_wait_xcnt 0x0
	s_delay_alu instid0(VALU_DEP_3)
	v_cvt_f32_f64_e32 v2, v[0:1]
	v_mov_b32_e32 v3, 0
	global_store_b64 v[6:7], v[2:3], off
.LBB43_249:
	s_mov_b32 s43, 0
.LBB43_250:
	s_delay_alu instid0(SALU_CYCLE_1)
	s_and_not1_b32 vcc_lo, exec_lo, s43
	s_cbranch_vccnz .LBB43_252
; %bb.251:
	s_wait_xcnt 0x0
	s_delay_alu instid0(VALU_DEP_3) | instskip(SKIP_2) | instid1(VALU_DEP_3)
	v_and_or_b32 v2, 0x1ff, v1, v0
	v_lshrrev_b32_e32 v3, 8, v1
	v_bfe_u32 v5, v1, 20, 11
	v_cmp_ne_u32_e32 vcc_lo, 0, v2
	s_delay_alu instid0(VALU_DEP_2) | instskip(SKIP_2) | instid1(VALU_DEP_1)
	v_sub_nc_u32_e32 v8, 0x3f1, v5
	v_add_nc_u32_e32 v5, 0xfffffc10, v5
	v_cndmask_b32_e64 v2, 0, 1, vcc_lo
	v_and_or_b32 v2, 0xffe, v3, v2
	s_delay_alu instid0(VALU_DEP_4) | instskip(NEXT) | instid1(VALU_DEP_2)
	v_med3_i32 v3, v8, 0, 13
	v_or_b32_e32 v8, 0x1000, v2
	s_delay_alu instid0(VALU_DEP_1) | instskip(NEXT) | instid1(VALU_DEP_1)
	v_lshrrev_b32_e32 v9, v3, v8
	v_lshlrev_b32_e32 v3, v3, v9
	s_delay_alu instid0(VALU_DEP_1) | instskip(SKIP_3) | instid1(VALU_DEP_2)
	v_cmp_ne_u32_e32 vcc_lo, v3, v8
	v_lshl_or_b32 v8, v5, 12, v2
	v_cndmask_b32_e64 v3, 0, 1, vcc_lo
	v_cmp_gt_i32_e32 vcc_lo, 1, v5
	v_or_b32_e32 v3, v9, v3
	s_delay_alu instid0(VALU_DEP_1) | instskip(NEXT) | instid1(VALU_DEP_1)
	v_cndmask_b32_e32 v3, v8, v3, vcc_lo
	v_dual_lshrrev_b32 v3, 2, v3 :: v_dual_bitop2_b32 v8, 7, v3 bitop3:0x40
	s_delay_alu instid0(VALU_DEP_1) | instskip(SKIP_4) | instid1(VALU_DEP_2)
	v_cmp_lt_i32_e32 vcc_lo, 5, v8
	v_cndmask_b32_e64 v9, 0, 1, vcc_lo
	v_cmp_eq_u32_e32 vcc_lo, 3, v8
	v_cndmask_b32_e64 v8, 0, 1, vcc_lo
	v_cmp_ne_u32_e32 vcc_lo, 0, v2
	v_or_b32_e32 v8, v8, v9
	v_mov_b32_e32 v9, 0x7e00
	s_delay_alu instid0(VALU_DEP_1) | instskip(SKIP_1) | instid1(VALU_DEP_2)
	v_dual_cndmask_b32 v2, 0x7c00, v9 :: v_dual_add_nc_u32 v3, v3, v8
	v_cmp_gt_i32_e32 vcc_lo, 31, v5
	v_dual_cndmask_b32 v3, 0x7c00, v3 :: v_dual_lshrrev_b32 v8, 16, v1
	v_cmp_eq_u32_e32 vcc_lo, 0x40f, v5
	s_delay_alu instid0(VALU_DEP_2) | instskip(NEXT) | instid1(VALU_DEP_3)
	v_cndmask_b32_e32 v2, v3, v2, vcc_lo
	v_and_b32_e32 v3, 0x8000, v8
	s_delay_alu instid0(VALU_DEP_1)
	v_bitop3_b32 v2, v3, 0xffff, v2 bitop3:0xc8
	global_store_b32 v[6:7], v2, off
.LBB43_252:
	s_mov_b32 s43, 0
.LBB43_253:
	s_delay_alu instid0(SALU_CYCLE_1)
	s_and_not1_b32 vcc_lo, exec_lo, s43
	s_cbranch_vccnz .LBB43_262
; %bb.254:
	s_cmp_lt_i32 s42, 6
	s_mov_b32 s43, -1
	s_cbranch_scc1 .LBB43_260
; %bb.255:
	s_cmp_gt_i32 s42, 6
	s_cbranch_scc0 .LBB43_257
; %bb.256:
	s_mov_b32 s43, 0
	global_store_b64 v[6:7], v[0:1], off
.LBB43_257:
	s_and_not1_b32 vcc_lo, exec_lo, s43
	s_cbranch_vccnz .LBB43_259
; %bb.258:
	s_wait_xcnt 0x0
	s_delay_alu instid0(VALU_DEP_3)
	v_cvt_f32_f64_e32 v2, v[0:1]
	global_store_b32 v[6:7], v2, off
.LBB43_259:
	s_mov_b32 s43, 0
.LBB43_260:
	s_delay_alu instid0(SALU_CYCLE_1)
	s_and_not1_b32 vcc_lo, exec_lo, s43
	s_cbranch_vccnz .LBB43_262
; %bb.261:
	s_wait_xcnt 0x0
	s_delay_alu instid0(VALU_DEP_3) | instskip(SKIP_2) | instid1(VALU_DEP_3)
	v_and_or_b32 v2, 0x1ff, v1, v0
	v_lshrrev_b32_e32 v3, 8, v1
	v_bfe_u32 v5, v1, 20, 11
	v_cmp_ne_u32_e32 vcc_lo, 0, v2
	s_delay_alu instid0(VALU_DEP_2) | instskip(SKIP_2) | instid1(VALU_DEP_1)
	v_sub_nc_u32_e32 v8, 0x3f1, v5
	v_add_nc_u32_e32 v5, 0xfffffc10, v5
	v_cndmask_b32_e64 v2, 0, 1, vcc_lo
	v_and_or_b32 v2, 0xffe, v3, v2
	s_delay_alu instid0(VALU_DEP_4) | instskip(NEXT) | instid1(VALU_DEP_2)
	v_med3_i32 v3, v8, 0, 13
	v_or_b32_e32 v8, 0x1000, v2
	s_delay_alu instid0(VALU_DEP_1) | instskip(NEXT) | instid1(VALU_DEP_1)
	v_lshrrev_b32_e32 v9, v3, v8
	v_lshlrev_b32_e32 v3, v3, v9
	s_delay_alu instid0(VALU_DEP_1) | instskip(SKIP_3) | instid1(VALU_DEP_2)
	v_cmp_ne_u32_e32 vcc_lo, v3, v8
	v_lshl_or_b32 v8, v5, 12, v2
	v_cndmask_b32_e64 v3, 0, 1, vcc_lo
	v_cmp_gt_i32_e32 vcc_lo, 1, v5
	v_or_b32_e32 v3, v9, v3
	s_delay_alu instid0(VALU_DEP_1) | instskip(NEXT) | instid1(VALU_DEP_1)
	v_cndmask_b32_e32 v3, v8, v3, vcc_lo
	v_dual_lshrrev_b32 v3, 2, v3 :: v_dual_bitop2_b32 v8, 7, v3 bitop3:0x40
	s_delay_alu instid0(VALU_DEP_1) | instskip(SKIP_4) | instid1(VALU_DEP_2)
	v_cmp_lt_i32_e32 vcc_lo, 5, v8
	v_cndmask_b32_e64 v9, 0, 1, vcc_lo
	v_cmp_eq_u32_e32 vcc_lo, 3, v8
	v_cndmask_b32_e64 v8, 0, 1, vcc_lo
	v_cmp_ne_u32_e32 vcc_lo, 0, v2
	v_or_b32_e32 v8, v8, v9
	v_mov_b32_e32 v9, 0x7e00
	s_delay_alu instid0(VALU_DEP_1) | instskip(SKIP_1) | instid1(VALU_DEP_2)
	v_dual_cndmask_b32 v2, 0x7c00, v9 :: v_dual_add_nc_u32 v3, v3, v8
	v_cmp_gt_i32_e32 vcc_lo, 31, v5
	v_cndmask_b32_e32 v3, 0x7c00, v3, vcc_lo
	v_cmp_eq_u32_e32 vcc_lo, 0x40f, v5
	s_delay_alu instid0(VALU_DEP_2) | instskip(NEXT) | instid1(VALU_DEP_1)
	v_dual_cndmask_b32 v2, v3, v2 :: v_dual_lshrrev_b32 v3, 16, v1
	v_and_or_b32 v2, 0x8000, v3, v2
	global_store_b16 v[6:7], v2, off
.LBB43_262:
	s_mov_b32 s43, 0
.LBB43_263:
	s_delay_alu instid0(SALU_CYCLE_1)
	s_and_not1_b32 vcc_lo, exec_lo, s43
	s_cbranch_vccnz .LBB43_279
; %bb.264:
	s_cmp_lt_i32 s42, 2
	s_mov_b32 s43, -1
	s_cbranch_scc1 .LBB43_274
; %bb.265:
	s_cmp_lt_i32 s42, 3
	s_cbranch_scc1 .LBB43_271
; %bb.266:
	s_cmp_gt_i32 s42, 3
	s_cbranch_scc0 .LBB43_268
; %bb.267:
	s_wait_xcnt 0x0
	s_delay_alu instid0(VALU_DEP_3) | instskip(SKIP_1) | instid1(VALU_DEP_1)
	v_trunc_f64_e32 v[2:3], v[0:1]
	s_mov_b32 s43, 0
	v_ldexp_f64 v[8:9], v[2:3], 0xffffffe0
	s_delay_alu instid0(VALU_DEP_1) | instskip(NEXT) | instid1(VALU_DEP_1)
	v_floor_f64_e32 v[8:9], v[8:9]
	v_fmamk_f64 v[2:3], v[8:9], 0xc1f00000, v[2:3]
	v_cvt_i32_f64_e32 v9, v[8:9]
	s_delay_alu instid0(VALU_DEP_2)
	v_cvt_u32_f64_e32 v8, v[2:3]
	global_store_b64 v[6:7], v[8:9], off
.LBB43_268:
	s_and_not1_b32 vcc_lo, exec_lo, s43
	s_cbranch_vccnz .LBB43_270
; %bb.269:
	s_wait_xcnt 0x0
	s_delay_alu instid0(VALU_DEP_3)
	v_cvt_i32_f64_e32 v2, v[0:1]
	global_store_b32 v[6:7], v2, off
.LBB43_270:
	s_mov_b32 s43, 0
.LBB43_271:
	s_delay_alu instid0(SALU_CYCLE_1)
	s_and_not1_b32 vcc_lo, exec_lo, s43
	s_cbranch_vccnz .LBB43_273
; %bb.272:
	s_wait_xcnt 0x0
	s_delay_alu instid0(VALU_DEP_3)
	v_cvt_i32_f64_e32 v2, v[0:1]
	global_store_b16 v[6:7], v2, off
.LBB43_273:
	s_mov_b32 s43, 0
.LBB43_274:
	s_delay_alu instid0(SALU_CYCLE_1)
	s_and_not1_b32 vcc_lo, exec_lo, s43
	s_cbranch_vccnz .LBB43_279
; %bb.275:
	s_cmp_gt_i32 s42, 0
	s_mov_b32 s42, -1
	s_cbranch_scc0 .LBB43_277
; %bb.276:
	s_wait_xcnt 0x0
	s_delay_alu instid0(VALU_DEP_3)
	v_cvt_i32_f64_e32 v2, v[0:1]
	s_mov_b32 s42, 0
	global_store_b8 v[6:7], v2, off
.LBB43_277:
	s_and_not1_b32 vcc_lo, exec_lo, s42
	s_cbranch_vccnz .LBB43_279
; %bb.278:
	s_wait_xcnt 0x0
	s_delay_alu instid0(VALU_DEP_3) | instskip(NEXT) | instid1(VALU_DEP_1)
	v_trunc_f64_e32 v[0:1], v[0:1]
	v_ldexp_f64 v[2:3], v[0:1], 0xffffffe0
	s_delay_alu instid0(VALU_DEP_1) | instskip(NEXT) | instid1(VALU_DEP_1)
	v_floor_f64_e32 v[2:3], v[2:3]
	v_fmamk_f64 v[0:1], v[2:3], 0xc1f00000, v[0:1]
	s_delay_alu instid0(VALU_DEP_1)
	v_cvt_u32_f64_e32 v0, v[0:1]
	global_store_b8 v[6:7], v0, off
.LBB43_279:
	s_mov_b32 s44, -1
.LBB43_280:
	s_delay_alu instid0(SALU_CYCLE_1)
	s_and_not1_b32 vcc_lo, exec_lo, s44
	s_cbranch_vccnz .LBB43_393
; %bb.281:
	v_add_nc_u32_e32 v4, 0x80, v4
	s_mov_b32 s46, -1
	s_branch .LBB43_394
.LBB43_282:
	s_mov_b32 s31, -1
                                        ; implicit-def: $vgpr8_vgpr9
.LBB43_283:
	s_mov_b32 s44, 0
.LBB43_284:
	s_delay_alu instid0(SALU_CYCLE_1)
	s_and_b32 vcc_lo, exec_lo, s44
	s_cbranch_vccz .LBB43_288
; %bb.285:
	s_cmp_eq_u32 s42, 29
	s_cbranch_scc0 .LBB43_287
; %bb.286:
	global_load_b64 v[8:9], v[6:7], off
	s_mov_b32 s43, -1
	s_mov_b32 s31, 0
	s_mov_b32 s44, 0
	s_wait_loadcnt 0x0
	v_cvt_f64_u32_e32 v[10:11], v9
	v_cvt_f64_u32_e32 v[8:9], v8
	s_delay_alu instid0(VALU_DEP_2) | instskip(NEXT) | instid1(VALU_DEP_1)
	v_ldexp_f64 v[10:11], v[10:11], 32
	v_add_f64_e32 v[8:9], v[10:11], v[8:9]
	s_branch .LBB43_289
.LBB43_287:
	s_mov_b32 s31, -1
                                        ; implicit-def: $vgpr8_vgpr9
.LBB43_288:
	s_mov_b32 s44, 0
.LBB43_289:
	s_delay_alu instid0(SALU_CYCLE_1)
	s_and_b32 vcc_lo, exec_lo, s44
	s_cbranch_vccz .LBB43_307
; %bb.290:
	s_cmp_lt_i32 s42, 27
	s_cbranch_scc1 .LBB43_293
; %bb.291:
	s_cmp_gt_i32 s42, 27
	s_cbranch_scc0 .LBB43_294
; %bb.292:
	global_load_b32 v3, v[6:7], off
	s_mov_b32 s43, 0
	s_wait_loadcnt 0x0
	v_cvt_f64_u32_e32 v[8:9], v3
	s_branch .LBB43_295
.LBB43_293:
	s_mov_b32 s43, -1
                                        ; implicit-def: $vgpr8_vgpr9
	s_branch .LBB43_298
.LBB43_294:
	s_mov_b32 s43, -1
                                        ; implicit-def: $vgpr8_vgpr9
.LBB43_295:
	s_delay_alu instid0(SALU_CYCLE_1)
	s_and_not1_b32 vcc_lo, exec_lo, s43
	s_cbranch_vccnz .LBB43_297
; %bb.296:
	global_load_u16 v3, v[6:7], off
	s_wait_loadcnt 0x0
	v_cvt_f64_u32_e32 v[8:9], v3
.LBB43_297:
	s_mov_b32 s43, 0
.LBB43_298:
	s_delay_alu instid0(SALU_CYCLE_1)
	s_and_not1_b32 vcc_lo, exec_lo, s43
	s_cbranch_vccnz .LBB43_306
; %bb.299:
	global_load_u8 v3, v[6:7], off
	s_mov_b32 s43, 0
	s_mov_b32 s44, exec_lo
	s_wait_loadcnt 0x0
	v_cmpx_lt_i16_e32 0x7f, v3
	s_xor_b32 s44, exec_lo, s44
	s_cbranch_execz .LBB43_320
; %bb.300:
	s_mov_b32 s43, -1
	s_mov_b32 s46, exec_lo
	v_cmpx_eq_u16_e32 0x80, v3
; %bb.301:
	s_xor_b32 s43, exec_lo, -1
; %bb.302:
	s_or_b32 exec_lo, exec_lo, s46
	s_delay_alu instid0(SALU_CYCLE_1)
	s_and_b32 s43, s43, exec_lo
	s_or_saveexec_b32 s44, s44
	v_mov_b64_e32 v[8:9], 0x7ff8000020000000
	s_xor_b32 exec_lo, exec_lo, s44
	s_cbranch_execnz .LBB43_321
.LBB43_303:
	s_or_b32 exec_lo, exec_lo, s44
	s_and_saveexec_b32 s44, s43
	s_cbranch_execz .LBB43_305
.LBB43_304:
	v_and_b32_e32 v5, 0xffff, v3
	s_delay_alu instid0(VALU_DEP_1) | instskip(SKIP_1) | instid1(VALU_DEP_2)
	v_dual_lshlrev_b32 v3, 24, v3 :: v_dual_bitop2_b32 v8, 7, v5 bitop3:0x40
	v_bfe_u32 v11, v5, 3, 4
	v_and_b32_e32 v3, 0x80000000, v3
	s_delay_alu instid0(VALU_DEP_3) | instskip(NEXT) | instid1(VALU_DEP_3)
	v_clz_i32_u32_e32 v9, v8
	v_cmp_eq_u32_e32 vcc_lo, 0, v11
	s_delay_alu instid0(VALU_DEP_2) | instskip(NEXT) | instid1(VALU_DEP_1)
	v_min_u32_e32 v9, 32, v9
	v_subrev_nc_u32_e32 v10, 28, v9
	v_sub_nc_u32_e32 v9, 29, v9
	s_delay_alu instid0(VALU_DEP_2) | instskip(NEXT) | instid1(VALU_DEP_2)
	v_lshlrev_b32_e32 v5, v10, v5
	v_cndmask_b32_e32 v9, v11, v9, vcc_lo
	s_delay_alu instid0(VALU_DEP_2) | instskip(NEXT) | instid1(VALU_DEP_1)
	v_and_b32_e32 v5, 7, v5
	v_cndmask_b32_e32 v5, v8, v5, vcc_lo
	s_delay_alu instid0(VALU_DEP_3) | instskip(NEXT) | instid1(VALU_DEP_2)
	v_lshl_add_u32 v8, v9, 23, 0x3b800000
	v_lshlrev_b32_e32 v5, 20, v5
	s_delay_alu instid0(VALU_DEP_1) | instskip(NEXT) | instid1(VALU_DEP_1)
	v_or3_b32 v3, v3, v8, v5
	v_cvt_f64_f32_e32 v[8:9], v3
.LBB43_305:
	s_or_b32 exec_lo, exec_lo, s44
.LBB43_306:
	s_mov_b32 s43, -1
.LBB43_307:
	s_mov_b32 s44, 0
.LBB43_308:
	s_delay_alu instid0(SALU_CYCLE_1)
	s_and_b32 vcc_lo, exec_lo, s44
	s_cbranch_vccz .LBB43_343
; %bb.309:
	s_cmp_gt_i32 s42, 22
	s_cbranch_scc0 .LBB43_319
; %bb.310:
	s_cmp_lt_i32 s42, 24
	s_cbranch_scc1 .LBB43_322
; %bb.311:
	s_cmp_gt_i32 s42, 24
	s_cbranch_scc0 .LBB43_323
; %bb.312:
	global_load_u8 v3, v[6:7], off
	s_mov_b32 s43, 0
	s_mov_b32 s44, exec_lo
	s_wait_loadcnt 0x0
	v_cmpx_lt_i16_e32 0x7f, v3
	s_xor_b32 s44, exec_lo, s44
	s_cbranch_execz .LBB43_335
; %bb.313:
	s_mov_b32 s43, -1
	s_mov_b32 s46, exec_lo
	v_cmpx_eq_u16_e32 0x80, v3
; %bb.314:
	s_xor_b32 s43, exec_lo, -1
; %bb.315:
	s_or_b32 exec_lo, exec_lo, s46
	s_delay_alu instid0(SALU_CYCLE_1)
	s_and_b32 s43, s43, exec_lo
	s_or_saveexec_b32 s44, s44
	v_mov_b64_e32 v[8:9], 0x7ff8000020000000
	s_xor_b32 exec_lo, exec_lo, s44
	s_cbranch_execnz .LBB43_336
.LBB43_316:
	s_or_b32 exec_lo, exec_lo, s44
	s_and_saveexec_b32 s44, s43
	s_cbranch_execz .LBB43_318
.LBB43_317:
	v_and_b32_e32 v5, 0xffff, v3
	s_delay_alu instid0(VALU_DEP_1) | instskip(SKIP_1) | instid1(VALU_DEP_2)
	v_dual_lshlrev_b32 v3, 24, v3 :: v_dual_bitop2_b32 v8, 3, v5 bitop3:0x40
	v_bfe_u32 v11, v5, 2, 5
	v_and_b32_e32 v3, 0x80000000, v3
	s_delay_alu instid0(VALU_DEP_3) | instskip(NEXT) | instid1(VALU_DEP_3)
	v_clz_i32_u32_e32 v9, v8
	v_cmp_eq_u32_e32 vcc_lo, 0, v11
	s_delay_alu instid0(VALU_DEP_2) | instskip(NEXT) | instid1(VALU_DEP_1)
	v_min_u32_e32 v9, 32, v9
	v_subrev_nc_u32_e32 v10, 29, v9
	v_sub_nc_u32_e32 v9, 30, v9
	s_delay_alu instid0(VALU_DEP_2) | instskip(NEXT) | instid1(VALU_DEP_2)
	v_lshlrev_b32_e32 v5, v10, v5
	v_cndmask_b32_e32 v9, v11, v9, vcc_lo
	s_delay_alu instid0(VALU_DEP_2) | instskip(NEXT) | instid1(VALU_DEP_1)
	v_and_b32_e32 v5, 3, v5
	v_cndmask_b32_e32 v5, v8, v5, vcc_lo
	s_delay_alu instid0(VALU_DEP_3) | instskip(NEXT) | instid1(VALU_DEP_2)
	v_lshl_add_u32 v8, v9, 23, 0x37800000
	v_lshlrev_b32_e32 v5, 21, v5
	s_delay_alu instid0(VALU_DEP_1) | instskip(NEXT) | instid1(VALU_DEP_1)
	v_or3_b32 v3, v3, v8, v5
	v_cvt_f64_f32_e32 v[8:9], v3
.LBB43_318:
	s_or_b32 exec_lo, exec_lo, s44
	s_mov_b32 s43, 0
	s_branch .LBB43_324
.LBB43_319:
	s_mov_b32 s44, -1
                                        ; implicit-def: $vgpr8_vgpr9
	s_branch .LBB43_330
.LBB43_320:
	s_or_saveexec_b32 s44, s44
	v_mov_b64_e32 v[8:9], 0x7ff8000020000000
	s_xor_b32 exec_lo, exec_lo, s44
	s_cbranch_execz .LBB43_303
.LBB43_321:
	v_cmp_ne_u16_e32 vcc_lo, 0, v3
	v_mov_b64_e32 v[8:9], 0
	s_and_not1_b32 s43, s43, exec_lo
	s_and_b32 s46, vcc_lo, exec_lo
	s_delay_alu instid0(SALU_CYCLE_1)
	s_or_b32 s43, s43, s46
	s_or_b32 exec_lo, exec_lo, s44
	s_and_saveexec_b32 s44, s43
	s_cbranch_execnz .LBB43_304
	s_branch .LBB43_305
.LBB43_322:
	s_mov_b32 s43, -1
                                        ; implicit-def: $vgpr8_vgpr9
	s_branch .LBB43_327
.LBB43_323:
	s_mov_b32 s43, -1
                                        ; implicit-def: $vgpr8_vgpr9
.LBB43_324:
	s_delay_alu instid0(SALU_CYCLE_1)
	s_and_b32 vcc_lo, exec_lo, s43
	s_cbranch_vccz .LBB43_326
; %bb.325:
	global_load_u8 v3, v[6:7], off
	s_wait_loadcnt 0x0
	v_lshlrev_b32_e32 v3, 24, v3
	s_delay_alu instid0(VALU_DEP_1) | instskip(NEXT) | instid1(VALU_DEP_1)
	v_and_b32_e32 v5, 0x7f000000, v3
	v_clz_i32_u32_e32 v8, v5
	v_cmp_ne_u32_e32 vcc_lo, 0, v5
	v_add_nc_u32_e32 v10, 0x1000000, v5
	s_delay_alu instid0(VALU_DEP_3) | instskip(NEXT) | instid1(VALU_DEP_1)
	v_min_u32_e32 v8, 32, v8
	v_sub_nc_u32_e64 v8, v8, 4 clamp
	s_delay_alu instid0(VALU_DEP_1) | instskip(NEXT) | instid1(VALU_DEP_1)
	v_dual_lshlrev_b32 v9, v8, v5 :: v_dual_lshlrev_b32 v8, 23, v8
	v_lshrrev_b32_e32 v9, 4, v9
	s_delay_alu instid0(VALU_DEP_1) | instskip(NEXT) | instid1(VALU_DEP_1)
	v_dual_sub_nc_u32 v8, v9, v8 :: v_dual_ashrrev_i32 v9, 8, v10
	v_add_nc_u32_e32 v8, 0x3c000000, v8
	s_delay_alu instid0(VALU_DEP_1) | instskip(NEXT) | instid1(VALU_DEP_1)
	v_and_or_b32 v8, 0x7f800000, v9, v8
	v_cndmask_b32_e32 v5, 0, v8, vcc_lo
	s_delay_alu instid0(VALU_DEP_1) | instskip(NEXT) | instid1(VALU_DEP_1)
	v_and_or_b32 v3, 0x80000000, v3, v5
	v_cvt_f64_f32_e32 v[8:9], v3
.LBB43_326:
	s_mov_b32 s43, 0
.LBB43_327:
	s_delay_alu instid0(SALU_CYCLE_1)
	s_and_not1_b32 vcc_lo, exec_lo, s43
	s_cbranch_vccnz .LBB43_329
; %bb.328:
	global_load_u8 v3, v[6:7], off
	s_wait_loadcnt 0x0
	v_lshlrev_b32_e32 v5, 25, v3
	v_lshlrev_b16 v3, 8, v3
	s_delay_alu instid0(VALU_DEP_1) | instskip(SKIP_1) | instid1(VALU_DEP_2)
	v_and_or_b32 v9, 0x7f00, v3, 0.5
	v_bfe_i32 v3, v3, 0, 16
	v_add_f32_e32 v9, -0.5, v9
	v_lshrrev_b32_e32 v8, 4, v5
	v_cmp_gt_u32_e32 vcc_lo, 0x8000000, v5
	s_delay_alu instid0(VALU_DEP_2) | instskip(NEXT) | instid1(VALU_DEP_1)
	v_or_b32_e32 v8, 0x70000000, v8
	v_mul_f32_e32 v8, 0x7800000, v8
	s_delay_alu instid0(VALU_DEP_1) | instskip(NEXT) | instid1(VALU_DEP_1)
	v_cndmask_b32_e32 v5, v8, v9, vcc_lo
	v_and_or_b32 v3, 0x80000000, v3, v5
	s_delay_alu instid0(VALU_DEP_1)
	v_cvt_f64_f32_e32 v[8:9], v3
.LBB43_329:
	s_mov_b32 s44, 0
	s_mov_b32 s43, -1
.LBB43_330:
	s_and_not1_b32 vcc_lo, exec_lo, s44
	s_cbranch_vccnz .LBB43_343
; %bb.331:
	s_cmp_gt_i32 s42, 14
	s_cbranch_scc0 .LBB43_334
; %bb.332:
	s_cmp_eq_u32 s42, 15
	s_cbranch_scc0 .LBB43_337
; %bb.333:
	global_load_u16 v3, v[6:7], off
	s_mov_b32 s43, -1
	s_mov_b32 s31, 0
	s_wait_loadcnt 0x0
	v_lshlrev_b32_e32 v3, 16, v3
	s_delay_alu instid0(VALU_DEP_1)
	v_cvt_f64_f32_e32 v[8:9], v3
	s_branch .LBB43_338
.LBB43_334:
	s_mov_b32 s44, -1
                                        ; implicit-def: $vgpr8_vgpr9
	s_branch .LBB43_339
.LBB43_335:
	s_or_saveexec_b32 s44, s44
	v_mov_b64_e32 v[8:9], 0x7ff8000020000000
	s_xor_b32 exec_lo, exec_lo, s44
	s_cbranch_execz .LBB43_316
.LBB43_336:
	v_cmp_ne_u16_e32 vcc_lo, 0, v3
	v_mov_b64_e32 v[8:9], 0
	s_and_not1_b32 s43, s43, exec_lo
	s_and_b32 s46, vcc_lo, exec_lo
	s_delay_alu instid0(SALU_CYCLE_1)
	s_or_b32 s43, s43, s46
	s_or_b32 exec_lo, exec_lo, s44
	s_and_saveexec_b32 s44, s43
	s_cbranch_execnz .LBB43_317
	s_branch .LBB43_318
.LBB43_337:
	s_mov_b32 s31, -1
                                        ; implicit-def: $vgpr8_vgpr9
.LBB43_338:
	s_mov_b32 s44, 0
.LBB43_339:
	s_delay_alu instid0(SALU_CYCLE_1)
	s_and_b32 vcc_lo, exec_lo, s44
	s_cbranch_vccz .LBB43_343
; %bb.340:
	s_cmp_eq_u32 s42, 11
	s_cbranch_scc0 .LBB43_342
; %bb.341:
	global_load_u8 v3, v[6:7], off
	s_wait_xcnt 0x1
	v_mov_b32_e32 v8, 0
	s_mov_b32 s31, 0
	s_mov_b32 s43, -1
	s_wait_loadcnt 0x0
	v_cmp_ne_u16_e32 vcc_lo, 0, v3
	v_cndmask_b32_e64 v9, 0, 0x3ff00000, vcc_lo
	s_branch .LBB43_343
.LBB43_342:
	s_mov_b32 s31, -1
                                        ; implicit-def: $vgpr8_vgpr9
.LBB43_343:
	s_branch .LBB43_31
.LBB43_344:
	s_and_b32 s0, 0xffff, s0
	s_delay_alu instid0(SALU_CYCLE_1)
	s_cmp_lt_i32 s0, 5
	s_cbranch_scc1 .LBB43_349
; %bb.345:
	s_cmp_lt_i32 s0, 8
	s_cbranch_scc1 .LBB43_350
; %bb.346:
	s_cmp_lt_i32 s0, 9
	s_cbranch_scc1 .LBB43_351
; %bb.347:
	s_cmp_gt_i32 s0, 9
	s_cbranch_scc0 .LBB43_352
; %bb.348:
	global_load_b64 v[8:9], v[6:7], off
	s_mov_b32 s42, 0
	s_branch .LBB43_353
.LBB43_349:
	s_mov_b32 s42, -1
                                        ; implicit-def: $vgpr8_vgpr9
	s_branch .LBB43_371
.LBB43_350:
	s_mov_b32 s42, -1
                                        ; implicit-def: $vgpr8_vgpr9
	s_branch .LBB43_359
.LBB43_351:
	s_mov_b32 s42, -1
                                        ; implicit-def: $vgpr8_vgpr9
	s_branch .LBB43_356
.LBB43_352:
	s_mov_b32 s42, -1
                                        ; implicit-def: $vgpr8_vgpr9
.LBB43_353:
	s_delay_alu instid0(SALU_CYCLE_1)
	s_and_not1_b32 vcc_lo, exec_lo, s42
	s_cbranch_vccnz .LBB43_355
; %bb.354:
	global_load_b32 v3, v[6:7], off
	s_wait_loadcnt 0x0
	v_cvt_f64_f32_e32 v[8:9], v3
.LBB43_355:
	s_mov_b32 s42, 0
.LBB43_356:
	s_delay_alu instid0(SALU_CYCLE_1)
	s_and_not1_b32 vcc_lo, exec_lo, s42
	s_cbranch_vccnz .LBB43_358
; %bb.357:
	global_load_b32 v3, v[6:7], off
	s_wait_loadcnt 0x0
	v_cvt_f32_f16_e32 v3, v3
	s_delay_alu instid0(VALU_DEP_1)
	v_cvt_f64_f32_e32 v[8:9], v3
.LBB43_358:
	s_mov_b32 s42, 0
.LBB43_359:
	s_delay_alu instid0(SALU_CYCLE_1)
	s_and_not1_b32 vcc_lo, exec_lo, s42
	s_cbranch_vccnz .LBB43_370
; %bb.360:
	s_cmp_lt_i32 s0, 6
	s_cbranch_scc1 .LBB43_363
; %bb.361:
	s_cmp_gt_i32 s0, 6
	s_cbranch_scc0 .LBB43_364
; %bb.362:
	s_wait_loadcnt 0x0
	global_load_b64 v[8:9], v[6:7], off
	s_mov_b32 s42, 0
	s_branch .LBB43_365
.LBB43_363:
	s_mov_b32 s42, -1
                                        ; implicit-def: $vgpr8_vgpr9
	s_branch .LBB43_368
.LBB43_364:
	s_mov_b32 s42, -1
                                        ; implicit-def: $vgpr8_vgpr9
.LBB43_365:
	s_delay_alu instid0(SALU_CYCLE_1)
	s_and_not1_b32 vcc_lo, exec_lo, s42
	s_cbranch_vccnz .LBB43_367
; %bb.366:
	global_load_b32 v3, v[6:7], off
	s_wait_loadcnt 0x0
	v_cvt_f64_f32_e32 v[8:9], v3
.LBB43_367:
	s_mov_b32 s42, 0
.LBB43_368:
	s_delay_alu instid0(SALU_CYCLE_1)
	s_and_not1_b32 vcc_lo, exec_lo, s42
	s_cbranch_vccnz .LBB43_370
; %bb.369:
	global_load_u16 v3, v[6:7], off
	s_wait_loadcnt 0x0
	v_cvt_f32_f16_e32 v3, v3
	s_delay_alu instid0(VALU_DEP_1)
	v_cvt_f64_f32_e32 v[8:9], v3
.LBB43_370:
	s_mov_b32 s42, 0
.LBB43_371:
	s_delay_alu instid0(SALU_CYCLE_1)
	s_and_not1_b32 vcc_lo, exec_lo, s42
	s_cbranch_vccnz .LBB43_391
; %bb.372:
	s_cmp_lt_i32 s0, 2
	s_cbranch_scc1 .LBB43_376
; %bb.373:
	s_cmp_lt_i32 s0, 3
	s_cbranch_scc1 .LBB43_377
; %bb.374:
	s_cmp_gt_i32 s0, 3
	s_cbranch_scc0 .LBB43_378
; %bb.375:
	s_wait_loadcnt 0x0
	global_load_b64 v[8:9], v[6:7], off
	s_mov_b32 s42, 0
	s_wait_loadcnt 0x0
	v_cvt_f64_i32_e32 v[10:11], v9
	v_cvt_f64_u32_e32 v[8:9], v8
	s_delay_alu instid0(VALU_DEP_2) | instskip(NEXT) | instid1(VALU_DEP_1)
	v_ldexp_f64 v[10:11], v[10:11], 32
	v_add_f64_e32 v[8:9], v[10:11], v[8:9]
	s_branch .LBB43_379
.LBB43_376:
	s_mov_b32 s42, -1
                                        ; implicit-def: $vgpr8_vgpr9
	s_branch .LBB43_385
.LBB43_377:
	s_mov_b32 s42, -1
                                        ; implicit-def: $vgpr8_vgpr9
	s_branch .LBB43_382
.LBB43_378:
	s_mov_b32 s42, -1
                                        ; implicit-def: $vgpr8_vgpr9
.LBB43_379:
	s_delay_alu instid0(SALU_CYCLE_1)
	s_and_not1_b32 vcc_lo, exec_lo, s42
	s_cbranch_vccnz .LBB43_381
; %bb.380:
	global_load_b32 v3, v[6:7], off
	s_wait_loadcnt 0x0
	v_cvt_f64_i32_e32 v[8:9], v3
.LBB43_381:
	s_mov_b32 s42, 0
.LBB43_382:
	s_delay_alu instid0(SALU_CYCLE_1)
	s_and_not1_b32 vcc_lo, exec_lo, s42
	s_cbranch_vccnz .LBB43_384
; %bb.383:
	global_load_i16 v3, v[6:7], off
	s_wait_loadcnt 0x0
	v_cvt_f64_i32_e32 v[8:9], v3
.LBB43_384:
	s_mov_b32 s42, 0
.LBB43_385:
	s_delay_alu instid0(SALU_CYCLE_1)
	s_and_not1_b32 vcc_lo, exec_lo, s42
	s_cbranch_vccnz .LBB43_391
; %bb.386:
	s_cmp_gt_i32 s0, 0
	s_mov_b32 s0, 0
	s_cbranch_scc0 .LBB43_388
; %bb.387:
	global_load_i8 v3, v[6:7], off
	s_wait_loadcnt 0x0
	v_cvt_f64_i32_e32 v[8:9], v3
	s_branch .LBB43_389
.LBB43_388:
	s_mov_b32 s0, -1
                                        ; implicit-def: $vgpr8_vgpr9
.LBB43_389:
	s_delay_alu instid0(SALU_CYCLE_1)
	s_and_not1_b32 vcc_lo, exec_lo, s0
	s_cbranch_vccnz .LBB43_391
; %bb.390:
	global_load_u8 v3, v[6:7], off
	s_wait_loadcnt 0x0
	v_cvt_f64_u32_e32 v[8:9], v3
.LBB43_391:
	s_branch .LBB43_32
.LBB43_392:
	s_mov_b32 s0, 0
.LBB43_393:
	s_mov_b32 s46, 0
                                        ; implicit-def: $vgpr4
.LBB43_394:
	s_and_b32 s42, s0, exec_lo
	s_and_b32 s43, s31, exec_lo
	;; [unrolled: 1-line block ×3, first 2 shown]
	s_or_not1_b32 s46, s46, exec_lo
.LBB43_395:
	s_wait_xcnt 0x0
	s_or_b32 exec_lo, exec_lo, s45
	s_mov_b32 s31, 0
	s_mov_b32 s30, 0
                                        ; implicit-def: $sgpr0
                                        ; implicit-def: $vgpr8_vgpr9
                                        ; implicit-def: $vgpr6
                                        ; implicit-def: $vgpr2
                                        ; implicit-def: $vgpr0_vgpr1
	s_and_saveexec_b32 s45, s46
	s_cbranch_execz .LBB43_403
; %bb.396:
	s_mov_b32 s51, -1
	s_mov_b32 s46, s44
	s_mov_b32 s48, s43
	;; [unrolled: 1-line block ×3, first 2 shown]
	s_mov_b32 s49, exec_lo
	v_cmpx_gt_i32_e64 s40, v4
	s_cbranch_execz .LBB43_801
; %bb.397:
	s_and_not1_b32 vcc_lo, exec_lo, s35
	s_cbranch_vccnz .LBB43_406
; %bb.398:
	s_and_not1_b32 vcc_lo, exec_lo, s41
	s_cbranch_vccnz .LBB43_407
; %bb.399:
	s_wait_loadcnt 0x0
	v_dual_mov_b32 v2, 0 :: v_dual_mov_b32 v1, v4
	v_dual_mov_b32 v0, 0 :: v_dual_mov_b32 v6, 0
	s_add_co_i32 s0, s39, 1
	s_mov_b64 s[30:31], 0xffffffffffffffe8
	s_and_b32 s0, s0, 30
	s_add_nc_u64 s[30:31], s[2:3], s[30:31]
.LBB43_400:                             ; =>This Inner Loop Header: Depth=1
	s_clause 0x3
	s_load_b128 s[52:55], s[30:31], 0x1c
	s_load_b64 s[46:47], s[30:31], 0x2c
	s_load_b128 s[56:59], s[30:31], 0xdc
	s_load_b64 s[50:51], s[30:31], 0xec
	s_add_co_i32 s0, s0, -2
	s_wait_xcnt 0x0
	s_add_nc_u64 s[30:31], s[30:31], 24
	s_cmp_eq_u32 s0, 0
	s_wait_kmcnt 0x0
	v_mul_hi_u32 v3, s53, v1
	s_delay_alu instid0(VALU_DEP_1) | instskip(NEXT) | instid1(VALU_DEP_1)
	v_add_nc_u32_e32 v3, v1, v3
	v_lshrrev_b32_e32 v3, s54, v3
	s_delay_alu instid0(VALU_DEP_1) | instskip(SKIP_1) | instid1(VALU_DEP_1)
	v_mul_hi_u32 v5, s46, v3
	v_mul_lo_u32 v7, v3, s52
	v_dual_add_nc_u32 v5, v3, v5 :: v_dual_sub_nc_u32 v7, v1, v7
	s_delay_alu instid0(VALU_DEP_1) | instskip(NEXT) | instid1(VALU_DEP_2)
	v_lshrrev_b32_e32 v1, s47, v5
	v_mad_u32 v2, v7, s56, v2
	v_mad_u32 v6, v7, s58, v6
	;; [unrolled: 1-line block ×3, first 2 shown]
	s_delay_alu instid0(VALU_DEP_4) | instskip(NEXT) | instid1(VALU_DEP_1)
	v_mul_lo_u32 v5, v1, s55
	v_sub_nc_u32_e32 v3, v3, v5
	s_delay_alu instid0(VALU_DEP_1)
	v_mad_u32 v2, v3, s59, v2
	v_mad_u32 v6, v3, s51, v6
	;; [unrolled: 1-line block ×3, first 2 shown]
	s_cbranch_scc0 .LBB43_400
; %bb.401:
	s_bitcmp1_b32 s39, 0
	s_cselect_b32 s0, -1, 0
	s_delay_alu instid0(SALU_CYCLE_1)
	s_and_b32 vcc_lo, exec_lo, s0
	s_cbranch_vccnz .LBB43_408
; %bb.402:
	s_clause 0x1
	s_load_b96 s[52:54], s[30:31], 0x1c
	s_load_b96 s[56:58], s[30:31], 0xdc
	s_wait_kmcnt 0x0
	v_mul_hi_u32 v3, s53, v1
	s_delay_alu instid0(VALU_DEP_1) | instskip(NEXT) | instid1(VALU_DEP_1)
	v_add_nc_u32_e32 v3, v1, v3
	v_lshrrev_b32_e32 v3, s54, v3
	s_delay_alu instid0(VALU_DEP_1) | instskip(NEXT) | instid1(VALU_DEP_1)
	v_mul_lo_u32 v3, v3, s52
	v_sub_nc_u32_e32 v1, v1, v3
	s_delay_alu instid0(VALU_DEP_1)
	v_mad_u32 v2, v1, s56, v2
	v_mad_u32 v0, v1, s57, v0
	v_mad_u32 v6, v1, s58, v6
	s_branch .LBB43_408
.LBB43_403:
	s_or_b32 exec_lo, exec_lo, s45
	s_mov_b32 s1, 0
	s_and_saveexec_b32 s6, s44
	s_cbranch_execnz .LBB43_1303
.LBB43_404:
	s_or_b32 exec_lo, exec_lo, s6
	s_and_saveexec_b32 s6, s25
	s_delay_alu instid0(SALU_CYCLE_1)
	s_xor_b32 s6, exec_lo, s6
	s_cbranch_execz .LBB43_1304
.LBB43_405:
	s_wait_loadcnt 0x0
	global_load_u8 v0, v[8:9], off
	s_or_b32 s30, s30, exec_lo
	s_wait_loadcnt 0x0
	v_cmp_ne_u16_e32 vcc_lo, 0, v0
	v_mov_b32_e32 v0, 0
	v_cndmask_b32_e64 v1, 0, 0x3ff00000, vcc_lo
	s_wait_xcnt 0x0
	s_or_b32 exec_lo, exec_lo, s6
	s_and_saveexec_b32 s6, s31
	s_cbranch_execz .LBB43_1350
	s_branch .LBB43_1305
.LBB43_406:
                                        ; implicit-def: $vgpr6
                                        ; implicit-def: $vgpr0
                                        ; implicit-def: $vgpr2
	s_branch .LBB43_409
.LBB43_407:
	s_wait_loadcnt 0x0
	v_dual_mov_b32 v6, 0 :: v_dual_mov_b32 v0, 0
	v_mov_b32_e32 v2, 0
.LBB43_408:
	s_cbranch_execnz .LBB43_411
.LBB43_409:
	v_mov_b32_e32 v5, 0
	s_and_not1_b32 vcc_lo, exec_lo, s38
	s_wait_loadcnt 0x0
	s_delay_alu instid0(VALU_DEP_1) | instskip(NEXT) | instid1(VALU_DEP_1)
	v_mul_u64_e32 v[0:1], s[24:25], v[4:5]
	v_add_nc_u32_e32 v0, v4, v1
	s_delay_alu instid0(VALU_DEP_1) | instskip(NEXT) | instid1(VALU_DEP_1)
	v_lshrrev_b32_e32 v8, s14, v0
	v_mul_lo_u32 v0, v8, s12
	s_delay_alu instid0(VALU_DEP_1) | instskip(NEXT) | instid1(VALU_DEP_1)
	v_sub_nc_u32_e32 v0, v4, v0
	v_mul_lo_u32 v2, v0, s16
	v_mul_lo_u32 v6, v0, s18
	;; [unrolled: 1-line block ×3, first 2 shown]
	s_cbranch_vccnz .LBB43_411
; %bb.410:
	v_mov_b32_e32 v9, v5
	s_delay_alu instid0(VALU_DEP_1) | instskip(NEXT) | instid1(VALU_DEP_1)
	v_mul_u64_e32 v[10:11], s[28:29], v[8:9]
	v_add_nc_u32_e32 v1, v8, v11
	s_delay_alu instid0(VALU_DEP_1) | instskip(NEXT) | instid1(VALU_DEP_1)
	v_lshrrev_b32_e32 v1, s1, v1
	v_mul_lo_u32 v1, v1, s15
	s_delay_alu instid0(VALU_DEP_1) | instskip(NEXT) | instid1(VALU_DEP_1)
	v_sub_nc_u32_e32 v1, v8, v1
	v_mad_u32 v2, v1, s19, v2
	v_mad_u32 v0, v1, s26, v0
	;; [unrolled: 1-line block ×3, first 2 shown]
.LBB43_411:
	s_wait_loadcnt 0x0
	v_mov_b32_e32 v1, 0
	s_and_b32 s0, s37, 0xff
	s_delay_alu instid0(SALU_CYCLE_1) | instskip(NEXT) | instid1(VALU_DEP_1)
	s_cmp_lt_i32 s0, 11
	v_add_nc_u64_e32 v[8:9], s[6:7], v[0:1]
	s_cbranch_scc1 .LBB43_418
; %bb.412:
	s_and_b32 s31, 0xffff, s0
	s_delay_alu instid0(SALU_CYCLE_1)
	s_cmp_gt_i32 s31, 25
	s_cbranch_scc0 .LBB43_427
; %bb.413:
	s_cmp_gt_i32 s31, 28
	s_cbranch_scc0 .LBB43_429
; %bb.414:
	;; [unrolled: 3-line block ×4, first 2 shown]
	s_cmp_eq_u32 s31, 46
	s_mov_b32 s47, 0
	s_cbranch_scc0 .LBB43_437
; %bb.417:
	global_load_b32 v0, v[8:9], off
	s_mov_b32 s46, -1
	s_mov_b32 s30, 0
	s_wait_loadcnt 0x0
	v_lshlrev_b32_e32 v0, 16, v0
	s_delay_alu instid0(VALU_DEP_1)
	v_cvt_f64_f32_e32 v[0:1], v0
	s_branch .LBB43_439
.LBB43_418:
	s_mov_b32 s46, 0
	s_mov_b32 s30, s44
                                        ; implicit-def: $vgpr0_vgpr1
	s_cbranch_execnz .LBB43_505
.LBB43_419:
	s_and_not1_b32 vcc_lo, exec_lo, s46
	s_cbranch_vccnz .LBB43_553
.LBB43_420:
	v_mov_b32_e32 v7, 0
	s_and_b32 s0, s13, 0xff
	s_delay_alu instid0(SALU_CYCLE_1) | instskip(NEXT) | instid1(VALU_DEP_1)
	s_cmp_lt_i32 s0, 11
	v_add_nc_u64_e32 v[6:7], s[8:9], v[6:7]
	s_cbranch_scc1 .LBB43_428
; %bb.421:
	s_and_b32 s46, 0xffff, s0
	s_delay_alu instid0(SALU_CYCLE_1)
	s_cmp_gt_i32 s46, 25
	s_cbranch_scc0 .LBB43_430
; %bb.422:
	s_cmp_gt_i32 s46, 28
	s_cbranch_scc0 .LBB43_432
; %bb.423:
	;; [unrolled: 3-line block ×4, first 2 shown]
	s_cmp_eq_u32 s46, 46
	s_mov_b32 s48, 0
	s_cbranch_scc0 .LBB43_556
; %bb.426:
	global_load_b32 v3, v[6:7], off
	s_mov_b32 s47, -1
	s_mov_b32 s31, 0
	s_wait_loadcnt 0x0
	v_lshlrev_b32_e32 v3, 16, v3
	s_wait_xcnt 0x1
	s_delay_alu instid0(VALU_DEP_1)
	v_cvt_f64_f32_e32 v[8:9], v3
	s_branch .LBB43_558
.LBB43_427:
	s_mov_b32 s47, -1
	s_mov_b32 s46, 0
	s_mov_b32 s30, s44
                                        ; implicit-def: $vgpr0_vgpr1
	s_branch .LBB43_469
.LBB43_428:
	s_mov_b32 s46, -1
	s_mov_b32 s47, 0
	s_mov_b32 s31, s43
                                        ; implicit-def: $vgpr8_vgpr9
	s_branch .LBB43_623
.LBB43_429:
	s_mov_b32 s47, -1
	s_mov_b32 s46, 0
	s_mov_b32 s30, s44
                                        ; implicit-def: $vgpr0_vgpr1
	s_branch .LBB43_450
.LBB43_430:
	s_mov_b32 s48, -1
	s_mov_b32 s47, 0
	s_mov_b32 s31, s43
                                        ; implicit-def: $vgpr8_vgpr9
	s_branch .LBB43_587
.LBB43_431:
	s_mov_b32 s47, -1
	s_mov_b32 s46, 0
	s_mov_b32 s30, s44
                                        ; implicit-def: $vgpr0_vgpr1
	s_branch .LBB43_445
.LBB43_432:
	s_mov_b32 s48, -1
	s_mov_b32 s47, 0
	s_mov_b32 s31, s43
                                        ; implicit-def: $vgpr8_vgpr9
	s_branch .LBB43_568
.LBB43_433:
	s_mov_b32 s47, -1
	s_mov_b32 s46, 0
	s_mov_b32 s30, s44
	s_branch .LBB43_438
.LBB43_434:
	s_mov_b32 s48, -1
	s_mov_b32 s47, 0
	s_mov_b32 s31, s43
                                        ; implicit-def: $vgpr8_vgpr9
	s_branch .LBB43_563
.LBB43_435:
	s_and_not1_saveexec_b32 s47, s47
	s_cbranch_execz .LBB43_193
.LBB43_436:
	v_add_f32_e64 v3, 0x46000000, |v2|
	s_and_not1_b32 s46, s46, exec_lo
	s_delay_alu instid0(VALU_DEP_1) | instskip(NEXT) | instid1(VALU_DEP_1)
	v_and_b32_e32 v3, 0xff, v3
	v_cmp_ne_u32_e32 vcc_lo, 0, v3
	s_and_b32 s48, vcc_lo, exec_lo
	s_delay_alu instid0(SALU_CYCLE_1)
	s_or_b32 s46, s46, s48
	s_or_b32 exec_lo, exec_lo, s47
	v_mov_b32_e32 v5, 0
	s_and_saveexec_b32 s47, s46
	s_cbranch_execnz .LBB43_194
	s_branch .LBB43_195
.LBB43_437:
	s_mov_b32 s30, -1
	s_mov_b32 s46, 0
.LBB43_438:
                                        ; implicit-def: $vgpr0_vgpr1
.LBB43_439:
	s_and_b32 vcc_lo, exec_lo, s47
	s_cbranch_vccz .LBB43_444
; %bb.440:
	s_cmp_eq_u32 s31, 44
	s_cbranch_scc0 .LBB43_443
; %bb.441:
	global_load_u8 v3, v[8:9], off
	s_mov_b32 s30, 0
	s_mov_b32 s46, -1
	s_wait_loadcnt 0x0
	v_cmp_ne_u32_e32 vcc_lo, 0xff, v3
	v_lshlrev_b32_e32 v0, 23, v3
	s_delay_alu instid0(VALU_DEP_1) | instskip(NEXT) | instid1(VALU_DEP_1)
	v_cvt_f64_f32_e32 v[0:1], v0
	v_cndmask_b32_e32 v0, 0x20000000, v0, vcc_lo
	s_delay_alu instid0(VALU_DEP_2) | instskip(SKIP_1) | instid1(VALU_DEP_2)
	v_cndmask_b32_e32 v1, 0x7ff80000, v1, vcc_lo
	v_cmp_ne_u32_e32 vcc_lo, 0, v3
	v_cndmask_b32_e32 v1, 0x38000000, v1, vcc_lo
	s_delay_alu instid0(VALU_DEP_4)
	v_cndmask_b32_e32 v0, 0, v0, vcc_lo
	s_branch .LBB43_444
.LBB43_442:
	s_mov_b32 s48, -1
	s_mov_b32 s47, 0
	s_mov_b32 s31, s43
	s_branch .LBB43_557
.LBB43_443:
	s_mov_b32 s30, -1
                                        ; implicit-def: $vgpr0_vgpr1
.LBB43_444:
	s_mov_b32 s47, 0
.LBB43_445:
	s_delay_alu instid0(SALU_CYCLE_1)
	s_and_b32 vcc_lo, exec_lo, s47
	s_cbranch_vccz .LBB43_449
; %bb.446:
	s_cmp_eq_u32 s31, 29
	s_cbranch_scc0 .LBB43_448
; %bb.447:
	global_load_b64 v[0:1], v[8:9], off
	s_mov_b32 s46, -1
	s_mov_b32 s30, 0
	s_mov_b32 s47, 0
	s_wait_loadcnt 0x0
	v_cvt_f64_u32_e32 v[10:11], v1
	v_cvt_f64_u32_e32 v[0:1], v0
	s_delay_alu instid0(VALU_DEP_2) | instskip(NEXT) | instid1(VALU_DEP_1)
	v_ldexp_f64 v[10:11], v[10:11], 32
	v_add_f64_e32 v[0:1], v[10:11], v[0:1]
	s_branch .LBB43_450
.LBB43_448:
	s_mov_b32 s30, -1
                                        ; implicit-def: $vgpr0_vgpr1
.LBB43_449:
	s_mov_b32 s47, 0
.LBB43_450:
	s_delay_alu instid0(SALU_CYCLE_1)
	s_and_b32 vcc_lo, exec_lo, s47
	s_cbranch_vccz .LBB43_468
; %bb.451:
	s_cmp_lt_i32 s31, 27
	s_cbranch_scc1 .LBB43_454
; %bb.452:
	s_cmp_gt_i32 s31, 27
	s_cbranch_scc0 .LBB43_455
; %bb.453:
	global_load_b32 v0, v[8:9], off
	s_mov_b32 s46, 0
	s_wait_loadcnt 0x0
	v_cvt_f64_u32_e32 v[0:1], v0
	s_branch .LBB43_456
.LBB43_454:
	s_mov_b32 s46, -1
                                        ; implicit-def: $vgpr0_vgpr1
	s_branch .LBB43_459
.LBB43_455:
	s_mov_b32 s46, -1
                                        ; implicit-def: $vgpr0_vgpr1
.LBB43_456:
	s_delay_alu instid0(SALU_CYCLE_1)
	s_and_not1_b32 vcc_lo, exec_lo, s46
	s_cbranch_vccnz .LBB43_458
; %bb.457:
	global_load_u16 v0, v[8:9], off
	s_wait_loadcnt 0x0
	v_cvt_f64_u32_e32 v[0:1], v0
.LBB43_458:
	s_mov_b32 s46, 0
.LBB43_459:
	s_delay_alu instid0(SALU_CYCLE_1)
	s_and_not1_b32 vcc_lo, exec_lo, s46
	s_cbranch_vccnz .LBB43_467
; %bb.460:
	global_load_u8 v3, v[8:9], off
	s_mov_b32 s46, 0
	s_mov_b32 s47, exec_lo
	s_wait_loadcnt 0x0
	v_cmpx_lt_i16_e32 0x7f, v3
	s_xor_b32 s47, exec_lo, s47
	s_cbranch_execz .LBB43_481
; %bb.461:
	s_mov_b32 s46, -1
	s_mov_b32 s48, exec_lo
	v_cmpx_eq_u16_e32 0x80, v3
; %bb.462:
	s_xor_b32 s46, exec_lo, -1
; %bb.463:
	s_or_b32 exec_lo, exec_lo, s48
	s_delay_alu instid0(SALU_CYCLE_1)
	s_and_b32 s46, s46, exec_lo
	s_or_saveexec_b32 s47, s47
	v_mov_b64_e32 v[0:1], 0x7ff8000020000000
	s_xor_b32 exec_lo, exec_lo, s47
	s_cbranch_execnz .LBB43_482
.LBB43_464:
	s_or_b32 exec_lo, exec_lo, s47
	s_and_saveexec_b32 s47, s46
	s_cbranch_execz .LBB43_466
.LBB43_465:
	v_and_b32_e32 v0, 0xffff, v3
	s_delay_alu instid0(VALU_DEP_1) | instskip(SKIP_1) | instid1(VALU_DEP_2)
	v_and_b32_e32 v1, 7, v0
	v_bfe_u32 v10, v0, 3, 4
	v_clz_i32_u32_e32 v5, v1
	s_delay_alu instid0(VALU_DEP_2) | instskip(NEXT) | instid1(VALU_DEP_2)
	v_cmp_eq_u32_e32 vcc_lo, 0, v10
	v_min_u32_e32 v5, 32, v5
	s_delay_alu instid0(VALU_DEP_1) | instskip(NEXT) | instid1(VALU_DEP_1)
	v_subrev_nc_u32_e32 v7, 28, v5
	v_dual_lshlrev_b32 v0, v7, v0 :: v_dual_sub_nc_u32 v5, 29, v5
	s_delay_alu instid0(VALU_DEP_1) | instskip(NEXT) | instid1(VALU_DEP_1)
	v_dual_lshlrev_b32 v3, 24, v3 :: v_dual_bitop2_b32 v0, 7, v0 bitop3:0x40
	v_dual_cndmask_b32 v5, v10, v5 :: v_dual_cndmask_b32 v0, v1, v0
	s_delay_alu instid0(VALU_DEP_2) | instskip(NEXT) | instid1(VALU_DEP_2)
	v_and_b32_e32 v1, 0x80000000, v3
	v_lshl_add_u32 v3, v5, 23, 0x3b800000
	s_delay_alu instid0(VALU_DEP_3) | instskip(NEXT) | instid1(VALU_DEP_1)
	v_lshlrev_b32_e32 v0, 20, v0
	v_or3_b32 v0, v1, v3, v0
	s_delay_alu instid0(VALU_DEP_1)
	v_cvt_f64_f32_e32 v[0:1], v0
.LBB43_466:
	s_or_b32 exec_lo, exec_lo, s47
.LBB43_467:
	s_mov_b32 s46, -1
.LBB43_468:
	s_mov_b32 s47, 0
.LBB43_469:
	s_delay_alu instid0(SALU_CYCLE_1)
	s_and_b32 vcc_lo, exec_lo, s47
	s_cbranch_vccz .LBB43_504
; %bb.470:
	s_cmp_gt_i32 s31, 22
	s_cbranch_scc0 .LBB43_480
; %bb.471:
	s_cmp_lt_i32 s31, 24
	s_cbranch_scc1 .LBB43_483
; %bb.472:
	s_cmp_gt_i32 s31, 24
	s_cbranch_scc0 .LBB43_484
; %bb.473:
	global_load_u8 v3, v[8:9], off
	s_mov_b32 s46, 0
	s_mov_b32 s47, exec_lo
	s_wait_loadcnt 0x0
	v_cmpx_lt_i16_e32 0x7f, v3
	s_xor_b32 s47, exec_lo, s47
	s_cbranch_execz .LBB43_496
; %bb.474:
	s_mov_b32 s46, -1
	s_mov_b32 s48, exec_lo
	v_cmpx_eq_u16_e32 0x80, v3
; %bb.475:
	s_xor_b32 s46, exec_lo, -1
; %bb.476:
	s_or_b32 exec_lo, exec_lo, s48
	s_delay_alu instid0(SALU_CYCLE_1)
	s_and_b32 s46, s46, exec_lo
	s_or_saveexec_b32 s47, s47
	v_mov_b64_e32 v[0:1], 0x7ff8000020000000
	s_xor_b32 exec_lo, exec_lo, s47
	s_cbranch_execnz .LBB43_497
.LBB43_477:
	s_or_b32 exec_lo, exec_lo, s47
	s_and_saveexec_b32 s47, s46
	s_cbranch_execz .LBB43_479
.LBB43_478:
	v_and_b32_e32 v0, 0xffff, v3
	s_delay_alu instid0(VALU_DEP_1) | instskip(SKIP_1) | instid1(VALU_DEP_2)
	v_and_b32_e32 v1, 3, v0
	v_bfe_u32 v10, v0, 2, 5
	v_clz_i32_u32_e32 v5, v1
	s_delay_alu instid0(VALU_DEP_2) | instskip(NEXT) | instid1(VALU_DEP_2)
	v_cmp_eq_u32_e32 vcc_lo, 0, v10
	v_min_u32_e32 v5, 32, v5
	s_delay_alu instid0(VALU_DEP_1) | instskip(NEXT) | instid1(VALU_DEP_1)
	v_subrev_nc_u32_e32 v7, 29, v5
	v_dual_lshlrev_b32 v0, v7, v0 :: v_dual_sub_nc_u32 v5, 30, v5
	s_delay_alu instid0(VALU_DEP_1) | instskip(NEXT) | instid1(VALU_DEP_1)
	v_dual_lshlrev_b32 v3, 24, v3 :: v_dual_bitop2_b32 v0, 3, v0 bitop3:0x40
	v_dual_cndmask_b32 v5, v10, v5 :: v_dual_cndmask_b32 v0, v1, v0
	s_delay_alu instid0(VALU_DEP_2) | instskip(NEXT) | instid1(VALU_DEP_2)
	v_and_b32_e32 v1, 0x80000000, v3
	v_lshl_add_u32 v3, v5, 23, 0x37800000
	s_delay_alu instid0(VALU_DEP_3) | instskip(NEXT) | instid1(VALU_DEP_1)
	v_lshlrev_b32_e32 v0, 21, v0
	v_or3_b32 v0, v1, v3, v0
	s_delay_alu instid0(VALU_DEP_1)
	v_cvt_f64_f32_e32 v[0:1], v0
.LBB43_479:
	s_or_b32 exec_lo, exec_lo, s47
	s_mov_b32 s46, 0
	s_branch .LBB43_485
.LBB43_480:
	s_mov_b32 s47, -1
                                        ; implicit-def: $vgpr0_vgpr1
	s_branch .LBB43_491
.LBB43_481:
	s_or_saveexec_b32 s47, s47
	v_mov_b64_e32 v[0:1], 0x7ff8000020000000
	s_xor_b32 exec_lo, exec_lo, s47
	s_cbranch_execz .LBB43_464
.LBB43_482:
	v_cmp_ne_u16_e32 vcc_lo, 0, v3
	v_mov_b64_e32 v[0:1], 0
	s_and_not1_b32 s46, s46, exec_lo
	s_and_b32 s48, vcc_lo, exec_lo
	s_delay_alu instid0(SALU_CYCLE_1)
	s_or_b32 s46, s46, s48
	s_or_b32 exec_lo, exec_lo, s47
	s_and_saveexec_b32 s47, s46
	s_cbranch_execnz .LBB43_465
	s_branch .LBB43_466
.LBB43_483:
	s_mov_b32 s46, -1
                                        ; implicit-def: $vgpr0_vgpr1
	s_branch .LBB43_488
.LBB43_484:
	s_mov_b32 s46, -1
                                        ; implicit-def: $vgpr0_vgpr1
.LBB43_485:
	s_delay_alu instid0(SALU_CYCLE_1)
	s_and_b32 vcc_lo, exec_lo, s46
	s_cbranch_vccz .LBB43_487
; %bb.486:
	global_load_u8 v0, v[8:9], off
	s_wait_loadcnt 0x0
	v_lshlrev_b32_e32 v0, 24, v0
	s_delay_alu instid0(VALU_DEP_1) | instskip(NEXT) | instid1(VALU_DEP_1)
	v_and_b32_e32 v1, 0x7f000000, v0
	v_clz_i32_u32_e32 v3, v1
	v_add_nc_u32_e32 v7, 0x1000000, v1
	v_cmp_ne_u32_e32 vcc_lo, 0, v1
	s_delay_alu instid0(VALU_DEP_3) | instskip(NEXT) | instid1(VALU_DEP_1)
	v_min_u32_e32 v3, 32, v3
	v_sub_nc_u32_e64 v3, v3, 4 clamp
	s_delay_alu instid0(VALU_DEP_1) | instskip(NEXT) | instid1(VALU_DEP_1)
	v_dual_lshlrev_b32 v5, v3, v1 :: v_dual_lshlrev_b32 v3, 23, v3
	v_lshrrev_b32_e32 v5, 4, v5
	s_delay_alu instid0(VALU_DEP_1) | instskip(SKIP_1) | instid1(VALU_DEP_2)
	v_sub_nc_u32_e32 v3, v5, v3
	v_ashrrev_i32_e32 v5, 8, v7
	v_add_nc_u32_e32 v3, 0x3c000000, v3
	s_delay_alu instid0(VALU_DEP_1) | instskip(NEXT) | instid1(VALU_DEP_1)
	v_and_or_b32 v3, 0x7f800000, v5, v3
	v_cndmask_b32_e32 v1, 0, v3, vcc_lo
	s_delay_alu instid0(VALU_DEP_1) | instskip(NEXT) | instid1(VALU_DEP_1)
	v_and_or_b32 v0, 0x80000000, v0, v1
	v_cvt_f64_f32_e32 v[0:1], v0
.LBB43_487:
	s_mov_b32 s46, 0
.LBB43_488:
	s_delay_alu instid0(SALU_CYCLE_1)
	s_and_not1_b32 vcc_lo, exec_lo, s46
	s_cbranch_vccnz .LBB43_490
; %bb.489:
	global_load_u8 v0, v[8:9], off
	s_wait_loadcnt 0x0
	v_lshlrev_b32_e32 v1, 25, v0
	v_lshlrev_b16 v0, 8, v0
	s_delay_alu instid0(VALU_DEP_1) | instskip(SKIP_1) | instid1(VALU_DEP_2)
	v_and_or_b32 v5, 0x7f00, v0, 0.5
	v_bfe_i32 v0, v0, 0, 16
	v_add_f32_e32 v5, -0.5, v5
	v_lshrrev_b32_e32 v3, 4, v1
	v_cmp_gt_u32_e32 vcc_lo, 0x8000000, v1
	s_delay_alu instid0(VALU_DEP_2) | instskip(NEXT) | instid1(VALU_DEP_1)
	v_or_b32_e32 v3, 0x70000000, v3
	v_mul_f32_e32 v3, 0x7800000, v3
	s_delay_alu instid0(VALU_DEP_1) | instskip(NEXT) | instid1(VALU_DEP_1)
	v_cndmask_b32_e32 v1, v3, v5, vcc_lo
	v_and_or_b32 v0, 0x80000000, v0, v1
	s_delay_alu instid0(VALU_DEP_1)
	v_cvt_f64_f32_e32 v[0:1], v0
.LBB43_490:
	s_mov_b32 s47, 0
	s_mov_b32 s46, -1
.LBB43_491:
	s_and_not1_b32 vcc_lo, exec_lo, s47
	s_cbranch_vccnz .LBB43_504
; %bb.492:
	s_cmp_gt_i32 s31, 14
	s_cbranch_scc0 .LBB43_495
; %bb.493:
	s_cmp_eq_u32 s31, 15
	s_cbranch_scc0 .LBB43_498
; %bb.494:
	global_load_u16 v0, v[8:9], off
	s_mov_b32 s46, -1
	s_mov_b32 s30, 0
	s_wait_loadcnt 0x0
	v_lshlrev_b32_e32 v0, 16, v0
	s_delay_alu instid0(VALU_DEP_1)
	v_cvt_f64_f32_e32 v[0:1], v0
	s_branch .LBB43_499
.LBB43_495:
	s_mov_b32 s47, -1
                                        ; implicit-def: $vgpr0_vgpr1
	s_branch .LBB43_500
.LBB43_496:
	s_or_saveexec_b32 s47, s47
	v_mov_b64_e32 v[0:1], 0x7ff8000020000000
	s_xor_b32 exec_lo, exec_lo, s47
	s_cbranch_execz .LBB43_477
.LBB43_497:
	v_cmp_ne_u16_e32 vcc_lo, 0, v3
	v_mov_b64_e32 v[0:1], 0
	s_and_not1_b32 s46, s46, exec_lo
	s_and_b32 s48, vcc_lo, exec_lo
	s_delay_alu instid0(SALU_CYCLE_1)
	s_or_b32 s46, s46, s48
	s_or_b32 exec_lo, exec_lo, s47
	s_and_saveexec_b32 s47, s46
	s_cbranch_execnz .LBB43_478
	s_branch .LBB43_479
.LBB43_498:
	s_mov_b32 s30, -1
                                        ; implicit-def: $vgpr0_vgpr1
.LBB43_499:
	s_mov_b32 s47, 0
.LBB43_500:
	s_delay_alu instid0(SALU_CYCLE_1)
	s_and_b32 vcc_lo, exec_lo, s47
	s_cbranch_vccz .LBB43_504
; %bb.501:
	s_cmp_eq_u32 s31, 11
	s_cbranch_scc0 .LBB43_503
; %bb.502:
	global_load_u8 v0, v[8:9], off
	s_mov_b32 s30, 0
	s_mov_b32 s46, -1
	s_wait_loadcnt 0x0
	v_cmp_ne_u16_e32 vcc_lo, 0, v0
	v_mov_b32_e32 v0, 0
	v_cndmask_b32_e64 v1, 0, 0x3ff00000, vcc_lo
	s_branch .LBB43_504
.LBB43_503:
	s_mov_b32 s30, -1
                                        ; implicit-def: $vgpr0_vgpr1
.LBB43_504:
	s_branch .LBB43_419
.LBB43_505:
	s_and_b32 s0, 0xffff, s0
	s_delay_alu instid0(SALU_CYCLE_1)
	s_cmp_lt_i32 s0, 5
	s_cbranch_scc1 .LBB43_510
; %bb.506:
	s_cmp_lt_i32 s0, 8
	s_cbranch_scc1 .LBB43_511
; %bb.507:
	;; [unrolled: 3-line block ×3, first 2 shown]
	s_cmp_gt_i32 s0, 9
	s_cbranch_scc0 .LBB43_513
; %bb.509:
	global_load_b64 v[0:1], v[8:9], off
	s_mov_b32 s31, 0
	s_branch .LBB43_514
.LBB43_510:
	s_mov_b32 s31, -1
                                        ; implicit-def: $vgpr0_vgpr1
	s_branch .LBB43_532
.LBB43_511:
	s_mov_b32 s31, -1
                                        ; implicit-def: $vgpr0_vgpr1
	s_branch .LBB43_520
.LBB43_512:
	s_mov_b32 s31, -1
                                        ; implicit-def: $vgpr0_vgpr1
	s_branch .LBB43_517
.LBB43_513:
	s_mov_b32 s31, -1
                                        ; implicit-def: $vgpr0_vgpr1
.LBB43_514:
	s_delay_alu instid0(SALU_CYCLE_1)
	s_and_not1_b32 vcc_lo, exec_lo, s31
	s_cbranch_vccnz .LBB43_516
; %bb.515:
	s_wait_loadcnt 0x0
	global_load_b32 v0, v[8:9], off
	s_wait_loadcnt 0x0
	v_cvt_f64_f32_e32 v[0:1], v0
.LBB43_516:
	s_mov_b32 s31, 0
.LBB43_517:
	s_delay_alu instid0(SALU_CYCLE_1)
	s_and_not1_b32 vcc_lo, exec_lo, s31
	s_cbranch_vccnz .LBB43_519
; %bb.518:
	s_wait_loadcnt 0x0
	global_load_b32 v0, v[8:9], off
	s_wait_loadcnt 0x0
	v_cvt_f32_f16_e32 v0, v0
	s_delay_alu instid0(VALU_DEP_1)
	v_cvt_f64_f32_e32 v[0:1], v0
.LBB43_519:
	s_mov_b32 s31, 0
.LBB43_520:
	s_delay_alu instid0(SALU_CYCLE_1)
	s_and_not1_b32 vcc_lo, exec_lo, s31
	s_cbranch_vccnz .LBB43_531
; %bb.521:
	s_cmp_lt_i32 s0, 6
	s_cbranch_scc1 .LBB43_524
; %bb.522:
	s_cmp_gt_i32 s0, 6
	s_cbranch_scc0 .LBB43_525
; %bb.523:
	s_wait_loadcnt 0x0
	global_load_b64 v[0:1], v[8:9], off
	s_mov_b32 s31, 0
	s_branch .LBB43_526
.LBB43_524:
	s_mov_b32 s31, -1
                                        ; implicit-def: $vgpr0_vgpr1
	s_branch .LBB43_529
.LBB43_525:
	s_mov_b32 s31, -1
                                        ; implicit-def: $vgpr0_vgpr1
.LBB43_526:
	s_delay_alu instid0(SALU_CYCLE_1)
	s_and_not1_b32 vcc_lo, exec_lo, s31
	s_cbranch_vccnz .LBB43_528
; %bb.527:
	s_wait_loadcnt 0x0
	global_load_b32 v0, v[8:9], off
	s_wait_loadcnt 0x0
	v_cvt_f64_f32_e32 v[0:1], v0
.LBB43_528:
	s_mov_b32 s31, 0
.LBB43_529:
	s_delay_alu instid0(SALU_CYCLE_1)
	s_and_not1_b32 vcc_lo, exec_lo, s31
	s_cbranch_vccnz .LBB43_531
; %bb.530:
	s_wait_loadcnt 0x0
	global_load_u16 v0, v[8:9], off
	s_wait_loadcnt 0x0
	v_cvt_f32_f16_e32 v0, v0
	s_delay_alu instid0(VALU_DEP_1)
	v_cvt_f64_f32_e32 v[0:1], v0
.LBB43_531:
	s_mov_b32 s31, 0
.LBB43_532:
	s_delay_alu instid0(SALU_CYCLE_1)
	s_and_not1_b32 vcc_lo, exec_lo, s31
	s_cbranch_vccnz .LBB43_552
; %bb.533:
	s_cmp_lt_i32 s0, 2
	s_cbranch_scc1 .LBB43_537
; %bb.534:
	s_cmp_lt_i32 s0, 3
	s_cbranch_scc1 .LBB43_538
; %bb.535:
	s_cmp_gt_i32 s0, 3
	s_cbranch_scc0 .LBB43_539
; %bb.536:
	s_wait_loadcnt 0x0
	global_load_b64 v[0:1], v[8:9], off
	s_mov_b32 s31, 0
	s_wait_loadcnt 0x0
	v_cvt_f64_i32_e32 v[10:11], v1
	v_cvt_f64_u32_e32 v[0:1], v0
	s_delay_alu instid0(VALU_DEP_2) | instskip(NEXT) | instid1(VALU_DEP_1)
	v_ldexp_f64 v[10:11], v[10:11], 32
	v_add_f64_e32 v[0:1], v[10:11], v[0:1]
	s_branch .LBB43_540
.LBB43_537:
	s_mov_b32 s31, -1
                                        ; implicit-def: $vgpr0_vgpr1
	s_branch .LBB43_546
.LBB43_538:
	s_mov_b32 s31, -1
                                        ; implicit-def: $vgpr0_vgpr1
	s_branch .LBB43_543
.LBB43_539:
	s_mov_b32 s31, -1
                                        ; implicit-def: $vgpr0_vgpr1
.LBB43_540:
	s_delay_alu instid0(SALU_CYCLE_1)
	s_and_not1_b32 vcc_lo, exec_lo, s31
	s_cbranch_vccnz .LBB43_542
; %bb.541:
	s_wait_loadcnt 0x0
	global_load_b32 v0, v[8:9], off
	s_wait_loadcnt 0x0
	v_cvt_f64_i32_e32 v[0:1], v0
.LBB43_542:
	s_mov_b32 s31, 0
.LBB43_543:
	s_delay_alu instid0(SALU_CYCLE_1)
	s_and_not1_b32 vcc_lo, exec_lo, s31
	s_cbranch_vccnz .LBB43_545
; %bb.544:
	s_wait_loadcnt 0x0
	global_load_i16 v0, v[8:9], off
	s_wait_loadcnt 0x0
	v_cvt_f64_i32_e32 v[0:1], v0
.LBB43_545:
	s_mov_b32 s31, 0
.LBB43_546:
	s_delay_alu instid0(SALU_CYCLE_1)
	s_and_not1_b32 vcc_lo, exec_lo, s31
	s_cbranch_vccnz .LBB43_552
; %bb.547:
	s_cmp_gt_i32 s0, 0
	s_mov_b32 s0, 0
	s_cbranch_scc0 .LBB43_549
; %bb.548:
	s_wait_loadcnt 0x0
	global_load_i8 v0, v[8:9], off
	s_wait_loadcnt 0x0
	v_cvt_f64_i32_e32 v[0:1], v0
	s_branch .LBB43_550
.LBB43_549:
	s_mov_b32 s0, -1
                                        ; implicit-def: $vgpr0_vgpr1
.LBB43_550:
	s_delay_alu instid0(SALU_CYCLE_1)
	s_and_not1_b32 vcc_lo, exec_lo, s0
	s_cbranch_vccnz .LBB43_552
; %bb.551:
	s_wait_loadcnt 0x0
	global_load_u8 v0, v[8:9], off
	s_wait_loadcnt 0x0
	v_cvt_f64_u32_e32 v[0:1], v0
.LBB43_552:
	s_branch .LBB43_420
.LBB43_553:
	s_mov_b32 s50, 0
	s_mov_b32 s0, s42
	;; [unrolled: 1-line block ×3, first 2 shown]
	s_branch .LBB43_799
.LBB43_554:
	s_and_not1_saveexec_b32 s47, s47
	s_cbranch_execz .LBB43_206
.LBB43_555:
	v_add_f32_e64 v3, 0x42800000, |v2|
	s_and_not1_b32 s46, s46, exec_lo
	s_delay_alu instid0(VALU_DEP_1) | instskip(NEXT) | instid1(VALU_DEP_1)
	v_and_b32_e32 v3, 0xff, v3
	v_cmp_ne_u32_e32 vcc_lo, 0, v3
	s_and_b32 s48, vcc_lo, exec_lo
	s_delay_alu instid0(SALU_CYCLE_1)
	s_or_b32 s46, s46, s48
	s_or_b32 exec_lo, exec_lo, s47
	v_mov_b32_e32 v5, 0
	s_and_saveexec_b32 s47, s46
	s_cbranch_execnz .LBB43_207
	s_branch .LBB43_208
.LBB43_556:
	s_mov_b32 s31, -1
	s_mov_b32 s47, 0
.LBB43_557:
                                        ; implicit-def: $vgpr8_vgpr9
.LBB43_558:
	s_and_b32 vcc_lo, exec_lo, s48
	s_cbranch_vccz .LBB43_562
; %bb.559:
	s_cmp_eq_u32 s46, 44
	s_cbranch_scc0 .LBB43_561
; %bb.560:
	global_load_u8 v3, v[6:7], off
	s_mov_b32 s31, 0
	s_mov_b32 s47, -1
	s_wait_loadcnt 0x0
	v_cmp_ne_u32_e32 vcc_lo, 0xff, v3
	v_lshlrev_b32_e32 v5, 23, v3
	s_wait_xcnt 0x1
	s_delay_alu instid0(VALU_DEP_1) | instskip(NEXT) | instid1(VALU_DEP_1)
	v_cvt_f64_f32_e32 v[8:9], v5
	v_cndmask_b32_e32 v5, 0x20000000, v8, vcc_lo
	s_delay_alu instid0(VALU_DEP_2) | instskip(SKIP_1) | instid1(VALU_DEP_2)
	v_cndmask_b32_e32 v8, 0x7ff80000, v9, vcc_lo
	v_cmp_ne_u32_e32 vcc_lo, 0, v3
	v_cndmask_b32_e32 v9, 0x38000000, v8, vcc_lo
	s_delay_alu instid0(VALU_DEP_4)
	v_cndmask_b32_e32 v8, 0, v5, vcc_lo
	s_branch .LBB43_562
.LBB43_561:
	s_mov_b32 s31, -1
                                        ; implicit-def: $vgpr8_vgpr9
.LBB43_562:
	s_mov_b32 s48, 0
.LBB43_563:
	s_delay_alu instid0(SALU_CYCLE_1)
	s_and_b32 vcc_lo, exec_lo, s48
	s_cbranch_vccz .LBB43_567
; %bb.564:
	s_cmp_eq_u32 s46, 29
	s_cbranch_scc0 .LBB43_566
; %bb.565:
	global_load_b64 v[8:9], v[6:7], off
	s_mov_b32 s47, -1
	s_mov_b32 s31, 0
	s_mov_b32 s48, 0
	s_wait_loadcnt 0x0
	v_cvt_f64_u32_e32 v[10:11], v9
	v_cvt_f64_u32_e32 v[8:9], v8
	s_delay_alu instid0(VALU_DEP_2) | instskip(NEXT) | instid1(VALU_DEP_1)
	v_ldexp_f64 v[10:11], v[10:11], 32
	v_add_f64_e32 v[8:9], v[10:11], v[8:9]
	s_branch .LBB43_568
.LBB43_566:
	s_mov_b32 s31, -1
                                        ; implicit-def: $vgpr8_vgpr9
.LBB43_567:
	s_mov_b32 s48, 0
.LBB43_568:
	s_delay_alu instid0(SALU_CYCLE_1)
	s_and_b32 vcc_lo, exec_lo, s48
	s_cbranch_vccz .LBB43_586
; %bb.569:
	s_cmp_lt_i32 s46, 27
	s_cbranch_scc1 .LBB43_572
; %bb.570:
	s_cmp_gt_i32 s46, 27
	s_cbranch_scc0 .LBB43_573
; %bb.571:
	global_load_b32 v3, v[6:7], off
	s_mov_b32 s47, 0
	s_wait_loadcnt 0x0
	s_wait_xcnt 0x1
	v_cvt_f64_u32_e32 v[8:9], v3
	s_branch .LBB43_574
.LBB43_572:
	s_mov_b32 s47, -1
                                        ; implicit-def: $vgpr8_vgpr9
	s_branch .LBB43_577
.LBB43_573:
	s_mov_b32 s47, -1
                                        ; implicit-def: $vgpr8_vgpr9
.LBB43_574:
	s_delay_alu instid0(SALU_CYCLE_1)
	s_and_not1_b32 vcc_lo, exec_lo, s47
	s_cbranch_vccnz .LBB43_576
; %bb.575:
	global_load_u16 v3, v[6:7], off
	s_wait_loadcnt 0x0
	s_wait_xcnt 0x1
	v_cvt_f64_u32_e32 v[8:9], v3
.LBB43_576:
	s_mov_b32 s47, 0
.LBB43_577:
	s_delay_alu instid0(SALU_CYCLE_1)
	s_and_not1_b32 vcc_lo, exec_lo, s47
	s_cbranch_vccnz .LBB43_585
; %bb.578:
	global_load_u8 v3, v[6:7], off
	s_mov_b32 s47, 0
	s_mov_b32 s48, exec_lo
	s_wait_loadcnt 0x0
	v_cmpx_lt_i16_e32 0x7f, v3
	s_xor_b32 s48, exec_lo, s48
	s_cbranch_execz .LBB43_599
; %bb.579:
	s_mov_b32 s47, -1
	s_mov_b32 s50, exec_lo
	v_cmpx_eq_u16_e32 0x80, v3
; %bb.580:
	s_xor_b32 s47, exec_lo, -1
; %bb.581:
	s_or_b32 exec_lo, exec_lo, s50
	s_delay_alu instid0(SALU_CYCLE_1)
	s_and_b32 s47, s47, exec_lo
	s_or_saveexec_b32 s48, s48
	v_mov_b64_e32 v[8:9], 0x7ff8000020000000
	s_xor_b32 exec_lo, exec_lo, s48
	s_cbranch_execnz .LBB43_600
.LBB43_582:
	s_or_b32 exec_lo, exec_lo, s48
	s_and_saveexec_b32 s48, s47
	s_cbranch_execz .LBB43_584
.LBB43_583:
	v_and_b32_e32 v5, 0xffff, v3
	s_delay_alu instid0(VALU_DEP_1) | instskip(SKIP_1) | instid1(VALU_DEP_2)
	v_dual_lshlrev_b32 v3, 24, v3 :: v_dual_bitop2_b32 v8, 7, v5 bitop3:0x40
	v_bfe_u32 v11, v5, 3, 4
	v_and_b32_e32 v3, 0x80000000, v3
	s_delay_alu instid0(VALU_DEP_3) | instskip(NEXT) | instid1(VALU_DEP_3)
	v_clz_i32_u32_e32 v9, v8
	v_cmp_eq_u32_e32 vcc_lo, 0, v11
	s_delay_alu instid0(VALU_DEP_2) | instskip(NEXT) | instid1(VALU_DEP_1)
	v_min_u32_e32 v9, 32, v9
	v_subrev_nc_u32_e32 v10, 28, v9
	v_sub_nc_u32_e32 v9, 29, v9
	s_delay_alu instid0(VALU_DEP_2) | instskip(NEXT) | instid1(VALU_DEP_2)
	v_lshlrev_b32_e32 v5, v10, v5
	v_cndmask_b32_e32 v9, v11, v9, vcc_lo
	s_delay_alu instid0(VALU_DEP_2) | instskip(NEXT) | instid1(VALU_DEP_1)
	v_and_b32_e32 v5, 7, v5
	v_cndmask_b32_e32 v5, v8, v5, vcc_lo
	s_delay_alu instid0(VALU_DEP_3) | instskip(NEXT) | instid1(VALU_DEP_2)
	v_lshl_add_u32 v8, v9, 23, 0x3b800000
	v_lshlrev_b32_e32 v5, 20, v5
	s_delay_alu instid0(VALU_DEP_1) | instskip(NEXT) | instid1(VALU_DEP_1)
	v_or3_b32 v3, v3, v8, v5
	v_cvt_f64_f32_e32 v[8:9], v3
.LBB43_584:
	s_or_b32 exec_lo, exec_lo, s48
.LBB43_585:
	s_mov_b32 s47, -1
.LBB43_586:
	s_mov_b32 s48, 0
.LBB43_587:
	s_delay_alu instid0(SALU_CYCLE_1)
	s_and_b32 vcc_lo, exec_lo, s48
	s_cbranch_vccz .LBB43_622
; %bb.588:
	s_cmp_gt_i32 s46, 22
	s_cbranch_scc0 .LBB43_598
; %bb.589:
	s_cmp_lt_i32 s46, 24
	s_cbranch_scc1 .LBB43_601
; %bb.590:
	s_cmp_gt_i32 s46, 24
	s_cbranch_scc0 .LBB43_602
; %bb.591:
	global_load_u8 v3, v[6:7], off
	s_mov_b32 s47, 0
	s_mov_b32 s48, exec_lo
	s_wait_loadcnt 0x0
	v_cmpx_lt_i16_e32 0x7f, v3
	s_xor_b32 s48, exec_lo, s48
	s_cbranch_execz .LBB43_614
; %bb.592:
	s_mov_b32 s47, -1
	s_mov_b32 s50, exec_lo
	v_cmpx_eq_u16_e32 0x80, v3
; %bb.593:
	s_xor_b32 s47, exec_lo, -1
; %bb.594:
	s_or_b32 exec_lo, exec_lo, s50
	s_delay_alu instid0(SALU_CYCLE_1)
	s_and_b32 s47, s47, exec_lo
	s_or_saveexec_b32 s48, s48
	v_mov_b64_e32 v[8:9], 0x7ff8000020000000
	s_xor_b32 exec_lo, exec_lo, s48
	s_cbranch_execnz .LBB43_615
.LBB43_595:
	s_or_b32 exec_lo, exec_lo, s48
	s_and_saveexec_b32 s48, s47
	s_cbranch_execz .LBB43_597
.LBB43_596:
	v_and_b32_e32 v5, 0xffff, v3
	s_delay_alu instid0(VALU_DEP_1) | instskip(SKIP_1) | instid1(VALU_DEP_2)
	v_dual_lshlrev_b32 v3, 24, v3 :: v_dual_bitop2_b32 v8, 3, v5 bitop3:0x40
	v_bfe_u32 v11, v5, 2, 5
	v_and_b32_e32 v3, 0x80000000, v3
	s_delay_alu instid0(VALU_DEP_3) | instskip(NEXT) | instid1(VALU_DEP_3)
	v_clz_i32_u32_e32 v9, v8
	v_cmp_eq_u32_e32 vcc_lo, 0, v11
	s_delay_alu instid0(VALU_DEP_2) | instskip(NEXT) | instid1(VALU_DEP_1)
	v_min_u32_e32 v9, 32, v9
	v_subrev_nc_u32_e32 v10, 29, v9
	v_sub_nc_u32_e32 v9, 30, v9
	s_delay_alu instid0(VALU_DEP_2) | instskip(NEXT) | instid1(VALU_DEP_2)
	v_lshlrev_b32_e32 v5, v10, v5
	v_cndmask_b32_e32 v9, v11, v9, vcc_lo
	s_delay_alu instid0(VALU_DEP_2) | instskip(NEXT) | instid1(VALU_DEP_1)
	v_and_b32_e32 v5, 3, v5
	v_cndmask_b32_e32 v5, v8, v5, vcc_lo
	s_delay_alu instid0(VALU_DEP_3) | instskip(NEXT) | instid1(VALU_DEP_2)
	v_lshl_add_u32 v8, v9, 23, 0x37800000
	v_lshlrev_b32_e32 v5, 21, v5
	s_delay_alu instid0(VALU_DEP_1) | instskip(NEXT) | instid1(VALU_DEP_1)
	v_or3_b32 v3, v3, v8, v5
	v_cvt_f64_f32_e32 v[8:9], v3
.LBB43_597:
	s_or_b32 exec_lo, exec_lo, s48
	s_mov_b32 s47, 0
	s_branch .LBB43_603
.LBB43_598:
	s_mov_b32 s48, -1
                                        ; implicit-def: $vgpr8_vgpr9
	s_branch .LBB43_609
.LBB43_599:
	s_or_saveexec_b32 s48, s48
	v_mov_b64_e32 v[8:9], 0x7ff8000020000000
	s_xor_b32 exec_lo, exec_lo, s48
	s_cbranch_execz .LBB43_582
.LBB43_600:
	v_cmp_ne_u16_e32 vcc_lo, 0, v3
	v_mov_b64_e32 v[8:9], 0
	s_and_not1_b32 s47, s47, exec_lo
	s_and_b32 s50, vcc_lo, exec_lo
	s_delay_alu instid0(SALU_CYCLE_1)
	s_or_b32 s47, s47, s50
	s_or_b32 exec_lo, exec_lo, s48
	s_and_saveexec_b32 s48, s47
	s_cbranch_execnz .LBB43_583
	s_branch .LBB43_584
.LBB43_601:
	s_mov_b32 s47, -1
                                        ; implicit-def: $vgpr8_vgpr9
	s_branch .LBB43_606
.LBB43_602:
	s_mov_b32 s47, -1
                                        ; implicit-def: $vgpr8_vgpr9
.LBB43_603:
	s_delay_alu instid0(SALU_CYCLE_1)
	s_and_b32 vcc_lo, exec_lo, s47
	s_cbranch_vccz .LBB43_605
; %bb.604:
	global_load_u8 v3, v[6:7], off
	s_wait_loadcnt 0x0
	v_lshlrev_b32_e32 v3, 24, v3
	s_delay_alu instid0(VALU_DEP_1) | instskip(SKIP_1) | instid1(VALU_DEP_1)
	v_and_b32_e32 v5, 0x7f000000, v3
	s_wait_xcnt 0x1
	v_clz_i32_u32_e32 v8, v5
	v_cmp_ne_u32_e32 vcc_lo, 0, v5
	v_add_nc_u32_e32 v10, 0x1000000, v5
	s_delay_alu instid0(VALU_DEP_3) | instskip(NEXT) | instid1(VALU_DEP_1)
	v_min_u32_e32 v8, 32, v8
	v_sub_nc_u32_e64 v8, v8, 4 clamp
	s_delay_alu instid0(VALU_DEP_1) | instskip(NEXT) | instid1(VALU_DEP_1)
	v_dual_lshlrev_b32 v9, v8, v5 :: v_dual_lshlrev_b32 v8, 23, v8
	v_lshrrev_b32_e32 v9, 4, v9
	s_delay_alu instid0(VALU_DEP_1) | instskip(NEXT) | instid1(VALU_DEP_1)
	v_dual_sub_nc_u32 v8, v9, v8 :: v_dual_ashrrev_i32 v9, 8, v10
	v_add_nc_u32_e32 v8, 0x3c000000, v8
	s_delay_alu instid0(VALU_DEP_1) | instskip(NEXT) | instid1(VALU_DEP_1)
	v_and_or_b32 v8, 0x7f800000, v9, v8
	v_cndmask_b32_e32 v5, 0, v8, vcc_lo
	s_delay_alu instid0(VALU_DEP_1) | instskip(NEXT) | instid1(VALU_DEP_1)
	v_and_or_b32 v3, 0x80000000, v3, v5
	v_cvt_f64_f32_e32 v[8:9], v3
.LBB43_605:
	s_mov_b32 s47, 0
.LBB43_606:
	s_delay_alu instid0(SALU_CYCLE_1)
	s_and_not1_b32 vcc_lo, exec_lo, s47
	s_cbranch_vccnz .LBB43_608
; %bb.607:
	global_load_u8 v3, v[6:7], off
	s_wait_loadcnt 0x0
	v_lshlrev_b32_e32 v5, 25, v3
	v_lshlrev_b16 v3, 8, v3
	s_wait_xcnt 0x1
	s_delay_alu instid0(VALU_DEP_1) | instskip(SKIP_1) | instid1(VALU_DEP_2)
	v_and_or_b32 v9, 0x7f00, v3, 0.5
	v_bfe_i32 v3, v3, 0, 16
	v_add_f32_e32 v9, -0.5, v9
	v_lshrrev_b32_e32 v8, 4, v5
	v_cmp_gt_u32_e32 vcc_lo, 0x8000000, v5
	s_delay_alu instid0(VALU_DEP_2) | instskip(NEXT) | instid1(VALU_DEP_1)
	v_or_b32_e32 v8, 0x70000000, v8
	v_mul_f32_e32 v8, 0x7800000, v8
	s_delay_alu instid0(VALU_DEP_1) | instskip(NEXT) | instid1(VALU_DEP_1)
	v_cndmask_b32_e32 v5, v8, v9, vcc_lo
	v_and_or_b32 v3, 0x80000000, v3, v5
	s_delay_alu instid0(VALU_DEP_1)
	v_cvt_f64_f32_e32 v[8:9], v3
.LBB43_608:
	s_mov_b32 s48, 0
	s_mov_b32 s47, -1
.LBB43_609:
	s_and_not1_b32 vcc_lo, exec_lo, s48
	s_cbranch_vccnz .LBB43_622
; %bb.610:
	s_cmp_gt_i32 s46, 14
	s_cbranch_scc0 .LBB43_613
; %bb.611:
	s_cmp_eq_u32 s46, 15
	s_cbranch_scc0 .LBB43_616
; %bb.612:
	global_load_u16 v3, v[6:7], off
	s_mov_b32 s47, -1
	s_mov_b32 s31, 0
	s_wait_loadcnt 0x0
	v_lshlrev_b32_e32 v3, 16, v3
	s_wait_xcnt 0x1
	s_delay_alu instid0(VALU_DEP_1)
	v_cvt_f64_f32_e32 v[8:9], v3
	s_branch .LBB43_617
.LBB43_613:
	s_mov_b32 s48, -1
                                        ; implicit-def: $vgpr8_vgpr9
	s_branch .LBB43_618
.LBB43_614:
	s_or_saveexec_b32 s48, s48
	v_mov_b64_e32 v[8:9], 0x7ff8000020000000
	s_xor_b32 exec_lo, exec_lo, s48
	s_cbranch_execz .LBB43_595
.LBB43_615:
	v_cmp_ne_u16_e32 vcc_lo, 0, v3
	v_mov_b64_e32 v[8:9], 0
	s_and_not1_b32 s47, s47, exec_lo
	s_and_b32 s50, vcc_lo, exec_lo
	s_delay_alu instid0(SALU_CYCLE_1)
	s_or_b32 s47, s47, s50
	s_or_b32 exec_lo, exec_lo, s48
	s_and_saveexec_b32 s48, s47
	s_cbranch_execnz .LBB43_596
	s_branch .LBB43_597
.LBB43_616:
	s_mov_b32 s31, -1
                                        ; implicit-def: $vgpr8_vgpr9
.LBB43_617:
	s_mov_b32 s48, 0
.LBB43_618:
	s_delay_alu instid0(SALU_CYCLE_1)
	s_and_b32 vcc_lo, exec_lo, s48
	s_cbranch_vccz .LBB43_622
; %bb.619:
	s_cmp_eq_u32 s46, 11
	s_cbranch_scc0 .LBB43_621
; %bb.620:
	global_load_u8 v3, v[6:7], off
	s_wait_xcnt 0x1
	v_mov_b32_e32 v8, 0
	s_mov_b32 s31, 0
	s_mov_b32 s47, -1
	s_wait_loadcnt 0x0
	v_cmp_ne_u16_e32 vcc_lo, 0, v3
	v_cndmask_b32_e64 v9, 0, 0x3ff00000, vcc_lo
	s_branch .LBB43_622
.LBB43_621:
	s_mov_b32 s31, -1
                                        ; implicit-def: $vgpr8_vgpr9
.LBB43_622:
	s_mov_b32 s46, 0
.LBB43_623:
	s_delay_alu instid0(SALU_CYCLE_1)
	s_and_b32 vcc_lo, exec_lo, s46
	s_cbranch_vccz .LBB43_672
; %bb.624:
	s_and_b32 s0, 0xffff, s0
	s_delay_alu instid0(SALU_CYCLE_1)
	s_cmp_lt_i32 s0, 5
	s_cbranch_scc1 .LBB43_629
; %bb.625:
	s_cmp_lt_i32 s0, 8
	s_cbranch_scc1 .LBB43_630
; %bb.626:
	;; [unrolled: 3-line block ×3, first 2 shown]
	s_cmp_gt_i32 s0, 9
	s_cbranch_scc0 .LBB43_632
; %bb.628:
	global_load_b64 v[8:9], v[6:7], off
	s_mov_b32 s46, 0
	s_branch .LBB43_633
.LBB43_629:
	s_mov_b32 s46, -1
                                        ; implicit-def: $vgpr8_vgpr9
	s_branch .LBB43_651
.LBB43_630:
	s_mov_b32 s46, -1
                                        ; implicit-def: $vgpr8_vgpr9
	s_branch .LBB43_639
.LBB43_631:
	s_mov_b32 s46, -1
                                        ; implicit-def: $vgpr8_vgpr9
	s_branch .LBB43_636
.LBB43_632:
	s_mov_b32 s46, -1
                                        ; implicit-def: $vgpr8_vgpr9
.LBB43_633:
	s_delay_alu instid0(SALU_CYCLE_1)
	s_and_not1_b32 vcc_lo, exec_lo, s46
	s_cbranch_vccnz .LBB43_635
; %bb.634:
	global_load_b32 v3, v[6:7], off
	s_wait_loadcnt 0x0
	s_wait_xcnt 0x1
	v_cvt_f64_f32_e32 v[8:9], v3
.LBB43_635:
	s_mov_b32 s46, 0
.LBB43_636:
	s_delay_alu instid0(SALU_CYCLE_1)
	s_and_not1_b32 vcc_lo, exec_lo, s46
	s_cbranch_vccnz .LBB43_638
; %bb.637:
	global_load_b32 v3, v[6:7], off
	s_wait_loadcnt 0x0
	v_cvt_f32_f16_e32 v3, v3
	s_wait_xcnt 0x1
	s_delay_alu instid0(VALU_DEP_1)
	v_cvt_f64_f32_e32 v[8:9], v3
.LBB43_638:
	s_mov_b32 s46, 0
.LBB43_639:
	s_delay_alu instid0(SALU_CYCLE_1)
	s_and_not1_b32 vcc_lo, exec_lo, s46
	s_cbranch_vccnz .LBB43_650
; %bb.640:
	s_cmp_lt_i32 s0, 6
	s_cbranch_scc1 .LBB43_643
; %bb.641:
	s_cmp_gt_i32 s0, 6
	s_cbranch_scc0 .LBB43_644
; %bb.642:
	s_wait_loadcnt 0x0
	global_load_b64 v[8:9], v[6:7], off
	s_mov_b32 s46, 0
	s_branch .LBB43_645
.LBB43_643:
	s_mov_b32 s46, -1
                                        ; implicit-def: $vgpr8_vgpr9
	s_branch .LBB43_648
.LBB43_644:
	s_mov_b32 s46, -1
                                        ; implicit-def: $vgpr8_vgpr9
.LBB43_645:
	s_delay_alu instid0(SALU_CYCLE_1)
	s_and_not1_b32 vcc_lo, exec_lo, s46
	s_cbranch_vccnz .LBB43_647
; %bb.646:
	global_load_b32 v3, v[6:7], off
	s_wait_loadcnt 0x0
	s_wait_xcnt 0x1
	v_cvt_f64_f32_e32 v[8:9], v3
.LBB43_647:
	s_mov_b32 s46, 0
.LBB43_648:
	s_delay_alu instid0(SALU_CYCLE_1)
	s_and_not1_b32 vcc_lo, exec_lo, s46
	s_cbranch_vccnz .LBB43_650
; %bb.649:
	global_load_u16 v3, v[6:7], off
	s_wait_loadcnt 0x0
	v_cvt_f32_f16_e32 v3, v3
	s_wait_xcnt 0x1
	s_delay_alu instid0(VALU_DEP_1)
	v_cvt_f64_f32_e32 v[8:9], v3
.LBB43_650:
	s_mov_b32 s46, 0
.LBB43_651:
	s_delay_alu instid0(SALU_CYCLE_1)
	s_and_not1_b32 vcc_lo, exec_lo, s46
	s_cbranch_vccnz .LBB43_671
; %bb.652:
	s_cmp_lt_i32 s0, 2
	s_cbranch_scc1 .LBB43_656
; %bb.653:
	s_cmp_lt_i32 s0, 3
	s_cbranch_scc1 .LBB43_657
; %bb.654:
	s_cmp_gt_i32 s0, 3
	s_cbranch_scc0 .LBB43_658
; %bb.655:
	s_wait_loadcnt 0x0
	global_load_b64 v[8:9], v[6:7], off
	s_mov_b32 s46, 0
	s_wait_loadcnt 0x0
	v_cvt_f64_i32_e32 v[10:11], v9
	v_cvt_f64_u32_e32 v[8:9], v8
	s_delay_alu instid0(VALU_DEP_2) | instskip(NEXT) | instid1(VALU_DEP_1)
	v_ldexp_f64 v[10:11], v[10:11], 32
	v_add_f64_e32 v[8:9], v[10:11], v[8:9]
	s_branch .LBB43_659
.LBB43_656:
	s_mov_b32 s46, -1
                                        ; implicit-def: $vgpr8_vgpr9
	s_branch .LBB43_665
.LBB43_657:
	s_mov_b32 s46, -1
                                        ; implicit-def: $vgpr8_vgpr9
	s_branch .LBB43_662
.LBB43_658:
	s_mov_b32 s46, -1
                                        ; implicit-def: $vgpr8_vgpr9
.LBB43_659:
	s_delay_alu instid0(SALU_CYCLE_1)
	s_and_not1_b32 vcc_lo, exec_lo, s46
	s_cbranch_vccnz .LBB43_661
; %bb.660:
	global_load_b32 v3, v[6:7], off
	s_wait_loadcnt 0x0
	s_wait_xcnt 0x1
	v_cvt_f64_i32_e32 v[8:9], v3
.LBB43_661:
	s_mov_b32 s46, 0
.LBB43_662:
	s_delay_alu instid0(SALU_CYCLE_1)
	s_and_not1_b32 vcc_lo, exec_lo, s46
	s_cbranch_vccnz .LBB43_664
; %bb.663:
	global_load_i16 v3, v[6:7], off
	s_wait_loadcnt 0x0
	s_wait_xcnt 0x1
	v_cvt_f64_i32_e32 v[8:9], v3
.LBB43_664:
	s_mov_b32 s46, 0
.LBB43_665:
	s_delay_alu instid0(SALU_CYCLE_1)
	s_and_not1_b32 vcc_lo, exec_lo, s46
	s_cbranch_vccnz .LBB43_671
; %bb.666:
	s_cmp_gt_i32 s0, 0
	s_mov_b32 s0, 0
	s_cbranch_scc0 .LBB43_668
; %bb.667:
	global_load_i8 v3, v[6:7], off
	s_wait_loadcnt 0x0
	s_wait_xcnt 0x1
	v_cvt_f64_i32_e32 v[8:9], v3
	s_branch .LBB43_669
.LBB43_668:
	s_mov_b32 s0, -1
                                        ; implicit-def: $vgpr8_vgpr9
.LBB43_669:
	s_delay_alu instid0(SALU_CYCLE_1)
	s_and_not1_b32 vcc_lo, exec_lo, s0
	s_cbranch_vccnz .LBB43_671
; %bb.670:
	global_load_u8 v3, v[6:7], off
	s_wait_loadcnt 0x0
	s_wait_xcnt 0x1
	v_cvt_f64_u32_e32 v[8:9], v3
.LBB43_671:
	s_mov_b32 s47, -1
.LBB43_672:
	s_delay_alu instid0(SALU_CYCLE_1)
	s_and_not1_b32 vcc_lo, exec_lo, s47
	s_cbranch_vccnz .LBB43_682
; %bb.673:
	s_wait_loadcnt 0x0
	s_delay_alu instid0(VALU_DEP_1) | instskip(SKIP_1) | instid1(VALU_DEP_1)
	v_mul_f64_e32 v[6:7], s[10:11], v[8:9]
	s_mov_b32 s46, exec_lo
	v_cmpx_nlt_f64_e32 s[20:21], v[6:7]
	s_cbranch_execz .LBB43_675
; %bb.674:
	v_mul_f64_e32 v[8:9], 0x3ff71547652b82fe, v[6:7]
	s_mov_b64 s[50:51], 0x3e5ade156a5dcb37
	v_cmp_nlt_f64_e32 vcc_lo, 0x40900000, v[6:7]
	v_cmp_ngt_f64_e64 s0, 0xc090cc00, v[6:7]
	s_delay_alu instid0(VALU_DEP_3) | instskip(NEXT) | instid1(VALU_DEP_1)
	v_rndne_f64_e32 v[8:9], v[8:9]
	v_fmamk_f64 v[10:11], v[8:9], 0xbfe62e42fefa39ef, v[6:7]
	v_cvt_i32_f64_e32 v3, v[8:9]
	s_delay_alu instid0(VALU_DEP_2) | instskip(NEXT) | instid1(VALU_DEP_1)
	v_fmamk_f64 v[10:11], v[8:9], 0xbc7abc9e3b39803f, v[10:11]
	v_fmaak_f64 v[12:13], s[50:51], v[10:11], 0x3e928af3fca7ab0c
	s_delay_alu instid0(VALU_DEP_1) | instskip(NEXT) | instid1(VALU_DEP_1)
	v_fmaak_f64 v[12:13], v[10:11], v[12:13], 0x3ec71dee623fde64
	v_fmaak_f64 v[12:13], v[10:11], v[12:13], 0x3efa01997c89e6b0
	s_delay_alu instid0(VALU_DEP_1) | instskip(NEXT) | instid1(VALU_DEP_1)
	v_fmaak_f64 v[12:13], v[10:11], v[12:13], 0x3f2a01a014761f6e
	;; [unrolled: 3-line block ×4, first 2 shown]
	v_fmaak_f64 v[12:13], v[10:11], v[12:13], 0x3fe000000000000b
	s_delay_alu instid0(VALU_DEP_1) | instskip(NEXT) | instid1(VALU_DEP_1)
	v_fma_f64 v[12:13], v[10:11], v[12:13], 1.0
	v_fma_f64 v[8:9], v[10:11], v[12:13], 1.0
	s_delay_alu instid0(VALU_DEP_1) | instskip(NEXT) | instid1(VALU_DEP_1)
	v_ldexp_f64 v[8:9], v[8:9], v3
	v_cndmask_b32_e32 v3, 0x7ff00000, v9, vcc_lo
	s_and_b32 vcc_lo, s0, vcc_lo
	s_delay_alu instid0(VALU_DEP_1) | instid1(SALU_CYCLE_1)
	v_dual_cndmask_b32 v6, 0, v8, vcc_lo :: v_dual_cndmask_b32 v7, 0, v3, s0
	s_delay_alu instid0(VALU_DEP_1) | instskip(SKIP_1) | instid1(VALU_DEP_1)
	v_mul_f64_e32 v[0:1], v[0:1], v[6:7]
	v_add_f64_e32 v[6:7], 1.0, v[6:7]
	v_div_scale_f64 v[8:9], null, v[6:7], v[6:7], v[0:1]
	s_delay_alu instid0(VALU_DEP_1) | instskip(SKIP_1) | instid1(TRANS32_DEP_1)
	v_rcp_f64_e32 v[10:11], v[8:9]
	v_nop
	v_fma_f64 v[12:13], -v[8:9], v[10:11], 1.0
	s_delay_alu instid0(VALU_DEP_1) | instskip(NEXT) | instid1(VALU_DEP_1)
	v_fmac_f64_e32 v[10:11], v[10:11], v[12:13]
	v_fma_f64 v[12:13], -v[8:9], v[10:11], 1.0
	s_delay_alu instid0(VALU_DEP_1) | instskip(SKIP_1) | instid1(VALU_DEP_1)
	v_fmac_f64_e32 v[10:11], v[10:11], v[12:13]
	v_div_scale_f64 v[12:13], vcc_lo, v[0:1], v[6:7], v[0:1]
	v_mul_f64_e32 v[14:15], v[12:13], v[10:11]
	s_delay_alu instid0(VALU_DEP_1) | instskip(NEXT) | instid1(VALU_DEP_1)
	v_fma_f64 v[8:9], -v[8:9], v[14:15], v[12:13]
	v_div_fmas_f64 v[8:9], v[8:9], v[10:11], v[14:15]
	s_delay_alu instid0(VALU_DEP_1)
	v_div_fixup_f64 v[0:1], v[8:9], v[6:7], v[0:1]
.LBB43_675:
	s_or_b32 exec_lo, exec_lo, s46
	v_mov_b32_e32 v3, 0
	s_and_b32 s46, s22, 0xff
	s_delay_alu instid0(SALU_CYCLE_1) | instskip(NEXT) | instid1(VALU_DEP_1)
	s_cmp_lt_i32 s46, 11
	v_add_nc_u64_e32 v[6:7], s[4:5], v[2:3]
	s_cbranch_scc1 .LBB43_683
; %bb.676:
	s_and_b32 s47, 0xffff, s46
	s_delay_alu instid0(SALU_CYCLE_1)
	s_cmp_gt_i32 s47, 25
	s_cbranch_scc0 .LBB43_684
; %bb.677:
	s_cmp_gt_i32 s47, 28
	s_cbranch_scc0 .LBB43_685
; %bb.678:
	;; [unrolled: 3-line block ×4, first 2 shown]
	s_mov_b32 s50, 0
	s_mov_b32 s0, -1
	s_cmp_eq_u32 s47, 46
	s_mov_b32 s48, 0
	s_cbranch_scc0 .LBB43_688
; %bb.681:
	s_delay_alu instid0(VALU_DEP_3) | instskip(SKIP_2) | instid1(VALU_DEP_1)
	v_cvt_f32_f64_e32 v2, v[0:1]
	s_mov_b32 s48, -1
	s_mov_b32 s0, 0
	v_bfe_u32 v3, v2, 16, 1
	v_cmp_o_f32_e32 vcc_lo, v2, v2
	s_delay_alu instid0(VALU_DEP_2) | instskip(NEXT) | instid1(VALU_DEP_1)
	v_add3_u32 v3, v2, v3, 0x7fff
	v_lshrrev_b32_e32 v3, 16, v3
	s_delay_alu instid0(VALU_DEP_1)
	v_cndmask_b32_e32 v2, 0x7fc0, v3, vcc_lo
	global_store_b32 v[6:7], v2, off
	s_branch .LBB43_688
.LBB43_682:
	s_mov_b32 s50, 0
	s_mov_b32 s0, s42
	s_branch .LBB43_799
.LBB43_683:
	s_mov_b32 s47, -1
	s_mov_b32 s48, 0
	s_mov_b32 s0, s42
	s_branch .LBB43_757
.LBB43_684:
	s_mov_b32 s50, -1
	s_mov_b32 s48, 0
	s_mov_b32 s0, s42
	s_branch .LBB43_715
.LBB43_685:
	s_mov_b32 s50, -1
	s_mov_b32 s48, 0
	s_mov_b32 s0, s42
	s_branch .LBB43_698
.LBB43_686:
	s_mov_b32 s50, -1
	s_mov_b32 s48, 0
	s_mov_b32 s0, s42
	s_branch .LBB43_694
.LBB43_687:
	s_mov_b32 s50, -1
	s_mov_b32 s48, 0
	s_mov_b32 s0, s42
.LBB43_688:
	s_and_b32 vcc_lo, exec_lo, s50
	s_cbranch_vccz .LBB43_693
; %bb.689:
	s_cmp_eq_u32 s47, 44
	s_mov_b32 s0, -1
	s_cbranch_scc0 .LBB43_693
; %bb.690:
	s_wait_xcnt 0x0
	s_delay_alu instid0(VALU_DEP_3) | instskip(SKIP_2) | instid1(VALU_DEP_2)
	v_cvt_f32_f64_e32 v2, v[0:1]
	v_mov_b32_e32 v3, 0xff
	s_mov_b32 s48, exec_lo
	v_bfe_u32 v5, v2, 23, 8
	s_delay_alu instid0(VALU_DEP_1)
	v_cmpx_ne_u32_e32 0xff, v5
	s_cbranch_execz .LBB43_692
; %bb.691:
	v_and_b32_e32 v3, 0x400000, v2
	v_and_or_b32 v5, 0x3fffff, v2, v5
	v_lshrrev_b32_e32 v2, 23, v2
	s_delay_alu instid0(VALU_DEP_3) | instskip(NEXT) | instid1(VALU_DEP_3)
	v_cmp_ne_u32_e32 vcc_lo, 0, v3
	v_cmp_ne_u32_e64 s0, 0, v5
	s_and_b32 s0, vcc_lo, s0
	s_delay_alu instid0(SALU_CYCLE_1) | instskip(NEXT) | instid1(VALU_DEP_1)
	v_cndmask_b32_e64 v3, 0, 1, s0
	v_add_nc_u32_e32 v3, v2, v3
.LBB43_692:
	s_or_b32 exec_lo, exec_lo, s48
	s_mov_b32 s48, -1
	s_mov_b32 s0, 0
	global_store_b8 v[6:7], v3, off
.LBB43_693:
	s_mov_b32 s50, 0
.LBB43_694:
	s_delay_alu instid0(SALU_CYCLE_1)
	s_and_b32 vcc_lo, exec_lo, s50
	s_cbranch_vccz .LBB43_697
; %bb.695:
	s_cmp_eq_u32 s47, 29
	s_mov_b32 s0, -1
	s_cbranch_scc0 .LBB43_697
; %bb.696:
	s_wait_xcnt 0x0
	s_delay_alu instid0(VALU_DEP_3) | instskip(SKIP_3) | instid1(VALU_DEP_1)
	v_trunc_f64_e32 v[2:3], v[0:1]
	s_mov_b32 s48, -1
	s_mov_b32 s0, 0
	s_mov_b32 s50, 0
	v_ldexp_f64 v[8:9], v[2:3], 0xffffffe0
	s_delay_alu instid0(VALU_DEP_1) | instskip(NEXT) | instid1(VALU_DEP_1)
	v_floor_f64_e32 v[8:9], v[8:9]
	v_fmamk_f64 v[2:3], v[8:9], 0xc1f00000, v[2:3]
	v_cvt_u32_f64_e32 v9, v[8:9]
	s_delay_alu instid0(VALU_DEP_2)
	v_cvt_u32_f64_e32 v8, v[2:3]
	global_store_b64 v[6:7], v[8:9], off
	s_branch .LBB43_698
.LBB43_697:
	s_mov_b32 s50, 0
.LBB43_698:
	s_delay_alu instid0(SALU_CYCLE_1)
	s_and_b32 vcc_lo, exec_lo, s50
	s_cbranch_vccz .LBB43_714
; %bb.699:
	s_cmp_lt_i32 s47, 27
	s_mov_b32 s48, -1
	s_cbranch_scc1 .LBB43_705
; %bb.700:
	s_wait_xcnt 0x0
	s_delay_alu instid0(VALU_DEP_3)
	v_cvt_u32_f64_e32 v2, v[0:1]
	s_cmp_gt_i32 s47, 27
	s_cbranch_scc0 .LBB43_702
; %bb.701:
	s_mov_b32 s48, 0
	global_store_b32 v[6:7], v2, off
.LBB43_702:
	s_and_not1_b32 vcc_lo, exec_lo, s48
	s_cbranch_vccnz .LBB43_704
; %bb.703:
	global_store_b16 v[6:7], v2, off
.LBB43_704:
	s_mov_b32 s48, 0
.LBB43_705:
	s_delay_alu instid0(SALU_CYCLE_1)
	s_and_not1_b32 vcc_lo, exec_lo, s48
	s_cbranch_vccnz .LBB43_713
; %bb.706:
	s_wait_xcnt 0x0
	s_delay_alu instid0(VALU_DEP_3) | instskip(SKIP_2) | instid1(VALU_DEP_2)
	v_cvt_f32_f64_e32 v2, v[0:1]
	v_mov_b32_e32 v5, 0x80
	s_mov_b32 s48, exec_lo
	v_and_b32_e32 v3, 0x7fffffff, v2
	s_delay_alu instid0(VALU_DEP_1)
	v_cmpx_gt_u32_e32 0x43800000, v3
	s_cbranch_execz .LBB43_712
; %bb.707:
	v_cmp_lt_u32_e32 vcc_lo, 0x3bffffff, v3
	s_mov_b32 s50, 0
                                        ; implicit-def: $vgpr3
	s_and_saveexec_b32 s51, vcc_lo
	s_delay_alu instid0(SALU_CYCLE_1)
	s_xor_b32 s51, exec_lo, s51
	s_cbranch_execz .LBB43_827
; %bb.708:
	v_bfe_u32 v3, v2, 20, 1
	s_mov_b32 s50, exec_lo
	s_delay_alu instid0(VALU_DEP_1) | instskip(NEXT) | instid1(VALU_DEP_1)
	v_add3_u32 v3, v2, v3, 0x487ffff
	v_lshrrev_b32_e32 v3, 20, v3
	s_and_not1_saveexec_b32 s51, s51
	s_cbranch_execnz .LBB43_828
.LBB43_709:
	s_or_b32 exec_lo, exec_lo, s51
	v_mov_b32_e32 v5, 0
	s_and_saveexec_b32 s51, s50
.LBB43_710:
	v_lshrrev_b32_e32 v2, 24, v2
	s_delay_alu instid0(VALU_DEP_1)
	v_and_or_b32 v5, 0x80, v2, v3
.LBB43_711:
	s_or_b32 exec_lo, exec_lo, s51
.LBB43_712:
	s_delay_alu instid0(SALU_CYCLE_1)
	s_or_b32 exec_lo, exec_lo, s48
	global_store_b8 v[6:7], v5, off
.LBB43_713:
	s_mov_b32 s48, -1
.LBB43_714:
	s_mov_b32 s50, 0
.LBB43_715:
	s_delay_alu instid0(SALU_CYCLE_1)
	s_and_b32 vcc_lo, exec_lo, s50
	s_cbranch_vccz .LBB43_756
; %bb.716:
	s_cmp_gt_i32 s47, 22
	s_mov_b32 s50, -1
	s_cbranch_scc0 .LBB43_748
; %bb.717:
	s_cmp_lt_i32 s47, 24
	s_mov_b32 s48, -1
	s_cbranch_scc1 .LBB43_737
; %bb.718:
	s_cmp_gt_i32 s47, 24
	s_cbranch_scc0 .LBB43_726
; %bb.719:
	s_wait_xcnt 0x0
	s_delay_alu instid0(VALU_DEP_3) | instskip(SKIP_2) | instid1(VALU_DEP_2)
	v_cvt_f32_f64_e32 v2, v[0:1]
	v_mov_b32_e32 v5, 0x80
	s_mov_b32 s48, exec_lo
	v_and_b32_e32 v3, 0x7fffffff, v2
	s_delay_alu instid0(VALU_DEP_1)
	v_cmpx_gt_u32_e32 0x47800000, v3
	s_cbranch_execz .LBB43_725
; %bb.720:
	v_cmp_lt_u32_e32 vcc_lo, 0x37ffffff, v3
	s_mov_b32 s50, 0
                                        ; implicit-def: $vgpr3
	s_and_saveexec_b32 s51, vcc_lo
	s_delay_alu instid0(SALU_CYCLE_1)
	s_xor_b32 s51, exec_lo, s51
	s_cbranch_execz .LBB43_959
; %bb.721:
	v_bfe_u32 v3, v2, 21, 1
	s_mov_b32 s50, exec_lo
	s_delay_alu instid0(VALU_DEP_1) | instskip(NEXT) | instid1(VALU_DEP_1)
	v_add3_u32 v3, v2, v3, 0x88fffff
	v_lshrrev_b32_e32 v3, 21, v3
	s_and_not1_saveexec_b32 s51, s51
	s_cbranch_execnz .LBB43_960
.LBB43_722:
	s_or_b32 exec_lo, exec_lo, s51
	v_mov_b32_e32 v5, 0
	s_and_saveexec_b32 s51, s50
.LBB43_723:
	v_lshrrev_b32_e32 v2, 24, v2
	s_delay_alu instid0(VALU_DEP_1)
	v_and_or_b32 v5, 0x80, v2, v3
.LBB43_724:
	s_or_b32 exec_lo, exec_lo, s51
.LBB43_725:
	s_delay_alu instid0(SALU_CYCLE_1)
	s_or_b32 exec_lo, exec_lo, s48
	s_mov_b32 s48, 0
	global_store_b8 v[6:7], v5, off
.LBB43_726:
	s_and_b32 vcc_lo, exec_lo, s48
	s_cbranch_vccz .LBB43_736
; %bb.727:
	s_wait_xcnt 0x0
	s_delay_alu instid0(VALU_DEP_3) | instskip(SKIP_1) | instid1(VALU_DEP_1)
	v_cvt_f32_f64_e32 v2, v[0:1]
	s_mov_b32 s48, exec_lo
                                        ; implicit-def: $vgpr3
	v_and_b32_e32 v5, 0x7fffffff, v2
	s_delay_alu instid0(VALU_DEP_1)
	v_cmpx_gt_u32_e32 0x43f00000, v5
	s_xor_b32 s48, exec_lo, s48
	s_cbranch_execz .LBB43_733
; %bb.728:
	s_mov_b32 s50, exec_lo
                                        ; implicit-def: $vgpr3
	v_cmpx_lt_u32_e32 0x3c7fffff, v5
	s_xor_b32 s50, exec_lo, s50
; %bb.729:
	v_bfe_u32 v3, v2, 20, 1
	s_delay_alu instid0(VALU_DEP_1) | instskip(NEXT) | instid1(VALU_DEP_1)
	v_add3_u32 v3, v2, v3, 0x407ffff
	v_and_b32_e32 v5, 0xff00000, v3
	v_lshrrev_b32_e32 v3, 20, v3
	s_delay_alu instid0(VALU_DEP_2) | instskip(NEXT) | instid1(VALU_DEP_2)
	v_cmp_ne_u32_e32 vcc_lo, 0x7f00000, v5
	v_cndmask_b32_e32 v3, 0x7e, v3, vcc_lo
; %bb.730:
	s_and_not1_saveexec_b32 s50, s50
; %bb.731:
	v_add_f32_e64 v3, 0x46800000, |v2|
; %bb.732:
	s_or_b32 exec_lo, exec_lo, s50
                                        ; implicit-def: $vgpr5
.LBB43_733:
	s_and_not1_saveexec_b32 s48, s48
; %bb.734:
	v_mov_b32_e32 v3, 0x7f
	v_cmp_lt_u32_e32 vcc_lo, 0x7f800000, v5
	s_delay_alu instid0(VALU_DEP_2)
	v_cndmask_b32_e32 v3, 0x7e, v3, vcc_lo
; %bb.735:
	s_or_b32 exec_lo, exec_lo, s48
	v_lshrrev_b32_e32 v2, 24, v2
	s_delay_alu instid0(VALU_DEP_1)
	v_and_or_b32 v2, 0x80, v2, v3
	global_store_b8 v[6:7], v2, off
.LBB43_736:
	s_mov_b32 s48, 0
.LBB43_737:
	s_delay_alu instid0(SALU_CYCLE_1)
	s_and_not1_b32 vcc_lo, exec_lo, s48
	s_cbranch_vccnz .LBB43_747
; %bb.738:
	s_wait_xcnt 0x0
	s_delay_alu instid0(VALU_DEP_3) | instskip(SKIP_1) | instid1(VALU_DEP_1)
	v_cvt_f32_f64_e32 v2, v[0:1]
	s_mov_b32 s48, exec_lo
                                        ; implicit-def: $vgpr3
	v_and_b32_e32 v5, 0x7fffffff, v2
	s_delay_alu instid0(VALU_DEP_1)
	v_cmpx_gt_u32_e32 0x47800000, v5
	s_xor_b32 s48, exec_lo, s48
	s_cbranch_execz .LBB43_744
; %bb.739:
	s_mov_b32 s50, exec_lo
                                        ; implicit-def: $vgpr3
	v_cmpx_lt_u32_e32 0x387fffff, v5
	s_xor_b32 s50, exec_lo, s50
; %bb.740:
	v_bfe_u32 v3, v2, 21, 1
	s_delay_alu instid0(VALU_DEP_1) | instskip(NEXT) | instid1(VALU_DEP_1)
	v_add3_u32 v3, v2, v3, 0x80fffff
	v_lshrrev_b32_e32 v3, 21, v3
; %bb.741:
	s_and_not1_saveexec_b32 s50, s50
; %bb.742:
	v_add_f32_e64 v3, 0x43000000, |v2|
; %bb.743:
	s_or_b32 exec_lo, exec_lo, s50
                                        ; implicit-def: $vgpr5
.LBB43_744:
	s_and_not1_saveexec_b32 s48, s48
; %bb.745:
	v_mov_b32_e32 v3, 0x7f
	v_cmp_lt_u32_e32 vcc_lo, 0x7f800000, v5
	s_delay_alu instid0(VALU_DEP_2)
	v_cndmask_b32_e32 v3, 0x7c, v3, vcc_lo
; %bb.746:
	s_or_b32 exec_lo, exec_lo, s48
	v_lshrrev_b32_e32 v2, 24, v2
	s_delay_alu instid0(VALU_DEP_1)
	v_and_or_b32 v2, 0x80, v2, v3
	global_store_b8 v[6:7], v2, off
.LBB43_747:
	s_mov_b32 s50, 0
	s_mov_b32 s48, -1
.LBB43_748:
	s_and_not1_b32 vcc_lo, exec_lo, s50
	s_cbranch_vccnz .LBB43_756
; %bb.749:
	s_cmp_gt_i32 s47, 14
	s_mov_b32 s50, -1
	s_cbranch_scc0 .LBB43_753
; %bb.750:
	s_cmp_eq_u32 s47, 15
	s_mov_b32 s0, -1
	s_cbranch_scc0 .LBB43_752
; %bb.751:
	s_wait_xcnt 0x0
	s_delay_alu instid0(VALU_DEP_3) | instskip(SKIP_2) | instid1(VALU_DEP_1)
	v_cvt_f32_f64_e32 v2, v[0:1]
	s_mov_b32 s48, -1
	s_mov_b32 s0, 0
	v_bfe_u32 v3, v2, 16, 1
	v_cmp_o_f32_e32 vcc_lo, v2, v2
	s_delay_alu instid0(VALU_DEP_2) | instskip(NEXT) | instid1(VALU_DEP_1)
	v_add3_u32 v3, v2, v3, 0x7fff
	v_lshrrev_b32_e32 v3, 16, v3
	s_delay_alu instid0(VALU_DEP_1)
	v_cndmask_b32_e32 v2, 0x7fc0, v3, vcc_lo
	global_store_b16 v[6:7], v2, off
.LBB43_752:
	s_mov_b32 s50, 0
.LBB43_753:
	s_delay_alu instid0(SALU_CYCLE_1)
	s_and_b32 vcc_lo, exec_lo, s50
	s_cbranch_vccz .LBB43_756
; %bb.754:
	s_cmp_eq_u32 s47, 11
	s_mov_b32 s0, -1
	s_cbranch_scc0 .LBB43_756
; %bb.755:
	s_delay_alu instid0(VALU_DEP_3)
	v_cmp_neq_f64_e32 vcc_lo, 0, v[0:1]
	s_mov_b32 s48, -1
	s_mov_b32 s0, 0
	s_wait_xcnt 0x0
	v_cndmask_b32_e64 v2, 0, 1, vcc_lo
	global_store_b8 v[6:7], v2, off
.LBB43_756:
	s_mov_b32 s47, 0
.LBB43_757:
	s_delay_alu instid0(SALU_CYCLE_1)
	s_and_b32 vcc_lo, exec_lo, s47
	s_cbranch_vccz .LBB43_796
; %bb.758:
	s_and_b32 s46, 0xffff, s46
	s_mov_b32 s47, -1
	s_cmp_lt_i32 s46, 5
	s_cbranch_scc1 .LBB43_779
; %bb.759:
	s_cmp_lt_i32 s46, 8
	s_cbranch_scc1 .LBB43_769
; %bb.760:
	;; [unrolled: 3-line block ×3, first 2 shown]
	s_cmp_gt_i32 s46, 9
	s_cbranch_scc0 .LBB43_763
; %bb.762:
	s_wait_xcnt 0x0
	v_mov_b32_e32 v2, 0
	s_mov_b32 s47, 0
	s_delay_alu instid0(VALU_DEP_1)
	v_mov_b32_e32 v3, v2
	global_store_b128 v[6:7], v[0:3], off
.LBB43_763:
	s_and_not1_b32 vcc_lo, exec_lo, s47
	s_cbranch_vccnz .LBB43_765
; %bb.764:
	s_wait_xcnt 0x0
	s_delay_alu instid0(VALU_DEP_3)
	v_cvt_f32_f64_e32 v2, v[0:1]
	v_mov_b32_e32 v3, 0
	global_store_b64 v[6:7], v[2:3], off
.LBB43_765:
	s_mov_b32 s47, 0
.LBB43_766:
	s_delay_alu instid0(SALU_CYCLE_1)
	s_and_not1_b32 vcc_lo, exec_lo, s47
	s_cbranch_vccnz .LBB43_768
; %bb.767:
	s_wait_xcnt 0x0
	s_delay_alu instid0(VALU_DEP_3) | instskip(SKIP_2) | instid1(VALU_DEP_3)
	v_and_or_b32 v2, 0x1ff, v1, v0
	v_lshrrev_b32_e32 v3, 8, v1
	v_bfe_u32 v5, v1, 20, 11
	v_cmp_ne_u32_e32 vcc_lo, 0, v2
	s_delay_alu instid0(VALU_DEP_2) | instskip(SKIP_2) | instid1(VALU_DEP_1)
	v_sub_nc_u32_e32 v8, 0x3f1, v5
	v_add_nc_u32_e32 v5, 0xfffffc10, v5
	v_cndmask_b32_e64 v2, 0, 1, vcc_lo
	v_and_or_b32 v2, 0xffe, v3, v2
	s_delay_alu instid0(VALU_DEP_4) | instskip(NEXT) | instid1(VALU_DEP_2)
	v_med3_i32 v3, v8, 0, 13
	v_or_b32_e32 v8, 0x1000, v2
	s_delay_alu instid0(VALU_DEP_1) | instskip(NEXT) | instid1(VALU_DEP_1)
	v_lshrrev_b32_e32 v9, v3, v8
	v_lshlrev_b32_e32 v3, v3, v9
	s_delay_alu instid0(VALU_DEP_1) | instskip(SKIP_3) | instid1(VALU_DEP_2)
	v_cmp_ne_u32_e32 vcc_lo, v3, v8
	v_lshl_or_b32 v8, v5, 12, v2
	v_cndmask_b32_e64 v3, 0, 1, vcc_lo
	v_cmp_gt_i32_e32 vcc_lo, 1, v5
	v_or_b32_e32 v3, v9, v3
	s_delay_alu instid0(VALU_DEP_1) | instskip(NEXT) | instid1(VALU_DEP_1)
	v_cndmask_b32_e32 v3, v8, v3, vcc_lo
	v_dual_lshrrev_b32 v3, 2, v3 :: v_dual_bitop2_b32 v8, 7, v3 bitop3:0x40
	s_delay_alu instid0(VALU_DEP_1) | instskip(SKIP_4) | instid1(VALU_DEP_2)
	v_cmp_lt_i32_e32 vcc_lo, 5, v8
	v_cndmask_b32_e64 v9, 0, 1, vcc_lo
	v_cmp_eq_u32_e32 vcc_lo, 3, v8
	v_cndmask_b32_e64 v8, 0, 1, vcc_lo
	v_cmp_ne_u32_e32 vcc_lo, 0, v2
	v_or_b32_e32 v8, v8, v9
	v_mov_b32_e32 v9, 0x7e00
	s_delay_alu instid0(VALU_DEP_1) | instskip(SKIP_1) | instid1(VALU_DEP_2)
	v_dual_cndmask_b32 v2, 0x7c00, v9 :: v_dual_add_nc_u32 v3, v3, v8
	v_cmp_gt_i32_e32 vcc_lo, 31, v5
	v_dual_cndmask_b32 v3, 0x7c00, v3 :: v_dual_lshrrev_b32 v8, 16, v1
	v_cmp_eq_u32_e32 vcc_lo, 0x40f, v5
	s_delay_alu instid0(VALU_DEP_2) | instskip(NEXT) | instid1(VALU_DEP_3)
	v_cndmask_b32_e32 v2, v3, v2, vcc_lo
	v_and_b32_e32 v3, 0x8000, v8
	s_delay_alu instid0(VALU_DEP_1)
	v_bitop3_b32 v2, v3, 0xffff, v2 bitop3:0xc8
	global_store_b32 v[6:7], v2, off
.LBB43_768:
	s_mov_b32 s47, 0
.LBB43_769:
	s_delay_alu instid0(SALU_CYCLE_1)
	s_and_not1_b32 vcc_lo, exec_lo, s47
	s_cbranch_vccnz .LBB43_778
; %bb.770:
	s_cmp_lt_i32 s46, 6
	s_mov_b32 s47, -1
	s_cbranch_scc1 .LBB43_776
; %bb.771:
	s_cmp_gt_i32 s46, 6
	s_cbranch_scc0 .LBB43_773
; %bb.772:
	s_mov_b32 s47, 0
	global_store_b64 v[6:7], v[0:1], off
.LBB43_773:
	s_and_not1_b32 vcc_lo, exec_lo, s47
	s_cbranch_vccnz .LBB43_775
; %bb.774:
	s_wait_xcnt 0x0
	s_delay_alu instid0(VALU_DEP_3)
	v_cvt_f32_f64_e32 v2, v[0:1]
	global_store_b32 v[6:7], v2, off
.LBB43_775:
	s_mov_b32 s47, 0
.LBB43_776:
	s_delay_alu instid0(SALU_CYCLE_1)
	s_and_not1_b32 vcc_lo, exec_lo, s47
	s_cbranch_vccnz .LBB43_778
; %bb.777:
	s_wait_xcnt 0x0
	s_delay_alu instid0(VALU_DEP_3) | instskip(SKIP_2) | instid1(VALU_DEP_3)
	v_and_or_b32 v2, 0x1ff, v1, v0
	v_lshrrev_b32_e32 v3, 8, v1
	v_bfe_u32 v5, v1, 20, 11
	v_cmp_ne_u32_e32 vcc_lo, 0, v2
	s_delay_alu instid0(VALU_DEP_2) | instskip(SKIP_2) | instid1(VALU_DEP_1)
	v_sub_nc_u32_e32 v8, 0x3f1, v5
	v_add_nc_u32_e32 v5, 0xfffffc10, v5
	v_cndmask_b32_e64 v2, 0, 1, vcc_lo
	v_and_or_b32 v2, 0xffe, v3, v2
	s_delay_alu instid0(VALU_DEP_4) | instskip(NEXT) | instid1(VALU_DEP_2)
	v_med3_i32 v3, v8, 0, 13
	v_or_b32_e32 v8, 0x1000, v2
	s_delay_alu instid0(VALU_DEP_1) | instskip(NEXT) | instid1(VALU_DEP_1)
	v_lshrrev_b32_e32 v9, v3, v8
	v_lshlrev_b32_e32 v3, v3, v9
	s_delay_alu instid0(VALU_DEP_1) | instskip(SKIP_3) | instid1(VALU_DEP_2)
	v_cmp_ne_u32_e32 vcc_lo, v3, v8
	v_lshl_or_b32 v8, v5, 12, v2
	v_cndmask_b32_e64 v3, 0, 1, vcc_lo
	v_cmp_gt_i32_e32 vcc_lo, 1, v5
	v_or_b32_e32 v3, v9, v3
	s_delay_alu instid0(VALU_DEP_1) | instskip(NEXT) | instid1(VALU_DEP_1)
	v_cndmask_b32_e32 v3, v8, v3, vcc_lo
	v_dual_lshrrev_b32 v3, 2, v3 :: v_dual_bitop2_b32 v8, 7, v3 bitop3:0x40
	s_delay_alu instid0(VALU_DEP_1) | instskip(SKIP_4) | instid1(VALU_DEP_2)
	v_cmp_lt_i32_e32 vcc_lo, 5, v8
	v_cndmask_b32_e64 v9, 0, 1, vcc_lo
	v_cmp_eq_u32_e32 vcc_lo, 3, v8
	v_cndmask_b32_e64 v8, 0, 1, vcc_lo
	v_cmp_ne_u32_e32 vcc_lo, 0, v2
	v_or_b32_e32 v8, v8, v9
	v_mov_b32_e32 v9, 0x7e00
	s_delay_alu instid0(VALU_DEP_1) | instskip(SKIP_1) | instid1(VALU_DEP_2)
	v_dual_cndmask_b32 v2, 0x7c00, v9 :: v_dual_add_nc_u32 v3, v3, v8
	v_cmp_gt_i32_e32 vcc_lo, 31, v5
	v_cndmask_b32_e32 v3, 0x7c00, v3, vcc_lo
	v_cmp_eq_u32_e32 vcc_lo, 0x40f, v5
	s_delay_alu instid0(VALU_DEP_2) | instskip(NEXT) | instid1(VALU_DEP_1)
	v_dual_cndmask_b32 v2, v3, v2 :: v_dual_lshrrev_b32 v3, 16, v1
	v_and_or_b32 v2, 0x8000, v3, v2
	global_store_b16 v[6:7], v2, off
.LBB43_778:
	s_mov_b32 s47, 0
.LBB43_779:
	s_delay_alu instid0(SALU_CYCLE_1)
	s_and_not1_b32 vcc_lo, exec_lo, s47
	s_cbranch_vccnz .LBB43_795
; %bb.780:
	s_cmp_lt_i32 s46, 2
	s_mov_b32 s47, -1
	s_cbranch_scc1 .LBB43_790
; %bb.781:
	s_cmp_lt_i32 s46, 3
	s_cbranch_scc1 .LBB43_787
; %bb.782:
	s_cmp_gt_i32 s46, 3
	s_cbranch_scc0 .LBB43_784
; %bb.783:
	s_wait_xcnt 0x0
	s_delay_alu instid0(VALU_DEP_3) | instskip(SKIP_1) | instid1(VALU_DEP_1)
	v_trunc_f64_e32 v[2:3], v[0:1]
	s_mov_b32 s47, 0
	v_ldexp_f64 v[8:9], v[2:3], 0xffffffe0
	s_delay_alu instid0(VALU_DEP_1) | instskip(NEXT) | instid1(VALU_DEP_1)
	v_floor_f64_e32 v[8:9], v[8:9]
	v_fmamk_f64 v[2:3], v[8:9], 0xc1f00000, v[2:3]
	v_cvt_i32_f64_e32 v9, v[8:9]
	s_delay_alu instid0(VALU_DEP_2)
	v_cvt_u32_f64_e32 v8, v[2:3]
	global_store_b64 v[6:7], v[8:9], off
.LBB43_784:
	s_and_not1_b32 vcc_lo, exec_lo, s47
	s_cbranch_vccnz .LBB43_786
; %bb.785:
	s_wait_xcnt 0x0
	s_delay_alu instid0(VALU_DEP_3)
	v_cvt_i32_f64_e32 v2, v[0:1]
	global_store_b32 v[6:7], v2, off
.LBB43_786:
	s_mov_b32 s47, 0
.LBB43_787:
	s_delay_alu instid0(SALU_CYCLE_1)
	s_and_not1_b32 vcc_lo, exec_lo, s47
	s_cbranch_vccnz .LBB43_789
; %bb.788:
	s_wait_xcnt 0x0
	s_delay_alu instid0(VALU_DEP_3)
	v_cvt_i32_f64_e32 v2, v[0:1]
	global_store_b16 v[6:7], v2, off
.LBB43_789:
	s_mov_b32 s47, 0
.LBB43_790:
	s_delay_alu instid0(SALU_CYCLE_1)
	s_and_not1_b32 vcc_lo, exec_lo, s47
	s_cbranch_vccnz .LBB43_795
; %bb.791:
	s_cmp_gt_i32 s46, 0
	s_mov_b32 s46, -1
	s_cbranch_scc0 .LBB43_793
; %bb.792:
	s_wait_xcnt 0x0
	s_delay_alu instid0(VALU_DEP_3)
	v_cvt_i32_f64_e32 v2, v[0:1]
	s_mov_b32 s46, 0
	global_store_b8 v[6:7], v2, off
.LBB43_793:
	s_and_not1_b32 vcc_lo, exec_lo, s46
	s_cbranch_vccnz .LBB43_795
; %bb.794:
	s_wait_xcnt 0x0
	s_delay_alu instid0(VALU_DEP_3) | instskip(NEXT) | instid1(VALU_DEP_1)
	v_trunc_f64_e32 v[0:1], v[0:1]
	v_ldexp_f64 v[2:3], v[0:1], 0xffffffe0
	s_delay_alu instid0(VALU_DEP_1) | instskip(NEXT) | instid1(VALU_DEP_1)
	v_floor_f64_e32 v[2:3], v[2:3]
	v_fmamk_f64 v[0:1], v[2:3], 0xc1f00000, v[0:1]
	s_delay_alu instid0(VALU_DEP_1)
	v_cvt_u32_f64_e32 v0, v[0:1]
	global_store_b8 v[6:7], v0, off
.LBB43_795:
	s_mov_b32 s48, -1
.LBB43_796:
	s_delay_alu instid0(SALU_CYCLE_1)
	s_and_not1_b32 vcc_lo, exec_lo, s48
	s_cbranch_vccnz .LBB43_798
; %bb.797:
	v_add_nc_u32_e32 v4, 0x80, v4
	s_mov_b32 s50, -1
	s_branch .LBB43_800
.LBB43_798:
	s_mov_b32 s50, 0
.LBB43_799:
                                        ; implicit-def: $vgpr4
.LBB43_800:
	s_and_not1_b32 s46, s42, exec_lo
	s_and_b32 s0, s0, exec_lo
	s_and_b32 s31, s31, exec_lo
	s_or_b32 s47, s46, s0
	s_and_not1_b32 s0, s43, exec_lo
	s_and_not1_b32 s46, s44, exec_lo
	s_and_b32 s30, s30, exec_lo
	s_or_b32 s48, s0, s31
	s_or_b32 s46, s46, s30
	s_or_not1_b32 s51, s50, exec_lo
.LBB43_801:
	s_wait_xcnt 0x0
	s_or_b32 exec_lo, exec_lo, s49
	s_mov_b32 s50, 0
	s_mov_b32 s31, 0
	;; [unrolled: 1-line block ×3, first 2 shown]
                                        ; implicit-def: $sgpr0
                                        ; implicit-def: $vgpr8_vgpr9
                                        ; implicit-def: $vgpr6
                                        ; implicit-def: $vgpr2
                                        ; implicit-def: $vgpr0_vgpr1
	s_and_saveexec_b32 s49, s51
	s_cbranch_execz .LBB43_1302
; %bb.802:
	s_mov_b32 s55, -1
	s_mov_b32 s51, s46
	s_mov_b32 s53, s48
	;; [unrolled: 1-line block ×3, first 2 shown]
	s_mov_b32 s50, exec_lo
	v_cmpx_gt_i32_e64 s40, v4
	s_cbranch_execz .LBB43_1206
; %bb.803:
	s_and_not1_b32 vcc_lo, exec_lo, s35
	s_cbranch_vccnz .LBB43_809
; %bb.804:
	s_and_not1_b32 vcc_lo, exec_lo, s41
	s_cbranch_vccnz .LBB43_810
; %bb.805:
	s_wait_loadcnt 0x0
	v_dual_mov_b32 v2, 0 :: v_dual_mov_b32 v1, v4
	v_dual_mov_b32 v0, 0 :: v_dual_mov_b32 v6, 0
	s_add_co_i32 s0, s39, 1
	s_mov_b64 s[30:31], 0xffffffffffffffe8
	s_and_b32 s0, s0, 30
	s_add_nc_u64 s[30:31], s[2:3], s[30:31]
.LBB43_806:                             ; =>This Inner Loop Header: Depth=1
	s_clause 0x1
	s_load_b128 s[52:55], s[30:31], 0x1c
	s_load_b64 s[60:61], s[30:31], 0x2c
	s_add_co_i32 s0, s0, -2
	s_delay_alu instid0(SALU_CYCLE_1) | instskip(SKIP_2) | instid1(VALU_DEP_1)
	s_cmp_eq_u32 s0, 0
	s_wait_kmcnt 0x0
	v_mul_hi_u32 v3, s53, v1
	v_add_nc_u32_e32 v3, v1, v3
	s_delay_alu instid0(VALU_DEP_1) | instskip(NEXT) | instid1(VALU_DEP_1)
	v_lshrrev_b32_e32 v3, s54, v3
	v_mul_hi_u32 v5, s60, v3
	v_mul_lo_u32 v7, v3, s52
	s_clause 0x1
	s_load_b128 s[56:59], s[30:31], 0xdc
	s_load_b64 s[52:53], s[30:31], 0xec
	s_wait_xcnt 0x0
	s_add_nc_u64 s[30:31], s[30:31], 24
	s_delay_alu instid0(VALU_DEP_1) | instskip(NEXT) | instid1(VALU_DEP_1)
	v_dual_add_nc_u32 v5, v3, v5 :: v_dual_sub_nc_u32 v7, v1, v7
	v_lshrrev_b32_e32 v1, s61, v5
	s_wait_kmcnt 0x0
	s_delay_alu instid0(VALU_DEP_2) | instskip(NEXT) | instid1(VALU_DEP_2)
	v_mad_u32 v2, v7, s56, v2
	v_mul_lo_u32 v5, v1, s55
	v_mad_u32 v6, v7, s58, v6
	v_mad_u32 v0, v7, s57, v0
	s_delay_alu instid0(VALU_DEP_3) | instskip(NEXT) | instid1(VALU_DEP_1)
	v_sub_nc_u32_e32 v3, v3, v5
	v_mad_u32 v2, v3, s59, v2
	s_delay_alu instid0(VALU_DEP_4) | instskip(NEXT) | instid1(VALU_DEP_4)
	v_mad_u32 v6, v3, s53, v6
	v_mad_u32 v0, v3, s52, v0
	s_cbranch_scc0 .LBB43_806
; %bb.807:
	s_bitcmp1_b32 s39, 0
	s_cselect_b32 s0, -1, 0
	s_delay_alu instid0(SALU_CYCLE_1)
	s_and_b32 vcc_lo, exec_lo, s0
	s_cbranch_vccnz .LBB43_811
; %bb.808:
	s_clause 0x1
	s_load_b96 s[52:54], s[30:31], 0x1c
	s_load_b96 s[56:58], s[30:31], 0xdc
	s_wait_kmcnt 0x0
	v_mul_hi_u32 v3, s53, v1
	s_delay_alu instid0(VALU_DEP_1) | instskip(NEXT) | instid1(VALU_DEP_1)
	v_add_nc_u32_e32 v3, v1, v3
	v_lshrrev_b32_e32 v3, s54, v3
	s_delay_alu instid0(VALU_DEP_1) | instskip(NEXT) | instid1(VALU_DEP_1)
	v_mul_lo_u32 v3, v3, s52
	v_sub_nc_u32_e32 v1, v1, v3
	s_delay_alu instid0(VALU_DEP_1)
	v_mad_u32 v2, v1, s56, v2
	v_mad_u32 v0, v1, s57, v0
	;; [unrolled: 1-line block ×3, first 2 shown]
	s_branch .LBB43_811
.LBB43_809:
	s_mov_b32 s0, -1
                                        ; implicit-def: $vgpr6
                                        ; implicit-def: $vgpr0
                                        ; implicit-def: $vgpr2
	s_branch .LBB43_812
.LBB43_810:
	s_wait_loadcnt 0x0
	v_dual_mov_b32 v6, 0 :: v_dual_mov_b32 v0, 0
	v_mov_b32_e32 v2, 0
.LBB43_811:
	s_mov_b32 s0, 0
.LBB43_812:
	s_delay_alu instid0(SALU_CYCLE_1)
	s_and_not1_b32 vcc_lo, exec_lo, s0
	s_cbranch_vccnz .LBB43_815
; %bb.813:
	v_mov_b32_e32 v5, 0
	s_and_not1_b32 vcc_lo, exec_lo, s38
	s_wait_loadcnt 0x0
	s_delay_alu instid0(VALU_DEP_1) | instskip(NEXT) | instid1(VALU_DEP_1)
	v_mul_u64_e32 v[0:1], s[24:25], v[4:5]
	v_add_nc_u32_e32 v0, v4, v1
	s_delay_alu instid0(VALU_DEP_1) | instskip(NEXT) | instid1(VALU_DEP_1)
	v_lshrrev_b32_e32 v8, s14, v0
	v_mul_lo_u32 v0, v8, s12
	s_delay_alu instid0(VALU_DEP_1) | instskip(NEXT) | instid1(VALU_DEP_1)
	v_sub_nc_u32_e32 v0, v4, v0
	v_mul_lo_u32 v2, v0, s16
	v_mul_lo_u32 v6, v0, s18
	;; [unrolled: 1-line block ×3, first 2 shown]
	s_cbranch_vccnz .LBB43_815
; %bb.814:
	v_mov_b32_e32 v9, v5
	s_delay_alu instid0(VALU_DEP_1) | instskip(NEXT) | instid1(VALU_DEP_1)
	v_mul_u64_e32 v[10:11], s[28:29], v[8:9]
	v_add_nc_u32_e32 v1, v8, v11
	s_delay_alu instid0(VALU_DEP_1) | instskip(NEXT) | instid1(VALU_DEP_1)
	v_lshrrev_b32_e32 v1, s1, v1
	v_mul_lo_u32 v1, v1, s15
	s_delay_alu instid0(VALU_DEP_1) | instskip(NEXT) | instid1(VALU_DEP_1)
	v_sub_nc_u32_e32 v1, v8, v1
	v_mad_u32 v2, v1, s19, v2
	v_mad_u32 v0, v1, s26, v0
	;; [unrolled: 1-line block ×3, first 2 shown]
.LBB43_815:
	s_wait_loadcnt 0x0
	v_mov_b32_e32 v1, 0
	s_and_b32 s0, s37, 0xff
	s_delay_alu instid0(SALU_CYCLE_1) | instskip(NEXT) | instid1(VALU_DEP_1)
	s_cmp_lt_i32 s0, 11
	v_add_nc_u64_e32 v[8:9], s[6:7], v[0:1]
	s_cbranch_scc1 .LBB43_822
; %bb.816:
	s_and_b32 s31, 0xffff, s0
	s_delay_alu instid0(SALU_CYCLE_1)
	s_cmp_gt_i32 s31, 25
	s_cbranch_scc0 .LBB43_823
; %bb.817:
	s_cmp_gt_i32 s31, 28
	s_cbranch_scc0 .LBB43_824
; %bb.818:
	;; [unrolled: 3-line block ×4, first 2 shown]
	s_cmp_eq_u32 s31, 46
	s_mov_b32 s52, 0
	s_cbranch_scc0 .LBB43_829
; %bb.821:
	global_load_b32 v0, v[8:9], off
	s_mov_b32 s51, -1
	s_mov_b32 s30, 0
	s_wait_loadcnt 0x0
	v_lshlrev_b32_e32 v0, 16, v0
	s_delay_alu instid0(VALU_DEP_1)
	v_cvt_f64_f32_e32 v[0:1], v0
	s_branch .LBB43_831
.LBB43_822:
	s_mov_b32 s31, -1
	s_mov_b32 s51, 0
	s_mov_b32 s30, s46
                                        ; implicit-def: $vgpr0_vgpr1
	s_branch .LBB43_896
.LBB43_823:
	s_mov_b32 s52, -1
	s_mov_b32 s51, 0
	s_mov_b32 s30, s46
                                        ; implicit-def: $vgpr0_vgpr1
	s_branch .LBB43_860
.LBB43_824:
	s_mov_b32 s52, -1
	s_mov_b32 s51, 0
	s_mov_b32 s30, s46
                                        ; implicit-def: $vgpr0_vgpr1
	s_branch .LBB43_841
.LBB43_825:
	s_mov_b32 s52, -1
	s_mov_b32 s51, 0
	s_mov_b32 s30, s46
                                        ; implicit-def: $vgpr0_vgpr1
	s_branch .LBB43_836
.LBB43_826:
	s_mov_b32 s52, -1
	s_mov_b32 s51, 0
	s_mov_b32 s30, s46
	s_branch .LBB43_830
.LBB43_827:
	s_and_not1_saveexec_b32 s51, s51
	s_cbranch_execz .LBB43_709
.LBB43_828:
	v_add_f32_e64 v3, 0x46000000, |v2|
	s_and_not1_b32 s50, s50, exec_lo
	s_delay_alu instid0(VALU_DEP_1) | instskip(NEXT) | instid1(VALU_DEP_1)
	v_and_b32_e32 v3, 0xff, v3
	v_cmp_ne_u32_e32 vcc_lo, 0, v3
	s_and_b32 s52, vcc_lo, exec_lo
	s_delay_alu instid0(SALU_CYCLE_1)
	s_or_b32 s50, s50, s52
	s_or_b32 exec_lo, exec_lo, s51
	v_mov_b32_e32 v5, 0
	s_and_saveexec_b32 s51, s50
	s_cbranch_execnz .LBB43_710
	s_branch .LBB43_711
.LBB43_829:
	s_mov_b32 s30, -1
	s_mov_b32 s51, 0
.LBB43_830:
                                        ; implicit-def: $vgpr0_vgpr1
.LBB43_831:
	s_and_b32 vcc_lo, exec_lo, s52
	s_cbranch_vccz .LBB43_835
; %bb.832:
	s_cmp_eq_u32 s31, 44
	s_cbranch_scc0 .LBB43_834
; %bb.833:
	global_load_u8 v3, v[8:9], off
	s_mov_b32 s30, 0
	s_mov_b32 s51, -1
	s_wait_loadcnt 0x0
	v_cmp_ne_u32_e32 vcc_lo, 0xff, v3
	v_lshlrev_b32_e32 v0, 23, v3
	s_delay_alu instid0(VALU_DEP_1) | instskip(NEXT) | instid1(VALU_DEP_1)
	v_cvt_f64_f32_e32 v[0:1], v0
	v_cndmask_b32_e32 v0, 0x20000000, v0, vcc_lo
	s_delay_alu instid0(VALU_DEP_2) | instskip(SKIP_1) | instid1(VALU_DEP_2)
	v_cndmask_b32_e32 v1, 0x7ff80000, v1, vcc_lo
	v_cmp_ne_u32_e32 vcc_lo, 0, v3
	v_cndmask_b32_e32 v1, 0x38000000, v1, vcc_lo
	s_delay_alu instid0(VALU_DEP_4)
	v_cndmask_b32_e32 v0, 0, v0, vcc_lo
	s_branch .LBB43_835
.LBB43_834:
	s_mov_b32 s30, -1
                                        ; implicit-def: $vgpr0_vgpr1
.LBB43_835:
	s_mov_b32 s52, 0
.LBB43_836:
	s_delay_alu instid0(SALU_CYCLE_1)
	s_and_b32 vcc_lo, exec_lo, s52
	s_cbranch_vccz .LBB43_840
; %bb.837:
	s_cmp_eq_u32 s31, 29
	s_cbranch_scc0 .LBB43_839
; %bb.838:
	global_load_b64 v[0:1], v[8:9], off
	s_mov_b32 s51, -1
	s_mov_b32 s30, 0
	s_mov_b32 s52, 0
	s_wait_loadcnt 0x0
	v_cvt_f64_u32_e32 v[10:11], v1
	v_cvt_f64_u32_e32 v[0:1], v0
	s_delay_alu instid0(VALU_DEP_2) | instskip(NEXT) | instid1(VALU_DEP_1)
	v_ldexp_f64 v[10:11], v[10:11], 32
	v_add_f64_e32 v[0:1], v[10:11], v[0:1]
	s_branch .LBB43_841
.LBB43_839:
	s_mov_b32 s30, -1
                                        ; implicit-def: $vgpr0_vgpr1
.LBB43_840:
	s_mov_b32 s52, 0
.LBB43_841:
	s_delay_alu instid0(SALU_CYCLE_1)
	s_and_b32 vcc_lo, exec_lo, s52
	s_cbranch_vccz .LBB43_859
; %bb.842:
	s_cmp_lt_i32 s31, 27
	s_cbranch_scc1 .LBB43_845
; %bb.843:
	s_cmp_gt_i32 s31, 27
	s_cbranch_scc0 .LBB43_846
; %bb.844:
	global_load_b32 v0, v[8:9], off
	s_mov_b32 s51, 0
	s_wait_loadcnt 0x0
	v_cvt_f64_u32_e32 v[0:1], v0
	s_branch .LBB43_847
.LBB43_845:
	s_mov_b32 s51, -1
                                        ; implicit-def: $vgpr0_vgpr1
	s_branch .LBB43_850
.LBB43_846:
	s_mov_b32 s51, -1
                                        ; implicit-def: $vgpr0_vgpr1
.LBB43_847:
	s_delay_alu instid0(SALU_CYCLE_1)
	s_and_not1_b32 vcc_lo, exec_lo, s51
	s_cbranch_vccnz .LBB43_849
; %bb.848:
	global_load_u16 v0, v[8:9], off
	s_wait_loadcnt 0x0
	v_cvt_f64_u32_e32 v[0:1], v0
.LBB43_849:
	s_mov_b32 s51, 0
.LBB43_850:
	s_delay_alu instid0(SALU_CYCLE_1)
	s_and_not1_b32 vcc_lo, exec_lo, s51
	s_cbranch_vccnz .LBB43_858
; %bb.851:
	global_load_u8 v3, v[8:9], off
	s_mov_b32 s51, 0
	s_mov_b32 s52, exec_lo
	s_wait_loadcnt 0x0
	v_cmpx_lt_i16_e32 0x7f, v3
	s_xor_b32 s52, exec_lo, s52
	s_cbranch_execz .LBB43_872
; %bb.852:
	s_mov_b32 s51, -1
	s_mov_b32 s53, exec_lo
	v_cmpx_eq_u16_e32 0x80, v3
; %bb.853:
	s_xor_b32 s51, exec_lo, -1
; %bb.854:
	s_or_b32 exec_lo, exec_lo, s53
	s_delay_alu instid0(SALU_CYCLE_1)
	s_and_b32 s51, s51, exec_lo
	s_or_saveexec_b32 s52, s52
	v_mov_b64_e32 v[0:1], 0x7ff8000020000000
	s_xor_b32 exec_lo, exec_lo, s52
	s_cbranch_execnz .LBB43_873
.LBB43_855:
	s_or_b32 exec_lo, exec_lo, s52
	s_and_saveexec_b32 s52, s51
	s_cbranch_execz .LBB43_857
.LBB43_856:
	v_and_b32_e32 v0, 0xffff, v3
	s_delay_alu instid0(VALU_DEP_1) | instskip(SKIP_1) | instid1(VALU_DEP_2)
	v_and_b32_e32 v1, 7, v0
	v_bfe_u32 v10, v0, 3, 4
	v_clz_i32_u32_e32 v5, v1
	s_delay_alu instid0(VALU_DEP_2) | instskip(NEXT) | instid1(VALU_DEP_2)
	v_cmp_eq_u32_e32 vcc_lo, 0, v10
	v_min_u32_e32 v5, 32, v5
	s_delay_alu instid0(VALU_DEP_1) | instskip(NEXT) | instid1(VALU_DEP_1)
	v_subrev_nc_u32_e32 v7, 28, v5
	v_dual_lshlrev_b32 v0, v7, v0 :: v_dual_sub_nc_u32 v5, 29, v5
	s_delay_alu instid0(VALU_DEP_1) | instskip(NEXT) | instid1(VALU_DEP_1)
	v_dual_lshlrev_b32 v3, 24, v3 :: v_dual_bitop2_b32 v0, 7, v0 bitop3:0x40
	v_dual_cndmask_b32 v5, v10, v5 :: v_dual_cndmask_b32 v0, v1, v0
	s_delay_alu instid0(VALU_DEP_2) | instskip(NEXT) | instid1(VALU_DEP_2)
	v_and_b32_e32 v1, 0x80000000, v3
	v_lshl_add_u32 v3, v5, 23, 0x3b800000
	s_delay_alu instid0(VALU_DEP_3) | instskip(NEXT) | instid1(VALU_DEP_1)
	v_lshlrev_b32_e32 v0, 20, v0
	v_or3_b32 v0, v1, v3, v0
	s_delay_alu instid0(VALU_DEP_1)
	v_cvt_f64_f32_e32 v[0:1], v0
.LBB43_857:
	s_or_b32 exec_lo, exec_lo, s52
.LBB43_858:
	s_mov_b32 s51, -1
.LBB43_859:
	s_mov_b32 s52, 0
.LBB43_860:
	s_delay_alu instid0(SALU_CYCLE_1)
	s_and_b32 vcc_lo, exec_lo, s52
	s_cbranch_vccz .LBB43_895
; %bb.861:
	s_cmp_gt_i32 s31, 22
	s_cbranch_scc0 .LBB43_871
; %bb.862:
	s_cmp_lt_i32 s31, 24
	s_cbranch_scc1 .LBB43_874
; %bb.863:
	s_cmp_gt_i32 s31, 24
	s_cbranch_scc0 .LBB43_875
; %bb.864:
	global_load_u8 v3, v[8:9], off
	s_mov_b32 s51, 0
	s_mov_b32 s52, exec_lo
	s_wait_loadcnt 0x0
	v_cmpx_lt_i16_e32 0x7f, v3
	s_xor_b32 s52, exec_lo, s52
	s_cbranch_execz .LBB43_887
; %bb.865:
	s_mov_b32 s51, -1
	s_mov_b32 s53, exec_lo
	v_cmpx_eq_u16_e32 0x80, v3
; %bb.866:
	s_xor_b32 s51, exec_lo, -1
; %bb.867:
	s_or_b32 exec_lo, exec_lo, s53
	s_delay_alu instid0(SALU_CYCLE_1)
	s_and_b32 s51, s51, exec_lo
	s_or_saveexec_b32 s52, s52
	v_mov_b64_e32 v[0:1], 0x7ff8000020000000
	s_xor_b32 exec_lo, exec_lo, s52
	s_cbranch_execnz .LBB43_888
.LBB43_868:
	s_or_b32 exec_lo, exec_lo, s52
	s_and_saveexec_b32 s52, s51
	s_cbranch_execz .LBB43_870
.LBB43_869:
	v_and_b32_e32 v0, 0xffff, v3
	s_delay_alu instid0(VALU_DEP_1) | instskip(SKIP_1) | instid1(VALU_DEP_2)
	v_and_b32_e32 v1, 3, v0
	v_bfe_u32 v10, v0, 2, 5
	v_clz_i32_u32_e32 v5, v1
	s_delay_alu instid0(VALU_DEP_2) | instskip(NEXT) | instid1(VALU_DEP_2)
	v_cmp_eq_u32_e32 vcc_lo, 0, v10
	v_min_u32_e32 v5, 32, v5
	s_delay_alu instid0(VALU_DEP_1) | instskip(NEXT) | instid1(VALU_DEP_1)
	v_subrev_nc_u32_e32 v7, 29, v5
	v_dual_lshlrev_b32 v0, v7, v0 :: v_dual_sub_nc_u32 v5, 30, v5
	s_delay_alu instid0(VALU_DEP_1) | instskip(NEXT) | instid1(VALU_DEP_1)
	v_dual_lshlrev_b32 v3, 24, v3 :: v_dual_bitop2_b32 v0, 3, v0 bitop3:0x40
	v_dual_cndmask_b32 v5, v10, v5 :: v_dual_cndmask_b32 v0, v1, v0
	s_delay_alu instid0(VALU_DEP_2) | instskip(NEXT) | instid1(VALU_DEP_2)
	v_and_b32_e32 v1, 0x80000000, v3
	v_lshl_add_u32 v3, v5, 23, 0x37800000
	s_delay_alu instid0(VALU_DEP_3) | instskip(NEXT) | instid1(VALU_DEP_1)
	v_lshlrev_b32_e32 v0, 21, v0
	v_or3_b32 v0, v1, v3, v0
	s_delay_alu instid0(VALU_DEP_1)
	v_cvt_f64_f32_e32 v[0:1], v0
.LBB43_870:
	s_or_b32 exec_lo, exec_lo, s52
	s_mov_b32 s51, 0
	s_branch .LBB43_876
.LBB43_871:
	s_mov_b32 s52, -1
                                        ; implicit-def: $vgpr0_vgpr1
	s_branch .LBB43_882
.LBB43_872:
	s_or_saveexec_b32 s52, s52
	v_mov_b64_e32 v[0:1], 0x7ff8000020000000
	s_xor_b32 exec_lo, exec_lo, s52
	s_cbranch_execz .LBB43_855
.LBB43_873:
	v_cmp_ne_u16_e32 vcc_lo, 0, v3
	v_mov_b64_e32 v[0:1], 0
	s_and_not1_b32 s51, s51, exec_lo
	s_and_b32 s53, vcc_lo, exec_lo
	s_delay_alu instid0(SALU_CYCLE_1)
	s_or_b32 s51, s51, s53
	s_or_b32 exec_lo, exec_lo, s52
	s_and_saveexec_b32 s52, s51
	s_cbranch_execnz .LBB43_856
	s_branch .LBB43_857
.LBB43_874:
	s_mov_b32 s51, -1
                                        ; implicit-def: $vgpr0_vgpr1
	s_branch .LBB43_879
.LBB43_875:
	s_mov_b32 s51, -1
                                        ; implicit-def: $vgpr0_vgpr1
.LBB43_876:
	s_delay_alu instid0(SALU_CYCLE_1)
	s_and_b32 vcc_lo, exec_lo, s51
	s_cbranch_vccz .LBB43_878
; %bb.877:
	global_load_u8 v0, v[8:9], off
	s_wait_loadcnt 0x0
	v_lshlrev_b32_e32 v0, 24, v0
	s_delay_alu instid0(VALU_DEP_1) | instskip(NEXT) | instid1(VALU_DEP_1)
	v_and_b32_e32 v1, 0x7f000000, v0
	v_clz_i32_u32_e32 v3, v1
	v_add_nc_u32_e32 v7, 0x1000000, v1
	v_cmp_ne_u32_e32 vcc_lo, 0, v1
	s_delay_alu instid0(VALU_DEP_3) | instskip(NEXT) | instid1(VALU_DEP_1)
	v_min_u32_e32 v3, 32, v3
	v_sub_nc_u32_e64 v3, v3, 4 clamp
	s_delay_alu instid0(VALU_DEP_1) | instskip(NEXT) | instid1(VALU_DEP_1)
	v_dual_lshlrev_b32 v5, v3, v1 :: v_dual_lshlrev_b32 v3, 23, v3
	v_lshrrev_b32_e32 v5, 4, v5
	s_delay_alu instid0(VALU_DEP_1) | instskip(SKIP_1) | instid1(VALU_DEP_2)
	v_sub_nc_u32_e32 v3, v5, v3
	v_ashrrev_i32_e32 v5, 8, v7
	v_add_nc_u32_e32 v3, 0x3c000000, v3
	s_delay_alu instid0(VALU_DEP_1) | instskip(NEXT) | instid1(VALU_DEP_1)
	v_and_or_b32 v3, 0x7f800000, v5, v3
	v_cndmask_b32_e32 v1, 0, v3, vcc_lo
	s_delay_alu instid0(VALU_DEP_1) | instskip(NEXT) | instid1(VALU_DEP_1)
	v_and_or_b32 v0, 0x80000000, v0, v1
	v_cvt_f64_f32_e32 v[0:1], v0
.LBB43_878:
	s_mov_b32 s51, 0
.LBB43_879:
	s_delay_alu instid0(SALU_CYCLE_1)
	s_and_not1_b32 vcc_lo, exec_lo, s51
	s_cbranch_vccnz .LBB43_881
; %bb.880:
	global_load_u8 v0, v[8:9], off
	s_wait_loadcnt 0x0
	v_lshlrev_b32_e32 v1, 25, v0
	v_lshlrev_b16 v0, 8, v0
	s_delay_alu instid0(VALU_DEP_1) | instskip(SKIP_1) | instid1(VALU_DEP_2)
	v_and_or_b32 v5, 0x7f00, v0, 0.5
	v_bfe_i32 v0, v0, 0, 16
	v_add_f32_e32 v5, -0.5, v5
	v_lshrrev_b32_e32 v3, 4, v1
	v_cmp_gt_u32_e32 vcc_lo, 0x8000000, v1
	s_delay_alu instid0(VALU_DEP_2) | instskip(NEXT) | instid1(VALU_DEP_1)
	v_or_b32_e32 v3, 0x70000000, v3
	v_mul_f32_e32 v3, 0x7800000, v3
	s_delay_alu instid0(VALU_DEP_1) | instskip(NEXT) | instid1(VALU_DEP_1)
	v_cndmask_b32_e32 v1, v3, v5, vcc_lo
	v_and_or_b32 v0, 0x80000000, v0, v1
	s_delay_alu instid0(VALU_DEP_1)
	v_cvt_f64_f32_e32 v[0:1], v0
.LBB43_881:
	s_mov_b32 s52, 0
	s_mov_b32 s51, -1
.LBB43_882:
	s_and_not1_b32 vcc_lo, exec_lo, s52
	s_cbranch_vccnz .LBB43_895
; %bb.883:
	s_cmp_gt_i32 s31, 14
	s_cbranch_scc0 .LBB43_886
; %bb.884:
	s_cmp_eq_u32 s31, 15
	s_cbranch_scc0 .LBB43_889
; %bb.885:
	global_load_u16 v0, v[8:9], off
	s_mov_b32 s51, -1
	s_mov_b32 s30, 0
	s_wait_loadcnt 0x0
	v_lshlrev_b32_e32 v0, 16, v0
	s_delay_alu instid0(VALU_DEP_1)
	v_cvt_f64_f32_e32 v[0:1], v0
	s_branch .LBB43_890
.LBB43_886:
	s_mov_b32 s52, -1
                                        ; implicit-def: $vgpr0_vgpr1
	s_branch .LBB43_891
.LBB43_887:
	s_or_saveexec_b32 s52, s52
	v_mov_b64_e32 v[0:1], 0x7ff8000020000000
	s_xor_b32 exec_lo, exec_lo, s52
	s_cbranch_execz .LBB43_868
.LBB43_888:
	v_cmp_ne_u16_e32 vcc_lo, 0, v3
	v_mov_b64_e32 v[0:1], 0
	s_and_not1_b32 s51, s51, exec_lo
	s_and_b32 s53, vcc_lo, exec_lo
	s_delay_alu instid0(SALU_CYCLE_1)
	s_or_b32 s51, s51, s53
	s_or_b32 exec_lo, exec_lo, s52
	s_and_saveexec_b32 s52, s51
	s_cbranch_execnz .LBB43_869
	s_branch .LBB43_870
.LBB43_889:
	s_mov_b32 s30, -1
                                        ; implicit-def: $vgpr0_vgpr1
.LBB43_890:
	s_mov_b32 s52, 0
.LBB43_891:
	s_delay_alu instid0(SALU_CYCLE_1)
	s_and_b32 vcc_lo, exec_lo, s52
	s_cbranch_vccz .LBB43_895
; %bb.892:
	s_cmp_eq_u32 s31, 11
	s_cbranch_scc0 .LBB43_894
; %bb.893:
	global_load_u8 v0, v[8:9], off
	s_mov_b32 s30, 0
	s_mov_b32 s51, -1
	s_wait_loadcnt 0x0
	v_cmp_ne_u16_e32 vcc_lo, 0, v0
	v_mov_b32_e32 v0, 0
	v_cndmask_b32_e64 v1, 0, 0x3ff00000, vcc_lo
	s_branch .LBB43_895
.LBB43_894:
	s_mov_b32 s30, -1
                                        ; implicit-def: $vgpr0_vgpr1
.LBB43_895:
	s_mov_b32 s31, 0
.LBB43_896:
	s_delay_alu instid0(SALU_CYCLE_1)
	s_and_b32 vcc_lo, exec_lo, s31
	s_cbranch_vccz .LBB43_945
; %bb.897:
	s_and_b32 s0, 0xffff, s0
	s_delay_alu instid0(SALU_CYCLE_1)
	s_cmp_lt_i32 s0, 5
	s_cbranch_scc1 .LBB43_902
; %bb.898:
	s_cmp_lt_i32 s0, 8
	s_cbranch_scc1 .LBB43_903
; %bb.899:
	;; [unrolled: 3-line block ×3, first 2 shown]
	s_cmp_gt_i32 s0, 9
	s_cbranch_scc0 .LBB43_905
; %bb.901:
	global_load_b64 v[0:1], v[8:9], off
	s_mov_b32 s31, 0
	s_branch .LBB43_906
.LBB43_902:
	s_mov_b32 s31, -1
                                        ; implicit-def: $vgpr0_vgpr1
	s_branch .LBB43_924
.LBB43_903:
	s_mov_b32 s31, -1
                                        ; implicit-def: $vgpr0_vgpr1
	s_branch .LBB43_912
.LBB43_904:
	s_mov_b32 s31, -1
                                        ; implicit-def: $vgpr0_vgpr1
	s_branch .LBB43_909
.LBB43_905:
	s_mov_b32 s31, -1
                                        ; implicit-def: $vgpr0_vgpr1
.LBB43_906:
	s_delay_alu instid0(SALU_CYCLE_1)
	s_and_not1_b32 vcc_lo, exec_lo, s31
	s_cbranch_vccnz .LBB43_908
; %bb.907:
	s_wait_loadcnt 0x0
	global_load_b32 v0, v[8:9], off
	s_wait_loadcnt 0x0
	v_cvt_f64_f32_e32 v[0:1], v0
.LBB43_908:
	s_mov_b32 s31, 0
.LBB43_909:
	s_delay_alu instid0(SALU_CYCLE_1)
	s_and_not1_b32 vcc_lo, exec_lo, s31
	s_cbranch_vccnz .LBB43_911
; %bb.910:
	s_wait_loadcnt 0x0
	global_load_b32 v0, v[8:9], off
	s_wait_loadcnt 0x0
	v_cvt_f32_f16_e32 v0, v0
	s_delay_alu instid0(VALU_DEP_1)
	v_cvt_f64_f32_e32 v[0:1], v0
.LBB43_911:
	s_mov_b32 s31, 0
.LBB43_912:
	s_delay_alu instid0(SALU_CYCLE_1)
	s_and_not1_b32 vcc_lo, exec_lo, s31
	s_cbranch_vccnz .LBB43_923
; %bb.913:
	s_cmp_lt_i32 s0, 6
	s_cbranch_scc1 .LBB43_916
; %bb.914:
	s_cmp_gt_i32 s0, 6
	s_cbranch_scc0 .LBB43_917
; %bb.915:
	s_wait_loadcnt 0x0
	global_load_b64 v[0:1], v[8:9], off
	s_mov_b32 s31, 0
	s_branch .LBB43_918
.LBB43_916:
	s_mov_b32 s31, -1
                                        ; implicit-def: $vgpr0_vgpr1
	s_branch .LBB43_921
.LBB43_917:
	s_mov_b32 s31, -1
                                        ; implicit-def: $vgpr0_vgpr1
.LBB43_918:
	s_delay_alu instid0(SALU_CYCLE_1)
	s_and_not1_b32 vcc_lo, exec_lo, s31
	s_cbranch_vccnz .LBB43_920
; %bb.919:
	s_wait_loadcnt 0x0
	global_load_b32 v0, v[8:9], off
	s_wait_loadcnt 0x0
	v_cvt_f64_f32_e32 v[0:1], v0
.LBB43_920:
	s_mov_b32 s31, 0
.LBB43_921:
	s_delay_alu instid0(SALU_CYCLE_1)
	s_and_not1_b32 vcc_lo, exec_lo, s31
	s_cbranch_vccnz .LBB43_923
; %bb.922:
	s_wait_loadcnt 0x0
	global_load_u16 v0, v[8:9], off
	s_wait_loadcnt 0x0
	v_cvt_f32_f16_e32 v0, v0
	s_delay_alu instid0(VALU_DEP_1)
	v_cvt_f64_f32_e32 v[0:1], v0
.LBB43_923:
	s_mov_b32 s31, 0
.LBB43_924:
	s_delay_alu instid0(SALU_CYCLE_1)
	s_and_not1_b32 vcc_lo, exec_lo, s31
	s_cbranch_vccnz .LBB43_944
; %bb.925:
	s_cmp_lt_i32 s0, 2
	s_cbranch_scc1 .LBB43_929
; %bb.926:
	s_cmp_lt_i32 s0, 3
	s_cbranch_scc1 .LBB43_930
; %bb.927:
	s_cmp_gt_i32 s0, 3
	s_cbranch_scc0 .LBB43_931
; %bb.928:
	s_wait_loadcnt 0x0
	global_load_b64 v[0:1], v[8:9], off
	s_mov_b32 s31, 0
	s_wait_loadcnt 0x0
	v_cvt_f64_i32_e32 v[10:11], v1
	v_cvt_f64_u32_e32 v[0:1], v0
	s_delay_alu instid0(VALU_DEP_2) | instskip(NEXT) | instid1(VALU_DEP_1)
	v_ldexp_f64 v[10:11], v[10:11], 32
	v_add_f64_e32 v[0:1], v[10:11], v[0:1]
	s_branch .LBB43_932
.LBB43_929:
	s_mov_b32 s31, -1
                                        ; implicit-def: $vgpr0_vgpr1
	s_branch .LBB43_938
.LBB43_930:
	s_mov_b32 s31, -1
                                        ; implicit-def: $vgpr0_vgpr1
	s_branch .LBB43_935
.LBB43_931:
	s_mov_b32 s31, -1
                                        ; implicit-def: $vgpr0_vgpr1
.LBB43_932:
	s_delay_alu instid0(SALU_CYCLE_1)
	s_and_not1_b32 vcc_lo, exec_lo, s31
	s_cbranch_vccnz .LBB43_934
; %bb.933:
	s_wait_loadcnt 0x0
	global_load_b32 v0, v[8:9], off
	s_wait_loadcnt 0x0
	v_cvt_f64_i32_e32 v[0:1], v0
.LBB43_934:
	s_mov_b32 s31, 0
.LBB43_935:
	s_delay_alu instid0(SALU_CYCLE_1)
	s_and_not1_b32 vcc_lo, exec_lo, s31
	s_cbranch_vccnz .LBB43_937
; %bb.936:
	s_wait_loadcnt 0x0
	global_load_i16 v0, v[8:9], off
	s_wait_loadcnt 0x0
	v_cvt_f64_i32_e32 v[0:1], v0
.LBB43_937:
	s_mov_b32 s31, 0
.LBB43_938:
	s_delay_alu instid0(SALU_CYCLE_1)
	s_and_not1_b32 vcc_lo, exec_lo, s31
	s_cbranch_vccnz .LBB43_944
; %bb.939:
	s_cmp_gt_i32 s0, 0
	s_mov_b32 s0, 0
	s_cbranch_scc0 .LBB43_941
; %bb.940:
	s_wait_loadcnt 0x0
	global_load_i8 v0, v[8:9], off
	s_wait_loadcnt 0x0
	v_cvt_f64_i32_e32 v[0:1], v0
	s_branch .LBB43_942
.LBB43_941:
	s_mov_b32 s0, -1
                                        ; implicit-def: $vgpr0_vgpr1
.LBB43_942:
	s_delay_alu instid0(SALU_CYCLE_1)
	s_and_not1_b32 vcc_lo, exec_lo, s0
	s_cbranch_vccnz .LBB43_944
; %bb.943:
	s_wait_loadcnt 0x0
	global_load_u8 v0, v[8:9], off
	s_wait_loadcnt 0x0
	v_cvt_f64_u32_e32 v[0:1], v0
.LBB43_944:
	s_mov_b32 s51, -1
.LBB43_945:
	s_delay_alu instid0(SALU_CYCLE_1)
	s_and_not1_b32 vcc_lo, exec_lo, s51
	s_cbranch_vccnz .LBB43_953
; %bb.946:
	v_mov_b32_e32 v7, 0
	s_and_b32 s0, s13, 0xff
	s_delay_alu instid0(SALU_CYCLE_1) | instskip(NEXT) | instid1(VALU_DEP_1)
	s_cmp_lt_i32 s0, 11
	v_add_nc_u64_e32 v[6:7], s[8:9], v[6:7]
	s_cbranch_scc1 .LBB43_954
; %bb.947:
	s_and_b32 s51, 0xffff, s0
	s_delay_alu instid0(SALU_CYCLE_1)
	s_cmp_gt_i32 s51, 25
	s_cbranch_scc0 .LBB43_955
; %bb.948:
	s_cmp_gt_i32 s51, 28
	s_cbranch_scc0 .LBB43_956
; %bb.949:
	;; [unrolled: 3-line block ×4, first 2 shown]
	s_cmp_eq_u32 s51, 46
	s_mov_b32 s53, 0
	s_cbranch_scc0 .LBB43_961
; %bb.952:
	global_load_b32 v3, v[6:7], off
	s_mov_b32 s52, -1
	s_mov_b32 s31, 0
	s_wait_loadcnt 0x0
	v_lshlrev_b32_e32 v3, 16, v3
	s_wait_xcnt 0x1
	s_delay_alu instid0(VALU_DEP_1)
	v_cvt_f64_f32_e32 v[8:9], v3
	s_branch .LBB43_963
.LBB43_953:
	s_mov_b32 s54, 0
	s_mov_b32 s0, s47
	;; [unrolled: 1-line block ×3, first 2 shown]
	s_branch .LBB43_1204
.LBB43_954:
	s_mov_b32 s51, -1
	s_mov_b32 s52, 0
	s_mov_b32 s31, s48
                                        ; implicit-def: $vgpr8_vgpr9
	s_branch .LBB43_1028
.LBB43_955:
	s_mov_b32 s53, -1
	s_mov_b32 s52, 0
	s_mov_b32 s31, s48
                                        ; implicit-def: $vgpr8_vgpr9
	s_branch .LBB43_992
.LBB43_956:
	s_mov_b32 s53, -1
	s_mov_b32 s52, 0
	s_mov_b32 s31, s48
                                        ; implicit-def: $vgpr8_vgpr9
	s_branch .LBB43_973
.LBB43_957:
	s_mov_b32 s53, -1
	s_mov_b32 s52, 0
	s_mov_b32 s31, s48
                                        ; implicit-def: $vgpr8_vgpr9
	s_branch .LBB43_968
.LBB43_958:
	s_mov_b32 s53, -1
	s_mov_b32 s52, 0
	s_mov_b32 s31, s48
	s_branch .LBB43_962
.LBB43_959:
	s_and_not1_saveexec_b32 s51, s51
	s_cbranch_execz .LBB43_722
.LBB43_960:
	v_add_f32_e64 v3, 0x42800000, |v2|
	s_and_not1_b32 s50, s50, exec_lo
	s_delay_alu instid0(VALU_DEP_1) | instskip(NEXT) | instid1(VALU_DEP_1)
	v_and_b32_e32 v3, 0xff, v3
	v_cmp_ne_u32_e32 vcc_lo, 0, v3
	s_and_b32 s52, vcc_lo, exec_lo
	s_delay_alu instid0(SALU_CYCLE_1)
	s_or_b32 s50, s50, s52
	s_or_b32 exec_lo, exec_lo, s51
	v_mov_b32_e32 v5, 0
	s_and_saveexec_b32 s51, s50
	s_cbranch_execnz .LBB43_723
	s_branch .LBB43_724
.LBB43_961:
	s_mov_b32 s31, -1
	s_mov_b32 s52, 0
.LBB43_962:
                                        ; implicit-def: $vgpr8_vgpr9
.LBB43_963:
	s_and_b32 vcc_lo, exec_lo, s53
	s_cbranch_vccz .LBB43_967
; %bb.964:
	s_cmp_eq_u32 s51, 44
	s_cbranch_scc0 .LBB43_966
; %bb.965:
	global_load_u8 v3, v[6:7], off
	s_mov_b32 s31, 0
	s_mov_b32 s52, -1
	s_wait_loadcnt 0x0
	v_cmp_ne_u32_e32 vcc_lo, 0xff, v3
	v_lshlrev_b32_e32 v5, 23, v3
	s_wait_xcnt 0x1
	s_delay_alu instid0(VALU_DEP_1) | instskip(NEXT) | instid1(VALU_DEP_1)
	v_cvt_f64_f32_e32 v[8:9], v5
	v_cndmask_b32_e32 v5, 0x20000000, v8, vcc_lo
	s_delay_alu instid0(VALU_DEP_2) | instskip(SKIP_1) | instid1(VALU_DEP_2)
	v_cndmask_b32_e32 v8, 0x7ff80000, v9, vcc_lo
	v_cmp_ne_u32_e32 vcc_lo, 0, v3
	v_cndmask_b32_e32 v9, 0x38000000, v8, vcc_lo
	s_delay_alu instid0(VALU_DEP_4)
	v_cndmask_b32_e32 v8, 0, v5, vcc_lo
	s_branch .LBB43_967
.LBB43_966:
	s_mov_b32 s31, -1
                                        ; implicit-def: $vgpr8_vgpr9
.LBB43_967:
	s_mov_b32 s53, 0
.LBB43_968:
	s_delay_alu instid0(SALU_CYCLE_1)
	s_and_b32 vcc_lo, exec_lo, s53
	s_cbranch_vccz .LBB43_972
; %bb.969:
	s_cmp_eq_u32 s51, 29
	s_cbranch_scc0 .LBB43_971
; %bb.970:
	global_load_b64 v[8:9], v[6:7], off
	s_mov_b32 s52, -1
	s_mov_b32 s31, 0
	s_mov_b32 s53, 0
	s_wait_loadcnt 0x0
	v_cvt_f64_u32_e32 v[10:11], v9
	v_cvt_f64_u32_e32 v[8:9], v8
	s_delay_alu instid0(VALU_DEP_2) | instskip(NEXT) | instid1(VALU_DEP_1)
	v_ldexp_f64 v[10:11], v[10:11], 32
	v_add_f64_e32 v[8:9], v[10:11], v[8:9]
	s_branch .LBB43_973
.LBB43_971:
	s_mov_b32 s31, -1
                                        ; implicit-def: $vgpr8_vgpr9
.LBB43_972:
	s_mov_b32 s53, 0
.LBB43_973:
	s_delay_alu instid0(SALU_CYCLE_1)
	s_and_b32 vcc_lo, exec_lo, s53
	s_cbranch_vccz .LBB43_991
; %bb.974:
	s_cmp_lt_i32 s51, 27
	s_cbranch_scc1 .LBB43_977
; %bb.975:
	s_cmp_gt_i32 s51, 27
	s_cbranch_scc0 .LBB43_978
; %bb.976:
	global_load_b32 v3, v[6:7], off
	s_mov_b32 s52, 0
	s_wait_loadcnt 0x0
	s_wait_xcnt 0x1
	v_cvt_f64_u32_e32 v[8:9], v3
	s_branch .LBB43_979
.LBB43_977:
	s_mov_b32 s52, -1
                                        ; implicit-def: $vgpr8_vgpr9
	s_branch .LBB43_982
.LBB43_978:
	s_mov_b32 s52, -1
                                        ; implicit-def: $vgpr8_vgpr9
.LBB43_979:
	s_delay_alu instid0(SALU_CYCLE_1)
	s_and_not1_b32 vcc_lo, exec_lo, s52
	s_cbranch_vccnz .LBB43_981
; %bb.980:
	global_load_u16 v3, v[6:7], off
	s_wait_loadcnt 0x0
	s_wait_xcnt 0x1
	v_cvt_f64_u32_e32 v[8:9], v3
.LBB43_981:
	s_mov_b32 s52, 0
.LBB43_982:
	s_delay_alu instid0(SALU_CYCLE_1)
	s_and_not1_b32 vcc_lo, exec_lo, s52
	s_cbranch_vccnz .LBB43_990
; %bb.983:
	global_load_u8 v3, v[6:7], off
	s_mov_b32 s52, 0
	s_mov_b32 s53, exec_lo
	s_wait_loadcnt 0x0
	v_cmpx_lt_i16_e32 0x7f, v3
	s_xor_b32 s53, exec_lo, s53
	s_cbranch_execz .LBB43_1004
; %bb.984:
	s_mov_b32 s52, -1
	s_mov_b32 s54, exec_lo
	v_cmpx_eq_u16_e32 0x80, v3
; %bb.985:
	s_xor_b32 s52, exec_lo, -1
; %bb.986:
	s_or_b32 exec_lo, exec_lo, s54
	s_delay_alu instid0(SALU_CYCLE_1)
	s_and_b32 s52, s52, exec_lo
	s_or_saveexec_b32 s53, s53
	v_mov_b64_e32 v[8:9], 0x7ff8000020000000
	s_xor_b32 exec_lo, exec_lo, s53
	s_cbranch_execnz .LBB43_1005
.LBB43_987:
	s_or_b32 exec_lo, exec_lo, s53
	s_and_saveexec_b32 s53, s52
	s_cbranch_execz .LBB43_989
.LBB43_988:
	v_and_b32_e32 v5, 0xffff, v3
	s_delay_alu instid0(VALU_DEP_1) | instskip(SKIP_1) | instid1(VALU_DEP_2)
	v_dual_lshlrev_b32 v3, 24, v3 :: v_dual_bitop2_b32 v8, 7, v5 bitop3:0x40
	v_bfe_u32 v11, v5, 3, 4
	v_and_b32_e32 v3, 0x80000000, v3
	s_delay_alu instid0(VALU_DEP_3) | instskip(NEXT) | instid1(VALU_DEP_3)
	v_clz_i32_u32_e32 v9, v8
	v_cmp_eq_u32_e32 vcc_lo, 0, v11
	s_delay_alu instid0(VALU_DEP_2) | instskip(NEXT) | instid1(VALU_DEP_1)
	v_min_u32_e32 v9, 32, v9
	v_subrev_nc_u32_e32 v10, 28, v9
	v_sub_nc_u32_e32 v9, 29, v9
	s_delay_alu instid0(VALU_DEP_2) | instskip(NEXT) | instid1(VALU_DEP_2)
	v_lshlrev_b32_e32 v5, v10, v5
	v_cndmask_b32_e32 v9, v11, v9, vcc_lo
	s_delay_alu instid0(VALU_DEP_2) | instskip(NEXT) | instid1(VALU_DEP_1)
	v_and_b32_e32 v5, 7, v5
	v_cndmask_b32_e32 v5, v8, v5, vcc_lo
	s_delay_alu instid0(VALU_DEP_3) | instskip(NEXT) | instid1(VALU_DEP_2)
	v_lshl_add_u32 v8, v9, 23, 0x3b800000
	v_lshlrev_b32_e32 v5, 20, v5
	s_delay_alu instid0(VALU_DEP_1) | instskip(NEXT) | instid1(VALU_DEP_1)
	v_or3_b32 v3, v3, v8, v5
	v_cvt_f64_f32_e32 v[8:9], v3
.LBB43_989:
	s_or_b32 exec_lo, exec_lo, s53
.LBB43_990:
	s_mov_b32 s52, -1
.LBB43_991:
	s_mov_b32 s53, 0
.LBB43_992:
	s_delay_alu instid0(SALU_CYCLE_1)
	s_and_b32 vcc_lo, exec_lo, s53
	s_cbranch_vccz .LBB43_1027
; %bb.993:
	s_cmp_gt_i32 s51, 22
	s_cbranch_scc0 .LBB43_1003
; %bb.994:
	s_cmp_lt_i32 s51, 24
	s_cbranch_scc1 .LBB43_1006
; %bb.995:
	s_cmp_gt_i32 s51, 24
	s_cbranch_scc0 .LBB43_1007
; %bb.996:
	global_load_u8 v3, v[6:7], off
	s_mov_b32 s52, 0
	s_mov_b32 s53, exec_lo
	s_wait_loadcnt 0x0
	v_cmpx_lt_i16_e32 0x7f, v3
	s_xor_b32 s53, exec_lo, s53
	s_cbranch_execz .LBB43_1019
; %bb.997:
	s_mov_b32 s52, -1
	s_mov_b32 s54, exec_lo
	v_cmpx_eq_u16_e32 0x80, v3
; %bb.998:
	s_xor_b32 s52, exec_lo, -1
; %bb.999:
	s_or_b32 exec_lo, exec_lo, s54
	s_delay_alu instid0(SALU_CYCLE_1)
	s_and_b32 s52, s52, exec_lo
	s_or_saveexec_b32 s53, s53
	v_mov_b64_e32 v[8:9], 0x7ff8000020000000
	s_xor_b32 exec_lo, exec_lo, s53
	s_cbranch_execnz .LBB43_1020
.LBB43_1000:
	s_or_b32 exec_lo, exec_lo, s53
	s_and_saveexec_b32 s53, s52
	s_cbranch_execz .LBB43_1002
.LBB43_1001:
	v_and_b32_e32 v5, 0xffff, v3
	s_delay_alu instid0(VALU_DEP_1) | instskip(SKIP_1) | instid1(VALU_DEP_2)
	v_dual_lshlrev_b32 v3, 24, v3 :: v_dual_bitop2_b32 v8, 3, v5 bitop3:0x40
	v_bfe_u32 v11, v5, 2, 5
	v_and_b32_e32 v3, 0x80000000, v3
	s_delay_alu instid0(VALU_DEP_3) | instskip(NEXT) | instid1(VALU_DEP_3)
	v_clz_i32_u32_e32 v9, v8
	v_cmp_eq_u32_e32 vcc_lo, 0, v11
	s_delay_alu instid0(VALU_DEP_2) | instskip(NEXT) | instid1(VALU_DEP_1)
	v_min_u32_e32 v9, 32, v9
	v_subrev_nc_u32_e32 v10, 29, v9
	v_sub_nc_u32_e32 v9, 30, v9
	s_delay_alu instid0(VALU_DEP_2) | instskip(NEXT) | instid1(VALU_DEP_2)
	v_lshlrev_b32_e32 v5, v10, v5
	v_cndmask_b32_e32 v9, v11, v9, vcc_lo
	s_delay_alu instid0(VALU_DEP_2) | instskip(NEXT) | instid1(VALU_DEP_1)
	v_and_b32_e32 v5, 3, v5
	v_cndmask_b32_e32 v5, v8, v5, vcc_lo
	s_delay_alu instid0(VALU_DEP_3) | instskip(NEXT) | instid1(VALU_DEP_2)
	v_lshl_add_u32 v8, v9, 23, 0x37800000
	v_lshlrev_b32_e32 v5, 21, v5
	s_delay_alu instid0(VALU_DEP_1) | instskip(NEXT) | instid1(VALU_DEP_1)
	v_or3_b32 v3, v3, v8, v5
	v_cvt_f64_f32_e32 v[8:9], v3
.LBB43_1002:
	s_or_b32 exec_lo, exec_lo, s53
	s_mov_b32 s52, 0
	s_branch .LBB43_1008
.LBB43_1003:
	s_mov_b32 s53, -1
                                        ; implicit-def: $vgpr8_vgpr9
	s_branch .LBB43_1014
.LBB43_1004:
	s_or_saveexec_b32 s53, s53
	v_mov_b64_e32 v[8:9], 0x7ff8000020000000
	s_xor_b32 exec_lo, exec_lo, s53
	s_cbranch_execz .LBB43_987
.LBB43_1005:
	v_cmp_ne_u16_e32 vcc_lo, 0, v3
	v_mov_b64_e32 v[8:9], 0
	s_and_not1_b32 s52, s52, exec_lo
	s_and_b32 s54, vcc_lo, exec_lo
	s_delay_alu instid0(SALU_CYCLE_1)
	s_or_b32 s52, s52, s54
	s_or_b32 exec_lo, exec_lo, s53
	s_and_saveexec_b32 s53, s52
	s_cbranch_execnz .LBB43_988
	s_branch .LBB43_989
.LBB43_1006:
	s_mov_b32 s52, -1
                                        ; implicit-def: $vgpr8_vgpr9
	s_branch .LBB43_1011
.LBB43_1007:
	s_mov_b32 s52, -1
                                        ; implicit-def: $vgpr8_vgpr9
.LBB43_1008:
	s_delay_alu instid0(SALU_CYCLE_1)
	s_and_b32 vcc_lo, exec_lo, s52
	s_cbranch_vccz .LBB43_1010
; %bb.1009:
	global_load_u8 v3, v[6:7], off
	s_wait_loadcnt 0x0
	v_lshlrev_b32_e32 v3, 24, v3
	s_delay_alu instid0(VALU_DEP_1) | instskip(SKIP_1) | instid1(VALU_DEP_1)
	v_and_b32_e32 v5, 0x7f000000, v3
	s_wait_xcnt 0x1
	v_clz_i32_u32_e32 v8, v5
	v_cmp_ne_u32_e32 vcc_lo, 0, v5
	v_add_nc_u32_e32 v10, 0x1000000, v5
	s_delay_alu instid0(VALU_DEP_3) | instskip(NEXT) | instid1(VALU_DEP_1)
	v_min_u32_e32 v8, 32, v8
	v_sub_nc_u32_e64 v8, v8, 4 clamp
	s_delay_alu instid0(VALU_DEP_1) | instskip(NEXT) | instid1(VALU_DEP_1)
	v_dual_lshlrev_b32 v9, v8, v5 :: v_dual_lshlrev_b32 v8, 23, v8
	v_lshrrev_b32_e32 v9, 4, v9
	s_delay_alu instid0(VALU_DEP_1) | instskip(NEXT) | instid1(VALU_DEP_1)
	v_dual_sub_nc_u32 v8, v9, v8 :: v_dual_ashrrev_i32 v9, 8, v10
	v_add_nc_u32_e32 v8, 0x3c000000, v8
	s_delay_alu instid0(VALU_DEP_1) | instskip(NEXT) | instid1(VALU_DEP_1)
	v_and_or_b32 v8, 0x7f800000, v9, v8
	v_cndmask_b32_e32 v5, 0, v8, vcc_lo
	s_delay_alu instid0(VALU_DEP_1) | instskip(NEXT) | instid1(VALU_DEP_1)
	v_and_or_b32 v3, 0x80000000, v3, v5
	v_cvt_f64_f32_e32 v[8:9], v3
.LBB43_1010:
	s_mov_b32 s52, 0
.LBB43_1011:
	s_delay_alu instid0(SALU_CYCLE_1)
	s_and_not1_b32 vcc_lo, exec_lo, s52
	s_cbranch_vccnz .LBB43_1013
; %bb.1012:
	global_load_u8 v3, v[6:7], off
	s_wait_loadcnt 0x0
	v_lshlrev_b32_e32 v5, 25, v3
	v_lshlrev_b16 v3, 8, v3
	s_wait_xcnt 0x1
	s_delay_alu instid0(VALU_DEP_1) | instskip(SKIP_1) | instid1(VALU_DEP_2)
	v_and_or_b32 v9, 0x7f00, v3, 0.5
	v_bfe_i32 v3, v3, 0, 16
	v_add_f32_e32 v9, -0.5, v9
	v_lshrrev_b32_e32 v8, 4, v5
	v_cmp_gt_u32_e32 vcc_lo, 0x8000000, v5
	s_delay_alu instid0(VALU_DEP_2) | instskip(NEXT) | instid1(VALU_DEP_1)
	v_or_b32_e32 v8, 0x70000000, v8
	v_mul_f32_e32 v8, 0x7800000, v8
	s_delay_alu instid0(VALU_DEP_1) | instskip(NEXT) | instid1(VALU_DEP_1)
	v_cndmask_b32_e32 v5, v8, v9, vcc_lo
	v_and_or_b32 v3, 0x80000000, v3, v5
	s_delay_alu instid0(VALU_DEP_1)
	v_cvt_f64_f32_e32 v[8:9], v3
.LBB43_1013:
	s_mov_b32 s53, 0
	s_mov_b32 s52, -1
.LBB43_1014:
	s_and_not1_b32 vcc_lo, exec_lo, s53
	s_cbranch_vccnz .LBB43_1027
; %bb.1015:
	s_cmp_gt_i32 s51, 14
	s_cbranch_scc0 .LBB43_1018
; %bb.1016:
	s_cmp_eq_u32 s51, 15
	s_cbranch_scc0 .LBB43_1021
; %bb.1017:
	global_load_u16 v3, v[6:7], off
	s_mov_b32 s52, -1
	s_mov_b32 s31, 0
	s_wait_loadcnt 0x0
	v_lshlrev_b32_e32 v3, 16, v3
	s_wait_xcnt 0x1
	s_delay_alu instid0(VALU_DEP_1)
	v_cvt_f64_f32_e32 v[8:9], v3
	s_branch .LBB43_1022
.LBB43_1018:
	s_mov_b32 s53, -1
                                        ; implicit-def: $vgpr8_vgpr9
	s_branch .LBB43_1023
.LBB43_1019:
	s_or_saveexec_b32 s53, s53
	v_mov_b64_e32 v[8:9], 0x7ff8000020000000
	s_xor_b32 exec_lo, exec_lo, s53
	s_cbranch_execz .LBB43_1000
.LBB43_1020:
	v_cmp_ne_u16_e32 vcc_lo, 0, v3
	v_mov_b64_e32 v[8:9], 0
	s_and_not1_b32 s52, s52, exec_lo
	s_and_b32 s54, vcc_lo, exec_lo
	s_delay_alu instid0(SALU_CYCLE_1)
	s_or_b32 s52, s52, s54
	s_or_b32 exec_lo, exec_lo, s53
	s_and_saveexec_b32 s53, s52
	s_cbranch_execnz .LBB43_1001
	s_branch .LBB43_1002
.LBB43_1021:
	s_mov_b32 s31, -1
                                        ; implicit-def: $vgpr8_vgpr9
.LBB43_1022:
	s_mov_b32 s53, 0
.LBB43_1023:
	s_delay_alu instid0(SALU_CYCLE_1)
	s_and_b32 vcc_lo, exec_lo, s53
	s_cbranch_vccz .LBB43_1027
; %bb.1024:
	s_cmp_eq_u32 s51, 11
	s_cbranch_scc0 .LBB43_1026
; %bb.1025:
	global_load_u8 v3, v[6:7], off
	s_wait_xcnt 0x1
	v_mov_b32_e32 v8, 0
	s_mov_b32 s31, 0
	s_mov_b32 s52, -1
	s_wait_loadcnt 0x0
	v_cmp_ne_u16_e32 vcc_lo, 0, v3
	v_cndmask_b32_e64 v9, 0, 0x3ff00000, vcc_lo
	s_branch .LBB43_1027
.LBB43_1026:
	s_mov_b32 s31, -1
                                        ; implicit-def: $vgpr8_vgpr9
.LBB43_1027:
	s_mov_b32 s51, 0
.LBB43_1028:
	s_delay_alu instid0(SALU_CYCLE_1)
	s_and_b32 vcc_lo, exec_lo, s51
	s_cbranch_vccz .LBB43_1077
; %bb.1029:
	s_and_b32 s0, 0xffff, s0
	s_delay_alu instid0(SALU_CYCLE_1)
	s_cmp_lt_i32 s0, 5
	s_cbranch_scc1 .LBB43_1034
; %bb.1030:
	s_cmp_lt_i32 s0, 8
	s_cbranch_scc1 .LBB43_1035
; %bb.1031:
	;; [unrolled: 3-line block ×3, first 2 shown]
	s_cmp_gt_i32 s0, 9
	s_cbranch_scc0 .LBB43_1037
; %bb.1033:
	global_load_b64 v[8:9], v[6:7], off
	s_mov_b32 s51, 0
	s_branch .LBB43_1038
.LBB43_1034:
	s_mov_b32 s51, -1
                                        ; implicit-def: $vgpr8_vgpr9
	s_branch .LBB43_1056
.LBB43_1035:
	s_mov_b32 s51, -1
                                        ; implicit-def: $vgpr8_vgpr9
	s_branch .LBB43_1044
.LBB43_1036:
	s_mov_b32 s51, -1
                                        ; implicit-def: $vgpr8_vgpr9
	s_branch .LBB43_1041
.LBB43_1037:
	s_mov_b32 s51, -1
                                        ; implicit-def: $vgpr8_vgpr9
.LBB43_1038:
	s_delay_alu instid0(SALU_CYCLE_1)
	s_and_not1_b32 vcc_lo, exec_lo, s51
	s_cbranch_vccnz .LBB43_1040
; %bb.1039:
	global_load_b32 v3, v[6:7], off
	s_wait_loadcnt 0x0
	s_wait_xcnt 0x1
	v_cvt_f64_f32_e32 v[8:9], v3
.LBB43_1040:
	s_mov_b32 s51, 0
.LBB43_1041:
	s_delay_alu instid0(SALU_CYCLE_1)
	s_and_not1_b32 vcc_lo, exec_lo, s51
	s_cbranch_vccnz .LBB43_1043
; %bb.1042:
	global_load_b32 v3, v[6:7], off
	s_wait_loadcnt 0x0
	v_cvt_f32_f16_e32 v3, v3
	s_wait_xcnt 0x1
	s_delay_alu instid0(VALU_DEP_1)
	v_cvt_f64_f32_e32 v[8:9], v3
.LBB43_1043:
	s_mov_b32 s51, 0
.LBB43_1044:
	s_delay_alu instid0(SALU_CYCLE_1)
	s_and_not1_b32 vcc_lo, exec_lo, s51
	s_cbranch_vccnz .LBB43_1055
; %bb.1045:
	s_cmp_lt_i32 s0, 6
	s_cbranch_scc1 .LBB43_1048
; %bb.1046:
	s_cmp_gt_i32 s0, 6
	s_cbranch_scc0 .LBB43_1049
; %bb.1047:
	s_wait_loadcnt 0x0
	global_load_b64 v[8:9], v[6:7], off
	s_mov_b32 s51, 0
	s_branch .LBB43_1050
.LBB43_1048:
	s_mov_b32 s51, -1
                                        ; implicit-def: $vgpr8_vgpr9
	s_branch .LBB43_1053
.LBB43_1049:
	s_mov_b32 s51, -1
                                        ; implicit-def: $vgpr8_vgpr9
.LBB43_1050:
	s_delay_alu instid0(SALU_CYCLE_1)
	s_and_not1_b32 vcc_lo, exec_lo, s51
	s_cbranch_vccnz .LBB43_1052
; %bb.1051:
	global_load_b32 v3, v[6:7], off
	s_wait_loadcnt 0x0
	s_wait_xcnt 0x1
	v_cvt_f64_f32_e32 v[8:9], v3
.LBB43_1052:
	s_mov_b32 s51, 0
.LBB43_1053:
	s_delay_alu instid0(SALU_CYCLE_1)
	s_and_not1_b32 vcc_lo, exec_lo, s51
	s_cbranch_vccnz .LBB43_1055
; %bb.1054:
	global_load_u16 v3, v[6:7], off
	s_wait_loadcnt 0x0
	v_cvt_f32_f16_e32 v3, v3
	s_wait_xcnt 0x1
	s_delay_alu instid0(VALU_DEP_1)
	v_cvt_f64_f32_e32 v[8:9], v3
.LBB43_1055:
	s_mov_b32 s51, 0
.LBB43_1056:
	s_delay_alu instid0(SALU_CYCLE_1)
	s_and_not1_b32 vcc_lo, exec_lo, s51
	s_cbranch_vccnz .LBB43_1076
; %bb.1057:
	s_cmp_lt_i32 s0, 2
	s_cbranch_scc1 .LBB43_1061
; %bb.1058:
	s_cmp_lt_i32 s0, 3
	s_cbranch_scc1 .LBB43_1062
; %bb.1059:
	s_cmp_gt_i32 s0, 3
	s_cbranch_scc0 .LBB43_1063
; %bb.1060:
	s_wait_loadcnt 0x0
	global_load_b64 v[8:9], v[6:7], off
	s_mov_b32 s51, 0
	s_wait_loadcnt 0x0
	v_cvt_f64_i32_e32 v[10:11], v9
	v_cvt_f64_u32_e32 v[8:9], v8
	s_delay_alu instid0(VALU_DEP_2) | instskip(NEXT) | instid1(VALU_DEP_1)
	v_ldexp_f64 v[10:11], v[10:11], 32
	v_add_f64_e32 v[8:9], v[10:11], v[8:9]
	s_branch .LBB43_1064
.LBB43_1061:
	s_mov_b32 s51, -1
                                        ; implicit-def: $vgpr8_vgpr9
	s_branch .LBB43_1070
.LBB43_1062:
	s_mov_b32 s51, -1
                                        ; implicit-def: $vgpr8_vgpr9
	s_branch .LBB43_1067
.LBB43_1063:
	s_mov_b32 s51, -1
                                        ; implicit-def: $vgpr8_vgpr9
.LBB43_1064:
	s_delay_alu instid0(SALU_CYCLE_1)
	s_and_not1_b32 vcc_lo, exec_lo, s51
	s_cbranch_vccnz .LBB43_1066
; %bb.1065:
	global_load_b32 v3, v[6:7], off
	s_wait_loadcnt 0x0
	s_wait_xcnt 0x1
	v_cvt_f64_i32_e32 v[8:9], v3
.LBB43_1066:
	s_mov_b32 s51, 0
.LBB43_1067:
	s_delay_alu instid0(SALU_CYCLE_1)
	s_and_not1_b32 vcc_lo, exec_lo, s51
	s_cbranch_vccnz .LBB43_1069
; %bb.1068:
	global_load_i16 v3, v[6:7], off
	s_wait_loadcnt 0x0
	s_wait_xcnt 0x1
	v_cvt_f64_i32_e32 v[8:9], v3
.LBB43_1069:
	s_mov_b32 s51, 0
.LBB43_1070:
	s_delay_alu instid0(SALU_CYCLE_1)
	s_and_not1_b32 vcc_lo, exec_lo, s51
	s_cbranch_vccnz .LBB43_1076
; %bb.1071:
	s_cmp_gt_i32 s0, 0
	s_mov_b32 s0, 0
	s_cbranch_scc0 .LBB43_1073
; %bb.1072:
	global_load_i8 v3, v[6:7], off
	s_wait_loadcnt 0x0
	s_wait_xcnt 0x1
	v_cvt_f64_i32_e32 v[8:9], v3
	s_branch .LBB43_1074
.LBB43_1073:
	s_mov_b32 s0, -1
                                        ; implicit-def: $vgpr8_vgpr9
.LBB43_1074:
	s_delay_alu instid0(SALU_CYCLE_1)
	s_and_not1_b32 vcc_lo, exec_lo, s0
	s_cbranch_vccnz .LBB43_1076
; %bb.1075:
	global_load_u8 v3, v[6:7], off
	s_wait_loadcnt 0x0
	s_wait_xcnt 0x1
	v_cvt_f64_u32_e32 v[8:9], v3
.LBB43_1076:
	s_mov_b32 s52, -1
.LBB43_1077:
	s_delay_alu instid0(SALU_CYCLE_1)
	s_and_not1_b32 vcc_lo, exec_lo, s52
	s_cbranch_vccnz .LBB43_1087
; %bb.1078:
	s_wait_loadcnt 0x0
	s_delay_alu instid0(VALU_DEP_1) | instskip(SKIP_1) | instid1(VALU_DEP_1)
	v_mul_f64_e32 v[6:7], s[10:11], v[8:9]
	s_mov_b32 s51, exec_lo
	v_cmpx_nlt_f64_e32 s[20:21], v[6:7]
	s_cbranch_execz .LBB43_1080
; %bb.1079:
	v_mul_f64_e32 v[8:9], 0x3ff71547652b82fe, v[6:7]
	s_mov_b64 s[52:53], 0x3e5ade156a5dcb37
	v_cmp_nlt_f64_e32 vcc_lo, 0x40900000, v[6:7]
	v_cmp_ngt_f64_e64 s0, 0xc090cc00, v[6:7]
	s_delay_alu instid0(VALU_DEP_3) | instskip(NEXT) | instid1(VALU_DEP_1)
	v_rndne_f64_e32 v[8:9], v[8:9]
	v_fmamk_f64 v[10:11], v[8:9], 0xbfe62e42fefa39ef, v[6:7]
	v_cvt_i32_f64_e32 v3, v[8:9]
	s_delay_alu instid0(VALU_DEP_2) | instskip(NEXT) | instid1(VALU_DEP_1)
	v_fmamk_f64 v[10:11], v[8:9], 0xbc7abc9e3b39803f, v[10:11]
	v_fmaak_f64 v[12:13], s[52:53], v[10:11], 0x3e928af3fca7ab0c
	s_delay_alu instid0(VALU_DEP_1) | instskip(NEXT) | instid1(VALU_DEP_1)
	v_fmaak_f64 v[12:13], v[10:11], v[12:13], 0x3ec71dee623fde64
	v_fmaak_f64 v[12:13], v[10:11], v[12:13], 0x3efa01997c89e6b0
	s_delay_alu instid0(VALU_DEP_1) | instskip(NEXT) | instid1(VALU_DEP_1)
	v_fmaak_f64 v[12:13], v[10:11], v[12:13], 0x3f2a01a014761f6e
	;; [unrolled: 3-line block ×4, first 2 shown]
	v_fmaak_f64 v[12:13], v[10:11], v[12:13], 0x3fe000000000000b
	s_delay_alu instid0(VALU_DEP_1) | instskip(NEXT) | instid1(VALU_DEP_1)
	v_fma_f64 v[12:13], v[10:11], v[12:13], 1.0
	v_fma_f64 v[8:9], v[10:11], v[12:13], 1.0
	s_delay_alu instid0(VALU_DEP_1) | instskip(NEXT) | instid1(VALU_DEP_1)
	v_ldexp_f64 v[8:9], v[8:9], v3
	v_cndmask_b32_e32 v3, 0x7ff00000, v9, vcc_lo
	s_and_b32 vcc_lo, s0, vcc_lo
	s_delay_alu instid0(VALU_DEP_1) | instid1(SALU_CYCLE_1)
	v_dual_cndmask_b32 v6, 0, v8, vcc_lo :: v_dual_cndmask_b32 v7, 0, v3, s0
	s_delay_alu instid0(VALU_DEP_1) | instskip(SKIP_1) | instid1(VALU_DEP_1)
	v_mul_f64_e32 v[0:1], v[0:1], v[6:7]
	v_add_f64_e32 v[6:7], 1.0, v[6:7]
	v_div_scale_f64 v[8:9], null, v[6:7], v[6:7], v[0:1]
	s_delay_alu instid0(VALU_DEP_1) | instskip(SKIP_1) | instid1(TRANS32_DEP_1)
	v_rcp_f64_e32 v[10:11], v[8:9]
	v_nop
	v_fma_f64 v[12:13], -v[8:9], v[10:11], 1.0
	s_delay_alu instid0(VALU_DEP_1) | instskip(NEXT) | instid1(VALU_DEP_1)
	v_fmac_f64_e32 v[10:11], v[10:11], v[12:13]
	v_fma_f64 v[12:13], -v[8:9], v[10:11], 1.0
	s_delay_alu instid0(VALU_DEP_1) | instskip(SKIP_1) | instid1(VALU_DEP_1)
	v_fmac_f64_e32 v[10:11], v[10:11], v[12:13]
	v_div_scale_f64 v[12:13], vcc_lo, v[0:1], v[6:7], v[0:1]
	v_mul_f64_e32 v[14:15], v[12:13], v[10:11]
	s_delay_alu instid0(VALU_DEP_1) | instskip(NEXT) | instid1(VALU_DEP_1)
	v_fma_f64 v[8:9], -v[8:9], v[14:15], v[12:13]
	v_div_fmas_f64 v[8:9], v[8:9], v[10:11], v[14:15]
	s_delay_alu instid0(VALU_DEP_1)
	v_div_fixup_f64 v[0:1], v[8:9], v[6:7], v[0:1]
.LBB43_1080:
	s_or_b32 exec_lo, exec_lo, s51
	v_mov_b32_e32 v3, 0
	s_and_b32 s51, s22, 0xff
	s_delay_alu instid0(SALU_CYCLE_1) | instskip(NEXT) | instid1(VALU_DEP_1)
	s_cmp_lt_i32 s51, 11
	v_add_nc_u64_e32 v[6:7], s[4:5], v[2:3]
	s_cbranch_scc1 .LBB43_1088
; %bb.1081:
	s_and_b32 s52, 0xffff, s51
	s_delay_alu instid0(SALU_CYCLE_1)
	s_cmp_gt_i32 s52, 25
	s_cbranch_scc0 .LBB43_1089
; %bb.1082:
	s_cmp_gt_i32 s52, 28
	s_cbranch_scc0 .LBB43_1090
; %bb.1083:
	;; [unrolled: 3-line block ×4, first 2 shown]
	s_mov_b32 s54, 0
	s_mov_b32 s0, -1
	s_cmp_eq_u32 s52, 46
	s_mov_b32 s53, 0
	s_cbranch_scc0 .LBB43_1093
; %bb.1086:
	s_delay_alu instid0(VALU_DEP_3) | instskip(SKIP_2) | instid1(VALU_DEP_1)
	v_cvt_f32_f64_e32 v2, v[0:1]
	s_mov_b32 s53, -1
	s_mov_b32 s0, 0
	v_bfe_u32 v3, v2, 16, 1
	v_cmp_o_f32_e32 vcc_lo, v2, v2
	s_delay_alu instid0(VALU_DEP_2) | instskip(NEXT) | instid1(VALU_DEP_1)
	v_add3_u32 v3, v2, v3, 0x7fff
	v_lshrrev_b32_e32 v3, 16, v3
	s_delay_alu instid0(VALU_DEP_1)
	v_cndmask_b32_e32 v2, 0x7fc0, v3, vcc_lo
	global_store_b32 v[6:7], v2, off
	s_branch .LBB43_1093
.LBB43_1087:
	s_mov_b32 s54, 0
	s_mov_b32 s0, s47
	s_branch .LBB43_1204
.LBB43_1088:
	s_mov_b32 s52, -1
	s_mov_b32 s53, 0
	s_mov_b32 s0, s47
	s_branch .LBB43_1162
.LBB43_1089:
	s_mov_b32 s54, -1
	s_mov_b32 s53, 0
	s_mov_b32 s0, s47
	s_branch .LBB43_1120
.LBB43_1090:
	s_mov_b32 s54, -1
	s_mov_b32 s53, 0
	s_mov_b32 s0, s47
	s_branch .LBB43_1103
.LBB43_1091:
	s_mov_b32 s54, -1
	s_mov_b32 s53, 0
	s_mov_b32 s0, s47
	s_branch .LBB43_1099
.LBB43_1092:
	s_mov_b32 s54, -1
	s_mov_b32 s53, 0
	s_mov_b32 s0, s47
.LBB43_1093:
	s_and_b32 vcc_lo, exec_lo, s54
	s_cbranch_vccz .LBB43_1098
; %bb.1094:
	s_cmp_eq_u32 s52, 44
	s_mov_b32 s0, -1
	s_cbranch_scc0 .LBB43_1098
; %bb.1095:
	s_wait_xcnt 0x0
	s_delay_alu instid0(VALU_DEP_3) | instskip(SKIP_2) | instid1(VALU_DEP_2)
	v_cvt_f32_f64_e32 v2, v[0:1]
	v_mov_b32_e32 v3, 0xff
	s_mov_b32 s53, exec_lo
	v_bfe_u32 v5, v2, 23, 8
	s_delay_alu instid0(VALU_DEP_1)
	v_cmpx_ne_u32_e32 0xff, v5
	s_cbranch_execz .LBB43_1097
; %bb.1096:
	v_and_b32_e32 v3, 0x400000, v2
	v_and_or_b32 v5, 0x3fffff, v2, v5
	v_lshrrev_b32_e32 v2, 23, v2
	s_delay_alu instid0(VALU_DEP_3) | instskip(NEXT) | instid1(VALU_DEP_3)
	v_cmp_ne_u32_e32 vcc_lo, 0, v3
	v_cmp_ne_u32_e64 s0, 0, v5
	s_and_b32 s0, vcc_lo, s0
	s_delay_alu instid0(SALU_CYCLE_1) | instskip(NEXT) | instid1(VALU_DEP_1)
	v_cndmask_b32_e64 v3, 0, 1, s0
	v_add_nc_u32_e32 v3, v2, v3
.LBB43_1097:
	s_or_b32 exec_lo, exec_lo, s53
	s_mov_b32 s53, -1
	s_mov_b32 s0, 0
	global_store_b8 v[6:7], v3, off
.LBB43_1098:
	s_mov_b32 s54, 0
.LBB43_1099:
	s_delay_alu instid0(SALU_CYCLE_1)
	s_and_b32 vcc_lo, exec_lo, s54
	s_cbranch_vccz .LBB43_1102
; %bb.1100:
	s_cmp_eq_u32 s52, 29
	s_mov_b32 s0, -1
	s_cbranch_scc0 .LBB43_1102
; %bb.1101:
	s_wait_xcnt 0x0
	s_delay_alu instid0(VALU_DEP_3) | instskip(SKIP_3) | instid1(VALU_DEP_1)
	v_trunc_f64_e32 v[2:3], v[0:1]
	s_mov_b32 s53, -1
	s_mov_b32 s0, 0
	s_mov_b32 s54, 0
	v_ldexp_f64 v[8:9], v[2:3], 0xffffffe0
	s_delay_alu instid0(VALU_DEP_1) | instskip(NEXT) | instid1(VALU_DEP_1)
	v_floor_f64_e32 v[8:9], v[8:9]
	v_fmamk_f64 v[2:3], v[8:9], 0xc1f00000, v[2:3]
	v_cvt_u32_f64_e32 v9, v[8:9]
	s_delay_alu instid0(VALU_DEP_2)
	v_cvt_u32_f64_e32 v8, v[2:3]
	global_store_b64 v[6:7], v[8:9], off
	s_branch .LBB43_1103
.LBB43_1102:
	s_mov_b32 s54, 0
.LBB43_1103:
	s_delay_alu instid0(SALU_CYCLE_1)
	s_and_b32 vcc_lo, exec_lo, s54
	s_cbranch_vccz .LBB43_1119
; %bb.1104:
	s_cmp_lt_i32 s52, 27
	s_mov_b32 s53, -1
	s_cbranch_scc1 .LBB43_1110
; %bb.1105:
	s_cmp_gt_i32 s52, 27
	s_cbranch_scc0 .LBB43_1107
; %bb.1106:
	s_wait_xcnt 0x0
	s_delay_alu instid0(VALU_DEP_3)
	v_cvt_u32_f64_e32 v2, v[0:1]
	s_mov_b32 s53, 0
	global_store_b32 v[6:7], v2, off
.LBB43_1107:
	s_and_not1_b32 vcc_lo, exec_lo, s53
	s_cbranch_vccnz .LBB43_1109
; %bb.1108:
	s_wait_xcnt 0x0
	s_delay_alu instid0(VALU_DEP_3)
	v_cvt_u32_f64_e32 v2, v[0:1]
	global_store_b16 v[6:7], v2, off
.LBB43_1109:
	s_mov_b32 s53, 0
.LBB43_1110:
	s_delay_alu instid0(SALU_CYCLE_1)
	s_and_not1_b32 vcc_lo, exec_lo, s53
	s_cbranch_vccnz .LBB43_1118
; %bb.1111:
	s_wait_xcnt 0x0
	s_delay_alu instid0(VALU_DEP_3) | instskip(SKIP_2) | instid1(VALU_DEP_2)
	v_cvt_f32_f64_e32 v2, v[0:1]
	v_mov_b32_e32 v5, 0x80
	s_mov_b32 s53, exec_lo
	v_and_b32_e32 v3, 0x7fffffff, v2
	s_delay_alu instid0(VALU_DEP_1)
	v_cmpx_gt_u32_e32 0x43800000, v3
	s_cbranch_execz .LBB43_1117
; %bb.1112:
	v_cmp_lt_u32_e32 vcc_lo, 0x3bffffff, v3
	s_mov_b32 s54, 0
                                        ; implicit-def: $vgpr3
	s_and_saveexec_b32 s55, vcc_lo
	s_delay_alu instid0(SALU_CYCLE_1)
	s_xor_b32 s55, exec_lo, s55
	s_cbranch_execz .LBB43_1232
; %bb.1113:
	v_bfe_u32 v3, v2, 20, 1
	s_mov_b32 s54, exec_lo
	s_delay_alu instid0(VALU_DEP_1) | instskip(NEXT) | instid1(VALU_DEP_1)
	v_add3_u32 v3, v2, v3, 0x487ffff
	v_lshrrev_b32_e32 v3, 20, v3
	s_and_not1_saveexec_b32 s55, s55
	s_cbranch_execnz .LBB43_1233
.LBB43_1114:
	s_or_b32 exec_lo, exec_lo, s55
	v_mov_b32_e32 v5, 0
	s_and_saveexec_b32 s55, s54
.LBB43_1115:
	v_lshrrev_b32_e32 v2, 24, v2
	s_delay_alu instid0(VALU_DEP_1)
	v_and_or_b32 v5, 0x80, v2, v3
.LBB43_1116:
	s_or_b32 exec_lo, exec_lo, s55
.LBB43_1117:
	s_delay_alu instid0(SALU_CYCLE_1)
	s_or_b32 exec_lo, exec_lo, s53
	global_store_b8 v[6:7], v5, off
.LBB43_1118:
	s_mov_b32 s53, -1
.LBB43_1119:
	s_mov_b32 s54, 0
.LBB43_1120:
	s_delay_alu instid0(SALU_CYCLE_1)
	s_and_b32 vcc_lo, exec_lo, s54
	s_cbranch_vccz .LBB43_1161
; %bb.1121:
	s_cmp_gt_i32 s52, 22
	s_mov_b32 s54, -1
	s_cbranch_scc0 .LBB43_1153
; %bb.1122:
	s_cmp_lt_i32 s52, 24
	s_mov_b32 s53, -1
	s_cbranch_scc1 .LBB43_1142
; %bb.1123:
	s_cmp_gt_i32 s52, 24
	s_cbranch_scc0 .LBB43_1131
; %bb.1124:
	s_wait_xcnt 0x0
	s_delay_alu instid0(VALU_DEP_3) | instskip(SKIP_2) | instid1(VALU_DEP_2)
	v_cvt_f32_f64_e32 v2, v[0:1]
	v_mov_b32_e32 v5, 0x80
	s_mov_b32 s53, exec_lo
	v_and_b32_e32 v3, 0x7fffffff, v2
	s_delay_alu instid0(VALU_DEP_1)
	v_cmpx_gt_u32_e32 0x47800000, v3
	s_cbranch_execz .LBB43_1130
; %bb.1125:
	v_cmp_lt_u32_e32 vcc_lo, 0x37ffffff, v3
	s_mov_b32 s54, 0
                                        ; implicit-def: $vgpr3
	s_and_saveexec_b32 s55, vcc_lo
	s_delay_alu instid0(SALU_CYCLE_1)
	s_xor_b32 s55, exec_lo, s55
	s_cbranch_execz .LBB43_2310
; %bb.1126:
	v_bfe_u32 v3, v2, 21, 1
	s_mov_b32 s54, exec_lo
	s_delay_alu instid0(VALU_DEP_1) | instskip(NEXT) | instid1(VALU_DEP_1)
	v_add3_u32 v3, v2, v3, 0x88fffff
	v_lshrrev_b32_e32 v3, 21, v3
	s_and_not1_saveexec_b32 s55, s55
	s_cbranch_execnz .LBB43_2311
.LBB43_1127:
	s_or_b32 exec_lo, exec_lo, s55
	v_mov_b32_e32 v5, 0
	s_and_saveexec_b32 s55, s54
.LBB43_1128:
	v_lshrrev_b32_e32 v2, 24, v2
	s_delay_alu instid0(VALU_DEP_1)
	v_and_or_b32 v5, 0x80, v2, v3
.LBB43_1129:
	s_or_b32 exec_lo, exec_lo, s55
.LBB43_1130:
	s_delay_alu instid0(SALU_CYCLE_1)
	s_or_b32 exec_lo, exec_lo, s53
	s_mov_b32 s53, 0
	global_store_b8 v[6:7], v5, off
.LBB43_1131:
	s_and_b32 vcc_lo, exec_lo, s53
	s_cbranch_vccz .LBB43_1141
; %bb.1132:
	s_wait_xcnt 0x0
	s_delay_alu instid0(VALU_DEP_3) | instskip(SKIP_1) | instid1(VALU_DEP_1)
	v_cvt_f32_f64_e32 v2, v[0:1]
	s_mov_b32 s53, exec_lo
                                        ; implicit-def: $vgpr3
	v_and_b32_e32 v5, 0x7fffffff, v2
	s_delay_alu instid0(VALU_DEP_1)
	v_cmpx_gt_u32_e32 0x43f00000, v5
	s_xor_b32 s53, exec_lo, s53
	s_cbranch_execz .LBB43_1138
; %bb.1133:
	s_mov_b32 s54, exec_lo
                                        ; implicit-def: $vgpr3
	v_cmpx_lt_u32_e32 0x3c7fffff, v5
	s_xor_b32 s54, exec_lo, s54
; %bb.1134:
	v_bfe_u32 v3, v2, 20, 1
	s_delay_alu instid0(VALU_DEP_1) | instskip(NEXT) | instid1(VALU_DEP_1)
	v_add3_u32 v3, v2, v3, 0x407ffff
	v_and_b32_e32 v5, 0xff00000, v3
	v_lshrrev_b32_e32 v3, 20, v3
	s_delay_alu instid0(VALU_DEP_2) | instskip(NEXT) | instid1(VALU_DEP_2)
	v_cmp_ne_u32_e32 vcc_lo, 0x7f00000, v5
	v_cndmask_b32_e32 v3, 0x7e, v3, vcc_lo
; %bb.1135:
	s_and_not1_saveexec_b32 s54, s54
; %bb.1136:
	v_add_f32_e64 v3, 0x46800000, |v2|
; %bb.1137:
	s_or_b32 exec_lo, exec_lo, s54
                                        ; implicit-def: $vgpr5
.LBB43_1138:
	s_and_not1_saveexec_b32 s53, s53
; %bb.1139:
	v_mov_b32_e32 v3, 0x7f
	v_cmp_lt_u32_e32 vcc_lo, 0x7f800000, v5
	s_delay_alu instid0(VALU_DEP_2)
	v_cndmask_b32_e32 v3, 0x7e, v3, vcc_lo
; %bb.1140:
	s_or_b32 exec_lo, exec_lo, s53
	v_lshrrev_b32_e32 v2, 24, v2
	s_delay_alu instid0(VALU_DEP_1)
	v_and_or_b32 v2, 0x80, v2, v3
	global_store_b8 v[6:7], v2, off
.LBB43_1141:
	s_mov_b32 s53, 0
.LBB43_1142:
	s_delay_alu instid0(SALU_CYCLE_1)
	s_and_not1_b32 vcc_lo, exec_lo, s53
	s_cbranch_vccnz .LBB43_1152
; %bb.1143:
	s_wait_xcnt 0x0
	s_delay_alu instid0(VALU_DEP_3) | instskip(SKIP_1) | instid1(VALU_DEP_1)
	v_cvt_f32_f64_e32 v2, v[0:1]
	s_mov_b32 s53, exec_lo
                                        ; implicit-def: $vgpr3
	v_and_b32_e32 v5, 0x7fffffff, v2
	s_delay_alu instid0(VALU_DEP_1)
	v_cmpx_gt_u32_e32 0x47800000, v5
	s_xor_b32 s53, exec_lo, s53
	s_cbranch_execz .LBB43_1149
; %bb.1144:
	s_mov_b32 s54, exec_lo
                                        ; implicit-def: $vgpr3
	v_cmpx_lt_u32_e32 0x387fffff, v5
	s_xor_b32 s54, exec_lo, s54
; %bb.1145:
	v_bfe_u32 v3, v2, 21, 1
	s_delay_alu instid0(VALU_DEP_1) | instskip(NEXT) | instid1(VALU_DEP_1)
	v_add3_u32 v3, v2, v3, 0x80fffff
	v_lshrrev_b32_e32 v3, 21, v3
; %bb.1146:
	s_and_not1_saveexec_b32 s54, s54
; %bb.1147:
	v_add_f32_e64 v3, 0x43000000, |v2|
; %bb.1148:
	s_or_b32 exec_lo, exec_lo, s54
                                        ; implicit-def: $vgpr5
.LBB43_1149:
	s_and_not1_saveexec_b32 s53, s53
; %bb.1150:
	v_mov_b32_e32 v3, 0x7f
	v_cmp_lt_u32_e32 vcc_lo, 0x7f800000, v5
	s_delay_alu instid0(VALU_DEP_2)
	v_cndmask_b32_e32 v3, 0x7c, v3, vcc_lo
; %bb.1151:
	s_or_b32 exec_lo, exec_lo, s53
	v_lshrrev_b32_e32 v2, 24, v2
	s_delay_alu instid0(VALU_DEP_1)
	v_and_or_b32 v2, 0x80, v2, v3
	global_store_b8 v[6:7], v2, off
.LBB43_1152:
	s_mov_b32 s54, 0
	s_mov_b32 s53, -1
.LBB43_1153:
	s_and_not1_b32 vcc_lo, exec_lo, s54
	s_cbranch_vccnz .LBB43_1161
; %bb.1154:
	s_cmp_gt_i32 s52, 14
	s_mov_b32 s54, -1
	s_cbranch_scc0 .LBB43_1158
; %bb.1155:
	s_cmp_eq_u32 s52, 15
	s_mov_b32 s0, -1
	s_cbranch_scc0 .LBB43_1157
; %bb.1156:
	s_wait_xcnt 0x0
	s_delay_alu instid0(VALU_DEP_3) | instskip(SKIP_2) | instid1(VALU_DEP_1)
	v_cvt_f32_f64_e32 v2, v[0:1]
	s_mov_b32 s53, -1
	s_mov_b32 s0, 0
	v_bfe_u32 v3, v2, 16, 1
	v_cmp_o_f32_e32 vcc_lo, v2, v2
	s_delay_alu instid0(VALU_DEP_2) | instskip(NEXT) | instid1(VALU_DEP_1)
	v_add3_u32 v3, v2, v3, 0x7fff
	v_lshrrev_b32_e32 v3, 16, v3
	s_delay_alu instid0(VALU_DEP_1)
	v_cndmask_b32_e32 v2, 0x7fc0, v3, vcc_lo
	global_store_b16 v[6:7], v2, off
.LBB43_1157:
	s_mov_b32 s54, 0
.LBB43_1158:
	s_delay_alu instid0(SALU_CYCLE_1)
	s_and_b32 vcc_lo, exec_lo, s54
	s_cbranch_vccz .LBB43_1161
; %bb.1159:
	s_cmp_eq_u32 s52, 11
	s_mov_b32 s0, -1
	s_cbranch_scc0 .LBB43_1161
; %bb.1160:
	s_delay_alu instid0(VALU_DEP_3)
	v_cmp_neq_f64_e32 vcc_lo, 0, v[0:1]
	s_mov_b32 s53, -1
	s_mov_b32 s0, 0
	s_wait_xcnt 0x0
	v_cndmask_b32_e64 v2, 0, 1, vcc_lo
	global_store_b8 v[6:7], v2, off
.LBB43_1161:
	s_mov_b32 s52, 0
.LBB43_1162:
	s_delay_alu instid0(SALU_CYCLE_1)
	s_and_b32 vcc_lo, exec_lo, s52
	s_cbranch_vccz .LBB43_1201
; %bb.1163:
	s_and_b32 s51, 0xffff, s51
	s_mov_b32 s52, -1
	s_cmp_lt_i32 s51, 5
	s_cbranch_scc1 .LBB43_1184
; %bb.1164:
	s_cmp_lt_i32 s51, 8
	s_cbranch_scc1 .LBB43_1174
; %bb.1165:
	;; [unrolled: 3-line block ×3, first 2 shown]
	s_cmp_gt_i32 s51, 9
	s_cbranch_scc0 .LBB43_1168
; %bb.1167:
	s_wait_xcnt 0x0
	v_mov_b32_e32 v2, 0
	s_mov_b32 s52, 0
	s_delay_alu instid0(VALU_DEP_1)
	v_mov_b32_e32 v3, v2
	global_store_b128 v[6:7], v[0:3], off
.LBB43_1168:
	s_and_not1_b32 vcc_lo, exec_lo, s52
	s_cbranch_vccnz .LBB43_1170
; %bb.1169:
	s_wait_xcnt 0x0
	s_delay_alu instid0(VALU_DEP_3)
	v_cvt_f32_f64_e32 v2, v[0:1]
	v_mov_b32_e32 v3, 0
	global_store_b64 v[6:7], v[2:3], off
.LBB43_1170:
	s_mov_b32 s52, 0
.LBB43_1171:
	s_delay_alu instid0(SALU_CYCLE_1)
	s_and_not1_b32 vcc_lo, exec_lo, s52
	s_cbranch_vccnz .LBB43_1173
; %bb.1172:
	s_wait_xcnt 0x0
	s_delay_alu instid0(VALU_DEP_3) | instskip(SKIP_2) | instid1(VALU_DEP_3)
	v_and_or_b32 v2, 0x1ff, v1, v0
	v_lshrrev_b32_e32 v3, 8, v1
	v_bfe_u32 v5, v1, 20, 11
	v_cmp_ne_u32_e32 vcc_lo, 0, v2
	s_delay_alu instid0(VALU_DEP_2) | instskip(SKIP_2) | instid1(VALU_DEP_1)
	v_sub_nc_u32_e32 v8, 0x3f1, v5
	v_add_nc_u32_e32 v5, 0xfffffc10, v5
	v_cndmask_b32_e64 v2, 0, 1, vcc_lo
	v_and_or_b32 v2, 0xffe, v3, v2
	s_delay_alu instid0(VALU_DEP_4) | instskip(NEXT) | instid1(VALU_DEP_2)
	v_med3_i32 v3, v8, 0, 13
	v_or_b32_e32 v8, 0x1000, v2
	s_delay_alu instid0(VALU_DEP_1) | instskip(NEXT) | instid1(VALU_DEP_1)
	v_lshrrev_b32_e32 v9, v3, v8
	v_lshlrev_b32_e32 v3, v3, v9
	s_delay_alu instid0(VALU_DEP_1) | instskip(SKIP_3) | instid1(VALU_DEP_2)
	v_cmp_ne_u32_e32 vcc_lo, v3, v8
	v_lshl_or_b32 v8, v5, 12, v2
	v_cndmask_b32_e64 v3, 0, 1, vcc_lo
	v_cmp_gt_i32_e32 vcc_lo, 1, v5
	v_or_b32_e32 v3, v9, v3
	s_delay_alu instid0(VALU_DEP_1) | instskip(NEXT) | instid1(VALU_DEP_1)
	v_cndmask_b32_e32 v3, v8, v3, vcc_lo
	v_dual_lshrrev_b32 v3, 2, v3 :: v_dual_bitop2_b32 v8, 7, v3 bitop3:0x40
	s_delay_alu instid0(VALU_DEP_1) | instskip(SKIP_4) | instid1(VALU_DEP_2)
	v_cmp_lt_i32_e32 vcc_lo, 5, v8
	v_cndmask_b32_e64 v9, 0, 1, vcc_lo
	v_cmp_eq_u32_e32 vcc_lo, 3, v8
	v_cndmask_b32_e64 v8, 0, 1, vcc_lo
	v_cmp_ne_u32_e32 vcc_lo, 0, v2
	v_or_b32_e32 v8, v8, v9
	v_mov_b32_e32 v9, 0x7e00
	s_delay_alu instid0(VALU_DEP_1) | instskip(SKIP_1) | instid1(VALU_DEP_2)
	v_dual_cndmask_b32 v2, 0x7c00, v9 :: v_dual_add_nc_u32 v3, v3, v8
	v_cmp_gt_i32_e32 vcc_lo, 31, v5
	v_dual_cndmask_b32 v3, 0x7c00, v3 :: v_dual_lshrrev_b32 v8, 16, v1
	v_cmp_eq_u32_e32 vcc_lo, 0x40f, v5
	s_delay_alu instid0(VALU_DEP_2) | instskip(NEXT) | instid1(VALU_DEP_3)
	v_cndmask_b32_e32 v2, v3, v2, vcc_lo
	v_and_b32_e32 v3, 0x8000, v8
	s_delay_alu instid0(VALU_DEP_1)
	v_bitop3_b32 v2, v3, 0xffff, v2 bitop3:0xc8
	global_store_b32 v[6:7], v2, off
.LBB43_1173:
	s_mov_b32 s52, 0
.LBB43_1174:
	s_delay_alu instid0(SALU_CYCLE_1)
	s_and_not1_b32 vcc_lo, exec_lo, s52
	s_cbranch_vccnz .LBB43_1183
; %bb.1175:
	s_cmp_lt_i32 s51, 6
	s_mov_b32 s52, -1
	s_cbranch_scc1 .LBB43_1181
; %bb.1176:
	s_cmp_gt_i32 s51, 6
	s_cbranch_scc0 .LBB43_1178
; %bb.1177:
	s_mov_b32 s52, 0
	global_store_b64 v[6:7], v[0:1], off
.LBB43_1178:
	s_and_not1_b32 vcc_lo, exec_lo, s52
	s_cbranch_vccnz .LBB43_1180
; %bb.1179:
	s_wait_xcnt 0x0
	s_delay_alu instid0(VALU_DEP_3)
	v_cvt_f32_f64_e32 v2, v[0:1]
	global_store_b32 v[6:7], v2, off
.LBB43_1180:
	s_mov_b32 s52, 0
.LBB43_1181:
	s_delay_alu instid0(SALU_CYCLE_1)
	s_and_not1_b32 vcc_lo, exec_lo, s52
	s_cbranch_vccnz .LBB43_1183
; %bb.1182:
	s_wait_xcnt 0x0
	s_delay_alu instid0(VALU_DEP_3) | instskip(SKIP_2) | instid1(VALU_DEP_3)
	v_and_or_b32 v2, 0x1ff, v1, v0
	v_lshrrev_b32_e32 v3, 8, v1
	v_bfe_u32 v5, v1, 20, 11
	v_cmp_ne_u32_e32 vcc_lo, 0, v2
	s_delay_alu instid0(VALU_DEP_2) | instskip(SKIP_2) | instid1(VALU_DEP_1)
	v_sub_nc_u32_e32 v8, 0x3f1, v5
	v_add_nc_u32_e32 v5, 0xfffffc10, v5
	v_cndmask_b32_e64 v2, 0, 1, vcc_lo
	v_and_or_b32 v2, 0xffe, v3, v2
	s_delay_alu instid0(VALU_DEP_4) | instskip(NEXT) | instid1(VALU_DEP_2)
	v_med3_i32 v3, v8, 0, 13
	v_or_b32_e32 v8, 0x1000, v2
	s_delay_alu instid0(VALU_DEP_1) | instskip(NEXT) | instid1(VALU_DEP_1)
	v_lshrrev_b32_e32 v9, v3, v8
	v_lshlrev_b32_e32 v3, v3, v9
	s_delay_alu instid0(VALU_DEP_1) | instskip(SKIP_3) | instid1(VALU_DEP_2)
	v_cmp_ne_u32_e32 vcc_lo, v3, v8
	v_lshl_or_b32 v8, v5, 12, v2
	v_cndmask_b32_e64 v3, 0, 1, vcc_lo
	v_cmp_gt_i32_e32 vcc_lo, 1, v5
	v_or_b32_e32 v3, v9, v3
	s_delay_alu instid0(VALU_DEP_1) | instskip(NEXT) | instid1(VALU_DEP_1)
	v_cndmask_b32_e32 v3, v8, v3, vcc_lo
	v_dual_lshrrev_b32 v3, 2, v3 :: v_dual_bitop2_b32 v8, 7, v3 bitop3:0x40
	s_delay_alu instid0(VALU_DEP_1) | instskip(SKIP_4) | instid1(VALU_DEP_2)
	v_cmp_lt_i32_e32 vcc_lo, 5, v8
	v_cndmask_b32_e64 v9, 0, 1, vcc_lo
	v_cmp_eq_u32_e32 vcc_lo, 3, v8
	v_cndmask_b32_e64 v8, 0, 1, vcc_lo
	v_cmp_ne_u32_e32 vcc_lo, 0, v2
	v_or_b32_e32 v8, v8, v9
	v_mov_b32_e32 v9, 0x7e00
	s_delay_alu instid0(VALU_DEP_1) | instskip(SKIP_1) | instid1(VALU_DEP_2)
	v_dual_cndmask_b32 v2, 0x7c00, v9 :: v_dual_add_nc_u32 v3, v3, v8
	v_cmp_gt_i32_e32 vcc_lo, 31, v5
	v_cndmask_b32_e32 v3, 0x7c00, v3, vcc_lo
	v_cmp_eq_u32_e32 vcc_lo, 0x40f, v5
	s_delay_alu instid0(VALU_DEP_2) | instskip(NEXT) | instid1(VALU_DEP_1)
	v_dual_cndmask_b32 v2, v3, v2 :: v_dual_lshrrev_b32 v3, 16, v1
	v_and_or_b32 v2, 0x8000, v3, v2
	global_store_b16 v[6:7], v2, off
.LBB43_1183:
	s_mov_b32 s52, 0
.LBB43_1184:
	s_delay_alu instid0(SALU_CYCLE_1)
	s_and_not1_b32 vcc_lo, exec_lo, s52
	s_cbranch_vccnz .LBB43_1200
; %bb.1185:
	s_cmp_lt_i32 s51, 2
	s_mov_b32 s52, -1
	s_cbranch_scc1 .LBB43_1195
; %bb.1186:
	s_cmp_lt_i32 s51, 3
	s_cbranch_scc1 .LBB43_1192
; %bb.1187:
	s_cmp_gt_i32 s51, 3
	s_cbranch_scc0 .LBB43_1189
; %bb.1188:
	s_wait_xcnt 0x0
	s_delay_alu instid0(VALU_DEP_3) | instskip(SKIP_1) | instid1(VALU_DEP_1)
	v_trunc_f64_e32 v[2:3], v[0:1]
	s_mov_b32 s52, 0
	v_ldexp_f64 v[8:9], v[2:3], 0xffffffe0
	s_delay_alu instid0(VALU_DEP_1) | instskip(NEXT) | instid1(VALU_DEP_1)
	v_floor_f64_e32 v[8:9], v[8:9]
	v_fmamk_f64 v[2:3], v[8:9], 0xc1f00000, v[2:3]
	v_cvt_i32_f64_e32 v9, v[8:9]
	s_delay_alu instid0(VALU_DEP_2)
	v_cvt_u32_f64_e32 v8, v[2:3]
	global_store_b64 v[6:7], v[8:9], off
.LBB43_1189:
	s_and_not1_b32 vcc_lo, exec_lo, s52
	s_cbranch_vccnz .LBB43_1191
; %bb.1190:
	s_wait_xcnt 0x0
	s_delay_alu instid0(VALU_DEP_3)
	v_cvt_i32_f64_e32 v2, v[0:1]
	global_store_b32 v[6:7], v2, off
.LBB43_1191:
	s_mov_b32 s52, 0
.LBB43_1192:
	s_delay_alu instid0(SALU_CYCLE_1)
	s_and_not1_b32 vcc_lo, exec_lo, s52
	s_cbranch_vccnz .LBB43_1194
; %bb.1193:
	s_wait_xcnt 0x0
	s_delay_alu instid0(VALU_DEP_3)
	v_cvt_i32_f64_e32 v2, v[0:1]
	global_store_b16 v[6:7], v2, off
.LBB43_1194:
	s_mov_b32 s52, 0
.LBB43_1195:
	s_delay_alu instid0(SALU_CYCLE_1)
	s_and_not1_b32 vcc_lo, exec_lo, s52
	s_cbranch_vccnz .LBB43_1200
; %bb.1196:
	s_cmp_gt_i32 s51, 0
	s_mov_b32 s51, -1
	s_cbranch_scc0 .LBB43_1198
; %bb.1197:
	s_wait_xcnt 0x0
	s_delay_alu instid0(VALU_DEP_3)
	v_cvt_i32_f64_e32 v2, v[0:1]
	s_mov_b32 s51, 0
	global_store_b8 v[6:7], v2, off
.LBB43_1198:
	s_and_not1_b32 vcc_lo, exec_lo, s51
	s_cbranch_vccnz .LBB43_1200
; %bb.1199:
	s_wait_xcnt 0x0
	s_delay_alu instid0(VALU_DEP_3) | instskip(NEXT) | instid1(VALU_DEP_1)
	v_trunc_f64_e32 v[0:1], v[0:1]
	v_ldexp_f64 v[2:3], v[0:1], 0xffffffe0
	s_delay_alu instid0(VALU_DEP_1) | instskip(NEXT) | instid1(VALU_DEP_1)
	v_floor_f64_e32 v[2:3], v[2:3]
	v_fmamk_f64 v[0:1], v[2:3], 0xc1f00000, v[0:1]
	s_delay_alu instid0(VALU_DEP_1)
	v_cvt_u32_f64_e32 v0, v[0:1]
	global_store_b8 v[6:7], v0, off
.LBB43_1200:
	s_mov_b32 s53, -1
.LBB43_1201:
	s_delay_alu instid0(SALU_CYCLE_1)
	s_and_not1_b32 vcc_lo, exec_lo, s53
	s_cbranch_vccnz .LBB43_1203
; %bb.1202:
	v_add_nc_u32_e32 v4, 0x80, v4
	s_mov_b32 s54, -1
	s_branch .LBB43_1205
.LBB43_1203:
	s_mov_b32 s54, 0
.LBB43_1204:
                                        ; implicit-def: $vgpr4
.LBB43_1205:
	s_and_not1_b32 s51, s47, exec_lo
	s_and_b32 s0, s0, exec_lo
	s_and_b32 s31, s31, exec_lo
	s_or_b32 s52, s51, s0
	s_and_not1_b32 s0, s48, exec_lo
	s_and_not1_b32 s51, s46, exec_lo
	s_and_b32 s30, s30, exec_lo
	s_or_b32 s53, s0, s31
	s_or_b32 s51, s51, s30
	s_or_not1_b32 s55, s54, exec_lo
.LBB43_1206:
	s_wait_xcnt 0x0
	s_or_b32 exec_lo, exec_lo, s50
	s_mov_b32 s54, 0
	s_mov_b32 s31, 0
	;; [unrolled: 1-line block ×3, first 2 shown]
                                        ; implicit-def: $sgpr0
                                        ; implicit-def: $vgpr8_vgpr9
                                        ; implicit-def: $vgpr6
                                        ; implicit-def: $vgpr2
                                        ; implicit-def: $vgpr0_vgpr1
	s_and_saveexec_b32 s50, s55
	s_cbranch_execz .LBB43_1301
; %bb.1207:
	v_cmp_gt_i32_e32 vcc_lo, s40, v4
	s_mov_b32 s55, s51
                                        ; implicit-def: $sgpr0
                                        ; implicit-def: $vgpr8_vgpr9
                                        ; implicit-def: $vgpr6
                                        ; implicit-def: $vgpr2
                                        ; implicit-def: $vgpr0_vgpr1
	s_and_saveexec_b32 s40, vcc_lo
	s_cbranch_execz .LBB43_1300
; %bb.1208:
	s_and_not1_b32 vcc_lo, exec_lo, s35
	s_cbranch_vccnz .LBB43_1214
; %bb.1209:
	s_and_not1_b32 vcc_lo, exec_lo, s41
	s_cbranch_vccnz .LBB43_1215
; %bb.1210:
	s_wait_loadcnt 0x0
	v_dual_mov_b32 v2, 0 :: v_dual_mov_b32 v1, v4
	v_dual_mov_b32 v0, 0 :: v_dual_mov_b32 v6, 0
	s_add_co_i32 s0, s39, 1
	s_mov_b64 s[30:31], 0xffffffffffffffe8
	s_and_b32 s0, s0, 30
	s_add_nc_u64 s[30:31], s[2:3], s[30:31]
.LBB43_1211:                            ; =>This Inner Loop Header: Depth=1
	s_clause 0x1
	s_load_b128 s[56:59], s[30:31], 0x1c
	s_load_b64 s[54:55], s[30:31], 0x2c
	s_add_co_i32 s0, s0, -2
	s_delay_alu instid0(SALU_CYCLE_1) | instskip(SKIP_2) | instid1(VALU_DEP_1)
	s_cmp_eq_u32 s0, 0
	s_wait_kmcnt 0x0
	v_mul_hi_u32 v3, s57, v1
	v_add_nc_u32_e32 v3, v1, v3
	s_delay_alu instid0(VALU_DEP_1) | instskip(NEXT) | instid1(VALU_DEP_1)
	v_lshrrev_b32_e32 v3, s58, v3
	v_mul_hi_u32 v5, s54, v3
	v_mul_lo_u32 v7, v3, s56
	s_clause 0x1
	s_load_b128 s[60:63], s[30:31], 0xdc
	s_load_b64 s[56:57], s[30:31], 0xec
	s_wait_xcnt 0x0
	s_add_nc_u64 s[30:31], s[30:31], 24
	s_delay_alu instid0(VALU_DEP_1) | instskip(NEXT) | instid1(VALU_DEP_1)
	v_dual_add_nc_u32 v5, v3, v5 :: v_dual_sub_nc_u32 v7, v1, v7
	v_lshrrev_b32_e32 v1, s55, v5
	s_wait_kmcnt 0x0
	s_delay_alu instid0(VALU_DEP_2) | instskip(NEXT) | instid1(VALU_DEP_2)
	v_mad_u32 v2, v7, s60, v2
	v_mul_lo_u32 v5, v1, s59
	v_mad_u32 v6, v7, s62, v6
	v_mad_u32 v0, v7, s61, v0
	s_delay_alu instid0(VALU_DEP_3) | instskip(NEXT) | instid1(VALU_DEP_1)
	v_sub_nc_u32_e32 v3, v3, v5
	v_mad_u32 v2, v3, s63, v2
	s_delay_alu instid0(VALU_DEP_4) | instskip(NEXT) | instid1(VALU_DEP_4)
	v_mad_u32 v6, v3, s57, v6
	v_mad_u32 v0, v3, s56, v0
	s_cbranch_scc0 .LBB43_1211
; %bb.1212:
	s_bitcmp1_b32 s39, 0
	s_cselect_b32 s0, -1, 0
	s_delay_alu instid0(SALU_CYCLE_1)
	s_and_b32 vcc_lo, exec_lo, s0
	s_cbranch_vccnz .LBB43_1216
; %bb.1213:
	s_clause 0x1
	s_load_b96 s[56:58], s[30:31], 0x1c
	s_load_b96 s[60:62], s[30:31], 0xdc
	s_wait_kmcnt 0x0
	v_mul_hi_u32 v3, s57, v1
	s_delay_alu instid0(VALU_DEP_1) | instskip(NEXT) | instid1(VALU_DEP_1)
	v_add_nc_u32_e32 v3, v1, v3
	v_lshrrev_b32_e32 v3, s58, v3
	s_delay_alu instid0(VALU_DEP_1) | instskip(NEXT) | instid1(VALU_DEP_1)
	v_mul_lo_u32 v3, v3, s56
	v_sub_nc_u32_e32 v1, v1, v3
	s_delay_alu instid0(VALU_DEP_1)
	v_mad_u32 v2, v1, s60, v2
	v_mad_u32 v0, v1, s61, v0
	;; [unrolled: 1-line block ×3, first 2 shown]
	s_branch .LBB43_1216
.LBB43_1214:
	s_mov_b32 s0, -1
                                        ; implicit-def: $vgpr6
                                        ; implicit-def: $vgpr0
                                        ; implicit-def: $vgpr2
	s_branch .LBB43_1217
.LBB43_1215:
	s_wait_loadcnt 0x0
	v_dual_mov_b32 v6, 0 :: v_dual_mov_b32 v0, 0
	v_mov_b32_e32 v2, 0
.LBB43_1216:
	s_mov_b32 s0, 0
.LBB43_1217:
	s_delay_alu instid0(SALU_CYCLE_1)
	s_and_not1_b32 vcc_lo, exec_lo, s0
	s_cbranch_vccnz .LBB43_1220
; %bb.1218:
	v_mov_b32_e32 v5, 0
	s_and_not1_b32 vcc_lo, exec_lo, s38
	s_wait_loadcnt 0x0
	s_delay_alu instid0(VALU_DEP_1) | instskip(NEXT) | instid1(VALU_DEP_1)
	v_mul_u64_e32 v[0:1], s[24:25], v[4:5]
	v_add_nc_u32_e32 v0, v4, v1
	s_delay_alu instid0(VALU_DEP_1) | instskip(NEXT) | instid1(VALU_DEP_1)
	v_lshrrev_b32_e32 v8, s14, v0
	v_mul_lo_u32 v0, v8, s12
	s_delay_alu instid0(VALU_DEP_1) | instskip(NEXT) | instid1(VALU_DEP_1)
	v_sub_nc_u32_e32 v0, v4, v0
	v_mul_lo_u32 v2, v0, s16
	v_mul_lo_u32 v6, v0, s18
	;; [unrolled: 1-line block ×3, first 2 shown]
	s_cbranch_vccnz .LBB43_1220
; %bb.1219:
	v_mov_b32_e32 v9, v5
	s_delay_alu instid0(VALU_DEP_1) | instskip(NEXT) | instid1(VALU_DEP_1)
	v_mul_u64_e32 v[4:5], s[28:29], v[8:9]
	v_add_nc_u32_e32 v1, v8, v5
	s_delay_alu instid0(VALU_DEP_1) | instskip(NEXT) | instid1(VALU_DEP_1)
	v_lshrrev_b32_e32 v1, s1, v1
	v_mul_lo_u32 v1, v1, s15
	s_delay_alu instid0(VALU_DEP_1) | instskip(NEXT) | instid1(VALU_DEP_1)
	v_sub_nc_u32_e32 v1, v8, v1
	v_mad_u32 v2, v1, s19, v2
	v_mad_u32 v0, v1, s26, v0
	;; [unrolled: 1-line block ×3, first 2 shown]
.LBB43_1220:
	s_wait_loadcnt 0x0
	v_mov_b32_e32 v1, 0
	s_and_b32 s0, s37, 0xff
	s_delay_alu instid0(SALU_CYCLE_1) | instskip(NEXT) | instid1(VALU_DEP_1)
	s_cmp_lt_i32 s0, 11
	v_add_nc_u64_e32 v[8:9], s[6:7], v[0:1]
	s_cbranch_scc1 .LBB43_1227
; %bb.1221:
	s_and_b32 s1, 0xffff, s0
	s_mov_b32 s7, 0
	s_cmp_gt_i32 s1, 25
	s_cbranch_scc0 .LBB43_1228
; %bb.1222:
	s_cmp_gt_i32 s1, 28
	s_cbranch_scc0 .LBB43_1229
; %bb.1223:
	;; [unrolled: 3-line block ×4, first 2 shown]
	s_cmp_eq_u32 s1, 46
	s_mov_b32 s14, 0
	s_cbranch_scc0 .LBB43_1234
; %bb.1226:
	global_load_b32 v0, v[8:9], off
	s_mov_b32 s6, 0
	s_mov_b32 s12, -1
	s_wait_loadcnt 0x0
	v_lshlrev_b32_e32 v0, 16, v0
	s_delay_alu instid0(VALU_DEP_1)
	v_cvt_f64_f32_e32 v[0:1], v0
	s_branch .LBB43_1236
.LBB43_1227:
	s_mov_b32 s1, -1
	s_mov_b32 s12, 0
	s_mov_b32 s7, 0
	;; [unrolled: 1-line block ×3, first 2 shown]
                                        ; implicit-def: $vgpr0_vgpr1
	s_branch .LBB43_1299
.LBB43_1228:
	s_mov_b32 s14, -1
	s_mov_b32 s12, 0
	s_mov_b32 s6, s51
                                        ; implicit-def: $vgpr0_vgpr1
	s_branch .LBB43_1265
.LBB43_1229:
	s_mov_b32 s14, -1
	s_mov_b32 s12, 0
	s_mov_b32 s6, s51
                                        ; implicit-def: $vgpr0_vgpr1
	s_branch .LBB43_1246
.LBB43_1230:
	s_mov_b32 s14, -1
	s_mov_b32 s12, 0
	s_mov_b32 s6, s51
                                        ; implicit-def: $vgpr0_vgpr1
	s_branch .LBB43_1241
.LBB43_1231:
	s_mov_b32 s14, -1
	s_mov_b32 s12, 0
	s_mov_b32 s6, s51
	s_branch .LBB43_1235
.LBB43_1232:
	s_and_not1_saveexec_b32 s55, s55
	s_cbranch_execz .LBB43_1114
.LBB43_1233:
	v_add_f32_e64 v3, 0x46000000, |v2|
	s_and_not1_b32 s54, s54, exec_lo
	s_delay_alu instid0(VALU_DEP_1) | instskip(NEXT) | instid1(VALU_DEP_1)
	v_and_b32_e32 v3, 0xff, v3
	v_cmp_ne_u32_e32 vcc_lo, 0, v3
	s_and_b32 s56, vcc_lo, exec_lo
	s_delay_alu instid0(SALU_CYCLE_1)
	s_or_b32 s54, s54, s56
	s_or_b32 exec_lo, exec_lo, s55
	v_mov_b32_e32 v5, 0
	s_and_saveexec_b32 s55, s54
	s_cbranch_execnz .LBB43_1115
	s_branch .LBB43_1116
.LBB43_1234:
	s_mov_b32 s6, -1
	s_mov_b32 s12, 0
.LBB43_1235:
                                        ; implicit-def: $vgpr0_vgpr1
.LBB43_1236:
	s_and_b32 vcc_lo, exec_lo, s14
	s_cbranch_vccz .LBB43_1240
; %bb.1237:
	s_cmp_eq_u32 s1, 44
	s_cbranch_scc0 .LBB43_1239
; %bb.1238:
	global_load_u8 v3, v[8:9], off
	s_mov_b32 s6, 0
	s_mov_b32 s12, -1
	s_wait_loadcnt 0x0
	v_cmp_ne_u32_e32 vcc_lo, 0xff, v3
	v_lshlrev_b32_e32 v0, 23, v3
	s_delay_alu instid0(VALU_DEP_1) | instskip(NEXT) | instid1(VALU_DEP_1)
	v_cvt_f64_f32_e32 v[0:1], v0
	v_cndmask_b32_e32 v0, 0x20000000, v0, vcc_lo
	s_delay_alu instid0(VALU_DEP_2) | instskip(SKIP_1) | instid1(VALU_DEP_2)
	v_cndmask_b32_e32 v1, 0x7ff80000, v1, vcc_lo
	v_cmp_ne_u32_e32 vcc_lo, 0, v3
	v_cndmask_b32_e32 v1, 0x38000000, v1, vcc_lo
	s_delay_alu instid0(VALU_DEP_4)
	v_cndmask_b32_e32 v0, 0, v0, vcc_lo
	s_branch .LBB43_1240
.LBB43_1239:
	s_mov_b32 s6, -1
                                        ; implicit-def: $vgpr0_vgpr1
.LBB43_1240:
	s_mov_b32 s14, 0
.LBB43_1241:
	s_delay_alu instid0(SALU_CYCLE_1)
	s_and_b32 vcc_lo, exec_lo, s14
	s_cbranch_vccz .LBB43_1245
; %bb.1242:
	s_cmp_eq_u32 s1, 29
	s_cbranch_scc0 .LBB43_1244
; %bb.1243:
	global_load_b64 v[0:1], v[8:9], off
	s_mov_b32 s6, 0
	s_mov_b32 s12, -1
	s_mov_b32 s14, 0
	s_wait_loadcnt 0x0
	v_cvt_f64_u32_e32 v[4:5], v1
	v_cvt_f64_u32_e32 v[0:1], v0
	s_delay_alu instid0(VALU_DEP_2) | instskip(NEXT) | instid1(VALU_DEP_1)
	v_ldexp_f64 v[4:5], v[4:5], 32
	v_add_f64_e32 v[0:1], v[4:5], v[0:1]
	s_branch .LBB43_1246
.LBB43_1244:
	s_mov_b32 s6, -1
                                        ; implicit-def: $vgpr0_vgpr1
.LBB43_1245:
	s_mov_b32 s14, 0
.LBB43_1246:
	s_delay_alu instid0(SALU_CYCLE_1)
	s_and_b32 vcc_lo, exec_lo, s14
	s_cbranch_vccz .LBB43_1264
; %bb.1247:
	s_cmp_lt_i32 s1, 27
	s_cbranch_scc1 .LBB43_1250
; %bb.1248:
	s_cmp_gt_i32 s1, 27
	s_cbranch_scc0 .LBB43_1251
; %bb.1249:
	global_load_b32 v0, v[8:9], off
	s_mov_b32 s12, 0
	s_wait_loadcnt 0x0
	v_cvt_f64_u32_e32 v[0:1], v0
	s_branch .LBB43_1252
.LBB43_1250:
	s_mov_b32 s12, -1
                                        ; implicit-def: $vgpr0_vgpr1
	s_branch .LBB43_1255
.LBB43_1251:
	s_mov_b32 s12, -1
                                        ; implicit-def: $vgpr0_vgpr1
.LBB43_1252:
	s_delay_alu instid0(SALU_CYCLE_1)
	s_and_not1_b32 vcc_lo, exec_lo, s12
	s_cbranch_vccnz .LBB43_1254
; %bb.1253:
	global_load_u16 v0, v[8:9], off
	s_wait_loadcnt 0x0
	v_cvt_f64_u32_e32 v[0:1], v0
.LBB43_1254:
	s_mov_b32 s12, 0
.LBB43_1255:
	s_delay_alu instid0(SALU_CYCLE_1)
	s_and_not1_b32 vcc_lo, exec_lo, s12
	s_cbranch_vccnz .LBB43_1263
; %bb.1256:
	global_load_u8 v3, v[8:9], off
	s_mov_b32 s12, 0
	s_mov_b32 s14, exec_lo
	s_wait_loadcnt 0x0
	v_cmpx_lt_i16_e32 0x7f, v3
	s_xor_b32 s14, exec_lo, s14
	s_cbranch_execz .LBB43_1277
; %bb.1257:
	s_mov_b32 s12, -1
	s_mov_b32 s15, exec_lo
	v_cmpx_eq_u16_e32 0x80, v3
; %bb.1258:
	s_xor_b32 s12, exec_lo, -1
; %bb.1259:
	s_or_b32 exec_lo, exec_lo, s15
	s_delay_alu instid0(SALU_CYCLE_1)
	s_and_b32 s12, s12, exec_lo
	s_or_saveexec_b32 s14, s14
	v_mov_b64_e32 v[0:1], 0x7ff8000020000000
	s_xor_b32 exec_lo, exec_lo, s14
	s_cbranch_execnz .LBB43_1278
.LBB43_1260:
	s_or_b32 exec_lo, exec_lo, s14
	s_and_saveexec_b32 s14, s12
	s_cbranch_execz .LBB43_1262
.LBB43_1261:
	v_and_b32_e32 v0, 0xffff, v3
	s_delay_alu instid0(VALU_DEP_1) | instskip(SKIP_1) | instid1(VALU_DEP_2)
	v_dual_lshlrev_b32 v3, 24, v3 :: v_dual_bitop2_b32 v1, 7, v0 bitop3:0x40
	v_bfe_u32 v7, v0, 3, 4
	v_clz_i32_u32_e32 v4, v1
	s_delay_alu instid0(VALU_DEP_2) | instskip(NEXT) | instid1(VALU_DEP_2)
	v_cmp_eq_u32_e32 vcc_lo, 0, v7
	v_min_u32_e32 v4, 32, v4
	s_delay_alu instid0(VALU_DEP_1) | instskip(SKIP_1) | instid1(VALU_DEP_2)
	v_subrev_nc_u32_e32 v5, 28, v4
	v_sub_nc_u32_e32 v4, 29, v4
	v_lshlrev_b32_e32 v0, v5, v0
	s_delay_alu instid0(VALU_DEP_2) | instskip(NEXT) | instid1(VALU_DEP_2)
	v_cndmask_b32_e32 v4, v7, v4, vcc_lo
	v_and_b32_e32 v0, 7, v0
	s_delay_alu instid0(VALU_DEP_1) | instskip(SKIP_1) | instid1(VALU_DEP_4)
	v_cndmask_b32_e32 v0, v1, v0, vcc_lo
	v_and_b32_e32 v1, 0x80000000, v3
	v_lshl_add_u32 v3, v4, 23, 0x3b800000
	s_delay_alu instid0(VALU_DEP_3) | instskip(NEXT) | instid1(VALU_DEP_1)
	v_lshlrev_b32_e32 v0, 20, v0
	v_or3_b32 v0, v1, v3, v0
	s_delay_alu instid0(VALU_DEP_1)
	v_cvt_f64_f32_e32 v[0:1], v0
.LBB43_1262:
	s_or_b32 exec_lo, exec_lo, s14
.LBB43_1263:
	s_mov_b32 s12, -1
.LBB43_1264:
	s_mov_b32 s14, 0
.LBB43_1265:
	s_delay_alu instid0(SALU_CYCLE_1)
	s_and_b32 vcc_lo, exec_lo, s14
	s_cbranch_vccz .LBB43_1298
; %bb.1266:
	s_cmp_gt_i32 s1, 22
	s_cbranch_scc0 .LBB43_1276
; %bb.1267:
	s_cmp_lt_i32 s1, 24
	s_cbranch_scc1 .LBB43_1279
; %bb.1268:
	s_cmp_gt_i32 s1, 24
	s_cbranch_scc0 .LBB43_1280
; %bb.1269:
	global_load_u8 v3, v[8:9], off
	s_mov_b32 s12, exec_lo
	s_wait_loadcnt 0x0
	v_cmpx_lt_i16_e32 0x7f, v3
	s_xor_b32 s12, exec_lo, s12
	s_cbranch_execz .LBB43_1292
; %bb.1270:
	s_mov_b32 s7, -1
	s_mov_b32 s14, exec_lo
	v_cmpx_eq_u16_e32 0x80, v3
; %bb.1271:
	s_xor_b32 s7, exec_lo, -1
; %bb.1272:
	s_or_b32 exec_lo, exec_lo, s14
	s_delay_alu instid0(SALU_CYCLE_1)
	s_and_b32 s7, s7, exec_lo
	s_or_saveexec_b32 s12, s12
	v_mov_b64_e32 v[0:1], 0x7ff8000020000000
	s_xor_b32 exec_lo, exec_lo, s12
	s_cbranch_execnz .LBB43_1293
.LBB43_1273:
	s_or_b32 exec_lo, exec_lo, s12
	s_and_saveexec_b32 s12, s7
	s_cbranch_execz .LBB43_1275
.LBB43_1274:
	v_and_b32_e32 v0, 0xffff, v3
	s_delay_alu instid0(VALU_DEP_1) | instskip(SKIP_1) | instid1(VALU_DEP_2)
	v_dual_lshlrev_b32 v3, 24, v3 :: v_dual_bitop2_b32 v1, 3, v0 bitop3:0x40
	v_bfe_u32 v7, v0, 2, 5
	v_clz_i32_u32_e32 v4, v1
	s_delay_alu instid0(VALU_DEP_2) | instskip(NEXT) | instid1(VALU_DEP_2)
	v_cmp_eq_u32_e32 vcc_lo, 0, v7
	v_min_u32_e32 v4, 32, v4
	s_delay_alu instid0(VALU_DEP_1) | instskip(SKIP_1) | instid1(VALU_DEP_2)
	v_subrev_nc_u32_e32 v5, 29, v4
	v_sub_nc_u32_e32 v4, 30, v4
	v_lshlrev_b32_e32 v0, v5, v0
	s_delay_alu instid0(VALU_DEP_2) | instskip(NEXT) | instid1(VALU_DEP_2)
	v_cndmask_b32_e32 v4, v7, v4, vcc_lo
	v_and_b32_e32 v0, 3, v0
	s_delay_alu instid0(VALU_DEP_1) | instskip(SKIP_1) | instid1(VALU_DEP_4)
	v_cndmask_b32_e32 v0, v1, v0, vcc_lo
	v_and_b32_e32 v1, 0x80000000, v3
	v_lshl_add_u32 v3, v4, 23, 0x37800000
	s_delay_alu instid0(VALU_DEP_3) | instskip(NEXT) | instid1(VALU_DEP_1)
	v_lshlrev_b32_e32 v0, 21, v0
	v_or3_b32 v0, v1, v3, v0
	s_delay_alu instid0(VALU_DEP_1)
	v_cvt_f64_f32_e32 v[0:1], v0
.LBB43_1275:
	s_or_b32 exec_lo, exec_lo, s12
	s_mov_b32 s7, 0
	s_branch .LBB43_1281
.LBB43_1276:
	s_mov_b32 s7, -1
                                        ; implicit-def: $vgpr0_vgpr1
	s_branch .LBB43_1287
.LBB43_1277:
	s_or_saveexec_b32 s14, s14
	v_mov_b64_e32 v[0:1], 0x7ff8000020000000
	s_xor_b32 exec_lo, exec_lo, s14
	s_cbranch_execz .LBB43_1260
.LBB43_1278:
	v_cmp_ne_u16_e32 vcc_lo, 0, v3
	v_mov_b64_e32 v[0:1], 0
	s_and_not1_b32 s12, s12, exec_lo
	s_and_b32 s15, vcc_lo, exec_lo
	s_delay_alu instid0(SALU_CYCLE_1)
	s_or_b32 s12, s12, s15
	s_or_b32 exec_lo, exec_lo, s14
	s_and_saveexec_b32 s14, s12
	s_cbranch_execnz .LBB43_1261
	s_branch .LBB43_1262
.LBB43_1279:
	s_mov_b32 s7, -1
                                        ; implicit-def: $vgpr0_vgpr1
	s_branch .LBB43_1284
.LBB43_1280:
	s_mov_b32 s7, -1
                                        ; implicit-def: $vgpr0_vgpr1
.LBB43_1281:
	s_delay_alu instid0(SALU_CYCLE_1)
	s_and_b32 vcc_lo, exec_lo, s7
	s_cbranch_vccz .LBB43_1283
; %bb.1282:
	global_load_u8 v0, v[8:9], off
	s_wait_loadcnt 0x0
	v_lshlrev_b32_e32 v0, 24, v0
	s_delay_alu instid0(VALU_DEP_1) | instskip(NEXT) | instid1(VALU_DEP_1)
	v_and_b32_e32 v1, 0x7f000000, v0
	v_clz_i32_u32_e32 v3, v1
	v_add_nc_u32_e32 v5, 0x1000000, v1
	v_cmp_ne_u32_e32 vcc_lo, 0, v1
	s_delay_alu instid0(VALU_DEP_3) | instskip(NEXT) | instid1(VALU_DEP_1)
	v_min_u32_e32 v3, 32, v3
	v_sub_nc_u32_e64 v3, v3, 4 clamp
	s_delay_alu instid0(VALU_DEP_1) | instskip(NEXT) | instid1(VALU_DEP_1)
	v_dual_lshlrev_b32 v4, v3, v1 :: v_dual_lshlrev_b32 v3, 23, v3
	v_lshrrev_b32_e32 v4, 4, v4
	s_delay_alu instid0(VALU_DEP_1) | instskip(NEXT) | instid1(VALU_DEP_1)
	v_dual_sub_nc_u32 v3, v4, v3 :: v_dual_ashrrev_i32 v4, 8, v5
	v_add_nc_u32_e32 v3, 0x3c000000, v3
	s_delay_alu instid0(VALU_DEP_1) | instskip(NEXT) | instid1(VALU_DEP_1)
	v_and_or_b32 v3, 0x7f800000, v4, v3
	v_cndmask_b32_e32 v1, 0, v3, vcc_lo
	s_delay_alu instid0(VALU_DEP_1) | instskip(NEXT) | instid1(VALU_DEP_1)
	v_and_or_b32 v0, 0x80000000, v0, v1
	v_cvt_f64_f32_e32 v[0:1], v0
.LBB43_1283:
	s_mov_b32 s7, 0
.LBB43_1284:
	s_delay_alu instid0(SALU_CYCLE_1)
	s_and_not1_b32 vcc_lo, exec_lo, s7
	s_cbranch_vccnz .LBB43_1286
; %bb.1285:
	global_load_u8 v0, v[8:9], off
	s_wait_loadcnt 0x0
	v_lshlrev_b32_e32 v1, 25, v0
	v_lshlrev_b16 v0, 8, v0
	s_delay_alu instid0(VALU_DEP_2) | instskip(NEXT) | instid1(VALU_DEP_2)
	v_cmp_gt_u32_e32 vcc_lo, 0x8000000, v1
	v_and_or_b32 v4, 0x7f00, v0, 0.5
	v_lshrrev_b32_e32 v3, 4, v1
	v_bfe_i32 v0, v0, 0, 16
	s_delay_alu instid0(VALU_DEP_3) | instskip(NEXT) | instid1(VALU_DEP_3)
	v_add_f32_e32 v4, -0.5, v4
	v_or_b32_e32 v3, 0x70000000, v3
	s_delay_alu instid0(VALU_DEP_1) | instskip(NEXT) | instid1(VALU_DEP_1)
	v_mul_f32_e32 v3, 0x7800000, v3
	v_cndmask_b32_e32 v1, v3, v4, vcc_lo
	s_delay_alu instid0(VALU_DEP_1) | instskip(NEXT) | instid1(VALU_DEP_1)
	v_and_or_b32 v0, 0x80000000, v0, v1
	v_cvt_f64_f32_e32 v[0:1], v0
.LBB43_1286:
	s_mov_b32 s7, 0
	s_mov_b32 s12, -1
.LBB43_1287:
	s_and_not1_b32 vcc_lo, exec_lo, s7
	s_mov_b32 s7, 0
	s_cbranch_vccnz .LBB43_1298
; %bb.1288:
	s_cmp_gt_i32 s1, 14
	s_cbranch_scc0 .LBB43_1291
; %bb.1289:
	s_cmp_eq_u32 s1, 15
	s_cbranch_scc0 .LBB43_1294
; %bb.1290:
	global_load_u16 v0, v[8:9], off
	s_mov_b32 s6, 0
	s_mov_b32 s12, -1
	s_wait_loadcnt 0x0
	v_lshlrev_b32_e32 v0, 16, v0
	s_delay_alu instid0(VALU_DEP_1)
	v_cvt_f64_f32_e32 v[0:1], v0
	s_branch .LBB43_1296
.LBB43_1291:
	s_mov_b32 s7, -1
	s_branch .LBB43_1295
.LBB43_1292:
	s_or_saveexec_b32 s12, s12
	v_mov_b64_e32 v[0:1], 0x7ff8000020000000
	s_xor_b32 exec_lo, exec_lo, s12
	s_cbranch_execz .LBB43_1273
.LBB43_1293:
	v_cmp_ne_u16_e32 vcc_lo, 0, v3
	v_mov_b64_e32 v[0:1], 0
	s_and_not1_b32 s7, s7, exec_lo
	s_and_b32 s14, vcc_lo, exec_lo
	s_delay_alu instid0(SALU_CYCLE_1)
	s_or_b32 s7, s7, s14
	s_or_b32 exec_lo, exec_lo, s12
	s_and_saveexec_b32 s12, s7
	s_cbranch_execnz .LBB43_1274
	s_branch .LBB43_1275
.LBB43_1294:
	s_mov_b32 s6, -1
.LBB43_1295:
                                        ; implicit-def: $vgpr0_vgpr1
.LBB43_1296:
	s_and_b32 vcc_lo, exec_lo, s7
	s_mov_b32 s7, 0
	s_cbranch_vccz .LBB43_1298
; %bb.1297:
	s_cmp_lg_u32 s1, 11
	s_mov_b32 s7, -1
	s_cselect_b32 s1, -1, 0
	s_and_not1_b32 s6, s6, exec_lo
	s_and_b32 s1, s1, exec_lo
	s_delay_alu instid0(SALU_CYCLE_1)
	s_or_b32 s6, s6, s1
.LBB43_1298:
	s_mov_b32 s1, 0
.LBB43_1299:
	s_delay_alu instid0(SALU_CYCLE_1)
	s_and_b32 s31, s1, exec_lo
	s_and_not1_b32 s1, s51, exec_lo
	s_and_b32 s6, s6, exec_lo
	s_and_b32 s30, s12, exec_lo
	;; [unrolled: 1-line block ×3, first 2 shown]
	s_or_b32 s55, s1, s6
.LBB43_1300:
	s_wait_xcnt 0x0
	s_or_b32 exec_lo, exec_lo, s40
	s_delay_alu instid0(SALU_CYCLE_1)
	s_and_not1_b32 s1, s51, exec_lo
	s_and_b32 s6, s55, exec_lo
	s_and_b32 s30, s30, exec_lo
	;; [unrolled: 1-line block ×4, first 2 shown]
	s_or_b32 s51, s1, s6
.LBB43_1301:
	s_or_b32 exec_lo, exec_lo, s50
	s_delay_alu instid0(SALU_CYCLE_1)
	s_and_not1_b32 s1, s47, exec_lo
	s_and_b32 s6, s52, exec_lo
	s_and_not1_b32 s7, s48, exec_lo
	s_and_b32 s12, s53, exec_lo
	s_or_b32 s47, s1, s6
	s_and_not1_b32 s1, s46, exec_lo
	s_and_b32 s6, s51, exec_lo
	s_or_b32 s48, s7, s12
	s_and_b32 s30, s30, exec_lo
	s_and_b32 s31, s31, exec_lo
	;; [unrolled: 1-line block ×3, first 2 shown]
	s_or_b32 s46, s1, s6
.LBB43_1302:
	s_or_b32 exec_lo, exec_lo, s49
	s_delay_alu instid0(SALU_CYCLE_1)
	s_and_not1_b32 s1, s42, exec_lo
	s_and_b32 s6, s47, exec_lo
	s_and_not1_b32 s7, s43, exec_lo
	s_and_b32 s12, s48, exec_lo
	s_or_b32 s42, s1, s6
	s_and_not1_b32 s1, s44, exec_lo
	s_and_b32 s6, s46, exec_lo
	s_or_b32 s43, s7, s12
	s_and_b32 s30, s30, exec_lo
	s_and_b32 s31, s31, exec_lo
	;; [unrolled: 1-line block ×3, first 2 shown]
	s_or_b32 s44, s1, s6
	s_or_b32 exec_lo, exec_lo, s45
	s_mov_b32 s1, 0
	s_and_saveexec_b32 s6, s44
	s_cbranch_execz .LBB43_404
.LBB43_1303:
	s_mov_b32 s1, exec_lo
	s_and_not1_b32 s25, s25, exec_lo
	s_trap 2
	s_or_b32 exec_lo, exec_lo, s6
	s_and_saveexec_b32 s6, s25
	s_delay_alu instid0(SALU_CYCLE_1)
	s_xor_b32 s6, exec_lo, s6
	s_cbranch_execnz .LBB43_405
.LBB43_1304:
	s_or_b32 exec_lo, exec_lo, s6
	s_and_saveexec_b32 s6, s31
	s_cbranch_execz .LBB43_1350
.LBB43_1305:
	s_sext_i32_i16 s7, s0
	s_delay_alu instid0(SALU_CYCLE_1)
	s_cmp_lt_i32 s7, 5
	s_cbranch_scc1 .LBB43_1310
; %bb.1306:
	s_cmp_lt_i32 s7, 8
	s_cbranch_scc1 .LBB43_1311
; %bb.1307:
	;; [unrolled: 3-line block ×3, first 2 shown]
	s_cmp_gt_i32 s7, 9
	s_cbranch_scc0 .LBB43_1313
; %bb.1309:
	s_wait_loadcnt 0x0
	global_load_b64 v[0:1], v[8:9], off
	s_mov_b32 s7, 0
	s_branch .LBB43_1314
.LBB43_1310:
                                        ; implicit-def: $vgpr0_vgpr1
	s_branch .LBB43_1331
.LBB43_1311:
                                        ; implicit-def: $vgpr0_vgpr1
	s_branch .LBB43_1320
.LBB43_1312:
	s_mov_b32 s7, -1
                                        ; implicit-def: $vgpr0_vgpr1
	s_branch .LBB43_1317
.LBB43_1313:
	s_mov_b32 s7, -1
                                        ; implicit-def: $vgpr0_vgpr1
.LBB43_1314:
	s_delay_alu instid0(SALU_CYCLE_1)
	s_and_not1_b32 vcc_lo, exec_lo, s7
	s_cbranch_vccnz .LBB43_1316
; %bb.1315:
	s_wait_loadcnt 0x0
	global_load_b32 v0, v[8:9], off
	s_wait_loadcnt 0x0
	v_cvt_f64_f32_e32 v[0:1], v0
.LBB43_1316:
	s_mov_b32 s7, 0
.LBB43_1317:
	s_delay_alu instid0(SALU_CYCLE_1)
	s_and_not1_b32 vcc_lo, exec_lo, s7
	s_cbranch_vccnz .LBB43_1319
; %bb.1318:
	s_wait_loadcnt 0x0
	global_load_b32 v0, v[8:9], off
	s_wait_loadcnt 0x0
	v_cvt_f32_f16_e32 v0, v0
	s_delay_alu instid0(VALU_DEP_1)
	v_cvt_f64_f32_e32 v[0:1], v0
.LBB43_1319:
	s_cbranch_execnz .LBB43_1330
.LBB43_1320:
	s_sext_i32_i16 s7, s0
	s_delay_alu instid0(SALU_CYCLE_1)
	s_cmp_lt_i32 s7, 6
	s_cbranch_scc1 .LBB43_1323
; %bb.1321:
	s_cmp_gt_i32 s7, 6
	s_cbranch_scc0 .LBB43_1324
; %bb.1322:
	s_wait_loadcnt 0x0
	global_load_b64 v[0:1], v[8:9], off
	s_mov_b32 s7, 0
	s_branch .LBB43_1325
.LBB43_1323:
	s_mov_b32 s7, -1
                                        ; implicit-def: $vgpr0_vgpr1
	s_branch .LBB43_1328
.LBB43_1324:
	s_mov_b32 s7, -1
                                        ; implicit-def: $vgpr0_vgpr1
.LBB43_1325:
	s_delay_alu instid0(SALU_CYCLE_1)
	s_and_not1_b32 vcc_lo, exec_lo, s7
	s_cbranch_vccnz .LBB43_1327
; %bb.1326:
	s_wait_loadcnt 0x0
	global_load_b32 v0, v[8:9], off
	s_wait_loadcnt 0x0
	v_cvt_f64_f32_e32 v[0:1], v0
.LBB43_1327:
	s_mov_b32 s7, 0
.LBB43_1328:
	s_delay_alu instid0(SALU_CYCLE_1)
	s_and_not1_b32 vcc_lo, exec_lo, s7
	s_cbranch_vccnz .LBB43_1330
; %bb.1329:
	s_wait_loadcnt 0x0
	global_load_u16 v0, v[8:9], off
	s_wait_loadcnt 0x0
	v_cvt_f32_f16_e32 v0, v0
	s_delay_alu instid0(VALU_DEP_1)
	v_cvt_f64_f32_e32 v[0:1], v0
.LBB43_1330:
	s_cbranch_execnz .LBB43_1349
.LBB43_1331:
	s_sext_i32_i16 s7, s0
	s_delay_alu instid0(SALU_CYCLE_1)
	s_cmp_lt_i32 s7, 2
	s_cbranch_scc1 .LBB43_1335
; %bb.1332:
	s_cmp_lt_i32 s7, 3
	s_cbranch_scc1 .LBB43_1336
; %bb.1333:
	s_cmp_gt_i32 s7, 3
	s_cbranch_scc0 .LBB43_1337
; %bb.1334:
	s_wait_loadcnt 0x0
	global_load_b64 v[0:1], v[8:9], off
	s_mov_b32 s7, 0
	s_wait_loadcnt 0x0
	v_cvt_f64_i32_e32 v[4:5], v1
	v_cvt_f64_u32_e32 v[0:1], v0
	s_delay_alu instid0(VALU_DEP_2) | instskip(NEXT) | instid1(VALU_DEP_1)
	v_ldexp_f64 v[4:5], v[4:5], 32
	v_add_f64_e32 v[0:1], v[4:5], v[0:1]
	s_branch .LBB43_1338
.LBB43_1335:
                                        ; implicit-def: $vgpr0_vgpr1
	s_branch .LBB43_1344
.LBB43_1336:
	s_mov_b32 s7, -1
                                        ; implicit-def: $vgpr0_vgpr1
	s_branch .LBB43_1341
.LBB43_1337:
	s_mov_b32 s7, -1
                                        ; implicit-def: $vgpr0_vgpr1
.LBB43_1338:
	s_delay_alu instid0(SALU_CYCLE_1)
	s_and_not1_b32 vcc_lo, exec_lo, s7
	s_cbranch_vccnz .LBB43_1340
; %bb.1339:
	s_wait_loadcnt 0x0
	global_load_b32 v0, v[8:9], off
	s_wait_loadcnt 0x0
	v_cvt_f64_i32_e32 v[0:1], v0
.LBB43_1340:
	s_mov_b32 s7, 0
.LBB43_1341:
	s_delay_alu instid0(SALU_CYCLE_1)
	s_and_not1_b32 vcc_lo, exec_lo, s7
	s_cbranch_vccnz .LBB43_1343
; %bb.1342:
	s_wait_loadcnt 0x0
	global_load_i16 v0, v[8:9], off
	s_wait_loadcnt 0x0
	v_cvt_f64_i32_e32 v[0:1], v0
.LBB43_1343:
	s_cbranch_execnz .LBB43_1349
.LBB43_1344:
	s_sext_i32_i16 s0, s0
	s_delay_alu instid0(SALU_CYCLE_1)
	s_cmp_gt_i32 s0, 0
	s_mov_b32 s0, 0
	s_cbranch_scc0 .LBB43_1346
; %bb.1345:
	s_wait_loadcnt 0x0
	global_load_i8 v0, v[8:9], off
	s_wait_loadcnt 0x0
	v_cvt_f64_i32_e32 v[0:1], v0
	s_branch .LBB43_1347
.LBB43_1346:
	s_mov_b32 s0, -1
                                        ; implicit-def: $vgpr0_vgpr1
.LBB43_1347:
	s_delay_alu instid0(SALU_CYCLE_1)
	s_and_not1_b32 vcc_lo, exec_lo, s0
	s_cbranch_vccnz .LBB43_1349
; %bb.1348:
	s_wait_loadcnt 0x0
	global_load_u8 v0, v[8:9], off
	s_wait_loadcnt 0x0
	v_cvt_f64_u32_e32 v[0:1], v0
.LBB43_1349:
	s_or_b32 s30, s30, exec_lo
.LBB43_1350:
	s_wait_xcnt 0x0
	s_or_b32 exec_lo, exec_lo, s6
	s_mov_b32 s14, 0
	s_mov_b32 s7, 0
	;; [unrolled: 1-line block ×3, first 2 shown]
                                        ; implicit-def: $sgpr0
                                        ; implicit-def: $vgpr4_vgpr5
                                        ; implicit-def: $vgpr8_vgpr9
	s_and_saveexec_b32 s6, s30
	s_cbranch_execz .LBB43_1358
; %bb.1351:
	v_mov_b32_e32 v7, 0
	s_and_b32 s0, s13, 0xff
	s_delay_alu instid0(SALU_CYCLE_1) | instskip(NEXT) | instid1(VALU_DEP_1)
	s_cmp_lt_i32 s0, 11
	v_add_nc_u64_e32 v[4:5], s[8:9], v[6:7]
	s_cbranch_scc1 .LBB43_1361
; %bb.1352:
	s_and_b32 s7, 0xffff, s0
	s_mov_b32 s9, 0
	s_cmp_gt_i32 s7, 25
	s_cbranch_scc0 .LBB43_1362
; %bb.1353:
	s_cmp_gt_i32 s7, 28
	s_cbranch_scc0 .LBB43_1363
; %bb.1354:
	;; [unrolled: 3-line block ×4, first 2 shown]
	s_cmp_eq_u32 s7, 46
	s_mov_b32 s13, 0
	s_cbranch_scc0 .LBB43_1366
; %bb.1357:
	global_load_b32 v3, v[4:5], off
	s_mov_b32 s8, 0
	s_mov_b32 s12, -1
	s_wait_loadcnt 0x0
	v_lshlrev_b32_e32 v3, 16, v3
	s_delay_alu instid0(VALU_DEP_1)
	v_cvt_f64_f32_e32 v[8:9], v3
	s_branch .LBB43_1368
.LBB43_1358:
	s_or_b32 exec_lo, exec_lo, s6
	s_and_saveexec_b32 s6, s43
	s_cbranch_execnz .LBB43_1431
.LBB43_1359:
	s_or_b32 exec_lo, exec_lo, s6
	s_and_saveexec_b32 s6, s14
	s_delay_alu instid0(SALU_CYCLE_1)
	s_xor_b32 s6, exec_lo, s6
	s_cbranch_execz .LBB43_1432
.LBB43_1360:
	global_load_u8 v3, v[4:5], off
	s_wait_loadcnt 0x1
	v_mov_b32_e32 v8, 0
	s_or_b32 s12, s12, exec_lo
	s_wait_loadcnt 0x0
	v_cmp_ne_u16_e32 vcc_lo, 0, v3
	v_cndmask_b32_e64 v9, 0, 0x3ff00000, vcc_lo
	s_wait_xcnt 0x0
	s_or_b32 exec_lo, exec_lo, s6
	s_and_saveexec_b32 s6, s7
	s_cbranch_execz .LBB43_1478
	s_branch .LBB43_1433
.LBB43_1361:
	s_mov_b32 s7, -1
	s_mov_b32 s9, 0
	s_mov_b32 s8, s43
                                        ; implicit-def: $vgpr8_vgpr9
	s_branch .LBB43_1430
.LBB43_1362:
	s_mov_b32 s8, s43
                                        ; implicit-def: $vgpr8_vgpr9
	s_cbranch_execnz .LBB43_1397
	s_branch .LBB43_1429
.LBB43_1363:
	s_mov_b32 s13, -1
	s_mov_b32 s8, s43
                                        ; implicit-def: $vgpr8_vgpr9
	s_branch .LBB43_1378
.LBB43_1364:
	s_mov_b32 s13, -1
	s_mov_b32 s8, s43
                                        ; implicit-def: $vgpr8_vgpr9
	s_branch .LBB43_1373
.LBB43_1365:
	s_mov_b32 s13, -1
	s_mov_b32 s8, s43
	s_branch .LBB43_1367
.LBB43_1366:
	s_mov_b32 s8, -1
.LBB43_1367:
                                        ; implicit-def: $vgpr8_vgpr9
.LBB43_1368:
	s_and_b32 vcc_lo, exec_lo, s13
	s_cbranch_vccz .LBB43_1372
; %bb.1369:
	s_cmp_eq_u32 s7, 44
	s_cbranch_scc0 .LBB43_1371
; %bb.1370:
	global_load_u8 v3, v[4:5], off
	s_mov_b32 s8, 0
	s_mov_b32 s12, -1
	s_wait_loadcnt 0x0
	v_lshlrev_b32_e32 v6, 23, v3
	v_cmp_ne_u32_e32 vcc_lo, 0xff, v3
	s_delay_alu instid0(VALU_DEP_2) | instskip(NEXT) | instid1(VALU_DEP_1)
	v_cvt_f64_f32_e32 v[6:7], v6
	v_cndmask_b32_e32 v6, 0x20000000, v6, vcc_lo
	s_delay_alu instid0(VALU_DEP_2) | instskip(SKIP_1) | instid1(VALU_DEP_2)
	v_cndmask_b32_e32 v7, 0x7ff80000, v7, vcc_lo
	v_cmp_ne_u32_e32 vcc_lo, 0, v3
	v_cndmask_b32_e32 v9, 0x38000000, v7, vcc_lo
	s_delay_alu instid0(VALU_DEP_4)
	v_cndmask_b32_e32 v8, 0, v6, vcc_lo
	s_branch .LBB43_1372
.LBB43_1371:
	s_mov_b32 s8, -1
                                        ; implicit-def: $vgpr8_vgpr9
.LBB43_1372:
	s_mov_b32 s13, 0
.LBB43_1373:
	s_delay_alu instid0(SALU_CYCLE_1)
	s_and_b32 vcc_lo, exec_lo, s13
	s_cbranch_vccz .LBB43_1377
; %bb.1374:
	s_cmp_eq_u32 s7, 29
	s_cbranch_scc0 .LBB43_1376
; %bb.1375:
	global_load_b64 v[6:7], v[4:5], off
	s_mov_b32 s8, 0
	s_mov_b32 s12, -1
	s_mov_b32 s13, 0
	s_wait_loadcnt 0x0
	v_cvt_f64_u32_e32 v[8:9], v7
	v_cvt_f64_u32_e32 v[6:7], v6
	s_delay_alu instid0(VALU_DEP_2) | instskip(NEXT) | instid1(VALU_DEP_1)
	v_ldexp_f64 v[8:9], v[8:9], 32
	v_add_f64_e32 v[8:9], v[8:9], v[6:7]
	s_branch .LBB43_1378
.LBB43_1376:
	s_mov_b32 s8, -1
                                        ; implicit-def: $vgpr8_vgpr9
.LBB43_1377:
	s_mov_b32 s13, 0
.LBB43_1378:
	s_delay_alu instid0(SALU_CYCLE_1)
	s_and_b32 vcc_lo, exec_lo, s13
	s_cbranch_vccz .LBB43_1396
; %bb.1379:
	s_cmp_lt_i32 s7, 27
	s_cbranch_scc1 .LBB43_1382
; %bb.1380:
	s_cmp_gt_i32 s7, 27
	s_cbranch_scc0 .LBB43_1383
; %bb.1381:
	global_load_b32 v3, v[4:5], off
	s_mov_b32 s12, 0
	s_wait_loadcnt 0x0
	v_cvt_f64_u32_e32 v[8:9], v3
	s_branch .LBB43_1384
.LBB43_1382:
	s_mov_b32 s12, -1
                                        ; implicit-def: $vgpr8_vgpr9
	s_branch .LBB43_1387
.LBB43_1383:
	s_mov_b32 s12, -1
                                        ; implicit-def: $vgpr8_vgpr9
.LBB43_1384:
	s_delay_alu instid0(SALU_CYCLE_1)
	s_and_not1_b32 vcc_lo, exec_lo, s12
	s_cbranch_vccnz .LBB43_1386
; %bb.1385:
	global_load_u16 v3, v[4:5], off
	s_wait_loadcnt 0x0
	v_cvt_f64_u32_e32 v[8:9], v3
.LBB43_1386:
	s_mov_b32 s12, 0
.LBB43_1387:
	s_delay_alu instid0(SALU_CYCLE_1)
	s_and_not1_b32 vcc_lo, exec_lo, s12
	s_cbranch_vccnz .LBB43_1395
; %bb.1388:
	global_load_u8 v3, v[4:5], off
	s_mov_b32 s12, 0
	s_mov_b32 s13, exec_lo
	s_wait_loadcnt 0x0
	v_cmpx_lt_i16_e32 0x7f, v3
	s_xor_b32 s13, exec_lo, s13
	s_cbranch_execz .LBB43_1408
; %bb.1389:
	s_mov_b32 s12, -1
	s_mov_b32 s14, exec_lo
	v_cmpx_eq_u16_e32 0x80, v3
; %bb.1390:
	s_xor_b32 s12, exec_lo, -1
; %bb.1391:
	s_or_b32 exec_lo, exec_lo, s14
	s_delay_alu instid0(SALU_CYCLE_1)
	s_and_b32 s12, s12, exec_lo
	s_or_saveexec_b32 s13, s13
	v_mov_b64_e32 v[8:9], 0x7ff8000020000000
	s_xor_b32 exec_lo, exec_lo, s13
	s_cbranch_execnz .LBB43_1409
.LBB43_1392:
	s_or_b32 exec_lo, exec_lo, s13
	s_and_saveexec_b32 s13, s12
	s_cbranch_execz .LBB43_1394
.LBB43_1393:
	v_and_b32_e32 v6, 0xffff, v3
	s_delay_alu instid0(VALU_DEP_1) | instskip(SKIP_1) | instid1(VALU_DEP_2)
	v_and_b32_e32 v7, 7, v6
	v_bfe_u32 v10, v6, 3, 4
	v_clz_i32_u32_e32 v8, v7
	s_delay_alu instid0(VALU_DEP_2) | instskip(NEXT) | instid1(VALU_DEP_2)
	v_cmp_eq_u32_e32 vcc_lo, 0, v10
	v_min_u32_e32 v8, 32, v8
	s_delay_alu instid0(VALU_DEP_1) | instskip(NEXT) | instid1(VALU_DEP_1)
	v_subrev_nc_u32_e32 v9, 28, v8
	v_dual_lshlrev_b32 v6, v9, v6 :: v_dual_sub_nc_u32 v8, 29, v8
	s_delay_alu instid0(VALU_DEP_1) | instskip(NEXT) | instid1(VALU_DEP_1)
	v_dual_lshlrev_b32 v3, 24, v3 :: v_dual_bitop2_b32 v6, 7, v6 bitop3:0x40
	v_dual_cndmask_b32 v8, v10, v8, vcc_lo :: v_dual_cndmask_b32 v6, v7, v6, vcc_lo
	s_delay_alu instid0(VALU_DEP_2) | instskip(NEXT) | instid1(VALU_DEP_2)
	v_and_b32_e32 v3, 0x80000000, v3
	v_lshl_add_u32 v7, v8, 23, 0x3b800000
	s_delay_alu instid0(VALU_DEP_3) | instskip(NEXT) | instid1(VALU_DEP_1)
	v_lshlrev_b32_e32 v6, 20, v6
	v_or3_b32 v3, v3, v7, v6
	s_delay_alu instid0(VALU_DEP_1)
	v_cvt_f64_f32_e32 v[8:9], v3
.LBB43_1394:
	s_or_b32 exec_lo, exec_lo, s13
.LBB43_1395:
	s_mov_b32 s12, -1
.LBB43_1396:
	s_branch .LBB43_1429
.LBB43_1397:
	s_cmp_gt_i32 s7, 22
	s_cbranch_scc0 .LBB43_1407
; %bb.1398:
	s_cmp_lt_i32 s7, 24
	s_cbranch_scc1 .LBB43_1410
; %bb.1399:
	s_cmp_gt_i32 s7, 24
	s_cbranch_scc0 .LBB43_1411
; %bb.1400:
	global_load_u8 v3, v[4:5], off
	s_mov_b32 s12, exec_lo
	s_wait_loadcnt 0x0
	v_cmpx_lt_i16_e32 0x7f, v3
	s_xor_b32 s12, exec_lo, s12
	s_cbranch_execz .LBB43_1423
; %bb.1401:
	s_mov_b32 s9, -1
	s_mov_b32 s13, exec_lo
	v_cmpx_eq_u16_e32 0x80, v3
; %bb.1402:
	s_xor_b32 s9, exec_lo, -1
; %bb.1403:
	s_or_b32 exec_lo, exec_lo, s13
	s_delay_alu instid0(SALU_CYCLE_1)
	s_and_b32 s9, s9, exec_lo
	s_or_saveexec_b32 s12, s12
	v_mov_b64_e32 v[8:9], 0x7ff8000020000000
	s_xor_b32 exec_lo, exec_lo, s12
	s_cbranch_execnz .LBB43_1424
.LBB43_1404:
	s_or_b32 exec_lo, exec_lo, s12
	s_and_saveexec_b32 s12, s9
	s_cbranch_execz .LBB43_1406
.LBB43_1405:
	v_and_b32_e32 v6, 0xffff, v3
	s_delay_alu instid0(VALU_DEP_1) | instskip(SKIP_1) | instid1(VALU_DEP_2)
	v_and_b32_e32 v7, 3, v6
	v_bfe_u32 v10, v6, 2, 5
	v_clz_i32_u32_e32 v8, v7
	s_delay_alu instid0(VALU_DEP_2) | instskip(NEXT) | instid1(VALU_DEP_2)
	v_cmp_eq_u32_e32 vcc_lo, 0, v10
	v_min_u32_e32 v8, 32, v8
	s_delay_alu instid0(VALU_DEP_1) | instskip(NEXT) | instid1(VALU_DEP_1)
	v_subrev_nc_u32_e32 v9, 29, v8
	v_dual_lshlrev_b32 v6, v9, v6 :: v_dual_sub_nc_u32 v8, 30, v8
	s_delay_alu instid0(VALU_DEP_1) | instskip(NEXT) | instid1(VALU_DEP_1)
	v_dual_lshlrev_b32 v3, 24, v3 :: v_dual_bitop2_b32 v6, 3, v6 bitop3:0x40
	v_dual_cndmask_b32 v8, v10, v8, vcc_lo :: v_dual_cndmask_b32 v6, v7, v6, vcc_lo
	s_delay_alu instid0(VALU_DEP_2) | instskip(NEXT) | instid1(VALU_DEP_2)
	v_and_b32_e32 v3, 0x80000000, v3
	v_lshl_add_u32 v7, v8, 23, 0x37800000
	s_delay_alu instid0(VALU_DEP_3) | instskip(NEXT) | instid1(VALU_DEP_1)
	v_lshlrev_b32_e32 v6, 21, v6
	v_or3_b32 v3, v3, v7, v6
	s_delay_alu instid0(VALU_DEP_1)
	v_cvt_f64_f32_e32 v[8:9], v3
.LBB43_1406:
	s_or_b32 exec_lo, exec_lo, s12
	s_mov_b32 s9, 0
	s_branch .LBB43_1412
.LBB43_1407:
	s_mov_b32 s9, -1
                                        ; implicit-def: $vgpr8_vgpr9
	s_branch .LBB43_1418
.LBB43_1408:
	s_or_saveexec_b32 s13, s13
	v_mov_b64_e32 v[8:9], 0x7ff8000020000000
	s_xor_b32 exec_lo, exec_lo, s13
	s_cbranch_execz .LBB43_1392
.LBB43_1409:
	v_cmp_ne_u16_e32 vcc_lo, 0, v3
	v_mov_b64_e32 v[8:9], 0
	s_and_not1_b32 s12, s12, exec_lo
	s_and_b32 s14, vcc_lo, exec_lo
	s_delay_alu instid0(SALU_CYCLE_1)
	s_or_b32 s12, s12, s14
	s_or_b32 exec_lo, exec_lo, s13
	s_and_saveexec_b32 s13, s12
	s_cbranch_execnz .LBB43_1393
	s_branch .LBB43_1394
.LBB43_1410:
	s_mov_b32 s9, -1
                                        ; implicit-def: $vgpr8_vgpr9
	s_branch .LBB43_1415
.LBB43_1411:
	s_mov_b32 s9, -1
                                        ; implicit-def: $vgpr8_vgpr9
.LBB43_1412:
	s_delay_alu instid0(SALU_CYCLE_1)
	s_and_b32 vcc_lo, exec_lo, s9
	s_cbranch_vccz .LBB43_1414
; %bb.1413:
	global_load_u8 v3, v[4:5], off
	s_wait_loadcnt 0x0
	v_lshlrev_b32_e32 v3, 24, v3
	s_delay_alu instid0(VALU_DEP_1) | instskip(NEXT) | instid1(VALU_DEP_1)
	v_and_b32_e32 v6, 0x7f000000, v3
	v_clz_i32_u32_e32 v7, v6
	v_cmp_ne_u32_e32 vcc_lo, 0, v6
	v_add_nc_u32_e32 v9, 0x1000000, v6
	s_delay_alu instid0(VALU_DEP_3) | instskip(NEXT) | instid1(VALU_DEP_1)
	v_min_u32_e32 v7, 32, v7
	v_sub_nc_u32_e64 v7, v7, 4 clamp
	s_delay_alu instid0(VALU_DEP_1) | instskip(NEXT) | instid1(VALU_DEP_1)
	v_dual_lshlrev_b32 v8, v7, v6 :: v_dual_lshlrev_b32 v7, 23, v7
	v_lshrrev_b32_e32 v8, 4, v8
	s_delay_alu instid0(VALU_DEP_1) | instskip(NEXT) | instid1(VALU_DEP_1)
	v_dual_sub_nc_u32 v7, v8, v7 :: v_dual_ashrrev_i32 v8, 8, v9
	v_add_nc_u32_e32 v7, 0x3c000000, v7
	s_delay_alu instid0(VALU_DEP_1) | instskip(NEXT) | instid1(VALU_DEP_1)
	v_and_or_b32 v7, 0x7f800000, v8, v7
	v_cndmask_b32_e32 v6, 0, v7, vcc_lo
	s_delay_alu instid0(VALU_DEP_1) | instskip(NEXT) | instid1(VALU_DEP_1)
	v_and_or_b32 v3, 0x80000000, v3, v6
	v_cvt_f64_f32_e32 v[8:9], v3
.LBB43_1414:
	s_mov_b32 s9, 0
.LBB43_1415:
	s_delay_alu instid0(SALU_CYCLE_1)
	s_and_not1_b32 vcc_lo, exec_lo, s9
	s_cbranch_vccnz .LBB43_1417
; %bb.1416:
	global_load_u8 v3, v[4:5], off
	s_wait_loadcnt 0x0
	v_lshlrev_b32_e32 v6, 25, v3
	v_lshlrev_b16 v3, 8, v3
	s_delay_alu instid0(VALU_DEP_1) | instskip(SKIP_1) | instid1(VALU_DEP_2)
	v_and_or_b32 v8, 0x7f00, v3, 0.5
	v_bfe_i32 v3, v3, 0, 16
	v_dual_add_f32 v8, -0.5, v8 :: v_dual_lshrrev_b32 v7, 4, v6
	v_cmp_gt_u32_e32 vcc_lo, 0x8000000, v6
	s_delay_alu instid0(VALU_DEP_2) | instskip(NEXT) | instid1(VALU_DEP_1)
	v_or_b32_e32 v7, 0x70000000, v7
	v_mul_f32_e32 v7, 0x7800000, v7
	s_delay_alu instid0(VALU_DEP_1) | instskip(NEXT) | instid1(VALU_DEP_1)
	v_cndmask_b32_e32 v6, v7, v8, vcc_lo
	v_and_or_b32 v3, 0x80000000, v3, v6
	s_delay_alu instid0(VALU_DEP_1)
	v_cvt_f64_f32_e32 v[8:9], v3
.LBB43_1417:
	s_mov_b32 s9, 0
	s_mov_b32 s12, -1
.LBB43_1418:
	s_and_not1_b32 vcc_lo, exec_lo, s9
	s_mov_b32 s9, 0
	s_cbranch_vccnz .LBB43_1429
; %bb.1419:
	s_cmp_gt_i32 s7, 14
	s_cbranch_scc0 .LBB43_1422
; %bb.1420:
	s_cmp_eq_u32 s7, 15
	s_cbranch_scc0 .LBB43_1425
; %bb.1421:
	global_load_u16 v3, v[4:5], off
	s_mov_b32 s8, 0
	s_mov_b32 s12, -1
	s_wait_loadcnt 0x0
	v_lshlrev_b32_e32 v3, 16, v3
	s_delay_alu instid0(VALU_DEP_1)
	v_cvt_f64_f32_e32 v[8:9], v3
	s_branch .LBB43_1427
.LBB43_1422:
	s_mov_b32 s9, -1
	s_branch .LBB43_1426
.LBB43_1423:
	s_or_saveexec_b32 s12, s12
	v_mov_b64_e32 v[8:9], 0x7ff8000020000000
	s_xor_b32 exec_lo, exec_lo, s12
	s_cbranch_execz .LBB43_1404
.LBB43_1424:
	v_cmp_ne_u16_e32 vcc_lo, 0, v3
	v_mov_b64_e32 v[8:9], 0
	s_and_not1_b32 s9, s9, exec_lo
	s_and_b32 s13, vcc_lo, exec_lo
	s_delay_alu instid0(SALU_CYCLE_1)
	s_or_b32 s9, s9, s13
	s_or_b32 exec_lo, exec_lo, s12
	s_and_saveexec_b32 s12, s9
	s_cbranch_execnz .LBB43_1405
	s_branch .LBB43_1406
.LBB43_1425:
	s_mov_b32 s8, -1
.LBB43_1426:
                                        ; implicit-def: $vgpr8_vgpr9
.LBB43_1427:
	s_and_b32 vcc_lo, exec_lo, s9
	s_mov_b32 s9, 0
	s_cbranch_vccz .LBB43_1429
; %bb.1428:
	s_cmp_lg_u32 s7, 11
	s_mov_b32 s9, -1
	s_cselect_b32 s7, -1, 0
	s_and_not1_b32 s8, s8, exec_lo
	s_and_b32 s7, s7, exec_lo
	s_delay_alu instid0(SALU_CYCLE_1)
	s_or_b32 s8, s8, s7
.LBB43_1429:
	s_mov_b32 s7, 0
.LBB43_1430:
	s_and_not1_b32 s13, s43, exec_lo
	s_and_b32 s8, s8, exec_lo
	s_and_b32 s12, s12, exec_lo
	;; [unrolled: 1-line block ×4, first 2 shown]
	s_or_b32 s43, s13, s8
	s_wait_xcnt 0x0
	s_or_b32 exec_lo, exec_lo, s6
	s_and_saveexec_b32 s6, s43
	s_cbranch_execz .LBB43_1359
.LBB43_1431:
	s_or_b32 s1, s1, exec_lo
	s_and_not1_b32 s14, s14, exec_lo
	s_trap 2
	s_or_b32 exec_lo, exec_lo, s6
	s_and_saveexec_b32 s6, s14
	s_delay_alu instid0(SALU_CYCLE_1)
	s_xor_b32 s6, exec_lo, s6
	s_cbranch_execnz .LBB43_1360
.LBB43_1432:
	s_or_b32 exec_lo, exec_lo, s6
	s_and_saveexec_b32 s6, s7
	s_cbranch_execz .LBB43_1478
.LBB43_1433:
	s_sext_i32_i16 s7, s0
	s_delay_alu instid0(SALU_CYCLE_1)
	s_cmp_lt_i32 s7, 5
	s_cbranch_scc1 .LBB43_1438
; %bb.1434:
	s_cmp_lt_i32 s7, 8
	s_cbranch_scc1 .LBB43_1439
; %bb.1435:
	;; [unrolled: 3-line block ×3, first 2 shown]
	s_cmp_gt_i32 s7, 9
	s_cbranch_scc0 .LBB43_1441
; %bb.1437:
	s_wait_loadcnt 0x0
	global_load_b64 v[8:9], v[4:5], off
	s_mov_b32 s7, 0
	s_branch .LBB43_1442
.LBB43_1438:
                                        ; implicit-def: $vgpr8_vgpr9
	s_branch .LBB43_1459
.LBB43_1439:
                                        ; implicit-def: $vgpr8_vgpr9
	s_branch .LBB43_1448
.LBB43_1440:
	s_mov_b32 s7, -1
                                        ; implicit-def: $vgpr8_vgpr9
	s_branch .LBB43_1445
.LBB43_1441:
	s_mov_b32 s7, -1
                                        ; implicit-def: $vgpr8_vgpr9
.LBB43_1442:
	s_delay_alu instid0(SALU_CYCLE_1)
	s_and_not1_b32 vcc_lo, exec_lo, s7
	s_cbranch_vccnz .LBB43_1444
; %bb.1443:
	global_load_b32 v3, v[4:5], off
	s_wait_loadcnt 0x0
	v_cvt_f64_f32_e32 v[8:9], v3
.LBB43_1444:
	s_mov_b32 s7, 0
.LBB43_1445:
	s_delay_alu instid0(SALU_CYCLE_1)
	s_and_not1_b32 vcc_lo, exec_lo, s7
	s_cbranch_vccnz .LBB43_1447
; %bb.1446:
	global_load_b32 v3, v[4:5], off
	s_wait_loadcnt 0x0
	v_cvt_f32_f16_e32 v3, v3
	s_delay_alu instid0(VALU_DEP_1)
	v_cvt_f64_f32_e32 v[8:9], v3
.LBB43_1447:
	s_cbranch_execnz .LBB43_1458
.LBB43_1448:
	s_sext_i32_i16 s7, s0
	s_delay_alu instid0(SALU_CYCLE_1)
	s_cmp_lt_i32 s7, 6
	s_cbranch_scc1 .LBB43_1451
; %bb.1449:
	s_cmp_gt_i32 s7, 6
	s_cbranch_scc0 .LBB43_1452
; %bb.1450:
	s_wait_loadcnt 0x0
	global_load_b64 v[8:9], v[4:5], off
	s_mov_b32 s7, 0
	s_branch .LBB43_1453
.LBB43_1451:
	s_mov_b32 s7, -1
                                        ; implicit-def: $vgpr8_vgpr9
	s_branch .LBB43_1456
.LBB43_1452:
	s_mov_b32 s7, -1
                                        ; implicit-def: $vgpr8_vgpr9
.LBB43_1453:
	s_delay_alu instid0(SALU_CYCLE_1)
	s_and_not1_b32 vcc_lo, exec_lo, s7
	s_cbranch_vccnz .LBB43_1455
; %bb.1454:
	global_load_b32 v3, v[4:5], off
	s_wait_loadcnt 0x0
	v_cvt_f64_f32_e32 v[8:9], v3
.LBB43_1455:
	s_mov_b32 s7, 0
.LBB43_1456:
	s_delay_alu instid0(SALU_CYCLE_1)
	s_and_not1_b32 vcc_lo, exec_lo, s7
	s_cbranch_vccnz .LBB43_1458
; %bb.1457:
	global_load_u16 v3, v[4:5], off
	s_wait_loadcnt 0x0
	v_cvt_f32_f16_e32 v3, v3
	s_delay_alu instid0(VALU_DEP_1)
	v_cvt_f64_f32_e32 v[8:9], v3
.LBB43_1458:
	s_cbranch_execnz .LBB43_1477
.LBB43_1459:
	s_sext_i32_i16 s7, s0
	s_delay_alu instid0(SALU_CYCLE_1)
	s_cmp_lt_i32 s7, 2
	s_cbranch_scc1 .LBB43_1463
; %bb.1460:
	s_cmp_lt_i32 s7, 3
	s_cbranch_scc1 .LBB43_1464
; %bb.1461:
	s_cmp_gt_i32 s7, 3
	s_cbranch_scc0 .LBB43_1465
; %bb.1462:
	global_load_b64 v[6:7], v[4:5], off
	s_mov_b32 s7, 0
	s_wait_loadcnt 0x0
	v_cvt_f64_i32_e32 v[8:9], v7
	v_cvt_f64_u32_e32 v[6:7], v6
	s_delay_alu instid0(VALU_DEP_2) | instskip(NEXT) | instid1(VALU_DEP_1)
	v_ldexp_f64 v[8:9], v[8:9], 32
	v_add_f64_e32 v[8:9], v[8:9], v[6:7]
	s_branch .LBB43_1466
.LBB43_1463:
                                        ; implicit-def: $vgpr8_vgpr9
	s_branch .LBB43_1472
.LBB43_1464:
	s_mov_b32 s7, -1
                                        ; implicit-def: $vgpr8_vgpr9
	s_branch .LBB43_1469
.LBB43_1465:
	s_mov_b32 s7, -1
                                        ; implicit-def: $vgpr8_vgpr9
.LBB43_1466:
	s_delay_alu instid0(SALU_CYCLE_1)
	s_and_not1_b32 vcc_lo, exec_lo, s7
	s_cbranch_vccnz .LBB43_1468
; %bb.1467:
	global_load_b32 v3, v[4:5], off
	s_wait_loadcnt 0x0
	v_cvt_f64_i32_e32 v[8:9], v3
.LBB43_1468:
	s_mov_b32 s7, 0
.LBB43_1469:
	s_delay_alu instid0(SALU_CYCLE_1)
	s_and_not1_b32 vcc_lo, exec_lo, s7
	s_cbranch_vccnz .LBB43_1471
; %bb.1470:
	global_load_i16 v3, v[4:5], off
	s_wait_loadcnt 0x0
	v_cvt_f64_i32_e32 v[8:9], v3
.LBB43_1471:
	s_cbranch_execnz .LBB43_1477
.LBB43_1472:
	s_sext_i32_i16 s0, s0
	s_delay_alu instid0(SALU_CYCLE_1)
	s_cmp_gt_i32 s0, 0
	s_mov_b32 s0, 0
	s_cbranch_scc0 .LBB43_1474
; %bb.1473:
	global_load_i8 v3, v[4:5], off
	s_wait_loadcnt 0x0
	v_cvt_f64_i32_e32 v[8:9], v3
	s_branch .LBB43_1475
.LBB43_1474:
	s_mov_b32 s0, -1
                                        ; implicit-def: $vgpr8_vgpr9
.LBB43_1475:
	s_delay_alu instid0(SALU_CYCLE_1)
	s_and_not1_b32 vcc_lo, exec_lo, s0
	s_cbranch_vccnz .LBB43_1477
; %bb.1476:
	global_load_u8 v3, v[4:5], off
	s_wait_loadcnt 0x0
	v_cvt_f64_u32_e32 v[8:9], v3
.LBB43_1477:
	s_or_b32 s12, s12, exec_lo
.LBB43_1478:
	s_wait_xcnt 0x0
	s_or_b32 exec_lo, exec_lo, s6
	s_mov_b32 s0, 0
	s_mov_b32 s8, 0
                                        ; implicit-def: $sgpr6
                                        ; implicit-def: $vgpr4_vgpr5
	s_and_saveexec_b32 s7, s12
	s_cbranch_execz .LBB43_1488
; %bb.1479:
	s_wait_loadcnt 0x0
	s_delay_alu instid0(VALU_DEP_1) | instskip(SKIP_1) | instid1(VALU_DEP_1)
	v_mul_f64_e32 v[4:5], s[10:11], v[8:9]
	s_mov_b32 s6, exec_lo
	v_cmpx_nlt_f64_e32 s[20:21], v[4:5]
	s_cbranch_execz .LBB43_1481
; %bb.1480:
	v_mul_f64_e32 v[6:7], 0x3ff71547652b82fe, v[4:5]
	s_mov_b64 s[8:9], 0x3e5ade156a5dcb37
	v_cmp_nlt_f64_e32 vcc_lo, 0x40900000, v[4:5]
	v_cmp_ngt_f64_e64 s0, 0xc090cc00, v[4:5]
	s_delay_alu instid0(VALU_DEP_3) | instskip(NEXT) | instid1(VALU_DEP_1)
	v_rndne_f64_e32 v[6:7], v[6:7]
	v_fmamk_f64 v[8:9], v[6:7], 0xbfe62e42fefa39ef, v[4:5]
	v_cvt_i32_f64_e32 v3, v[6:7]
	s_delay_alu instid0(VALU_DEP_2) | instskip(NEXT) | instid1(VALU_DEP_1)
	v_fmamk_f64 v[8:9], v[6:7], 0xbc7abc9e3b39803f, v[8:9]
	v_fmaak_f64 v[10:11], s[8:9], v[8:9], 0x3e928af3fca7ab0c
	s_delay_alu instid0(VALU_DEP_1) | instskip(NEXT) | instid1(VALU_DEP_1)
	v_fmaak_f64 v[10:11], v[8:9], v[10:11], 0x3ec71dee623fde64
	v_fmaak_f64 v[10:11], v[8:9], v[10:11], 0x3efa01997c89e6b0
	s_delay_alu instid0(VALU_DEP_1) | instskip(NEXT) | instid1(VALU_DEP_1)
	v_fmaak_f64 v[10:11], v[8:9], v[10:11], 0x3f2a01a014761f6e
	;; [unrolled: 3-line block ×4, first 2 shown]
	v_fmaak_f64 v[10:11], v[8:9], v[10:11], 0x3fe000000000000b
	s_delay_alu instid0(VALU_DEP_1) | instskip(NEXT) | instid1(VALU_DEP_1)
	v_fma_f64 v[10:11], v[8:9], v[10:11], 1.0
	v_fma_f64 v[6:7], v[8:9], v[10:11], 1.0
	s_delay_alu instid0(VALU_DEP_1) | instskip(NEXT) | instid1(VALU_DEP_1)
	v_ldexp_f64 v[6:7], v[6:7], v3
	v_cndmask_b32_e32 v3, 0x7ff00000, v7, vcc_lo
	s_and_b32 vcc_lo, s0, vcc_lo
	s_delay_alu instid0(VALU_DEP_1) | instid1(SALU_CYCLE_1)
	v_dual_cndmask_b32 v4, 0, v6, vcc_lo :: v_dual_cndmask_b32 v5, 0, v3, s0
	s_delay_alu instid0(VALU_DEP_1) | instskip(SKIP_1) | instid1(VALU_DEP_1)
	v_mul_f64_e32 v[0:1], v[0:1], v[4:5]
	v_add_f64_e32 v[4:5], 1.0, v[4:5]
	v_div_scale_f64 v[6:7], null, v[4:5], v[4:5], v[0:1]
	s_delay_alu instid0(VALU_DEP_1) | instskip(SKIP_1) | instid1(TRANS32_DEP_1)
	v_rcp_f64_e32 v[8:9], v[6:7]
	v_nop
	v_fma_f64 v[10:11], -v[6:7], v[8:9], 1.0
	s_delay_alu instid0(VALU_DEP_1) | instskip(NEXT) | instid1(VALU_DEP_1)
	v_fmac_f64_e32 v[8:9], v[8:9], v[10:11]
	v_fma_f64 v[10:11], -v[6:7], v[8:9], 1.0
	s_delay_alu instid0(VALU_DEP_1) | instskip(SKIP_1) | instid1(VALU_DEP_1)
	v_fmac_f64_e32 v[8:9], v[8:9], v[10:11]
	v_div_scale_f64 v[10:11], vcc_lo, v[0:1], v[4:5], v[0:1]
	v_mul_f64_e32 v[12:13], v[10:11], v[8:9]
	s_delay_alu instid0(VALU_DEP_1) | instskip(NEXT) | instid1(VALU_DEP_1)
	v_fma_f64 v[6:7], -v[6:7], v[12:13], v[10:11]
	v_div_fmas_f64 v[6:7], v[6:7], v[8:9], v[12:13]
	s_delay_alu instid0(VALU_DEP_1)
	v_div_fixup_f64 v[0:1], v[6:7], v[4:5], v[0:1]
.LBB43_1481:
	s_or_b32 exec_lo, exec_lo, s6
	v_mov_b32_e32 v3, 0
	s_and_b32 s6, s22, 0xff
	s_delay_alu instid0(SALU_CYCLE_1) | instskip(NEXT) | instid1(VALU_DEP_1)
	s_cmp_lt_i32 s6, 11
	v_add_nc_u64_e32 v[4:5], s[4:5], v[2:3]
	s_cbranch_scc1 .LBB43_1491
; %bb.1482:
	s_and_b32 s4, 0xffff, s6
	s_mov_b32 s5, -1
	s_cmp_gt_i32 s4, 25
	s_mov_b32 s0, s42
	s_cbranch_scc0 .LBB43_1519
; %bb.1483:
	s_cmp_gt_i32 s4, 28
	s_mov_b32 s0, s42
	s_cbranch_scc0 .LBB43_1503
; %bb.1484:
	s_cmp_gt_i32 s4, 43
	s_mov_b32 s0, s42
	s_cbranch_scc0 .LBB43_1499
; %bb.1485:
	s_cmp_gt_i32 s4, 45
	s_mov_b32 s0, s42
	s_cbranch_scc0 .LBB43_1493
; %bb.1486:
	s_cmp_eq_u32 s4, 46
	s_mov_b32 s0, -1
	s_cbranch_scc0 .LBB43_1492
; %bb.1487:
	s_delay_alu instid0(VALU_DEP_3) | instskip(SKIP_2) | instid1(VALU_DEP_1)
	v_cvt_f32_f64_e32 v2, v[0:1]
	s_mov_b32 s0, 0
	s_mov_b32 s5, 0
	v_bfe_u32 v3, v2, 16, 1
	v_cmp_o_f32_e32 vcc_lo, v2, v2
	s_delay_alu instid0(VALU_DEP_2) | instskip(NEXT) | instid1(VALU_DEP_1)
	v_add3_u32 v3, v2, v3, 0x7fff
	v_lshrrev_b32_e32 v3, 16, v3
	s_delay_alu instid0(VALU_DEP_1)
	v_cndmask_b32_e32 v2, 0x7fc0, v3, vcc_lo
	global_store_b32 v[4:5], v2, off
	s_branch .LBB43_1493
.LBB43_1488:
	s_or_b32 exec_lo, exec_lo, s7
	s_and_saveexec_b32 s4, s42
	s_cbranch_execnz .LBB43_1561
.LBB43_1489:
	s_or_b32 exec_lo, exec_lo, s4
	s_and_saveexec_b32 s4, s0
	s_delay_alu instid0(SALU_CYCLE_1)
	s_xor_b32 s0, exec_lo, s4
	s_cbranch_execz .LBB43_1562
.LBB43_1490:
	s_wait_loadcnt 0x0
	s_delay_alu instid0(VALU_DEP_1)
	v_cmp_neq_f64_e32 vcc_lo, 0, v[0:1]
	v_cndmask_b32_e64 v2, 0, 1, vcc_lo
	global_store_b8 v[4:5], v2, off
	s_wait_xcnt 0x0
	s_or_b32 exec_lo, exec_lo, s0
	s_and_saveexec_b32 s0, s8
	s_delay_alu instid0(SALU_CYCLE_1)
	s_xor_b32 s0, exec_lo, s0
	s_cbranch_execz .LBB43_1600
	s_branch .LBB43_1563
.LBB43_1491:
	s_mov_b32 s9, 0
	s_mov_b32 s5, -1
	s_mov_b32 s0, s42
	s_branch .LBB43_1560
.LBB43_1492:
	s_mov_b32 s5, 0
.LBB43_1493:
	s_delay_alu instid0(SALU_CYCLE_1)
	s_and_b32 vcc_lo, exec_lo, s5
	s_cbranch_vccz .LBB43_1498
; %bb.1494:
	s_cmp_eq_u32 s4, 44
	s_mov_b32 s0, -1
	s_cbranch_scc0 .LBB43_1498
; %bb.1495:
	s_wait_xcnt 0x0
	s_delay_alu instid0(VALU_DEP_3) | instskip(SKIP_2) | instid1(VALU_DEP_2)
	v_cvt_f32_f64_e32 v2, v[0:1]
	v_mov_b32_e32 v3, 0xff
	s_mov_b32 s5, exec_lo
	v_bfe_u32 v6, v2, 23, 8
	s_delay_alu instid0(VALU_DEP_1)
	v_cmpx_ne_u32_e32 0xff, v6
	s_cbranch_execz .LBB43_1497
; %bb.1496:
	v_and_b32_e32 v3, 0x400000, v2
	v_and_or_b32 v6, 0x3fffff, v2, v6
	v_lshrrev_b32_e32 v2, 23, v2
	s_delay_alu instid0(VALU_DEP_3) | instskip(NEXT) | instid1(VALU_DEP_3)
	v_cmp_ne_u32_e32 vcc_lo, 0, v3
	v_cmp_ne_u32_e64 s0, 0, v6
	s_and_b32 s0, vcc_lo, s0
	s_delay_alu instid0(SALU_CYCLE_1) | instskip(NEXT) | instid1(VALU_DEP_1)
	v_cndmask_b32_e64 v3, 0, 1, s0
	v_add_nc_u32_e32 v3, v2, v3
.LBB43_1497:
	s_or_b32 exec_lo, exec_lo, s5
	s_mov_b32 s0, 0
	global_store_b8 v[4:5], v3, off
.LBB43_1498:
	s_mov_b32 s5, 0
.LBB43_1499:
	s_delay_alu instid0(SALU_CYCLE_1)
	s_and_b32 vcc_lo, exec_lo, s5
	s_cbranch_vccz .LBB43_1502
; %bb.1500:
	s_cmp_eq_u32 s4, 29
	s_mov_b32 s0, -1
	s_cbranch_scc0 .LBB43_1502
; %bb.1501:
	s_wait_xcnt 0x0
	s_delay_alu instid0(VALU_DEP_3) | instskip(SKIP_2) | instid1(VALU_DEP_1)
	v_trunc_f64_e32 v[2:3], v[0:1]
	s_mov_b32 s0, 0
	s_mov_b32 s5, 0
	v_ldexp_f64 v[6:7], v[2:3], 0xffffffe0
	s_delay_alu instid0(VALU_DEP_1) | instskip(NEXT) | instid1(VALU_DEP_1)
	v_floor_f64_e32 v[6:7], v[6:7]
	v_fmamk_f64 v[2:3], v[6:7], 0xc1f00000, v[2:3]
	v_cvt_u32_f64_e32 v7, v[6:7]
	s_delay_alu instid0(VALU_DEP_2)
	v_cvt_u32_f64_e32 v6, v[2:3]
	global_store_b64 v[4:5], v[6:7], off
	s_branch .LBB43_1503
.LBB43_1502:
	s_mov_b32 s5, 0
.LBB43_1503:
	s_delay_alu instid0(SALU_CYCLE_1)
	s_and_b32 vcc_lo, exec_lo, s5
	s_cbranch_vccz .LBB43_1518
; %bb.1504:
	s_cmp_lt_i32 s4, 27
	s_mov_b32 s5, -1
	s_cbranch_scc1 .LBB43_1510
; %bb.1505:
	s_cmp_gt_i32 s4, 27
	s_cbranch_scc0 .LBB43_1507
; %bb.1506:
	s_wait_xcnt 0x0
	s_delay_alu instid0(VALU_DEP_3)
	v_cvt_u32_f64_e32 v2, v[0:1]
	s_mov_b32 s5, 0
	global_store_b32 v[4:5], v2, off
.LBB43_1507:
	s_and_not1_b32 vcc_lo, exec_lo, s5
	s_cbranch_vccnz .LBB43_1509
; %bb.1508:
	s_wait_xcnt 0x0
	s_delay_alu instid0(VALU_DEP_3)
	v_cvt_u32_f64_e32 v2, v[0:1]
	global_store_b16 v[4:5], v2, off
.LBB43_1509:
	s_mov_b32 s5, 0
.LBB43_1510:
	s_delay_alu instid0(SALU_CYCLE_1)
	s_and_not1_b32 vcc_lo, exec_lo, s5
	s_cbranch_vccnz .LBB43_1518
; %bb.1511:
	s_wait_xcnt 0x0
	s_delay_alu instid0(VALU_DEP_3) | instskip(SKIP_2) | instid1(VALU_DEP_2)
	v_cvt_f32_f64_e32 v2, v[0:1]
	v_mov_b32_e32 v6, 0x80
	s_mov_b32 s5, exec_lo
	v_and_b32_e32 v3, 0x7fffffff, v2
	s_delay_alu instid0(VALU_DEP_1)
	v_cmpx_gt_u32_e32 0x43800000, v3
	s_cbranch_execz .LBB43_1517
; %bb.1512:
	v_cmp_lt_u32_e32 vcc_lo, 0x3bffffff, v3
	s_mov_b32 s8, 0
                                        ; implicit-def: $vgpr3
	s_and_saveexec_b32 s9, vcc_lo
	s_delay_alu instid0(SALU_CYCLE_1)
	s_xor_b32 s9, exec_lo, s9
	s_cbranch_execz .LBB43_1659
; %bb.1513:
	v_bfe_u32 v3, v2, 20, 1
	s_mov_b32 s8, exec_lo
	s_delay_alu instid0(VALU_DEP_1) | instskip(NEXT) | instid1(VALU_DEP_1)
	v_add3_u32 v3, v2, v3, 0x487ffff
	v_lshrrev_b32_e32 v3, 20, v3
	s_and_not1_saveexec_b32 s9, s9
	s_cbranch_execnz .LBB43_1660
.LBB43_1514:
	s_or_b32 exec_lo, exec_lo, s9
	v_mov_b32_e32 v6, 0
	s_and_saveexec_b32 s9, s8
.LBB43_1515:
	v_lshrrev_b32_e32 v2, 24, v2
	s_delay_alu instid0(VALU_DEP_1)
	v_and_or_b32 v6, 0x80, v2, v3
.LBB43_1516:
	s_or_b32 exec_lo, exec_lo, s9
.LBB43_1517:
	s_delay_alu instid0(SALU_CYCLE_1)
	s_or_b32 exec_lo, exec_lo, s5
	global_store_b8 v[4:5], v6, off
.LBB43_1518:
	s_mov_b32 s5, 0
.LBB43_1519:
	s_delay_alu instid0(SALU_CYCLE_1)
	s_and_b32 vcc_lo, exec_lo, s5
	s_mov_b32 s5, 0
	s_cbranch_vccz .LBB43_1559
; %bb.1520:
	s_cmp_gt_i32 s4, 22
	s_mov_b32 s8, -1
	s_cbranch_scc0 .LBB43_1552
; %bb.1521:
	s_cmp_lt_i32 s4, 24
	s_cbranch_scc1 .LBB43_1541
; %bb.1522:
	s_cmp_gt_i32 s4, 24
	s_cbranch_scc0 .LBB43_1530
; %bb.1523:
	s_wait_xcnt 0x0
	s_delay_alu instid0(VALU_DEP_3) | instskip(SKIP_2) | instid1(VALU_DEP_2)
	v_cvt_f32_f64_e32 v2, v[0:1]
	v_mov_b32_e32 v6, 0x80
	s_mov_b32 s8, exec_lo
	v_and_b32_e32 v3, 0x7fffffff, v2
	s_delay_alu instid0(VALU_DEP_1)
	v_cmpx_gt_u32_e32 0x47800000, v3
	s_cbranch_execz .LBB43_1529
; %bb.1524:
	v_cmp_lt_u32_e32 vcc_lo, 0x37ffffff, v3
	s_mov_b32 s9, 0
                                        ; implicit-def: $vgpr3
	s_and_saveexec_b32 s10, vcc_lo
	s_delay_alu instid0(SALU_CYCLE_1)
	s_xor_b32 s10, exec_lo, s10
	s_cbranch_execz .LBB43_1785
; %bb.1525:
	v_bfe_u32 v3, v2, 21, 1
	s_mov_b32 s9, exec_lo
	s_delay_alu instid0(VALU_DEP_1) | instskip(NEXT) | instid1(VALU_DEP_1)
	v_add3_u32 v3, v2, v3, 0x88fffff
	v_lshrrev_b32_e32 v3, 21, v3
	s_and_not1_saveexec_b32 s10, s10
	s_cbranch_execnz .LBB43_1786
.LBB43_1526:
	s_or_b32 exec_lo, exec_lo, s10
	v_mov_b32_e32 v6, 0
	s_and_saveexec_b32 s10, s9
.LBB43_1527:
	v_lshrrev_b32_e32 v2, 24, v2
	s_delay_alu instid0(VALU_DEP_1)
	v_and_or_b32 v6, 0x80, v2, v3
.LBB43_1528:
	s_or_b32 exec_lo, exec_lo, s10
.LBB43_1529:
	s_delay_alu instid0(SALU_CYCLE_1)
	s_or_b32 exec_lo, exec_lo, s8
	s_mov_b32 s8, 0
	global_store_b8 v[4:5], v6, off
.LBB43_1530:
	s_and_b32 vcc_lo, exec_lo, s8
	s_cbranch_vccz .LBB43_1540
; %bb.1531:
	s_wait_xcnt 0x0
	s_delay_alu instid0(VALU_DEP_3) | instskip(SKIP_1) | instid1(VALU_DEP_1)
	v_cvt_f32_f64_e32 v2, v[0:1]
	s_mov_b32 s8, exec_lo
                                        ; implicit-def: $vgpr3
	v_and_b32_e32 v6, 0x7fffffff, v2
	s_delay_alu instid0(VALU_DEP_1)
	v_cmpx_gt_u32_e32 0x43f00000, v6
	s_xor_b32 s8, exec_lo, s8
	s_cbranch_execz .LBB43_1537
; %bb.1532:
	s_mov_b32 s9, exec_lo
                                        ; implicit-def: $vgpr3
	v_cmpx_lt_u32_e32 0x3c7fffff, v6
	s_xor_b32 s9, exec_lo, s9
; %bb.1533:
	v_bfe_u32 v3, v2, 20, 1
	s_delay_alu instid0(VALU_DEP_1) | instskip(NEXT) | instid1(VALU_DEP_1)
	v_add3_u32 v3, v2, v3, 0x407ffff
	v_and_b32_e32 v6, 0xff00000, v3
	v_lshrrev_b32_e32 v3, 20, v3
	s_delay_alu instid0(VALU_DEP_2) | instskip(NEXT) | instid1(VALU_DEP_2)
	v_cmp_ne_u32_e32 vcc_lo, 0x7f00000, v6
	v_cndmask_b32_e32 v3, 0x7e, v3, vcc_lo
; %bb.1534:
	s_and_not1_saveexec_b32 s9, s9
; %bb.1535:
	v_add_f32_e64 v3, 0x46800000, |v2|
; %bb.1536:
	s_or_b32 exec_lo, exec_lo, s9
                                        ; implicit-def: $vgpr6
.LBB43_1537:
	s_and_not1_saveexec_b32 s8, s8
; %bb.1538:
	v_mov_b32_e32 v3, 0x7f
	v_cmp_lt_u32_e32 vcc_lo, 0x7f800000, v6
	s_delay_alu instid0(VALU_DEP_2)
	v_cndmask_b32_e32 v3, 0x7e, v3, vcc_lo
; %bb.1539:
	s_or_b32 exec_lo, exec_lo, s8
	v_lshrrev_b32_e32 v2, 24, v2
	s_delay_alu instid0(VALU_DEP_1)
	v_and_or_b32 v2, 0x80, v2, v3
	global_store_b8 v[4:5], v2, off
.LBB43_1540:
	s_mov_b32 s8, 0
.LBB43_1541:
	s_delay_alu instid0(SALU_CYCLE_1)
	s_and_not1_b32 vcc_lo, exec_lo, s8
	s_cbranch_vccnz .LBB43_1551
; %bb.1542:
	s_wait_xcnt 0x0
	s_delay_alu instid0(VALU_DEP_3) | instskip(SKIP_1) | instid1(VALU_DEP_1)
	v_cvt_f32_f64_e32 v2, v[0:1]
	s_mov_b32 s8, exec_lo
                                        ; implicit-def: $vgpr3
	v_and_b32_e32 v6, 0x7fffffff, v2
	s_delay_alu instid0(VALU_DEP_1)
	v_cmpx_gt_u32_e32 0x47800000, v6
	s_xor_b32 s8, exec_lo, s8
	s_cbranch_execz .LBB43_1548
; %bb.1543:
	s_mov_b32 s9, exec_lo
                                        ; implicit-def: $vgpr3
	v_cmpx_lt_u32_e32 0x387fffff, v6
	s_xor_b32 s9, exec_lo, s9
; %bb.1544:
	v_bfe_u32 v3, v2, 21, 1
	s_delay_alu instid0(VALU_DEP_1) | instskip(NEXT) | instid1(VALU_DEP_1)
	v_add3_u32 v3, v2, v3, 0x80fffff
	v_lshrrev_b32_e32 v3, 21, v3
; %bb.1545:
	s_and_not1_saveexec_b32 s9, s9
; %bb.1546:
	v_add_f32_e64 v3, 0x43000000, |v2|
; %bb.1547:
	s_or_b32 exec_lo, exec_lo, s9
                                        ; implicit-def: $vgpr6
.LBB43_1548:
	s_and_not1_saveexec_b32 s8, s8
; %bb.1549:
	v_mov_b32_e32 v3, 0x7f
	v_cmp_lt_u32_e32 vcc_lo, 0x7f800000, v6
	s_delay_alu instid0(VALU_DEP_2)
	v_cndmask_b32_e32 v3, 0x7c, v3, vcc_lo
; %bb.1550:
	s_or_b32 exec_lo, exec_lo, s8
	v_lshrrev_b32_e32 v2, 24, v2
	s_delay_alu instid0(VALU_DEP_1)
	v_and_or_b32 v2, 0x80, v2, v3
	global_store_b8 v[4:5], v2, off
.LBB43_1551:
	s_mov_b32 s8, 0
.LBB43_1552:
	s_delay_alu instid0(SALU_CYCLE_1)
	s_and_not1_b32 vcc_lo, exec_lo, s8
	s_mov_b32 s9, 0
	s_cbranch_vccnz .LBB43_1560
; %bb.1553:
	s_cmp_gt_i32 s4, 14
	s_mov_b32 s8, -1
	s_cbranch_scc0 .LBB43_1557
; %bb.1554:
	s_cmp_eq_u32 s4, 15
	s_mov_b32 s0, -1
	s_cbranch_scc0 .LBB43_1556
; %bb.1555:
	s_wait_xcnt 0x0
	s_delay_alu instid0(VALU_DEP_3) | instskip(SKIP_1) | instid1(VALU_DEP_1)
	v_cvt_f32_f64_e32 v2, v[0:1]
	s_mov_b32 s0, 0
	v_bfe_u32 v3, v2, 16, 1
	v_cmp_o_f32_e32 vcc_lo, v2, v2
	s_delay_alu instid0(VALU_DEP_2) | instskip(NEXT) | instid1(VALU_DEP_1)
	v_add3_u32 v3, v2, v3, 0x7fff
	v_lshrrev_b32_e32 v3, 16, v3
	s_delay_alu instid0(VALU_DEP_1)
	v_cndmask_b32_e32 v2, 0x7fc0, v3, vcc_lo
	global_store_b16 v[4:5], v2, off
.LBB43_1556:
	s_mov_b32 s8, 0
.LBB43_1557:
	s_delay_alu instid0(SALU_CYCLE_1)
	s_and_b32 vcc_lo, exec_lo, s8
	s_cbranch_vccz .LBB43_1560
; %bb.1558:
	s_cmp_lg_u32 s4, 11
	s_mov_b32 s9, -1
	s_cselect_b32 s4, -1, 0
	s_and_not1_b32 s0, s0, exec_lo
	s_and_b32 s4, s4, exec_lo
	s_delay_alu instid0(SALU_CYCLE_1)
	s_or_b32 s0, s0, s4
	s_branch .LBB43_1560
.LBB43_1559:
	s_mov_b32 s9, 0
.LBB43_1560:
	s_and_b32 s8, s5, exec_lo
	s_and_not1_b32 s4, s42, exec_lo
	s_and_b32 s5, s0, exec_lo
	s_and_b32 s0, s9, exec_lo
	s_or_b32 s42, s4, s5
	s_wait_xcnt 0x0
	s_or_b32 exec_lo, exec_lo, s7
	s_and_saveexec_b32 s4, s42
	s_cbranch_execz .LBB43_1489
.LBB43_1561:
	s_or_b32 s1, s1, exec_lo
	s_and_not1_b32 s0, s0, exec_lo
	s_trap 2
	s_or_b32 exec_lo, exec_lo, s4
	s_and_saveexec_b32 s4, s0
	s_delay_alu instid0(SALU_CYCLE_1)
	s_xor_b32 s0, exec_lo, s4
	s_cbranch_execnz .LBB43_1490
.LBB43_1562:
	s_or_b32 exec_lo, exec_lo, s0
	s_and_saveexec_b32 s0, s8
	s_delay_alu instid0(SALU_CYCLE_1)
	s_xor_b32 s0, exec_lo, s0
	s_cbranch_execz .LBB43_1600
.LBB43_1563:
	s_sext_i32_i16 s5, s6
	s_mov_b32 s4, -1
	s_cmp_lt_i32 s5, 5
	s_cbranch_scc1 .LBB43_1584
; %bb.1564:
	s_cmp_lt_i32 s5, 8
	s_cbranch_scc1 .LBB43_1574
; %bb.1565:
	;; [unrolled: 3-line block ×3, first 2 shown]
	s_cmp_gt_i32 s5, 9
	s_cbranch_scc0 .LBB43_1568
; %bb.1567:
	v_mov_b32_e32 v2, 0
	s_mov_b32 s4, 0
	s_delay_alu instid0(VALU_DEP_1)
	v_mov_b32_e32 v3, v2
	s_wait_loadcnt 0x0
	global_store_b128 v[4:5], v[0:3], off
.LBB43_1568:
	s_and_not1_b32 vcc_lo, exec_lo, s4
	s_cbranch_vccnz .LBB43_1570
; %bb.1569:
	s_wait_loadcnt 0x0
	v_cvt_f32_f64_e32 v2, v[0:1]
	v_mov_b32_e32 v3, 0
	global_store_b64 v[4:5], v[2:3], off
.LBB43_1570:
	s_mov_b32 s4, 0
.LBB43_1571:
	s_delay_alu instid0(SALU_CYCLE_1)
	s_and_not1_b32 vcc_lo, exec_lo, s4
	s_cbranch_vccnz .LBB43_1573
; %bb.1572:
	s_wait_loadcnt 0x0
	v_and_or_b32 v2, 0x1ff, v1, v0
	v_lshrrev_b32_e32 v3, 8, v1
	v_bfe_u32 v6, v1, 20, 11
	s_delay_alu instid0(VALU_DEP_3) | instskip(NEXT) | instid1(VALU_DEP_2)
	v_cmp_ne_u32_e32 vcc_lo, 0, v2
	v_sub_nc_u32_e32 v7, 0x3f1, v6
	v_cndmask_b32_e64 v2, 0, 1, vcc_lo
	s_delay_alu instid0(VALU_DEP_1) | instskip(NEXT) | instid1(VALU_DEP_3)
	v_and_or_b32 v2, 0xffe, v3, v2
	v_med3_i32 v3, v7, 0, 13
	s_delay_alu instid0(VALU_DEP_2) | instskip(NEXT) | instid1(VALU_DEP_1)
	v_or_b32_e32 v7, 0x1000, v2
	v_lshrrev_b32_e32 v8, v3, v7
	s_delay_alu instid0(VALU_DEP_1) | instskip(NEXT) | instid1(VALU_DEP_1)
	v_lshlrev_b32_e32 v3, v3, v8
	v_cmp_ne_u32_e32 vcc_lo, v3, v7
	v_cndmask_b32_e64 v3, 0, 1, vcc_lo
	s_delay_alu instid0(VALU_DEP_1) | instskip(SKIP_1) | instid1(VALU_DEP_1)
	v_or_b32_e32 v3, v8, v3
	v_add_nc_u32_e32 v6, 0xfffffc10, v6
	v_lshl_or_b32 v7, v6, 12, v2
	v_cmp_gt_i32_e32 vcc_lo, 1, v6
	s_delay_alu instid0(VALU_DEP_2) | instskip(NEXT) | instid1(VALU_DEP_1)
	v_cndmask_b32_e32 v3, v7, v3, vcc_lo
	v_dual_lshrrev_b32 v3, 2, v3 :: v_dual_bitop2_b32 v7, 7, v3 bitop3:0x40
	s_delay_alu instid0(VALU_DEP_1) | instskip(SKIP_4) | instid1(VALU_DEP_2)
	v_cmp_lt_i32_e32 vcc_lo, 5, v7
	v_cndmask_b32_e64 v8, 0, 1, vcc_lo
	v_cmp_eq_u32_e32 vcc_lo, 3, v7
	v_cndmask_b32_e64 v7, 0, 1, vcc_lo
	v_cmp_ne_u32_e32 vcc_lo, 0, v2
	v_or_b32_e32 v7, v7, v8
	s_delay_alu instid0(VALU_DEP_1) | instskip(NEXT) | instid1(VALU_DEP_1)
	v_dual_mov_b32 v8, 0x7e00 :: v_dual_add_nc_u32 v3, v3, v7
	v_cndmask_b32_e32 v2, 0x7c00, v8, vcc_lo
	v_cmp_gt_i32_e32 vcc_lo, 31, v6
	v_lshrrev_b32_e32 v7, 16, v1
	s_delay_alu instid0(VALU_DEP_4) | instskip(SKIP_1) | instid1(VALU_DEP_2)
	v_cndmask_b32_e32 v3, 0x7c00, v3, vcc_lo
	v_cmp_eq_u32_e32 vcc_lo, 0x40f, v6
	v_cndmask_b32_e32 v2, v3, v2, vcc_lo
	s_delay_alu instid0(VALU_DEP_4) | instskip(NEXT) | instid1(VALU_DEP_1)
	v_and_b32_e32 v3, 0x8000, v7
	v_bitop3_b32 v2, v3, 0xffff, v2 bitop3:0xc8
	global_store_b32 v[4:5], v2, off
.LBB43_1573:
	s_mov_b32 s4, 0
.LBB43_1574:
	s_delay_alu instid0(SALU_CYCLE_1)
	s_and_not1_b32 vcc_lo, exec_lo, s4
	s_cbranch_vccnz .LBB43_1583
; %bb.1575:
	s_sext_i32_i16 s5, s6
	s_mov_b32 s4, -1
	s_cmp_lt_i32 s5, 6
	s_cbranch_scc1 .LBB43_1581
; %bb.1576:
	s_cmp_gt_i32 s5, 6
	s_cbranch_scc0 .LBB43_1578
; %bb.1577:
	s_mov_b32 s4, 0
	s_wait_loadcnt 0x0
	global_store_b64 v[4:5], v[0:1], off
.LBB43_1578:
	s_and_not1_b32 vcc_lo, exec_lo, s4
	s_cbranch_vccnz .LBB43_1580
; %bb.1579:
	s_wait_loadcnt 0x0
	v_cvt_f32_f64_e32 v2, v[0:1]
	global_store_b32 v[4:5], v2, off
.LBB43_1580:
	s_mov_b32 s4, 0
.LBB43_1581:
	s_delay_alu instid0(SALU_CYCLE_1)
	s_and_not1_b32 vcc_lo, exec_lo, s4
	s_cbranch_vccnz .LBB43_1583
; %bb.1582:
	s_wait_loadcnt 0x0
	v_and_or_b32 v2, 0x1ff, v1, v0
	v_lshrrev_b32_e32 v3, 8, v1
	v_bfe_u32 v6, v1, 20, 11
	s_delay_alu instid0(VALU_DEP_3) | instskip(NEXT) | instid1(VALU_DEP_2)
	v_cmp_ne_u32_e32 vcc_lo, 0, v2
	v_sub_nc_u32_e32 v7, 0x3f1, v6
	v_cndmask_b32_e64 v2, 0, 1, vcc_lo
	s_delay_alu instid0(VALU_DEP_1) | instskip(NEXT) | instid1(VALU_DEP_3)
	v_and_or_b32 v2, 0xffe, v3, v2
	v_med3_i32 v3, v7, 0, 13
	s_delay_alu instid0(VALU_DEP_2) | instskip(NEXT) | instid1(VALU_DEP_1)
	v_or_b32_e32 v7, 0x1000, v2
	v_lshrrev_b32_e32 v8, v3, v7
	s_delay_alu instid0(VALU_DEP_1) | instskip(NEXT) | instid1(VALU_DEP_1)
	v_lshlrev_b32_e32 v3, v3, v8
	v_cmp_ne_u32_e32 vcc_lo, v3, v7
	v_cndmask_b32_e64 v3, 0, 1, vcc_lo
	s_delay_alu instid0(VALU_DEP_1) | instskip(SKIP_1) | instid1(VALU_DEP_1)
	v_or_b32_e32 v3, v8, v3
	v_add_nc_u32_e32 v6, 0xfffffc10, v6
	v_lshl_or_b32 v7, v6, 12, v2
	v_cmp_gt_i32_e32 vcc_lo, 1, v6
	s_delay_alu instid0(VALU_DEP_2) | instskip(NEXT) | instid1(VALU_DEP_1)
	v_cndmask_b32_e32 v3, v7, v3, vcc_lo
	v_dual_lshrrev_b32 v3, 2, v3 :: v_dual_bitop2_b32 v7, 7, v3 bitop3:0x40
	s_delay_alu instid0(VALU_DEP_1) | instskip(SKIP_4) | instid1(VALU_DEP_2)
	v_cmp_lt_i32_e32 vcc_lo, 5, v7
	v_cndmask_b32_e64 v8, 0, 1, vcc_lo
	v_cmp_eq_u32_e32 vcc_lo, 3, v7
	v_cndmask_b32_e64 v7, 0, 1, vcc_lo
	v_cmp_ne_u32_e32 vcc_lo, 0, v2
	v_or_b32_e32 v7, v7, v8
	s_delay_alu instid0(VALU_DEP_1) | instskip(NEXT) | instid1(VALU_DEP_1)
	v_dual_mov_b32 v8, 0x7e00 :: v_dual_add_nc_u32 v3, v3, v7
	v_cndmask_b32_e32 v2, 0x7c00, v8, vcc_lo
	v_cmp_gt_i32_e32 vcc_lo, 31, v6
	s_delay_alu instid0(VALU_DEP_3) | instskip(SKIP_1) | instid1(VALU_DEP_2)
	v_cndmask_b32_e32 v3, 0x7c00, v3, vcc_lo
	v_cmp_eq_u32_e32 vcc_lo, 0x40f, v6
	v_dual_cndmask_b32 v2, v3, v2 :: v_dual_lshrrev_b32 v3, 16, v1
	s_delay_alu instid0(VALU_DEP_1)
	v_and_or_b32 v2, 0x8000, v3, v2
	global_store_b16 v[4:5], v2, off
.LBB43_1583:
	s_mov_b32 s4, 0
.LBB43_1584:
	s_delay_alu instid0(SALU_CYCLE_1)
	s_and_not1_b32 vcc_lo, exec_lo, s4
	s_cbranch_vccnz .LBB43_1600
; %bb.1585:
	s_sext_i32_i16 s5, s6
	s_mov_b32 s4, -1
	s_cmp_lt_i32 s5, 2
	s_cbranch_scc1 .LBB43_1595
; %bb.1586:
	s_cmp_lt_i32 s5, 3
	s_cbranch_scc1 .LBB43_1592
; %bb.1587:
	s_cmp_gt_i32 s5, 3
	s_cbranch_scc0 .LBB43_1589
; %bb.1588:
	s_wait_loadcnt 0x0
	v_trunc_f64_e32 v[2:3], v[0:1]
	s_mov_b32 s4, 0
	s_delay_alu instid0(VALU_DEP_1) | instskip(NEXT) | instid1(VALU_DEP_1)
	v_ldexp_f64 v[6:7], v[2:3], 0xffffffe0
	v_floor_f64_e32 v[6:7], v[6:7]
	s_delay_alu instid0(VALU_DEP_1) | instskip(SKIP_1) | instid1(VALU_DEP_2)
	v_fmamk_f64 v[2:3], v[6:7], 0xc1f00000, v[2:3]
	v_cvt_i32_f64_e32 v7, v[6:7]
	v_cvt_u32_f64_e32 v6, v[2:3]
	global_store_b64 v[4:5], v[6:7], off
.LBB43_1589:
	s_and_not1_b32 vcc_lo, exec_lo, s4
	s_cbranch_vccnz .LBB43_1591
; %bb.1590:
	s_wait_loadcnt 0x0
	v_cvt_i32_f64_e32 v2, v[0:1]
	global_store_b32 v[4:5], v2, off
.LBB43_1591:
	s_mov_b32 s4, 0
.LBB43_1592:
	s_delay_alu instid0(SALU_CYCLE_1)
	s_and_not1_b32 vcc_lo, exec_lo, s4
	s_cbranch_vccnz .LBB43_1594
; %bb.1593:
	s_wait_loadcnt 0x0
	v_cvt_i32_f64_e32 v2, v[0:1]
	global_store_b16 v[4:5], v2, off
.LBB43_1594:
	s_mov_b32 s4, 0
.LBB43_1595:
	s_delay_alu instid0(SALU_CYCLE_1)
	s_and_not1_b32 vcc_lo, exec_lo, s4
	s_cbranch_vccnz .LBB43_1600
; %bb.1596:
	s_sext_i32_i16 s4, s6
	s_delay_alu instid0(SALU_CYCLE_1)
	s_cmp_gt_i32 s4, 0
	s_mov_b32 s4, -1
	s_cbranch_scc0 .LBB43_1598
; %bb.1597:
	s_wait_loadcnt 0x0
	v_cvt_i32_f64_e32 v2, v[0:1]
	s_mov_b32 s4, 0
	global_store_b8 v[4:5], v2, off
.LBB43_1598:
	s_and_not1_b32 vcc_lo, exec_lo, s4
	s_cbranch_vccnz .LBB43_1600
; %bb.1599:
	s_wait_loadcnt 0x0
	v_trunc_f64_e32 v[0:1], v[0:1]
	s_delay_alu instid0(VALU_DEP_1) | instskip(NEXT) | instid1(VALU_DEP_1)
	v_ldexp_f64 v[2:3], v[0:1], 0xffffffe0
	v_floor_f64_e32 v[2:3], v[2:3]
	s_delay_alu instid0(VALU_DEP_1) | instskip(NEXT) | instid1(VALU_DEP_1)
	v_fmamk_f64 v[0:1], v[2:3], 0xc1f00000, v[0:1]
	v_cvt_u32_f64_e32 v0, v[0:1]
	global_store_b8 v[4:5], v0, off
.LBB43_1600:
	s_wait_xcnt 0x0
	s_or_b32 exec_lo, exec_lo, s0
	s_delay_alu instid0(SALU_CYCLE_1)
	s_and_b32 s14, s1, exec_lo
                                        ; implicit-def: $vgpr3
                                        ; implicit-def: $vgpr4
.LBB43_1601:
	s_or_saveexec_b32 s15, s36
	s_mov_b32 s0, 0
                                        ; implicit-def: $vgpr0_vgpr1
                                        ; implicit-def: $sgpr6
                                        ; implicit-def: $vgpr12_vgpr13
	s_xor_b32 exec_lo, exec_lo, s15
	s_cbranch_execz .LBB43_2776
; %bb.1602:
	s_wait_loadcnt 0x0
	v_cndmask_b32_e64 v1, 0, 1, s35
	s_and_not1_b32 vcc_lo, exec_lo, s35
	s_cbranch_vccnz .LBB43_1608
; %bb.1603:
	s_cmp_lg_u32 s23, 0
	s_mov_b32 s4, 0
	s_cbranch_scc0 .LBB43_1612
; %bb.1604:
	s_min_u32 s5, s33, 15
	v_dual_mov_b32 v2, 0 :: v_dual_mov_b32 v5, v4
	v_dual_mov_b32 v0, 0 :: v_dual_mov_b32 v24, 0
	s_add_co_i32 s6, s5, 1
	s_mov_b64 s[0:1], 0xffffffffffffffe8
	s_and_b32 s6, s6, 30
	s_add_nc_u64 s[0:1], s[2:3], s[0:1]
.LBB43_1605:                            ; =>This Inner Loop Header: Depth=1
	s_clause 0x1
	s_load_b128 s[8:11], s[0:1], 0x1c
	s_load_b64 s[12:13], s[0:1], 0x2c
	s_add_co_i32 s6, s6, -2
	s_delay_alu instid0(SALU_CYCLE_1) | instskip(SKIP_2) | instid1(VALU_DEP_1)
	s_cmp_lg_u32 s6, 0
	s_wait_kmcnt 0x0
	v_mul_hi_u32 v6, s9, v5
	v_add_nc_u32_e32 v6, v5, v6
	s_delay_alu instid0(VALU_DEP_1) | instskip(NEXT) | instid1(VALU_DEP_1)
	v_lshrrev_b32_e32 v6, s10, v6
	v_mul_hi_u32 v7, s12, v6
	v_mul_lo_u32 v8, v6, s8
	s_clause 0x1
	s_load_b128 s[16:19], s[0:1], 0xdc
	s_load_b64 s[8:9], s[0:1], 0xec
	s_wait_xcnt 0x0
	s_add_nc_u64 s[0:1], s[0:1], 24
	s_delay_alu instid0(VALU_DEP_1) | instskip(NEXT) | instid1(VALU_DEP_1)
	v_dual_add_nc_u32 v7, v6, v7 :: v_dual_sub_nc_u32 v8, v5, v8
	v_lshrrev_b32_e32 v5, s13, v7
	s_wait_kmcnt 0x0
	s_delay_alu instid0(VALU_DEP_2) | instskip(NEXT) | instid1(VALU_DEP_2)
	v_mad_u32 v2, v8, s16, v2
	v_mul_lo_u32 v7, v5, s11
	v_mad_u32 v9, v8, s18, v24
	v_mad_u32 v0, v8, s17, v0
	s_delay_alu instid0(VALU_DEP_3) | instskip(NEXT) | instid1(VALU_DEP_1)
	v_sub_nc_u32_e32 v6, v6, v7
	v_mad_u32 v2, v6, s19, v2
	s_delay_alu instid0(VALU_DEP_4) | instskip(NEXT) | instid1(VALU_DEP_4)
	v_mad_u32 v24, v6, s9, v9
	v_mad_u32 v0, v6, s8, v0
	s_cbranch_scc1 .LBB43_1605
; %bb.1606:
	s_bitcmp1_b32 s5, 0
	s_cselect_b32 s5, -1, 0
	s_delay_alu instid0(SALU_CYCLE_1)
	s_and_b32 vcc_lo, exec_lo, s5
	s_cbranch_vccnz .LBB43_1609
; %bb.1607:
	s_clause 0x1
	s_load_b96 s[8:10], s[0:1], 0x1c
	s_load_b96 s[16:18], s[0:1], 0xdc
	s_wait_kmcnt 0x0
	v_mul_hi_u32 v6, s9, v5
	s_delay_alu instid0(VALU_DEP_1) | instskip(NEXT) | instid1(VALU_DEP_1)
	v_add_nc_u32_e32 v6, v5, v6
	v_lshrrev_b32_e32 v6, s10, v6
	s_delay_alu instid0(VALU_DEP_1) | instskip(NEXT) | instid1(VALU_DEP_1)
	v_mul_lo_u32 v6, v6, s8
	v_sub_nc_u32_e32 v5, v5, v6
	s_delay_alu instid0(VALU_DEP_1)
	v_mad_u32 v2, v5, s16, v2
	v_mad_u32 v0, v5, s17, v0
	v_mad_u32 v24, v5, s18, v24
	s_and_not1_b32 vcc_lo, exec_lo, s4
	s_cbranch_vccz .LBB43_1610
	s_branch .LBB43_1613
.LBB43_1608:
	s_mov_b32 s4, -1
                                        ; implicit-def: $vgpr24
                                        ; implicit-def: $vgpr0
                                        ; implicit-def: $vgpr2
.LBB43_1609:
	s_delay_alu instid0(SALU_CYCLE_1)
	s_and_not1_b32 vcc_lo, exec_lo, s4
	s_cbranch_vccnz .LBB43_1613
.LBB43_1610:
	s_clause 0x1
	s_load_b96 s[4:6], s[2:3], 0x4
	s_load_b96 s[8:10], s[2:3], 0xc4
	s_cmp_lt_u32 s23, 2
	s_wait_kmcnt 0x0
	v_mul_hi_u32 v0, s5, v4
	s_delay_alu instid0(VALU_DEP_1) | instskip(NEXT) | instid1(VALU_DEP_1)
	v_add_nc_u32_e32 v0, v4, v0
	v_lshrrev_b32_e32 v5, s6, v0
	s_delay_alu instid0(VALU_DEP_1) | instskip(NEXT) | instid1(VALU_DEP_1)
	v_mul_lo_u32 v0, v5, s4
	v_sub_nc_u32_e32 v0, v4, v0
	s_delay_alu instid0(VALU_DEP_1)
	v_mul_lo_u32 v2, v0, s8
	v_mul_lo_u32 v24, v0, s10
	;; [unrolled: 1-line block ×3, first 2 shown]
	s_cbranch_scc1 .LBB43_1613
; %bb.1611:
	s_clause 0x1
	s_load_b96 s[4:6], s[2:3], 0x10
	s_load_b96 s[8:10], s[2:3], 0xd0
	s_wait_kmcnt 0x0
	v_mul_hi_u32 v6, s5, v5
	s_delay_alu instid0(VALU_DEP_1) | instskip(NEXT) | instid1(VALU_DEP_1)
	v_add_nc_u32_e32 v6, v5, v6
	v_lshrrev_b32_e32 v6, s6, v6
	s_delay_alu instid0(VALU_DEP_1) | instskip(NEXT) | instid1(VALU_DEP_1)
	v_mul_lo_u32 v6, v6, s4
	v_sub_nc_u32_e32 v5, v5, v6
	s_delay_alu instid0(VALU_DEP_1)
	v_mad_u32 v2, v5, s8, v2
	v_mad_u32 v0, v5, s9, v0
	;; [unrolled: 1-line block ×3, first 2 shown]
	s_branch .LBB43_1613
.LBB43_1612:
	v_dual_mov_b32 v24, 0 :: v_dual_mov_b32 v0, 0
	v_mov_b32_e32 v2, 0
	s_and_not1_b32 vcc_lo, exec_lo, s4
	s_cbranch_vccz .LBB43_1610
.LBB43_1613:
	v_cmp_ne_u32_e32 vcc_lo, 1, v1
	v_add_nc_u32_e32 v5, 0x80, v4
	s_cbranch_vccnz .LBB43_1619
; %bb.1614:
	s_cmp_lg_u32 s23, 0
	s_mov_b32 s4, 0
	s_cbranch_scc0 .LBB43_1623
; %bb.1615:
	s_min_u32 s5, s33, 15
	v_dual_mov_b32 v6, 0 :: v_dual_mov_b32 v7, v5
	v_dual_mov_b32 v22, 0 :: v_dual_mov_b32 v20, 0
	s_add_co_i32 s6, s5, 1
	s_mov_b64 s[0:1], 0xffffffffffffffe8
	s_and_b32 s6, s6, 30
	s_add_nc_u64 s[0:1], s[2:3], s[0:1]
.LBB43_1616:                            ; =>This Inner Loop Header: Depth=1
	s_clause 0x1
	s_load_b128 s[8:11], s[0:1], 0x1c
	s_load_b64 s[12:13], s[0:1], 0x2c
	s_add_co_i32 s6, s6, -2
	s_delay_alu instid0(SALU_CYCLE_1) | instskip(SKIP_2) | instid1(VALU_DEP_1)
	s_cmp_lg_u32 s6, 0
	s_wait_kmcnt 0x0
	v_mul_hi_u32 v8, s9, v7
	v_add_nc_u32_e32 v8, v7, v8
	s_delay_alu instid0(VALU_DEP_1) | instskip(NEXT) | instid1(VALU_DEP_1)
	v_lshrrev_b32_e32 v8, s10, v8
	v_mul_hi_u32 v9, s12, v8
	v_mul_lo_u32 v10, v8, s8
	s_clause 0x1
	s_load_b128 s[16:19], s[0:1], 0xdc
	s_load_b64 s[8:9], s[0:1], 0xec
	s_wait_xcnt 0x0
	s_add_nc_u64 s[0:1], s[0:1], 24
	s_delay_alu instid0(VALU_DEP_1) | instskip(NEXT) | instid1(VALU_DEP_1)
	v_dual_add_nc_u32 v9, v8, v9 :: v_dual_sub_nc_u32 v10, v7, v10
	v_lshrrev_b32_e32 v7, s13, v9
	s_wait_kmcnt 0x0
	s_delay_alu instid0(VALU_DEP_2) | instskip(NEXT) | instid1(VALU_DEP_2)
	v_mad_u32 v6, v10, s16, v6
	v_mul_lo_u32 v9, v7, s11
	v_mad_u32 v11, v10, s18, v20
	v_mad_u32 v10, v10, s17, v22
	s_delay_alu instid0(VALU_DEP_3) | instskip(NEXT) | instid1(VALU_DEP_1)
	v_sub_nc_u32_e32 v8, v8, v9
	v_mad_u32 v6, v8, s19, v6
	s_delay_alu instid0(VALU_DEP_4) | instskip(NEXT) | instid1(VALU_DEP_4)
	v_mad_u32 v20, v8, s9, v11
	v_mad_u32 v22, v8, s8, v10
	s_cbranch_scc1 .LBB43_1616
; %bb.1617:
	s_bitcmp1_b32 s5, 0
	s_cselect_b32 s5, -1, 0
	s_delay_alu instid0(SALU_CYCLE_1)
	s_and_b32 vcc_lo, exec_lo, s5
	s_cbranch_vccnz .LBB43_1620
; %bb.1618:
	s_clause 0x1
	s_load_b96 s[8:10], s[0:1], 0x1c
	s_load_b96 s[16:18], s[0:1], 0xdc
	s_wait_kmcnt 0x0
	v_mul_hi_u32 v8, s9, v7
	s_delay_alu instid0(VALU_DEP_1) | instskip(NEXT) | instid1(VALU_DEP_1)
	v_add_nc_u32_e32 v8, v7, v8
	v_lshrrev_b32_e32 v8, s10, v8
	s_delay_alu instid0(VALU_DEP_1) | instskip(NEXT) | instid1(VALU_DEP_1)
	v_mul_lo_u32 v8, v8, s8
	v_sub_nc_u32_e32 v7, v7, v8
	s_delay_alu instid0(VALU_DEP_1)
	v_mad_u32 v6, v7, s16, v6
	v_mad_u32 v22, v7, s17, v22
	;; [unrolled: 1-line block ×3, first 2 shown]
	s_and_not1_b32 vcc_lo, exec_lo, s4
	s_cbranch_vccz .LBB43_1621
	s_branch .LBB43_1624
.LBB43_1619:
	s_mov_b32 s4, -1
                                        ; implicit-def: $vgpr20
                                        ; implicit-def: $vgpr22
                                        ; implicit-def: $vgpr6
.LBB43_1620:
	s_delay_alu instid0(SALU_CYCLE_1)
	s_and_not1_b32 vcc_lo, exec_lo, s4
	s_cbranch_vccnz .LBB43_1624
.LBB43_1621:
	s_clause 0x1
	s_load_b96 s[4:6], s[2:3], 0x4
	s_load_b96 s[8:10], s[2:3], 0xc4
	s_cmp_lt_u32 s23, 2
	s_wait_kmcnt 0x0
	v_mul_hi_u32 v6, s5, v5
	s_delay_alu instid0(VALU_DEP_1) | instskip(NEXT) | instid1(VALU_DEP_1)
	v_add_nc_u32_e32 v6, v5, v6
	v_lshrrev_b32_e32 v7, s6, v6
	s_delay_alu instid0(VALU_DEP_1) | instskip(NEXT) | instid1(VALU_DEP_1)
	v_mul_lo_u32 v6, v7, s4
	v_sub_nc_u32_e32 v5, v5, v6
	s_delay_alu instid0(VALU_DEP_1)
	v_mul_lo_u32 v6, v5, s8
	v_mul_lo_u32 v20, v5, s10
	v_mul_lo_u32 v22, v5, s9
	s_cbranch_scc1 .LBB43_1624
; %bb.1622:
	s_clause 0x1
	s_load_b96 s[4:6], s[2:3], 0x10
	s_load_b96 s[8:10], s[2:3], 0xd0
	s_wait_kmcnt 0x0
	v_mul_hi_u32 v5, s5, v7
	s_delay_alu instid0(VALU_DEP_1) | instskip(NEXT) | instid1(VALU_DEP_1)
	v_add_nc_u32_e32 v5, v7, v5
	v_lshrrev_b32_e32 v5, s6, v5
	s_delay_alu instid0(VALU_DEP_1) | instskip(NEXT) | instid1(VALU_DEP_1)
	v_mul_lo_u32 v5, v5, s4
	v_sub_nc_u32_e32 v5, v7, v5
	s_delay_alu instid0(VALU_DEP_1)
	v_mad_u32 v6, v5, s8, v6
	v_mad_u32 v22, v5, s9, v22
	;; [unrolled: 1-line block ×3, first 2 shown]
	s_branch .LBB43_1624
.LBB43_1623:
	v_dual_mov_b32 v20, 0 :: v_dual_mov_b32 v22, 0
	v_mov_b32_e32 v6, 0
	s_and_not1_b32 vcc_lo, exec_lo, s4
	s_cbranch_vccz .LBB43_1621
.LBB43_1624:
	v_cmp_ne_u32_e32 vcc_lo, 1, v1
	v_add_nc_u32_e32 v4, 0x100, v4
	s_cbranch_vccnz .LBB43_1630
; %bb.1625:
	s_cmp_lg_u32 s23, 0
	s_mov_b32 s4, 0
	s_cbranch_scc0 .LBB43_1634
; %bb.1626:
	s_min_u32 s5, s33, 15
	v_dual_mov_b32 v10, 0 :: v_dual_mov_b32 v5, v4
	v_dual_mov_b32 v8, 0 :: v_dual_mov_b32 v18, 0
	s_add_co_i32 s6, s5, 1
	s_mov_b64 s[0:1], 0xffffffffffffffe8
	s_and_b32 s6, s6, 30
	s_add_nc_u64 s[0:1], s[2:3], s[0:1]
.LBB43_1627:                            ; =>This Inner Loop Header: Depth=1
	s_clause 0x1
	s_load_b128 s[8:11], s[0:1], 0x1c
	s_load_b64 s[12:13], s[0:1], 0x2c
	s_add_co_i32 s6, s6, -2
	s_delay_alu instid0(SALU_CYCLE_1) | instskip(SKIP_2) | instid1(VALU_DEP_1)
	s_cmp_lg_u32 s6, 0
	s_wait_kmcnt 0x0
	v_mul_hi_u32 v7, s9, v5
	v_add_nc_u32_e32 v7, v5, v7
	s_delay_alu instid0(VALU_DEP_1) | instskip(NEXT) | instid1(VALU_DEP_1)
	v_lshrrev_b32_e32 v7, s10, v7
	v_mul_hi_u32 v9, s12, v7
	v_mul_lo_u32 v11, v7, s8
	s_clause 0x1
	s_load_b128 s[16:19], s[0:1], 0xdc
	s_load_b64 s[8:9], s[0:1], 0xec
	s_wait_xcnt 0x0
	s_add_nc_u64 s[0:1], s[0:1], 24
	s_delay_alu instid0(VALU_DEP_1) | instskip(NEXT) | instid1(VALU_DEP_1)
	v_dual_add_nc_u32 v9, v7, v9 :: v_dual_sub_nc_u32 v11, v5, v11
	v_lshrrev_b32_e32 v5, s13, v9
	s_wait_kmcnt 0x0
	s_delay_alu instid0(VALU_DEP_2) | instskip(NEXT) | instid1(VALU_DEP_2)
	v_mad_u32 v10, v11, s16, v10
	v_mul_lo_u32 v9, v5, s11
	v_mad_u32 v12, v11, s18, v18
	v_mad_u32 v8, v11, s17, v8
	s_delay_alu instid0(VALU_DEP_3) | instskip(NEXT) | instid1(VALU_DEP_1)
	v_sub_nc_u32_e32 v7, v7, v9
	v_mad_u32 v10, v7, s19, v10
	s_delay_alu instid0(VALU_DEP_4) | instskip(NEXT) | instid1(VALU_DEP_4)
	v_mad_u32 v18, v7, s9, v12
	v_mad_u32 v8, v7, s8, v8
	s_cbranch_scc1 .LBB43_1627
; %bb.1628:
	s_bitcmp1_b32 s5, 0
	s_cselect_b32 s5, -1, 0
	s_delay_alu instid0(SALU_CYCLE_1)
	s_and_b32 vcc_lo, exec_lo, s5
	s_cbranch_vccnz .LBB43_1631
; %bb.1629:
	s_clause 0x1
	s_load_b96 s[8:10], s[0:1], 0x1c
	s_load_b96 s[16:18], s[0:1], 0xdc
	s_wait_kmcnt 0x0
	v_mul_hi_u32 v7, s9, v5
	s_delay_alu instid0(VALU_DEP_1) | instskip(NEXT) | instid1(VALU_DEP_1)
	v_add_nc_u32_e32 v7, v5, v7
	v_lshrrev_b32_e32 v7, s10, v7
	s_delay_alu instid0(VALU_DEP_1) | instskip(NEXT) | instid1(VALU_DEP_1)
	v_mul_lo_u32 v7, v7, s8
	v_sub_nc_u32_e32 v5, v5, v7
	s_delay_alu instid0(VALU_DEP_1)
	v_mad_u32 v10, v5, s16, v10
	v_mad_u32 v8, v5, s17, v8
	;; [unrolled: 1-line block ×3, first 2 shown]
	s_and_not1_b32 vcc_lo, exec_lo, s4
	s_cbranch_vccz .LBB43_1632
	s_branch .LBB43_1635
.LBB43_1630:
	s_mov_b32 s4, -1
                                        ; implicit-def: $vgpr18
                                        ; implicit-def: $vgpr8
                                        ; implicit-def: $vgpr10
.LBB43_1631:
	s_delay_alu instid0(SALU_CYCLE_1)
	s_and_not1_b32 vcc_lo, exec_lo, s4
	s_cbranch_vccnz .LBB43_1635
.LBB43_1632:
	s_clause 0x1
	s_load_b96 s[4:6], s[2:3], 0x4
	s_load_b96 s[8:10], s[2:3], 0xc4
	s_cmp_lt_u32 s23, 2
	s_wait_kmcnt 0x0
	v_mul_hi_u32 v5, s5, v4
	s_delay_alu instid0(VALU_DEP_1) | instskip(NEXT) | instid1(VALU_DEP_1)
	v_add_nc_u32_e32 v5, v4, v5
	v_lshrrev_b32_e32 v5, s6, v5
	s_delay_alu instid0(VALU_DEP_1) | instskip(NEXT) | instid1(VALU_DEP_1)
	v_mul_lo_u32 v7, v5, s4
	v_sub_nc_u32_e32 v4, v4, v7
	s_delay_alu instid0(VALU_DEP_1)
	v_mul_lo_u32 v10, v4, s8
	v_mul_lo_u32 v18, v4, s10
	;; [unrolled: 1-line block ×3, first 2 shown]
	s_cbranch_scc1 .LBB43_1635
; %bb.1633:
	s_clause 0x1
	s_load_b96 s[4:6], s[2:3], 0x10
	s_load_b96 s[8:10], s[2:3], 0xd0
	s_wait_kmcnt 0x0
	v_mul_hi_u32 v4, s5, v5
	s_delay_alu instid0(VALU_DEP_1) | instskip(NEXT) | instid1(VALU_DEP_1)
	v_add_nc_u32_e32 v4, v5, v4
	v_lshrrev_b32_e32 v4, s6, v4
	s_delay_alu instid0(VALU_DEP_1) | instskip(NEXT) | instid1(VALU_DEP_1)
	v_mul_lo_u32 v4, v4, s4
	v_sub_nc_u32_e32 v4, v5, v4
	s_delay_alu instid0(VALU_DEP_1)
	v_mad_u32 v10, v4, s8, v10
	v_mad_u32 v8, v4, s9, v8
	;; [unrolled: 1-line block ×3, first 2 shown]
	s_branch .LBB43_1635
.LBB43_1634:
	v_dual_mov_b32 v18, 0 :: v_dual_mov_b32 v8, 0
	v_mov_b32_e32 v10, 0
	s_and_not1_b32 vcc_lo, exec_lo, s4
	s_cbranch_vccz .LBB43_1632
.LBB43_1635:
	v_cmp_ne_u32_e32 vcc_lo, 1, v1
	s_cbranch_vccnz .LBB43_1641
; %bb.1636:
	s_cmp_lg_u32 s23, 0
	s_mov_b32 s4, 0
	s_cbranch_scc0 .LBB43_1645
; %bb.1637:
	s_min_u32 s5, s33, 15
	v_dual_mov_b32 v14, 0 :: v_dual_mov_b32 v1, v3
	v_dual_mov_b32 v12, 0 :: v_dual_mov_b32 v16, 0
	s_add_co_i32 s6, s5, 1
	s_mov_b64 s[0:1], 0xffffffffffffffe8
	s_and_b32 s6, s6, 30
	s_add_nc_u64 s[0:1], s[2:3], s[0:1]
.LBB43_1638:                            ; =>This Inner Loop Header: Depth=1
	s_clause 0x1
	s_load_b128 s[8:11], s[0:1], 0x1c
	s_load_b64 s[12:13], s[0:1], 0x2c
	s_add_co_i32 s6, s6, -2
	s_delay_alu instid0(SALU_CYCLE_1) | instskip(SKIP_2) | instid1(VALU_DEP_1)
	s_cmp_lg_u32 s6, 0
	s_wait_kmcnt 0x0
	v_mul_hi_u32 v4, s9, v1
	v_add_nc_u32_e32 v4, v1, v4
	s_delay_alu instid0(VALU_DEP_1) | instskip(NEXT) | instid1(VALU_DEP_1)
	v_lshrrev_b32_e32 v4, s10, v4
	v_mul_hi_u32 v5, s12, v4
	v_mul_lo_u32 v7, v4, s8
	s_clause 0x1
	s_load_b128 s[16:19], s[0:1], 0xdc
	s_load_b64 s[8:9], s[0:1], 0xec
	s_wait_xcnt 0x0
	s_add_nc_u64 s[0:1], s[0:1], 24
	s_delay_alu instid0(VALU_DEP_1) | instskip(NEXT) | instid1(VALU_DEP_1)
	v_dual_add_nc_u32 v5, v4, v5 :: v_dual_sub_nc_u32 v7, v1, v7
	v_lshrrev_b32_e32 v1, s13, v5
	s_wait_kmcnt 0x0
	s_delay_alu instid0(VALU_DEP_2) | instskip(NEXT) | instid1(VALU_DEP_2)
	v_mad_u32 v9, v7, s16, v14
	v_mul_lo_u32 v5, v1, s11
	v_mad_u32 v11, v7, s18, v16
	v_mad_u32 v7, v7, s17, v12
	s_delay_alu instid0(VALU_DEP_3) | instskip(NEXT) | instid1(VALU_DEP_1)
	v_sub_nc_u32_e32 v4, v4, v5
	v_mad_u32 v14, v4, s19, v9
	s_delay_alu instid0(VALU_DEP_4) | instskip(NEXT) | instid1(VALU_DEP_4)
	v_mad_u32 v16, v4, s9, v11
	v_mad_u32 v12, v4, s8, v7
	s_cbranch_scc1 .LBB43_1638
; %bb.1639:
	s_bitcmp1_b32 s5, 0
	s_cselect_b32 s5, -1, 0
	s_delay_alu instid0(SALU_CYCLE_1)
	s_and_b32 vcc_lo, exec_lo, s5
	s_cbranch_vccnz .LBB43_1642
; %bb.1640:
	s_clause 0x1
	s_load_b96 s[8:10], s[0:1], 0x1c
	s_load_b96 s[16:18], s[0:1], 0xdc
	s_wait_kmcnt 0x0
	v_mul_hi_u32 v4, s9, v1
	s_delay_alu instid0(VALU_DEP_1) | instskip(NEXT) | instid1(VALU_DEP_1)
	v_add_nc_u32_e32 v4, v1, v4
	v_lshrrev_b32_e32 v4, s10, v4
	s_delay_alu instid0(VALU_DEP_1) | instskip(NEXT) | instid1(VALU_DEP_1)
	v_mul_lo_u32 v4, v4, s8
	v_sub_nc_u32_e32 v1, v1, v4
	s_delay_alu instid0(VALU_DEP_1)
	v_mad_u32 v14, v1, s16, v14
	v_mad_u32 v12, v1, s17, v12
	;; [unrolled: 1-line block ×3, first 2 shown]
	s_and_not1_b32 vcc_lo, exec_lo, s4
	s_cbranch_vccz .LBB43_1643
	s_branch .LBB43_1646
.LBB43_1641:
	s_mov_b32 s4, -1
                                        ; implicit-def: $vgpr16
                                        ; implicit-def: $vgpr12
                                        ; implicit-def: $vgpr14
.LBB43_1642:
	s_delay_alu instid0(SALU_CYCLE_1)
	s_and_not1_b32 vcc_lo, exec_lo, s4
	s_cbranch_vccnz .LBB43_1646
.LBB43_1643:
	s_clause 0x1
	s_load_b96 s[4:6], s[2:3], 0x4
	s_load_b96 s[8:10], s[2:3], 0xc4
	s_cmp_lt_u32 s23, 2
	s_wait_kmcnt 0x0
	v_mul_hi_u32 v1, s5, v3
	s_delay_alu instid0(VALU_DEP_1) | instskip(NEXT) | instid1(VALU_DEP_1)
	v_add_nc_u32_e32 v1, v3, v1
	v_lshrrev_b32_e32 v1, s6, v1
	s_delay_alu instid0(VALU_DEP_1) | instskip(NEXT) | instid1(VALU_DEP_1)
	v_mul_lo_u32 v4, v1, s4
	v_sub_nc_u32_e32 v3, v3, v4
	s_delay_alu instid0(VALU_DEP_1)
	v_mul_lo_u32 v14, v3, s8
	v_mul_lo_u32 v16, v3, s10
	;; [unrolled: 1-line block ×3, first 2 shown]
	s_cbranch_scc1 .LBB43_1646
; %bb.1644:
	s_clause 0x1
	s_load_b96 s[4:6], s[2:3], 0x10
	s_load_b96 s[8:10], s[2:3], 0xd0
	s_wait_kmcnt 0x0
	v_mul_hi_u32 v3, s5, v1
	s_delay_alu instid0(VALU_DEP_1) | instskip(NEXT) | instid1(VALU_DEP_1)
	v_add_nc_u32_e32 v3, v1, v3
	v_lshrrev_b32_e32 v3, s6, v3
	s_delay_alu instid0(VALU_DEP_1) | instskip(NEXT) | instid1(VALU_DEP_1)
	v_mul_lo_u32 v3, v3, s4
	v_sub_nc_u32_e32 v1, v1, v3
	s_delay_alu instid0(VALU_DEP_1)
	v_mad_u32 v14, v1, s8, v14
	v_mad_u32 v12, v1, s9, v12
	;; [unrolled: 1-line block ×3, first 2 shown]
	s_branch .LBB43_1646
.LBB43_1645:
	v_dual_mov_b32 v16, 0 :: v_dual_mov_b32 v12, 0
	v_mov_b32_e32 v14, 0
	s_and_not1_b32 vcc_lo, exec_lo, s4
	s_cbranch_vccz .LBB43_1643
.LBB43_1646:
	v_mov_b32_e32 v1, 0
	s_load_b128 s[4:7], s[2:3], 0x188
	global_load_u8 v3, v1, s[2:3] offset:433
	s_wait_loadcnt 0x0
	v_and_b32_e32 v4, 0xffff, v3
	v_readfirstlane_b32 s16, v3
	s_delay_alu instid0(VALU_DEP_2)
	v_cmp_gt_i32_e32 vcc_lo, 11, v4
	s_wait_kmcnt 0x0
	v_add_nc_u64_e32 v[4:5], s[6:7], v[0:1]
	s_cbranch_vccnz .LBB43_1653
; %bb.1647:
	s_and_b32 s0, 0xffff, s16
	s_mov_b32 s8, 0
	s_cmp_gt_i32 s0, 25
	s_cbranch_scc0 .LBB43_1655
; %bb.1648:
	s_cmp_gt_i32 s0, 28
	s_cbranch_scc0 .LBB43_1656
; %bb.1649:
	;; [unrolled: 3-line block ×4, first 2 shown]
	s_cmp_eq_u32 s0, 46
	s_mov_b32 s10, 0
	s_cbranch_scc0 .LBB43_1661
; %bb.1652:
	global_load_b32 v0, v[4:5], off
	s_mov_b32 s1, 0
	s_mov_b32 s9, -1
	s_wait_loadcnt 0x0
	v_lshlrev_b32_e32 v0, 16, v0
	s_wait_xcnt 0x1
	s_delay_alu instid0(VALU_DEP_1)
	v_cvt_f64_f32_e32 v[0:1], v0
	s_branch .LBB43_1663
.LBB43_1653:
	s_mov_b32 s9, 0
	s_mov_b32 s1, s14
                                        ; implicit-def: $vgpr0_vgpr1
	s_cbranch_execnz .LBB43_1726
.LBB43_1654:
	s_and_not1_b32 vcc_lo, exec_lo, s9
	s_cbranch_vccz .LBB43_1771
	s_branch .LBB43_2774
.LBB43_1655:
	s_mov_b32 s9, 0
	s_mov_b32 s1, 0
                                        ; implicit-def: $vgpr0_vgpr1
	s_cbranch_execnz .LBB43_1691
	s_branch .LBB43_1722
.LBB43_1656:
	s_mov_b32 s10, -1
	s_mov_b32 s9, 0
	s_mov_b32 s1, 0
                                        ; implicit-def: $vgpr0_vgpr1
	s_branch .LBB43_1672
.LBB43_1657:
	s_mov_b32 s9, 0
	s_mov_b32 s1, 0
                                        ; implicit-def: $vgpr0_vgpr1
	s_cbranch_execnz .LBB43_1668
	s_branch .LBB43_1671
.LBB43_1658:
	s_mov_b32 s10, -1
	s_mov_b32 s9, 0
	s_mov_b32 s1, 0
	s_branch .LBB43_1662
.LBB43_1659:
	s_and_not1_saveexec_b32 s9, s9
	s_cbranch_execz .LBB43_1514
.LBB43_1660:
	v_add_f32_e64 v3, 0x46000000, |v2|
	s_and_not1_b32 s8, s8, exec_lo
	s_delay_alu instid0(VALU_DEP_1) | instskip(NEXT) | instid1(VALU_DEP_1)
	v_and_b32_e32 v3, 0xff, v3
	v_cmp_ne_u32_e32 vcc_lo, 0, v3
	s_and_b32 s10, vcc_lo, exec_lo
	s_delay_alu instid0(SALU_CYCLE_1)
	s_or_b32 s8, s8, s10
	s_or_b32 exec_lo, exec_lo, s9
	v_mov_b32_e32 v6, 0
	s_and_saveexec_b32 s9, s8
	s_cbranch_execnz .LBB43_1515
	s_branch .LBB43_1516
.LBB43_1661:
	s_mov_b32 s1, -1
	s_mov_b32 s9, 0
.LBB43_1662:
                                        ; implicit-def: $vgpr0_vgpr1
.LBB43_1663:
	s_and_b32 vcc_lo, exec_lo, s10
	s_cbranch_vccz .LBB43_1666
; %bb.1664:
	s_cmp_eq_u32 s0, 44
	s_cbranch_scc0 .LBB43_1667
; %bb.1665:
	global_load_u8 v3, v[4:5], off
	s_mov_b32 s1, 0
	s_mov_b32 s9, -1
	s_wait_loadcnt 0x0
	v_cmp_ne_u32_e32 vcc_lo, 0xff, v3
	v_lshlrev_b32_e32 v0, 23, v3
	s_wait_xcnt 0x1
	s_delay_alu instid0(VALU_DEP_1) | instskip(NEXT) | instid1(VALU_DEP_1)
	v_cvt_f64_f32_e32 v[0:1], v0
	v_cndmask_b32_e32 v0, 0x20000000, v0, vcc_lo
	s_delay_alu instid0(VALU_DEP_2) | instskip(SKIP_1) | instid1(VALU_DEP_2)
	v_cndmask_b32_e32 v1, 0x7ff80000, v1, vcc_lo
	v_cmp_ne_u32_e32 vcc_lo, 0, v3
	v_cndmask_b32_e32 v1, 0x38000000, v1, vcc_lo
	s_delay_alu instid0(VALU_DEP_4)
	v_cndmask_b32_e32 v0, 0, v0, vcc_lo
.LBB43_1666:
	s_branch .LBB43_1671
.LBB43_1667:
	s_mov_b32 s1, -1
                                        ; implicit-def: $vgpr0_vgpr1
	s_branch .LBB43_1671
.LBB43_1668:
	s_cmp_eq_u32 s0, 29
	s_cbranch_scc0 .LBB43_1670
; %bb.1669:
	global_load_b64 v[0:1], v[4:5], off
	s_mov_b32 s1, 0
	s_mov_b32 s9, -1
	s_mov_b32 s10, 0
	s_wait_loadcnt 0x0
	v_cvt_f64_u32_e32 v[26:27], v1
	v_cvt_f64_u32_e32 v[0:1], v0
	s_delay_alu instid0(VALU_DEP_2) | instskip(NEXT) | instid1(VALU_DEP_1)
	v_ldexp_f64 v[26:27], v[26:27], 32
	v_add_f64_e32 v[0:1], v[26:27], v[0:1]
	s_branch .LBB43_1672
.LBB43_1670:
	s_mov_b32 s1, -1
                                        ; implicit-def: $vgpr0_vgpr1
.LBB43_1671:
	s_mov_b32 s10, 0
.LBB43_1672:
	s_delay_alu instid0(SALU_CYCLE_1)
	s_and_b32 vcc_lo, exec_lo, s10
	s_cbranch_vccz .LBB43_1690
; %bb.1673:
	s_cmp_lt_i32 s0, 27
	s_cbranch_scc1 .LBB43_1676
; %bb.1674:
	s_cmp_gt_i32 s0, 27
	s_cbranch_scc0 .LBB43_1677
; %bb.1675:
	global_load_b32 v0, v[4:5], off
	s_mov_b32 s9, 0
	s_wait_loadcnt 0x0
	s_wait_xcnt 0x1
	v_cvt_f64_u32_e32 v[0:1], v0
	s_branch .LBB43_1678
.LBB43_1676:
	s_mov_b32 s9, -1
                                        ; implicit-def: $vgpr0_vgpr1
	s_branch .LBB43_1681
.LBB43_1677:
	s_mov_b32 s9, -1
                                        ; implicit-def: $vgpr0_vgpr1
.LBB43_1678:
	s_delay_alu instid0(SALU_CYCLE_1)
	s_and_not1_b32 vcc_lo, exec_lo, s9
	s_cbranch_vccnz .LBB43_1680
; %bb.1679:
	global_load_u16 v0, v[4:5], off
	s_wait_loadcnt 0x0
	s_wait_xcnt 0x1
	v_cvt_f64_u32_e32 v[0:1], v0
.LBB43_1680:
	s_mov_b32 s9, 0
.LBB43_1681:
	s_delay_alu instid0(SALU_CYCLE_1)
	s_and_not1_b32 vcc_lo, exec_lo, s9
	s_cbranch_vccnz .LBB43_1689
; %bb.1682:
	global_load_u8 v3, v[4:5], off
	s_mov_b32 s9, 0
	s_mov_b32 s10, exec_lo
	s_wait_loadcnt 0x0
	v_cmpx_lt_i16_e32 0x7f, v3
	s_xor_b32 s10, exec_lo, s10
	s_cbranch_execz .LBB43_1702
; %bb.1683:
	s_mov_b32 s9, -1
	s_mov_b32 s11, exec_lo
	v_cmpx_eq_u16_e32 0x80, v3
; %bb.1684:
	s_xor_b32 s9, exec_lo, -1
; %bb.1685:
	s_or_b32 exec_lo, exec_lo, s11
	s_delay_alu instid0(SALU_CYCLE_1)
	s_and_b32 s9, s9, exec_lo
	s_or_saveexec_b32 s10, s10
	v_mov_b64_e32 v[0:1], 0x7ff8000020000000
	s_xor_b32 exec_lo, exec_lo, s10
	s_cbranch_execnz .LBB43_1703
.LBB43_1686:
	s_or_b32 exec_lo, exec_lo, s10
	s_and_saveexec_b32 s10, s9
	s_cbranch_execz .LBB43_1688
.LBB43_1687:
	v_and_b32_e32 v0, 0xffff, v3
	s_delay_alu instid0(VALU_DEP_1) | instskip(SKIP_1) | instid1(VALU_DEP_2)
	v_and_b32_e32 v1, 7, v0
	v_bfe_u32 v11, v0, 3, 4
	v_clz_i32_u32_e32 v7, v1
	s_delay_alu instid0(VALU_DEP_2) | instskip(NEXT) | instid1(VALU_DEP_2)
	v_cmp_eq_u32_e32 vcc_lo, 0, v11
	v_min_u32_e32 v7, 32, v7
	s_delay_alu instid0(VALU_DEP_1) | instskip(NEXT) | instid1(VALU_DEP_1)
	v_subrev_nc_u32_e32 v9, 28, v7
	v_dual_lshlrev_b32 v0, v9, v0 :: v_dual_sub_nc_u32 v7, 29, v7
	s_delay_alu instid0(VALU_DEP_1) | instskip(NEXT) | instid1(VALU_DEP_1)
	v_dual_lshlrev_b32 v3, 24, v3 :: v_dual_bitop2_b32 v0, 7, v0 bitop3:0x40
	v_dual_cndmask_b32 v0, v1, v0 :: v_dual_cndmask_b32 v7, v11, v7
	s_delay_alu instid0(VALU_DEP_2) | instskip(NEXT) | instid1(VALU_DEP_2)
	v_and_b32_e32 v1, 0x80000000, v3
	v_lshlrev_b32_e32 v0, 20, v0
	s_delay_alu instid0(VALU_DEP_3) | instskip(NEXT) | instid1(VALU_DEP_1)
	v_lshl_add_u32 v3, v7, 23, 0x3b800000
	v_or3_b32 v0, v1, v3, v0
	s_delay_alu instid0(VALU_DEP_1)
	v_cvt_f64_f32_e32 v[0:1], v0
.LBB43_1688:
	s_or_b32 exec_lo, exec_lo, s10
.LBB43_1689:
	s_mov_b32 s9, -1
.LBB43_1690:
	s_branch .LBB43_1722
.LBB43_1691:
	s_cmp_gt_i32 s0, 22
	s_cbranch_scc0 .LBB43_1701
; %bb.1692:
	s_cmp_lt_i32 s0, 24
	s_cbranch_scc1 .LBB43_1704
; %bb.1693:
	s_cmp_gt_i32 s0, 24
	s_cbranch_scc0 .LBB43_1705
; %bb.1694:
	global_load_u8 v3, v[4:5], off
	s_mov_b32 s9, exec_lo
	s_wait_loadcnt 0x0
	v_cmpx_lt_i16_e32 0x7f, v3
	s_xor_b32 s9, exec_lo, s9
	s_cbranch_execz .LBB43_1716
; %bb.1695:
	s_mov_b32 s8, -1
	s_mov_b32 s10, exec_lo
	v_cmpx_eq_u16_e32 0x80, v3
; %bb.1696:
	s_xor_b32 s8, exec_lo, -1
; %bb.1697:
	s_or_b32 exec_lo, exec_lo, s10
	s_delay_alu instid0(SALU_CYCLE_1)
	s_and_b32 s8, s8, exec_lo
	s_or_saveexec_b32 s9, s9
	v_mov_b64_e32 v[0:1], 0x7ff8000020000000
	s_xor_b32 exec_lo, exec_lo, s9
	s_cbranch_execnz .LBB43_1717
.LBB43_1698:
	s_or_b32 exec_lo, exec_lo, s9
	s_and_saveexec_b32 s9, s8
	s_cbranch_execz .LBB43_1700
.LBB43_1699:
	v_and_b32_e32 v0, 0xffff, v3
	s_delay_alu instid0(VALU_DEP_1) | instskip(SKIP_1) | instid1(VALU_DEP_2)
	v_and_b32_e32 v1, 3, v0
	v_bfe_u32 v11, v0, 2, 5
	v_clz_i32_u32_e32 v7, v1
	s_delay_alu instid0(VALU_DEP_2) | instskip(NEXT) | instid1(VALU_DEP_2)
	v_cmp_eq_u32_e32 vcc_lo, 0, v11
	v_min_u32_e32 v7, 32, v7
	s_delay_alu instid0(VALU_DEP_1) | instskip(NEXT) | instid1(VALU_DEP_1)
	v_subrev_nc_u32_e32 v9, 29, v7
	v_dual_lshlrev_b32 v0, v9, v0 :: v_dual_sub_nc_u32 v7, 30, v7
	s_delay_alu instid0(VALU_DEP_1) | instskip(NEXT) | instid1(VALU_DEP_1)
	v_dual_lshlrev_b32 v3, 24, v3 :: v_dual_bitop2_b32 v0, 3, v0 bitop3:0x40
	v_dual_cndmask_b32 v0, v1, v0 :: v_dual_cndmask_b32 v7, v11, v7
	s_delay_alu instid0(VALU_DEP_2) | instskip(NEXT) | instid1(VALU_DEP_2)
	v_and_b32_e32 v1, 0x80000000, v3
	v_lshlrev_b32_e32 v0, 21, v0
	s_delay_alu instid0(VALU_DEP_3) | instskip(NEXT) | instid1(VALU_DEP_1)
	v_lshl_add_u32 v3, v7, 23, 0x37800000
	v_or3_b32 v0, v1, v3, v0
	s_delay_alu instid0(VALU_DEP_1)
	v_cvt_f64_f32_e32 v[0:1], v0
.LBB43_1700:
	s_or_b32 exec_lo, exec_lo, s9
	s_mov_b32 s8, 0
	s_branch .LBB43_1706
.LBB43_1701:
                                        ; implicit-def: $vgpr0_vgpr1
	s_mov_b32 s8, 0
	s_branch .LBB43_1712
.LBB43_1702:
	s_or_saveexec_b32 s10, s10
	v_mov_b64_e32 v[0:1], 0x7ff8000020000000
	s_xor_b32 exec_lo, exec_lo, s10
	s_cbranch_execz .LBB43_1686
.LBB43_1703:
	v_cmp_ne_u16_e32 vcc_lo, 0, v3
	v_mov_b64_e32 v[0:1], 0
	s_and_not1_b32 s9, s9, exec_lo
	s_and_b32 s11, vcc_lo, exec_lo
	s_delay_alu instid0(SALU_CYCLE_1)
	s_or_b32 s9, s9, s11
	s_or_b32 exec_lo, exec_lo, s10
	s_and_saveexec_b32 s10, s9
	s_cbranch_execnz .LBB43_1687
	s_branch .LBB43_1688
.LBB43_1704:
	s_mov_b32 s8, -1
                                        ; implicit-def: $vgpr0_vgpr1
	s_branch .LBB43_1709
.LBB43_1705:
	s_mov_b32 s8, -1
                                        ; implicit-def: $vgpr0_vgpr1
.LBB43_1706:
	s_delay_alu instid0(SALU_CYCLE_1)
	s_and_b32 vcc_lo, exec_lo, s8
	s_cbranch_vccz .LBB43_1708
; %bb.1707:
	global_load_u8 v0, v[4:5], off
	s_wait_loadcnt 0x0
	v_lshlrev_b32_e32 v0, 24, v0
	s_wait_xcnt 0x1
	s_delay_alu instid0(VALU_DEP_1) | instskip(NEXT) | instid1(VALU_DEP_1)
	v_and_b32_e32 v1, 0x7f000000, v0
	v_clz_i32_u32_e32 v3, v1
	v_add_nc_u32_e32 v9, 0x1000000, v1
	v_cmp_ne_u32_e32 vcc_lo, 0, v1
	s_delay_alu instid0(VALU_DEP_3) | instskip(NEXT) | instid1(VALU_DEP_1)
	v_min_u32_e32 v3, 32, v3
	v_sub_nc_u32_e64 v3, v3, 4 clamp
	s_delay_alu instid0(VALU_DEP_1) | instskip(NEXT) | instid1(VALU_DEP_1)
	v_dual_lshlrev_b32 v7, v3, v1 :: v_dual_lshlrev_b32 v3, 23, v3
	v_lshrrev_b32_e32 v7, 4, v7
	s_delay_alu instid0(VALU_DEP_1) | instskip(NEXT) | instid1(VALU_DEP_1)
	v_dual_sub_nc_u32 v3, v7, v3 :: v_dual_ashrrev_i32 v7, 8, v9
	v_add_nc_u32_e32 v3, 0x3c000000, v3
	s_delay_alu instid0(VALU_DEP_1) | instskip(NEXT) | instid1(VALU_DEP_1)
	v_and_or_b32 v3, 0x7f800000, v7, v3
	v_cndmask_b32_e32 v1, 0, v3, vcc_lo
	s_delay_alu instid0(VALU_DEP_1) | instskip(NEXT) | instid1(VALU_DEP_1)
	v_and_or_b32 v0, 0x80000000, v0, v1
	v_cvt_f64_f32_e32 v[0:1], v0
.LBB43_1708:
	s_mov_b32 s8, 0
.LBB43_1709:
	s_delay_alu instid0(SALU_CYCLE_1)
	s_and_not1_b32 vcc_lo, exec_lo, s8
	s_cbranch_vccnz .LBB43_1711
; %bb.1710:
	global_load_u8 v0, v[4:5], off
	s_wait_loadcnt 0x0
	s_wait_xcnt 0x1
	v_lshlrev_b32_e32 v1, 25, v0
	v_lshlrev_b16 v0, 8, v0
	s_delay_alu instid0(VALU_DEP_1) | instskip(SKIP_1) | instid1(VALU_DEP_2)
	v_and_or_b32 v7, 0x7f00, v0, 0.5
	v_bfe_i32 v0, v0, 0, 16
	v_dual_add_f32 v7, -0.5, v7 :: v_dual_lshrrev_b32 v3, 4, v1
	v_cmp_gt_u32_e32 vcc_lo, 0x8000000, v1
	s_delay_alu instid0(VALU_DEP_2) | instskip(NEXT) | instid1(VALU_DEP_1)
	v_or_b32_e32 v3, 0x70000000, v3
	v_mul_f32_e32 v3, 0x7800000, v3
	s_delay_alu instid0(VALU_DEP_1) | instskip(NEXT) | instid1(VALU_DEP_1)
	v_cndmask_b32_e32 v1, v3, v7, vcc_lo
	v_and_or_b32 v0, 0x80000000, v0, v1
	s_delay_alu instid0(VALU_DEP_1)
	v_cvt_f64_f32_e32 v[0:1], v0
.LBB43_1711:
	s_mov_b32 s9, -1
	s_mov_b32 s8, 0
	s_cbranch_execnz .LBB43_1722
.LBB43_1712:
	s_cmp_gt_i32 s0, 14
	s_cbranch_scc0 .LBB43_1715
; %bb.1713:
	s_cmp_eq_u32 s0, 15
	s_cbranch_scc0 .LBB43_1718
; %bb.1714:
	global_load_u16 v0, v[4:5], off
	s_mov_b32 s1, 0
	s_mov_b32 s9, -1
	s_wait_loadcnt 0x0
	v_lshlrev_b32_e32 v0, 16, v0
	s_wait_xcnt 0x1
	s_delay_alu instid0(VALU_DEP_1)
	v_cvt_f64_f32_e32 v[0:1], v0
	s_branch .LBB43_1720
.LBB43_1715:
	s_mov_b32 s8, -1
	s_branch .LBB43_1719
.LBB43_1716:
	s_or_saveexec_b32 s9, s9
	v_mov_b64_e32 v[0:1], 0x7ff8000020000000
	s_xor_b32 exec_lo, exec_lo, s9
	s_cbranch_execz .LBB43_1698
.LBB43_1717:
	v_cmp_ne_u16_e32 vcc_lo, 0, v3
	v_mov_b64_e32 v[0:1], 0
	s_and_not1_b32 s8, s8, exec_lo
	s_and_b32 s10, vcc_lo, exec_lo
	s_delay_alu instid0(SALU_CYCLE_1)
	s_or_b32 s8, s8, s10
	s_or_b32 exec_lo, exec_lo, s9
	s_and_saveexec_b32 s9, s8
	s_cbranch_execnz .LBB43_1699
	s_branch .LBB43_1700
.LBB43_1718:
	s_mov_b32 s1, -1
.LBB43_1719:
                                        ; implicit-def: $vgpr0_vgpr1
.LBB43_1720:
	s_and_b32 vcc_lo, exec_lo, s8
	s_mov_b32 s8, 0
	s_cbranch_vccz .LBB43_1722
; %bb.1721:
	s_cmp_lg_u32 s0, 11
	s_mov_b32 s8, -1
	s_cselect_b32 s1, -1, 0
.LBB43_1722:
	s_delay_alu instid0(SALU_CYCLE_1)
	s_and_b32 vcc_lo, exec_lo, s1
	s_mov_b32 s1, s14
	s_cbranch_vccnz .LBB43_1783
; %bb.1723:
	s_and_not1_b32 vcc_lo, exec_lo, s8
	s_cbranch_vccnz .LBB43_1725
.LBB43_1724:
	global_load_u8 v0, v[4:5], off
	s_mov_b32 s9, -1
	s_wait_loadcnt 0x0
	v_cmp_ne_u16_e32 vcc_lo, 0, v0
	v_mov_b32_e32 v0, 0
	s_wait_xcnt 0x1
	v_cndmask_b32_e64 v1, 0, 0x3ff00000, vcc_lo
.LBB43_1725:
	s_branch .LBB43_1654
.LBB43_1726:
	s_and_b32 s0, 0xffff, s16
	s_delay_alu instid0(SALU_CYCLE_1)
	s_cmp_lt_i32 s0, 5
	s_cbranch_scc1 .LBB43_1731
; %bb.1727:
	s_cmp_lt_i32 s0, 8
	s_cbranch_scc1 .LBB43_1732
; %bb.1728:
	;; [unrolled: 3-line block ×3, first 2 shown]
	s_cmp_gt_i32 s0, 9
	s_cbranch_scc0 .LBB43_1734
; %bb.1730:
	global_load_b64 v[0:1], v[4:5], off
	s_mov_b32 s8, 0
	s_branch .LBB43_1735
.LBB43_1731:
                                        ; implicit-def: $vgpr0_vgpr1
	s_branch .LBB43_1752
.LBB43_1732:
                                        ; implicit-def: $vgpr0_vgpr1
	s_branch .LBB43_1741
.LBB43_1733:
	s_mov_b32 s8, -1
                                        ; implicit-def: $vgpr0_vgpr1
	s_branch .LBB43_1738
.LBB43_1734:
	s_mov_b32 s8, -1
                                        ; implicit-def: $vgpr0_vgpr1
.LBB43_1735:
	s_delay_alu instid0(SALU_CYCLE_1)
	s_and_not1_b32 vcc_lo, exec_lo, s8
	s_cbranch_vccnz .LBB43_1737
; %bb.1736:
	s_wait_loadcnt 0x0
	global_load_b32 v0, v[4:5], off
	s_wait_loadcnt 0x0
	s_wait_xcnt 0x1
	v_cvt_f64_f32_e32 v[0:1], v0
.LBB43_1737:
	s_mov_b32 s8, 0
.LBB43_1738:
	s_delay_alu instid0(SALU_CYCLE_1)
	s_and_not1_b32 vcc_lo, exec_lo, s8
	s_cbranch_vccnz .LBB43_1740
; %bb.1739:
	s_wait_loadcnt 0x0
	global_load_b32 v0, v[4:5], off
	s_wait_loadcnt 0x0
	v_cvt_f32_f16_e32 v0, v0
	s_wait_xcnt 0x1
	s_delay_alu instid0(VALU_DEP_1)
	v_cvt_f64_f32_e32 v[0:1], v0
.LBB43_1740:
	s_cbranch_execnz .LBB43_1751
.LBB43_1741:
	s_cmp_lt_i32 s0, 6
	s_cbranch_scc1 .LBB43_1744
; %bb.1742:
	s_cmp_gt_i32 s0, 6
	s_cbranch_scc0 .LBB43_1745
; %bb.1743:
	s_wait_loadcnt 0x0
	global_load_b64 v[0:1], v[4:5], off
	s_mov_b32 s8, 0
	s_branch .LBB43_1746
.LBB43_1744:
	s_mov_b32 s8, -1
                                        ; implicit-def: $vgpr0_vgpr1
	s_branch .LBB43_1749
.LBB43_1745:
	s_mov_b32 s8, -1
                                        ; implicit-def: $vgpr0_vgpr1
.LBB43_1746:
	s_delay_alu instid0(SALU_CYCLE_1)
	s_and_not1_b32 vcc_lo, exec_lo, s8
	s_cbranch_vccnz .LBB43_1748
; %bb.1747:
	s_wait_loadcnt 0x0
	global_load_b32 v0, v[4:5], off
	s_wait_loadcnt 0x0
	s_wait_xcnt 0x1
	v_cvt_f64_f32_e32 v[0:1], v0
.LBB43_1748:
	s_mov_b32 s8, 0
.LBB43_1749:
	s_delay_alu instid0(SALU_CYCLE_1)
	s_and_not1_b32 vcc_lo, exec_lo, s8
	s_cbranch_vccnz .LBB43_1751
; %bb.1750:
	s_wait_loadcnt 0x0
	global_load_u16 v0, v[4:5], off
	s_wait_loadcnt 0x0
	v_cvt_f32_f16_e32 v0, v0
	s_wait_xcnt 0x1
	s_delay_alu instid0(VALU_DEP_1)
	v_cvt_f64_f32_e32 v[0:1], v0
.LBB43_1751:
	s_cbranch_execnz .LBB43_1770
.LBB43_1752:
	s_cmp_lt_i32 s0, 2
	s_cbranch_scc1 .LBB43_1756
; %bb.1753:
	s_cmp_lt_i32 s0, 3
	s_cbranch_scc1 .LBB43_1757
; %bb.1754:
	s_cmp_gt_i32 s0, 3
	s_cbranch_scc0 .LBB43_1758
; %bb.1755:
	s_wait_loadcnt 0x0
	global_load_b64 v[0:1], v[4:5], off
	s_mov_b32 s8, 0
	s_wait_loadcnt 0x0
	v_cvt_f64_i32_e32 v[26:27], v1
	v_cvt_f64_u32_e32 v[0:1], v0
	s_delay_alu instid0(VALU_DEP_2) | instskip(NEXT) | instid1(VALU_DEP_1)
	v_ldexp_f64 v[26:27], v[26:27], 32
	v_add_f64_e32 v[0:1], v[26:27], v[0:1]
	s_branch .LBB43_1759
.LBB43_1756:
                                        ; implicit-def: $vgpr0_vgpr1
	s_branch .LBB43_1765
.LBB43_1757:
	s_mov_b32 s8, -1
                                        ; implicit-def: $vgpr0_vgpr1
	s_branch .LBB43_1762
.LBB43_1758:
	s_mov_b32 s8, -1
                                        ; implicit-def: $vgpr0_vgpr1
.LBB43_1759:
	s_delay_alu instid0(SALU_CYCLE_1)
	s_and_not1_b32 vcc_lo, exec_lo, s8
	s_cbranch_vccnz .LBB43_1761
; %bb.1760:
	s_wait_loadcnt 0x0
	global_load_b32 v0, v[4:5], off
	s_wait_loadcnt 0x0
	s_wait_xcnt 0x1
	v_cvt_f64_i32_e32 v[0:1], v0
.LBB43_1761:
	s_mov_b32 s8, 0
.LBB43_1762:
	s_delay_alu instid0(SALU_CYCLE_1)
	s_and_not1_b32 vcc_lo, exec_lo, s8
	s_cbranch_vccnz .LBB43_1764
; %bb.1763:
	s_wait_loadcnt 0x0
	global_load_i16 v0, v[4:5], off
	s_wait_loadcnt 0x0
	s_wait_xcnt 0x1
	v_cvt_f64_i32_e32 v[0:1], v0
.LBB43_1764:
	s_cbranch_execnz .LBB43_1770
.LBB43_1765:
	s_cmp_gt_i32 s0, 0
	s_mov_b32 s0, 0
	s_cbranch_scc0 .LBB43_1767
; %bb.1766:
	s_wait_loadcnt 0x0
	global_load_i8 v0, v[4:5], off
	s_wait_loadcnt 0x0
	s_wait_xcnt 0x1
	v_cvt_f64_i32_e32 v[0:1], v0
	s_branch .LBB43_1768
.LBB43_1767:
	s_mov_b32 s0, -1
                                        ; implicit-def: $vgpr0_vgpr1
.LBB43_1768:
	s_delay_alu instid0(SALU_CYCLE_1)
	s_and_not1_b32 vcc_lo, exec_lo, s0
	s_cbranch_vccnz .LBB43_1770
; %bb.1769:
	s_wait_loadcnt 0x0
	global_load_u8 v0, v[4:5], off
	s_wait_loadcnt 0x0
	s_wait_xcnt 0x1
	v_cvt_f64_u32_e32 v[0:1], v0
.LBB43_1770:
.LBB43_1771:
	v_mov_b32_e32 v25, 0
	s_load_b64 s[12:13], s[2:3], 0x198
	global_load_u8 v3, v25, s[2:3] offset:434
	s_wait_loadcnt 0x0
	v_and_b32_e32 v4, 0xffff, v3
	v_readfirstlane_b32 s17, v3
	s_delay_alu instid0(VALU_DEP_2)
	v_cmp_gt_i32_e32 vcc_lo, 11, v4
	s_wait_kmcnt 0x0
	v_add_nc_u64_e32 v[4:5], s[12:13], v[24:25]
	s_cbranch_vccnz .LBB43_1778
; %bb.1772:
	s_and_b32 s0, 0xffff, s17
	s_mov_b32 s9, 0
	s_cmp_gt_i32 s0, 25
	s_cbranch_scc0 .LBB43_1780
; %bb.1773:
	s_cmp_gt_i32 s0, 28
	s_cbranch_scc0 .LBB43_1781
; %bb.1774:
	;; [unrolled: 3-line block ×4, first 2 shown]
	s_cmp_eq_u32 s0, 46
	s_mov_b32 s11, 0
	s_cbranch_scc0 .LBB43_1787
; %bb.1777:
	global_load_b32 v3, v[4:5], off
	s_mov_b32 s8, 0
	s_mov_b32 s10, -1
	s_wait_loadcnt 0x0
	v_lshlrev_b32_e32 v3, 16, v3
	s_wait_xcnt 0x1
	s_delay_alu instid0(VALU_DEP_1)
	v_cvt_f64_f32_e32 v[24:25], v3
	s_branch .LBB43_1789
.LBB43_1778:
	s_mov_b32 s10, 0
                                        ; implicit-def: $vgpr24_vgpr25
	s_cbranch_execnz .LBB43_1854
.LBB43_1779:
	s_and_not1_b32 vcc_lo, exec_lo, s10
	s_cbranch_vccnz .LBB43_2774
	s_branch .LBB43_1901
.LBB43_1780:
	s_mov_b32 s10, 0
	s_mov_b32 s8, 0
                                        ; implicit-def: $vgpr24_vgpr25
	s_cbranch_execnz .LBB43_1818
	s_branch .LBB43_1850
.LBB43_1781:
	s_mov_b32 s11, -1
	s_mov_b32 s10, 0
	s_mov_b32 s8, 0
                                        ; implicit-def: $vgpr24_vgpr25
	s_branch .LBB43_1799
.LBB43_1782:
	s_mov_b32 s11, -1
	s_mov_b32 s10, 0
	s_mov_b32 s8, 0
                                        ; implicit-def: $vgpr24_vgpr25
	s_branch .LBB43_1794
.LBB43_1783:
	s_or_b32 s1, s14, exec_lo
	s_trap 2
	s_cbranch_execz .LBB43_1724
	s_branch .LBB43_1725
.LBB43_1784:
	s_mov_b32 s11, -1
	s_mov_b32 s10, 0
	s_mov_b32 s8, 0
	s_branch .LBB43_1788
.LBB43_1785:
	s_and_not1_saveexec_b32 s10, s10
	s_cbranch_execz .LBB43_1526
.LBB43_1786:
	v_add_f32_e64 v3, 0x42800000, |v2|
	s_and_not1_b32 s9, s9, exec_lo
	s_delay_alu instid0(VALU_DEP_1) | instskip(NEXT) | instid1(VALU_DEP_1)
	v_and_b32_e32 v3, 0xff, v3
	v_cmp_ne_u32_e32 vcc_lo, 0, v3
	s_and_b32 s11, vcc_lo, exec_lo
	s_delay_alu instid0(SALU_CYCLE_1)
	s_or_b32 s9, s9, s11
	s_or_b32 exec_lo, exec_lo, s10
	v_mov_b32_e32 v6, 0
	s_and_saveexec_b32 s10, s9
	s_cbranch_execnz .LBB43_1527
	s_branch .LBB43_1528
.LBB43_1787:
	s_mov_b32 s8, -1
	s_mov_b32 s10, 0
.LBB43_1788:
                                        ; implicit-def: $vgpr24_vgpr25
.LBB43_1789:
	s_and_b32 vcc_lo, exec_lo, s11
	s_cbranch_vccz .LBB43_1793
; %bb.1790:
	s_cmp_eq_u32 s0, 44
	s_cbranch_scc0 .LBB43_1792
; %bb.1791:
	global_load_u8 v3, v[4:5], off
	s_mov_b32 s8, 0
	s_mov_b32 s10, -1
	s_wait_loadcnt 0x0
	v_lshlrev_b32_e32 v7, 23, v3
	v_cmp_ne_u32_e32 vcc_lo, 0xff, v3
	s_wait_xcnt 0x1
	s_delay_alu instid0(VALU_DEP_2) | instskip(NEXT) | instid1(VALU_DEP_1)
	v_cvt_f64_f32_e32 v[24:25], v7
	v_cndmask_b32_e32 v7, 0x20000000, v24, vcc_lo
	s_delay_alu instid0(VALU_DEP_2) | instskip(SKIP_1) | instid1(VALU_DEP_2)
	v_cndmask_b32_e32 v9, 0x7ff80000, v25, vcc_lo
	v_cmp_ne_u32_e32 vcc_lo, 0, v3
	v_cndmask_b32_e32 v25, 0x38000000, v9, vcc_lo
	s_delay_alu instid0(VALU_DEP_4)
	v_cndmask_b32_e32 v24, 0, v7, vcc_lo
	s_branch .LBB43_1793
.LBB43_1792:
	s_mov_b32 s8, -1
                                        ; implicit-def: $vgpr24_vgpr25
.LBB43_1793:
	s_mov_b32 s11, 0
.LBB43_1794:
	s_delay_alu instid0(SALU_CYCLE_1)
	s_and_b32 vcc_lo, exec_lo, s11
	s_cbranch_vccz .LBB43_1798
; %bb.1795:
	s_cmp_eq_u32 s0, 29
	s_cbranch_scc0 .LBB43_1797
; %bb.1796:
	global_load_b64 v[24:25], v[4:5], off
	s_mov_b32 s8, 0
	s_mov_b32 s10, -1
	s_mov_b32 s11, 0
	s_wait_loadcnt 0x0
	v_cvt_f64_u32_e32 v[26:27], v25
	v_cvt_f64_u32_e32 v[24:25], v24
	s_delay_alu instid0(VALU_DEP_2) | instskip(NEXT) | instid1(VALU_DEP_1)
	v_ldexp_f64 v[26:27], v[26:27], 32
	v_add_f64_e32 v[24:25], v[26:27], v[24:25]
	s_branch .LBB43_1799
.LBB43_1797:
	s_mov_b32 s8, -1
                                        ; implicit-def: $vgpr24_vgpr25
.LBB43_1798:
	s_mov_b32 s11, 0
.LBB43_1799:
	s_delay_alu instid0(SALU_CYCLE_1)
	s_and_b32 vcc_lo, exec_lo, s11
	s_cbranch_vccz .LBB43_1817
; %bb.1800:
	s_cmp_lt_i32 s0, 27
	s_cbranch_scc1 .LBB43_1803
; %bb.1801:
	s_cmp_gt_i32 s0, 27
	s_cbranch_scc0 .LBB43_1804
; %bb.1802:
	global_load_b32 v3, v[4:5], off
	s_mov_b32 s10, 0
	s_wait_loadcnt 0x0
	s_wait_xcnt 0x1
	v_cvt_f64_u32_e32 v[24:25], v3
	s_branch .LBB43_1805
.LBB43_1803:
	s_mov_b32 s10, -1
                                        ; implicit-def: $vgpr24_vgpr25
	s_branch .LBB43_1808
.LBB43_1804:
	s_mov_b32 s10, -1
                                        ; implicit-def: $vgpr24_vgpr25
.LBB43_1805:
	s_delay_alu instid0(SALU_CYCLE_1)
	s_and_not1_b32 vcc_lo, exec_lo, s10
	s_cbranch_vccnz .LBB43_1807
; %bb.1806:
	global_load_u16 v3, v[4:5], off
	s_wait_loadcnt 0x0
	s_wait_xcnt 0x1
	v_cvt_f64_u32_e32 v[24:25], v3
.LBB43_1807:
	s_mov_b32 s10, 0
.LBB43_1808:
	s_delay_alu instid0(SALU_CYCLE_1)
	s_and_not1_b32 vcc_lo, exec_lo, s10
	s_cbranch_vccnz .LBB43_1816
; %bb.1809:
	global_load_u8 v3, v[4:5], off
	s_mov_b32 s10, 0
	s_mov_b32 s11, exec_lo
	s_wait_loadcnt 0x0
	v_cmpx_lt_i16_e32 0x7f, v3
	s_xor_b32 s11, exec_lo, s11
	s_cbranch_execz .LBB43_1829
; %bb.1810:
	s_mov_b32 s10, -1
	s_mov_b32 s18, exec_lo
	v_cmpx_eq_u16_e32 0x80, v3
; %bb.1811:
	s_xor_b32 s10, exec_lo, -1
; %bb.1812:
	s_or_b32 exec_lo, exec_lo, s18
	s_delay_alu instid0(SALU_CYCLE_1)
	s_and_b32 s10, s10, exec_lo
	s_or_saveexec_b32 s11, s11
	v_mov_b64_e32 v[24:25], 0x7ff8000020000000
	s_xor_b32 exec_lo, exec_lo, s11
	s_cbranch_execnz .LBB43_1830
.LBB43_1813:
	s_or_b32 exec_lo, exec_lo, s11
	s_and_saveexec_b32 s11, s10
	s_cbranch_execz .LBB43_1815
.LBB43_1814:
	v_and_b32_e32 v7, 0xffff, v3
	v_lshlrev_b32_e32 v3, 24, v3
	s_delay_alu instid0(VALU_DEP_2) | instskip(SKIP_1) | instid1(VALU_DEP_3)
	v_and_b32_e32 v9, 7, v7
	v_bfe_u32 v15, v7, 3, 4
	v_and_b32_e32 v3, 0x80000000, v3
	s_delay_alu instid0(VALU_DEP_3) | instskip(NEXT) | instid1(VALU_DEP_3)
	v_clz_i32_u32_e32 v11, v9
	v_cmp_eq_u32_e32 vcc_lo, 0, v15
	s_delay_alu instid0(VALU_DEP_2) | instskip(NEXT) | instid1(VALU_DEP_1)
	v_min_u32_e32 v11, 32, v11
	v_subrev_nc_u32_e32 v13, 28, v11
	v_sub_nc_u32_e32 v11, 29, v11
	s_delay_alu instid0(VALU_DEP_2) | instskip(NEXT) | instid1(VALU_DEP_2)
	v_lshlrev_b32_e32 v7, v13, v7
	v_cndmask_b32_e32 v11, v15, v11, vcc_lo
	s_delay_alu instid0(VALU_DEP_2) | instskip(NEXT) | instid1(VALU_DEP_1)
	v_and_b32_e32 v7, 7, v7
	v_cndmask_b32_e32 v7, v9, v7, vcc_lo
	s_delay_alu instid0(VALU_DEP_3) | instskip(NEXT) | instid1(VALU_DEP_2)
	v_lshl_add_u32 v9, v11, 23, 0x3b800000
	v_lshlrev_b32_e32 v7, 20, v7
	s_delay_alu instid0(VALU_DEP_1) | instskip(NEXT) | instid1(VALU_DEP_1)
	v_or3_b32 v3, v3, v9, v7
	v_cvt_f64_f32_e32 v[24:25], v3
.LBB43_1815:
	s_or_b32 exec_lo, exec_lo, s11
.LBB43_1816:
	s_mov_b32 s10, -1
.LBB43_1817:
	s_branch .LBB43_1850
.LBB43_1818:
	s_cmp_gt_i32 s0, 22
	s_cbranch_scc0 .LBB43_1828
; %bb.1819:
	s_cmp_lt_i32 s0, 24
	s_cbranch_scc1 .LBB43_1831
; %bb.1820:
	s_cmp_gt_i32 s0, 24
	s_cbranch_scc0 .LBB43_1832
; %bb.1821:
	global_load_u8 v3, v[4:5], off
	s_mov_b32 s10, exec_lo
	s_wait_loadcnt 0x0
	v_cmpx_lt_i16_e32 0x7f, v3
	s_xor_b32 s10, exec_lo, s10
	s_cbranch_execz .LBB43_1844
; %bb.1822:
	s_mov_b32 s9, -1
	s_mov_b32 s11, exec_lo
	v_cmpx_eq_u16_e32 0x80, v3
; %bb.1823:
	s_xor_b32 s9, exec_lo, -1
; %bb.1824:
	s_or_b32 exec_lo, exec_lo, s11
	s_delay_alu instid0(SALU_CYCLE_1)
	s_and_b32 s9, s9, exec_lo
	s_or_saveexec_b32 s10, s10
	v_mov_b64_e32 v[24:25], 0x7ff8000020000000
	s_xor_b32 exec_lo, exec_lo, s10
	s_cbranch_execnz .LBB43_1845
.LBB43_1825:
	s_or_b32 exec_lo, exec_lo, s10
	s_and_saveexec_b32 s10, s9
	s_cbranch_execz .LBB43_1827
.LBB43_1826:
	v_and_b32_e32 v7, 0xffff, v3
	v_lshlrev_b32_e32 v3, 24, v3
	s_delay_alu instid0(VALU_DEP_2) | instskip(SKIP_1) | instid1(VALU_DEP_3)
	v_and_b32_e32 v9, 3, v7
	v_bfe_u32 v15, v7, 2, 5
	v_and_b32_e32 v3, 0x80000000, v3
	s_delay_alu instid0(VALU_DEP_3) | instskip(NEXT) | instid1(VALU_DEP_3)
	v_clz_i32_u32_e32 v11, v9
	v_cmp_eq_u32_e32 vcc_lo, 0, v15
	s_delay_alu instid0(VALU_DEP_2) | instskip(NEXT) | instid1(VALU_DEP_1)
	v_min_u32_e32 v11, 32, v11
	v_subrev_nc_u32_e32 v13, 29, v11
	v_sub_nc_u32_e32 v11, 30, v11
	s_delay_alu instid0(VALU_DEP_2) | instskip(NEXT) | instid1(VALU_DEP_2)
	v_lshlrev_b32_e32 v7, v13, v7
	v_cndmask_b32_e32 v11, v15, v11, vcc_lo
	s_delay_alu instid0(VALU_DEP_2) | instskip(NEXT) | instid1(VALU_DEP_1)
	v_and_b32_e32 v7, 3, v7
	v_cndmask_b32_e32 v7, v9, v7, vcc_lo
	s_delay_alu instid0(VALU_DEP_3) | instskip(NEXT) | instid1(VALU_DEP_2)
	v_lshl_add_u32 v9, v11, 23, 0x37800000
	v_lshlrev_b32_e32 v7, 21, v7
	s_delay_alu instid0(VALU_DEP_1) | instskip(NEXT) | instid1(VALU_DEP_1)
	v_or3_b32 v3, v3, v9, v7
	v_cvt_f64_f32_e32 v[24:25], v3
.LBB43_1827:
	s_or_b32 exec_lo, exec_lo, s10
	s_mov_b32 s9, 0
	s_branch .LBB43_1833
.LBB43_1828:
	s_mov_b32 s9, -1
                                        ; implicit-def: $vgpr24_vgpr25
	s_branch .LBB43_1839
.LBB43_1829:
	s_or_saveexec_b32 s11, s11
	v_mov_b64_e32 v[24:25], 0x7ff8000020000000
	s_xor_b32 exec_lo, exec_lo, s11
	s_cbranch_execz .LBB43_1813
.LBB43_1830:
	v_cmp_ne_u16_e32 vcc_lo, 0, v3
	v_mov_b64_e32 v[24:25], 0
	s_and_not1_b32 s10, s10, exec_lo
	s_and_b32 s18, vcc_lo, exec_lo
	s_delay_alu instid0(SALU_CYCLE_1)
	s_or_b32 s10, s10, s18
	s_or_b32 exec_lo, exec_lo, s11
	s_and_saveexec_b32 s11, s10
	s_cbranch_execnz .LBB43_1814
	s_branch .LBB43_1815
.LBB43_1831:
	s_mov_b32 s9, -1
                                        ; implicit-def: $vgpr24_vgpr25
	s_branch .LBB43_1836
.LBB43_1832:
	s_mov_b32 s9, -1
                                        ; implicit-def: $vgpr24_vgpr25
.LBB43_1833:
	s_delay_alu instid0(SALU_CYCLE_1)
	s_and_b32 vcc_lo, exec_lo, s9
	s_cbranch_vccz .LBB43_1835
; %bb.1834:
	global_load_u8 v3, v[4:5], off
	s_wait_loadcnt 0x0
	v_lshlrev_b32_e32 v3, 24, v3
	s_delay_alu instid0(VALU_DEP_1) | instskip(NEXT) | instid1(VALU_DEP_1)
	v_and_b32_e32 v7, 0x7f000000, v3
	v_clz_i32_u32_e32 v9, v7
	v_cmp_ne_u32_e32 vcc_lo, 0, v7
	v_add_nc_u32_e32 v13, 0x1000000, v7
	s_delay_alu instid0(VALU_DEP_3) | instskip(NEXT) | instid1(VALU_DEP_1)
	v_min_u32_e32 v9, 32, v9
	v_sub_nc_u32_e64 v9, v9, 4 clamp
	s_delay_alu instid0(VALU_DEP_1) | instskip(NEXT) | instid1(VALU_DEP_1)
	v_dual_lshlrev_b32 v11, v9, v7 :: v_dual_lshlrev_b32 v9, 23, v9
	v_lshrrev_b32_e32 v11, 4, v11
	s_delay_alu instid0(VALU_DEP_1) | instskip(SKIP_1) | instid1(VALU_DEP_2)
	v_sub_nc_u32_e32 v9, v11, v9
	v_ashrrev_i32_e32 v11, 8, v13
	v_add_nc_u32_e32 v9, 0x3c000000, v9
	s_delay_alu instid0(VALU_DEP_1) | instskip(NEXT) | instid1(VALU_DEP_1)
	v_and_or_b32 v9, 0x7f800000, v11, v9
	v_cndmask_b32_e32 v7, 0, v9, vcc_lo
	s_delay_alu instid0(VALU_DEP_1) | instskip(SKIP_1) | instid1(VALU_DEP_1)
	v_and_or_b32 v3, 0x80000000, v3, v7
	s_wait_xcnt 0x1
	v_cvt_f64_f32_e32 v[24:25], v3
.LBB43_1835:
	s_mov_b32 s9, 0
.LBB43_1836:
	s_delay_alu instid0(SALU_CYCLE_1)
	s_and_not1_b32 vcc_lo, exec_lo, s9
	s_cbranch_vccnz .LBB43_1838
; %bb.1837:
	global_load_u8 v3, v[4:5], off
	s_wait_loadcnt 0x0
	v_lshlrev_b32_e32 v7, 25, v3
	v_lshlrev_b16 v3, 8, v3
	s_delay_alu instid0(VALU_DEP_2) | instskip(NEXT) | instid1(VALU_DEP_2)
	v_lshrrev_b32_e32 v9, 4, v7
	v_and_or_b32 v11, 0x7f00, v3, 0.5
	v_cmp_gt_u32_e32 vcc_lo, 0x8000000, v7
	v_bfe_i32 v3, v3, 0, 16
	s_delay_alu instid0(VALU_DEP_4) | instskip(NEXT) | instid1(VALU_DEP_4)
	v_or_b32_e32 v9, 0x70000000, v9
	v_add_f32_e32 v11, -0.5, v11
	s_delay_alu instid0(VALU_DEP_2) | instskip(NEXT) | instid1(VALU_DEP_1)
	v_mul_f32_e32 v9, 0x7800000, v9
	v_cndmask_b32_e32 v7, v9, v11, vcc_lo
	s_delay_alu instid0(VALU_DEP_1) | instskip(SKIP_1) | instid1(VALU_DEP_1)
	v_and_or_b32 v3, 0x80000000, v3, v7
	s_wait_xcnt 0x1
	v_cvt_f64_f32_e32 v[24:25], v3
.LBB43_1838:
	s_mov_b32 s9, 0
	s_mov_b32 s10, -1
.LBB43_1839:
	s_and_not1_b32 vcc_lo, exec_lo, s9
	s_mov_b32 s9, 0
	s_cbranch_vccnz .LBB43_1850
; %bb.1840:
	s_cmp_gt_i32 s0, 14
	s_cbranch_scc0 .LBB43_1843
; %bb.1841:
	s_cmp_eq_u32 s0, 15
	s_cbranch_scc0 .LBB43_1846
; %bb.1842:
	global_load_u16 v3, v[4:5], off
	s_mov_b32 s8, 0
	s_mov_b32 s10, -1
	s_wait_loadcnt 0x0
	v_lshlrev_b32_e32 v3, 16, v3
	s_wait_xcnt 0x1
	s_delay_alu instid0(VALU_DEP_1)
	v_cvt_f64_f32_e32 v[24:25], v3
	s_branch .LBB43_1848
.LBB43_1843:
	s_mov_b32 s9, -1
	s_branch .LBB43_1847
.LBB43_1844:
	s_or_saveexec_b32 s10, s10
	v_mov_b64_e32 v[24:25], 0x7ff8000020000000
	s_xor_b32 exec_lo, exec_lo, s10
	s_cbranch_execz .LBB43_1825
.LBB43_1845:
	v_cmp_ne_u16_e32 vcc_lo, 0, v3
	v_mov_b64_e32 v[24:25], 0
	s_and_not1_b32 s9, s9, exec_lo
	s_and_b32 s11, vcc_lo, exec_lo
	s_delay_alu instid0(SALU_CYCLE_1)
	s_or_b32 s9, s9, s11
	s_or_b32 exec_lo, exec_lo, s10
	s_and_saveexec_b32 s10, s9
	s_cbranch_execnz .LBB43_1826
	s_branch .LBB43_1827
.LBB43_1846:
	s_mov_b32 s8, -1
.LBB43_1847:
                                        ; implicit-def: $vgpr24_vgpr25
.LBB43_1848:
	s_and_b32 vcc_lo, exec_lo, s9
	s_mov_b32 s9, 0
	s_cbranch_vccz .LBB43_1850
; %bb.1849:
	s_cmp_lg_u32 s0, 11
	s_mov_b32 s9, -1
	s_cselect_b32 s8, -1, 0
.LBB43_1850:
	s_delay_alu instid0(SALU_CYCLE_1)
	s_and_b32 vcc_lo, exec_lo, s8
	s_cbranch_vccnz .LBB43_1915
; %bb.1851:
	s_and_not1_b32 vcc_lo, exec_lo, s9
	s_cbranch_vccnz .LBB43_1853
.LBB43_1852:
	global_load_u8 v3, v[4:5], off
	v_mov_b32_e32 v24, 0
	s_mov_b32 s10, -1
	s_wait_loadcnt 0x0
	v_cmp_ne_u16_e32 vcc_lo, 0, v3
	s_wait_xcnt 0x1
	v_cndmask_b32_e64 v25, 0, 0x3ff00000, vcc_lo
.LBB43_1853:
	s_branch .LBB43_1779
.LBB43_1854:
	s_and_b32 s0, 0xffff, s17
	s_delay_alu instid0(SALU_CYCLE_1)
	s_cmp_lt_i32 s0, 5
	s_cbranch_scc1 .LBB43_1859
; %bb.1855:
	s_cmp_lt_i32 s0, 8
	s_cbranch_scc1 .LBB43_1860
; %bb.1856:
	;; [unrolled: 3-line block ×3, first 2 shown]
	s_cmp_gt_i32 s0, 9
	s_cbranch_scc0 .LBB43_1862
; %bb.1858:
	global_load_b64 v[24:25], v[4:5], off
	s_mov_b32 s8, 0
	s_branch .LBB43_1863
.LBB43_1859:
                                        ; implicit-def: $vgpr24_vgpr25
	s_branch .LBB43_1881
.LBB43_1860:
	s_mov_b32 s8, -1
                                        ; implicit-def: $vgpr24_vgpr25
	s_branch .LBB43_1869
.LBB43_1861:
	s_mov_b32 s8, -1
                                        ; implicit-def: $vgpr24_vgpr25
	s_branch .LBB43_1866
.LBB43_1862:
	s_mov_b32 s8, -1
                                        ; implicit-def: $vgpr24_vgpr25
.LBB43_1863:
	s_delay_alu instid0(SALU_CYCLE_1)
	s_and_not1_b32 vcc_lo, exec_lo, s8
	s_cbranch_vccnz .LBB43_1865
; %bb.1864:
	global_load_b32 v3, v[4:5], off
	s_wait_loadcnt 0x0
	s_wait_xcnt 0x1
	v_cvt_f64_f32_e32 v[24:25], v3
.LBB43_1865:
	s_mov_b32 s8, 0
.LBB43_1866:
	s_delay_alu instid0(SALU_CYCLE_1)
	s_and_not1_b32 vcc_lo, exec_lo, s8
	s_cbranch_vccnz .LBB43_1868
; %bb.1867:
	global_load_b32 v3, v[4:5], off
	s_wait_loadcnt 0x0
	v_cvt_f32_f16_e32 v3, v3
	s_wait_xcnt 0x1
	s_delay_alu instid0(VALU_DEP_1)
	v_cvt_f64_f32_e32 v[24:25], v3
.LBB43_1868:
	s_mov_b32 s8, 0
.LBB43_1869:
	s_delay_alu instid0(SALU_CYCLE_1)
	s_and_not1_b32 vcc_lo, exec_lo, s8
	s_cbranch_vccnz .LBB43_1880
; %bb.1870:
	s_cmp_lt_i32 s0, 6
	s_cbranch_scc1 .LBB43_1873
; %bb.1871:
	s_cmp_gt_i32 s0, 6
	s_cbranch_scc0 .LBB43_1874
; %bb.1872:
	s_wait_loadcnt 0x0
	global_load_b64 v[24:25], v[4:5], off
	s_mov_b32 s8, 0
	s_branch .LBB43_1875
.LBB43_1873:
	s_mov_b32 s8, -1
                                        ; implicit-def: $vgpr24_vgpr25
	s_branch .LBB43_1878
.LBB43_1874:
	s_mov_b32 s8, -1
                                        ; implicit-def: $vgpr24_vgpr25
.LBB43_1875:
	s_delay_alu instid0(SALU_CYCLE_1)
	s_and_not1_b32 vcc_lo, exec_lo, s8
	s_cbranch_vccnz .LBB43_1877
; %bb.1876:
	global_load_b32 v3, v[4:5], off
	s_wait_loadcnt 0x0
	s_wait_xcnt 0x1
	v_cvt_f64_f32_e32 v[24:25], v3
.LBB43_1877:
	s_mov_b32 s8, 0
.LBB43_1878:
	s_delay_alu instid0(SALU_CYCLE_1)
	s_and_not1_b32 vcc_lo, exec_lo, s8
	s_cbranch_vccnz .LBB43_1880
; %bb.1879:
	global_load_u16 v3, v[4:5], off
	s_wait_loadcnt 0x0
	v_cvt_f32_f16_e32 v3, v3
	s_wait_xcnt 0x1
	s_delay_alu instid0(VALU_DEP_1)
	v_cvt_f64_f32_e32 v[24:25], v3
.LBB43_1880:
	s_cbranch_execnz .LBB43_1900
.LBB43_1881:
	s_cmp_lt_i32 s0, 2
	s_cbranch_scc1 .LBB43_1885
; %bb.1882:
	s_cmp_lt_i32 s0, 3
	s_cbranch_scc1 .LBB43_1886
; %bb.1883:
	s_cmp_gt_i32 s0, 3
	s_cbranch_scc0 .LBB43_1887
; %bb.1884:
	s_wait_loadcnt 0x0
	global_load_b64 v[24:25], v[4:5], off
	s_mov_b32 s8, 0
	s_wait_loadcnt 0x0
	v_cvt_f64_i32_e32 v[26:27], v25
	v_cvt_f64_u32_e32 v[24:25], v24
	s_delay_alu instid0(VALU_DEP_2) | instskip(NEXT) | instid1(VALU_DEP_1)
	v_ldexp_f64 v[26:27], v[26:27], 32
	v_add_f64_e32 v[24:25], v[26:27], v[24:25]
	s_branch .LBB43_1888
.LBB43_1885:
	s_mov_b32 s8, -1
                                        ; implicit-def: $vgpr24_vgpr25
	s_branch .LBB43_1894
.LBB43_1886:
	s_mov_b32 s8, -1
                                        ; implicit-def: $vgpr24_vgpr25
	s_branch .LBB43_1891
.LBB43_1887:
	s_mov_b32 s8, -1
                                        ; implicit-def: $vgpr24_vgpr25
.LBB43_1888:
	s_delay_alu instid0(SALU_CYCLE_1)
	s_and_not1_b32 vcc_lo, exec_lo, s8
	s_cbranch_vccnz .LBB43_1890
; %bb.1889:
	global_load_b32 v3, v[4:5], off
	s_wait_loadcnt 0x0
	s_wait_xcnt 0x1
	v_cvt_f64_i32_e32 v[24:25], v3
.LBB43_1890:
	s_mov_b32 s8, 0
.LBB43_1891:
	s_delay_alu instid0(SALU_CYCLE_1)
	s_and_not1_b32 vcc_lo, exec_lo, s8
	s_cbranch_vccnz .LBB43_1893
; %bb.1892:
	global_load_i16 v3, v[4:5], off
	s_wait_loadcnt 0x0
	s_wait_xcnt 0x1
	v_cvt_f64_i32_e32 v[24:25], v3
.LBB43_1893:
	s_mov_b32 s8, 0
.LBB43_1894:
	s_delay_alu instid0(SALU_CYCLE_1)
	s_and_not1_b32 vcc_lo, exec_lo, s8
	s_cbranch_vccnz .LBB43_1900
; %bb.1895:
	s_cmp_gt_i32 s0, 0
	s_mov_b32 s0, 0
	s_cbranch_scc0 .LBB43_1897
; %bb.1896:
	global_load_i8 v3, v[4:5], off
	s_wait_loadcnt 0x0
	s_wait_xcnt 0x1
	v_cvt_f64_i32_e32 v[24:25], v3
	s_branch .LBB43_1898
.LBB43_1897:
	s_mov_b32 s0, -1
                                        ; implicit-def: $vgpr24_vgpr25
.LBB43_1898:
	s_delay_alu instid0(SALU_CYCLE_1)
	s_and_not1_b32 vcc_lo, exec_lo, s0
	s_cbranch_vccnz .LBB43_1900
; %bb.1899:
	global_load_u8 v3, v[4:5], off
	s_wait_loadcnt 0x0
	s_wait_xcnt 0x1
	v_cvt_f64_u32_e32 v[24:25], v3
.LBB43_1900:
.LBB43_1901:
	s_load_b128 s[8:11], s[2:3], 0x1a0
	s_mov_b32 s18, exec_lo
	s_wait_loadcnt 0x0
	s_wait_kmcnt 0x0
	s_delay_alu instid0(VALU_DEP_1) | instskip(NEXT) | instid1(VALU_DEP_1)
	v_mul_f64_e32 v[4:5], s[8:9], v[24:25]
	v_cmpx_nlt_f64_e32 s[10:11], v[4:5]
	s_cbranch_execz .LBB43_1903
; %bb.1902:
	v_mul_f64_e32 v[24:25], 0x3ff71547652b82fe, v[4:5]
	s_mov_b64 s[20:21], 0x3e5ade156a5dcb37
	v_cmp_nlt_f64_e32 vcc_lo, 0x40900000, v[4:5]
	v_cmp_ngt_f64_e64 s0, 0xc090cc00, v[4:5]
	s_delay_alu instid0(VALU_DEP_3) | instskip(NEXT) | instid1(VALU_DEP_1)
	v_rndne_f64_e32 v[24:25], v[24:25]
	v_fmamk_f64 v[26:27], v[24:25], 0xbfe62e42fefa39ef, v[4:5]
	v_cvt_i32_f64_e32 v3, v[24:25]
	s_delay_alu instid0(VALU_DEP_2) | instskip(NEXT) | instid1(VALU_DEP_1)
	v_fmamk_f64 v[26:27], v[24:25], 0xbc7abc9e3b39803f, v[26:27]
	v_fmaak_f64 v[28:29], s[20:21], v[26:27], 0x3e928af3fca7ab0c
	s_delay_alu instid0(VALU_DEP_1) | instskip(NEXT) | instid1(VALU_DEP_1)
	v_fmaak_f64 v[28:29], v[26:27], v[28:29], 0x3ec71dee623fde64
	v_fmaak_f64 v[28:29], v[26:27], v[28:29], 0x3efa01997c89e6b0
	s_delay_alu instid0(VALU_DEP_1) | instskip(NEXT) | instid1(VALU_DEP_1)
	v_fmaak_f64 v[28:29], v[26:27], v[28:29], 0x3f2a01a014761f6e
	;; [unrolled: 3-line block ×4, first 2 shown]
	v_fmaak_f64 v[28:29], v[26:27], v[28:29], 0x3fe000000000000b
	s_delay_alu instid0(VALU_DEP_1) | instskip(NEXT) | instid1(VALU_DEP_1)
	v_fma_f64 v[28:29], v[26:27], v[28:29], 1.0
	v_fma_f64 v[24:25], v[26:27], v[28:29], 1.0
	s_delay_alu instid0(VALU_DEP_1) | instskip(NEXT) | instid1(VALU_DEP_1)
	v_ldexp_f64 v[24:25], v[24:25], v3
	v_cndmask_b32_e32 v3, 0x7ff00000, v25, vcc_lo
	s_and_b32 vcc_lo, s0, vcc_lo
	s_delay_alu instid0(VALU_DEP_1) | instid1(SALU_CYCLE_1)
	v_dual_cndmask_b32 v4, 0, v24, vcc_lo :: v_dual_cndmask_b32 v5, 0, v3, s0
	s_delay_alu instid0(VALU_DEP_1) | instskip(SKIP_1) | instid1(VALU_DEP_1)
	v_mul_f64_e32 v[0:1], v[0:1], v[4:5]
	v_add_f64_e32 v[4:5], 1.0, v[4:5]
	v_div_scale_f64 v[24:25], null, v[4:5], v[4:5], v[0:1]
	s_delay_alu instid0(VALU_DEP_1) | instskip(SKIP_1) | instid1(TRANS32_DEP_1)
	v_rcp_f64_e32 v[26:27], v[24:25]
	v_nop
	v_fma_f64 v[28:29], -v[24:25], v[26:27], 1.0
	s_delay_alu instid0(VALU_DEP_1) | instskip(NEXT) | instid1(VALU_DEP_1)
	v_fmac_f64_e32 v[26:27], v[26:27], v[28:29]
	v_fma_f64 v[28:29], -v[24:25], v[26:27], 1.0
	s_delay_alu instid0(VALU_DEP_1) | instskip(SKIP_1) | instid1(VALU_DEP_1)
	v_fmac_f64_e32 v[26:27], v[26:27], v[28:29]
	v_div_scale_f64 v[28:29], vcc_lo, v[0:1], v[4:5], v[0:1]
	v_mul_f64_e32 v[30:31], v[28:29], v[26:27]
	s_delay_alu instid0(VALU_DEP_1) | instskip(NEXT) | instid1(VALU_DEP_1)
	v_fma_f64 v[24:25], -v[24:25], v[30:31], v[28:29]
	v_div_fmas_f64 v[24:25], v[24:25], v[26:27], v[30:31]
	s_delay_alu instid0(VALU_DEP_1)
	v_div_fixup_f64 v[0:1], v[24:25], v[4:5], v[0:1]
.LBB43_1903:
	s_or_b32 exec_lo, exec_lo, s18
	v_mov_b32_e32 v23, 0
	s_and_b32 s16, 0xffff, s16
	s_delay_alu instid0(SALU_CYCLE_1) | instskip(NEXT) | instid1(VALU_DEP_1)
	s_cmp_lt_i32 s16, 11
	v_add_nc_u64_e32 v[22:23], s[6:7], v[22:23]
	s_cbranch_scc1 .LBB43_1910
; %bb.1904:
	s_cmp_gt_i32 s16, 25
	s_mov_b32 s18, 0
	s_cbranch_scc0 .LBB43_1912
; %bb.1905:
	s_cmp_gt_i32 s16, 28
	s_cbranch_scc0 .LBB43_1913
; %bb.1906:
	s_cmp_gt_i32 s16, 43
	;; [unrolled: 3-line block ×3, first 2 shown]
	s_cbranch_scc0 .LBB43_1916
; %bb.1908:
	s_cmp_eq_u32 s16, 46
	s_mov_b32 s20, 0
	s_cbranch_scc0 .LBB43_1917
; %bb.1909:
	global_load_b32 v3, v[22:23], off
	s_mov_b32 s0, 0
	s_mov_b32 s19, -1
	s_wait_loadcnt 0x0
	v_lshlrev_b32_e32 v3, 16, v3
	s_delay_alu instid0(VALU_DEP_1)
	v_cvt_f64_f32_e32 v[4:5], v3
	s_branch .LBB43_1919
.LBB43_1910:
	s_mov_b32 s19, 0
                                        ; implicit-def: $vgpr4_vgpr5
	s_cbranch_execnz .LBB43_1985
.LBB43_1911:
	s_and_not1_b32 vcc_lo, exec_lo, s19
	s_cbranch_vccnz .LBB43_2774
	s_branch .LBB43_2033
.LBB43_1912:
	s_mov_b32 s20, -1
	s_mov_b32 s19, 0
	s_mov_b32 s0, 0
                                        ; implicit-def: $vgpr4_vgpr5
	s_branch .LBB43_1948
.LBB43_1913:
	s_mov_b32 s20, -1
	s_mov_b32 s19, 0
	s_mov_b32 s0, 0
                                        ; implicit-def: $vgpr4_vgpr5
	s_branch .LBB43_1929
.LBB43_1914:
	s_mov_b32 s20, -1
	s_mov_b32 s19, 0
	s_mov_b32 s0, 0
                                        ; implicit-def: $vgpr4_vgpr5
	s_branch .LBB43_1924
.LBB43_1915:
	s_or_b32 s1, s1, exec_lo
	s_trap 2
	s_cbranch_execz .LBB43_1852
	s_branch .LBB43_1853
.LBB43_1916:
	s_mov_b32 s20, -1
	s_mov_b32 s19, 0
	s_mov_b32 s0, 0
	s_branch .LBB43_1918
.LBB43_1917:
	s_mov_b32 s0, -1
	s_mov_b32 s19, 0
.LBB43_1918:
                                        ; implicit-def: $vgpr4_vgpr5
.LBB43_1919:
	s_and_b32 vcc_lo, exec_lo, s20
	s_cbranch_vccz .LBB43_1923
; %bb.1920:
	s_cmp_eq_u32 s16, 44
	s_cbranch_scc0 .LBB43_1922
; %bb.1921:
	global_load_u8 v3, v[22:23], off
	s_mov_b32 s0, 0
	s_mov_b32 s19, -1
	s_wait_loadcnt 0x0
	v_cmp_ne_u32_e32 vcc_lo, 0xff, v3
	v_lshlrev_b32_e32 v4, 23, v3
	s_delay_alu instid0(VALU_DEP_1) | instskip(NEXT) | instid1(VALU_DEP_1)
	v_cvt_f64_f32_e32 v[4:5], v4
	v_cndmask_b32_e32 v4, 0x20000000, v4, vcc_lo
	s_delay_alu instid0(VALU_DEP_2) | instskip(SKIP_1) | instid1(VALU_DEP_2)
	v_cndmask_b32_e32 v5, 0x7ff80000, v5, vcc_lo
	v_cmp_ne_u32_e32 vcc_lo, 0, v3
	v_cndmask_b32_e32 v5, 0x38000000, v5, vcc_lo
	s_delay_alu instid0(VALU_DEP_4)
	v_cndmask_b32_e32 v4, 0, v4, vcc_lo
	s_branch .LBB43_1923
.LBB43_1922:
	s_mov_b32 s0, -1
                                        ; implicit-def: $vgpr4_vgpr5
.LBB43_1923:
	s_mov_b32 s20, 0
.LBB43_1924:
	s_delay_alu instid0(SALU_CYCLE_1)
	s_and_b32 vcc_lo, exec_lo, s20
	s_cbranch_vccz .LBB43_1928
; %bb.1925:
	s_cmp_eq_u32 s16, 29
	s_cbranch_scc0 .LBB43_1927
; %bb.1926:
	global_load_b64 v[4:5], v[22:23], off
	s_mov_b32 s0, 0
	s_mov_b32 s19, -1
	s_mov_b32 s20, 0
	s_wait_loadcnt 0x0
	v_cvt_f64_u32_e32 v[24:25], v5
	v_cvt_f64_u32_e32 v[4:5], v4
	s_delay_alu instid0(VALU_DEP_2) | instskip(NEXT) | instid1(VALU_DEP_1)
	v_ldexp_f64 v[24:25], v[24:25], 32
	v_add_f64_e32 v[4:5], v[24:25], v[4:5]
	s_branch .LBB43_1929
.LBB43_1927:
	s_mov_b32 s0, -1
                                        ; implicit-def: $vgpr4_vgpr5
.LBB43_1928:
	s_mov_b32 s20, 0
.LBB43_1929:
	s_delay_alu instid0(SALU_CYCLE_1)
	s_and_b32 vcc_lo, exec_lo, s20
	s_cbranch_vccz .LBB43_1947
; %bb.1930:
	s_cmp_lt_i32 s16, 27
	s_cbranch_scc1 .LBB43_1933
; %bb.1931:
	s_cmp_gt_i32 s16, 27
	s_cbranch_scc0 .LBB43_1934
; %bb.1932:
	global_load_b32 v3, v[22:23], off
	s_mov_b32 s19, 0
	s_wait_loadcnt 0x0
	v_cvt_f64_u32_e32 v[4:5], v3
	s_branch .LBB43_1935
.LBB43_1933:
	s_mov_b32 s19, -1
                                        ; implicit-def: $vgpr4_vgpr5
	s_branch .LBB43_1938
.LBB43_1934:
	s_mov_b32 s19, -1
                                        ; implicit-def: $vgpr4_vgpr5
.LBB43_1935:
	s_delay_alu instid0(SALU_CYCLE_1)
	s_and_not1_b32 vcc_lo, exec_lo, s19
	s_cbranch_vccnz .LBB43_1937
; %bb.1936:
	global_load_u16 v3, v[22:23], off
	s_wait_loadcnt 0x0
	v_cvt_f64_u32_e32 v[4:5], v3
.LBB43_1937:
	s_mov_b32 s19, 0
.LBB43_1938:
	s_delay_alu instid0(SALU_CYCLE_1)
	s_and_not1_b32 vcc_lo, exec_lo, s19
	s_cbranch_vccnz .LBB43_1946
; %bb.1939:
	global_load_u8 v3, v[22:23], off
	s_mov_b32 s19, 0
	s_mov_b32 s20, exec_lo
	s_wait_loadcnt 0x0
	v_cmpx_lt_i16_e32 0x7f, v3
	s_xor_b32 s20, exec_lo, s20
	s_cbranch_execz .LBB43_1960
; %bb.1940:
	s_mov_b32 s19, -1
	s_mov_b32 s21, exec_lo
	v_cmpx_eq_u16_e32 0x80, v3
; %bb.1941:
	s_xor_b32 s19, exec_lo, -1
; %bb.1942:
	s_or_b32 exec_lo, exec_lo, s21
	s_delay_alu instid0(SALU_CYCLE_1)
	s_and_b32 s19, s19, exec_lo
	s_or_saveexec_b32 s20, s20
	v_mov_b64_e32 v[4:5], 0x7ff8000020000000
	s_xor_b32 exec_lo, exec_lo, s20
	s_cbranch_execnz .LBB43_1961
.LBB43_1943:
	s_or_b32 exec_lo, exec_lo, s20
	s_and_saveexec_b32 s20, s19
	s_cbranch_execz .LBB43_1945
.LBB43_1944:
	v_and_b32_e32 v4, 0xffff, v3
	s_delay_alu instid0(VALU_DEP_1) | instskip(SKIP_1) | instid1(VALU_DEP_2)
	v_and_b32_e32 v5, 7, v4
	v_bfe_u32 v11, v4, 3, 4
	v_clz_i32_u32_e32 v7, v5
	s_delay_alu instid0(VALU_DEP_2) | instskip(NEXT) | instid1(VALU_DEP_2)
	v_cmp_eq_u32_e32 vcc_lo, 0, v11
	v_min_u32_e32 v7, 32, v7
	s_delay_alu instid0(VALU_DEP_1) | instskip(NEXT) | instid1(VALU_DEP_1)
	v_subrev_nc_u32_e32 v9, 28, v7
	v_dual_lshlrev_b32 v4, v9, v4 :: v_dual_sub_nc_u32 v7, 29, v7
	s_delay_alu instid0(VALU_DEP_1) | instskip(NEXT) | instid1(VALU_DEP_1)
	v_dual_lshlrev_b32 v3, 24, v3 :: v_dual_bitop2_b32 v4, 7, v4 bitop3:0x40
	v_dual_cndmask_b32 v4, v5, v4 :: v_dual_cndmask_b32 v7, v11, v7
	s_delay_alu instid0(VALU_DEP_2) | instskip(NEXT) | instid1(VALU_DEP_2)
	v_and_b32_e32 v3, 0x80000000, v3
	v_lshlrev_b32_e32 v4, 20, v4
	s_delay_alu instid0(VALU_DEP_3) | instskip(NEXT) | instid1(VALU_DEP_1)
	v_lshl_add_u32 v5, v7, 23, 0x3b800000
	v_or3_b32 v3, v3, v5, v4
	s_delay_alu instid0(VALU_DEP_1)
	v_cvt_f64_f32_e32 v[4:5], v3
.LBB43_1945:
	s_or_b32 exec_lo, exec_lo, s20
.LBB43_1946:
	s_mov_b32 s19, -1
.LBB43_1947:
	s_mov_b32 s20, 0
.LBB43_1948:
	s_delay_alu instid0(SALU_CYCLE_1)
	s_and_b32 vcc_lo, exec_lo, s20
	s_cbranch_vccz .LBB43_1981
; %bb.1949:
	s_cmp_gt_i32 s16, 22
	s_cbranch_scc0 .LBB43_1959
; %bb.1950:
	s_cmp_lt_i32 s16, 24
	s_cbranch_scc1 .LBB43_1962
; %bb.1951:
	s_cmp_gt_i32 s16, 24
	s_cbranch_scc0 .LBB43_1963
; %bb.1952:
	global_load_u8 v3, v[22:23], off
	s_mov_b32 s19, exec_lo
	s_wait_loadcnt 0x0
	v_cmpx_lt_i16_e32 0x7f, v3
	s_xor_b32 s19, exec_lo, s19
	s_cbranch_execz .LBB43_1975
; %bb.1953:
	s_mov_b32 s18, -1
	s_mov_b32 s20, exec_lo
	v_cmpx_eq_u16_e32 0x80, v3
; %bb.1954:
	s_xor_b32 s18, exec_lo, -1
; %bb.1955:
	s_or_b32 exec_lo, exec_lo, s20
	s_delay_alu instid0(SALU_CYCLE_1)
	s_and_b32 s18, s18, exec_lo
	s_or_saveexec_b32 s19, s19
	v_mov_b64_e32 v[4:5], 0x7ff8000020000000
	s_xor_b32 exec_lo, exec_lo, s19
	s_cbranch_execnz .LBB43_1976
.LBB43_1956:
	s_or_b32 exec_lo, exec_lo, s19
	s_and_saveexec_b32 s19, s18
	s_cbranch_execz .LBB43_1958
.LBB43_1957:
	v_and_b32_e32 v4, 0xffff, v3
	s_delay_alu instid0(VALU_DEP_1) | instskip(SKIP_1) | instid1(VALU_DEP_2)
	v_and_b32_e32 v5, 3, v4
	v_bfe_u32 v11, v4, 2, 5
	v_clz_i32_u32_e32 v7, v5
	s_delay_alu instid0(VALU_DEP_2) | instskip(NEXT) | instid1(VALU_DEP_2)
	v_cmp_eq_u32_e32 vcc_lo, 0, v11
	v_min_u32_e32 v7, 32, v7
	s_delay_alu instid0(VALU_DEP_1) | instskip(NEXT) | instid1(VALU_DEP_1)
	v_subrev_nc_u32_e32 v9, 29, v7
	v_dual_lshlrev_b32 v4, v9, v4 :: v_dual_sub_nc_u32 v7, 30, v7
	s_delay_alu instid0(VALU_DEP_1) | instskip(NEXT) | instid1(VALU_DEP_1)
	v_dual_lshlrev_b32 v3, 24, v3 :: v_dual_bitop2_b32 v4, 3, v4 bitop3:0x40
	v_dual_cndmask_b32 v4, v5, v4 :: v_dual_cndmask_b32 v7, v11, v7
	s_delay_alu instid0(VALU_DEP_2) | instskip(NEXT) | instid1(VALU_DEP_2)
	v_and_b32_e32 v3, 0x80000000, v3
	v_lshlrev_b32_e32 v4, 21, v4
	s_delay_alu instid0(VALU_DEP_3) | instskip(NEXT) | instid1(VALU_DEP_1)
	v_lshl_add_u32 v5, v7, 23, 0x37800000
	v_or3_b32 v3, v3, v5, v4
	s_delay_alu instid0(VALU_DEP_1)
	v_cvt_f64_f32_e32 v[4:5], v3
.LBB43_1958:
	s_or_b32 exec_lo, exec_lo, s19
	s_mov_b32 s18, 0
	s_branch .LBB43_1964
.LBB43_1959:
	s_mov_b32 s18, -1
                                        ; implicit-def: $vgpr4_vgpr5
	s_branch .LBB43_1970
.LBB43_1960:
	s_or_saveexec_b32 s20, s20
	v_mov_b64_e32 v[4:5], 0x7ff8000020000000
	s_xor_b32 exec_lo, exec_lo, s20
	s_cbranch_execz .LBB43_1943
.LBB43_1961:
	v_cmp_ne_u16_e32 vcc_lo, 0, v3
	v_mov_b64_e32 v[4:5], 0
	s_and_not1_b32 s19, s19, exec_lo
	s_and_b32 s21, vcc_lo, exec_lo
	s_delay_alu instid0(SALU_CYCLE_1)
	s_or_b32 s19, s19, s21
	s_or_b32 exec_lo, exec_lo, s20
	s_and_saveexec_b32 s20, s19
	s_cbranch_execnz .LBB43_1944
	s_branch .LBB43_1945
.LBB43_1962:
	s_mov_b32 s18, -1
                                        ; implicit-def: $vgpr4_vgpr5
	s_branch .LBB43_1967
.LBB43_1963:
	s_mov_b32 s18, -1
                                        ; implicit-def: $vgpr4_vgpr5
.LBB43_1964:
	s_delay_alu instid0(SALU_CYCLE_1)
	s_and_b32 vcc_lo, exec_lo, s18
	s_cbranch_vccz .LBB43_1966
; %bb.1965:
	global_load_u8 v3, v[22:23], off
	s_wait_loadcnt 0x0
	v_lshlrev_b32_e32 v3, 24, v3
	s_delay_alu instid0(VALU_DEP_1) | instskip(NEXT) | instid1(VALU_DEP_1)
	v_and_b32_e32 v4, 0x7f000000, v3
	v_clz_i32_u32_e32 v5, v4
	v_cmp_ne_u32_e32 vcc_lo, 0, v4
	v_add_nc_u32_e32 v9, 0x1000000, v4
	s_delay_alu instid0(VALU_DEP_3) | instskip(NEXT) | instid1(VALU_DEP_1)
	v_min_u32_e32 v5, 32, v5
	v_sub_nc_u32_e64 v5, v5, 4 clamp
	s_delay_alu instid0(VALU_DEP_1) | instskip(NEXT) | instid1(VALU_DEP_1)
	v_dual_lshlrev_b32 v7, v5, v4 :: v_dual_lshlrev_b32 v5, 23, v5
	v_lshrrev_b32_e32 v7, 4, v7
	s_delay_alu instid0(VALU_DEP_1) | instskip(SKIP_1) | instid1(VALU_DEP_2)
	v_sub_nc_u32_e32 v5, v7, v5
	v_ashrrev_i32_e32 v7, 8, v9
	v_add_nc_u32_e32 v5, 0x3c000000, v5
	s_delay_alu instid0(VALU_DEP_1) | instskip(NEXT) | instid1(VALU_DEP_1)
	v_and_or_b32 v5, 0x7f800000, v7, v5
	v_cndmask_b32_e32 v4, 0, v5, vcc_lo
	s_delay_alu instid0(VALU_DEP_1) | instskip(NEXT) | instid1(VALU_DEP_1)
	v_and_or_b32 v3, 0x80000000, v3, v4
	v_cvt_f64_f32_e32 v[4:5], v3
.LBB43_1966:
	s_mov_b32 s18, 0
.LBB43_1967:
	s_delay_alu instid0(SALU_CYCLE_1)
	s_and_not1_b32 vcc_lo, exec_lo, s18
	s_cbranch_vccnz .LBB43_1969
; %bb.1968:
	global_load_u8 v3, v[22:23], off
	s_wait_loadcnt 0x0
	v_lshlrev_b32_e32 v4, 25, v3
	v_lshlrev_b16 v3, 8, v3
	s_delay_alu instid0(VALU_DEP_1) | instskip(NEXT) | instid1(VALU_DEP_3)
	v_and_or_b32 v7, 0x7f00, v3, 0.5
	v_lshrrev_b32_e32 v5, 4, v4
	v_bfe_i32 v3, v3, 0, 16
	s_delay_alu instid0(VALU_DEP_3) | instskip(NEXT) | instid1(VALU_DEP_3)
	v_add_f32_e32 v7, -0.5, v7
	v_or_b32_e32 v5, 0x70000000, v5
	s_delay_alu instid0(VALU_DEP_1) | instskip(SKIP_1) | instid1(VALU_DEP_2)
	v_mul_f32_e32 v5, 0x7800000, v5
	v_cmp_gt_u32_e32 vcc_lo, 0x8000000, v4
	v_cndmask_b32_e32 v4, v5, v7, vcc_lo
	s_delay_alu instid0(VALU_DEP_1) | instskip(NEXT) | instid1(VALU_DEP_1)
	v_and_or_b32 v3, 0x80000000, v3, v4
	v_cvt_f64_f32_e32 v[4:5], v3
.LBB43_1969:
	s_mov_b32 s18, 0
	s_mov_b32 s19, -1
.LBB43_1970:
	s_and_not1_b32 vcc_lo, exec_lo, s18
	s_mov_b32 s18, 0
	s_cbranch_vccnz .LBB43_1981
; %bb.1971:
	s_cmp_gt_i32 s16, 14
	s_cbranch_scc0 .LBB43_1974
; %bb.1972:
	s_cmp_eq_u32 s16, 15
	s_cbranch_scc0 .LBB43_1977
; %bb.1973:
	global_load_u16 v3, v[22:23], off
	s_mov_b32 s0, 0
	s_mov_b32 s19, -1
	s_wait_loadcnt 0x0
	v_lshlrev_b32_e32 v3, 16, v3
	s_delay_alu instid0(VALU_DEP_1)
	v_cvt_f64_f32_e32 v[4:5], v3
	s_branch .LBB43_1979
.LBB43_1974:
	s_mov_b32 s18, -1
	s_branch .LBB43_1978
.LBB43_1975:
	s_or_saveexec_b32 s19, s19
	v_mov_b64_e32 v[4:5], 0x7ff8000020000000
	s_xor_b32 exec_lo, exec_lo, s19
	s_cbranch_execz .LBB43_1956
.LBB43_1976:
	v_cmp_ne_u16_e32 vcc_lo, 0, v3
	v_mov_b64_e32 v[4:5], 0
	s_and_not1_b32 s18, s18, exec_lo
	s_and_b32 s20, vcc_lo, exec_lo
	s_delay_alu instid0(SALU_CYCLE_1)
	s_or_b32 s18, s18, s20
	s_or_b32 exec_lo, exec_lo, s19
	s_and_saveexec_b32 s19, s18
	s_cbranch_execnz .LBB43_1957
	s_branch .LBB43_1958
.LBB43_1977:
	s_mov_b32 s0, -1
.LBB43_1978:
                                        ; implicit-def: $vgpr4_vgpr5
.LBB43_1979:
	s_and_b32 vcc_lo, exec_lo, s18
	s_mov_b32 s18, 0
	s_cbranch_vccz .LBB43_1981
; %bb.1980:
	s_cmp_lg_u32 s16, 11
	s_mov_b32 s18, -1
	s_cselect_b32 s0, -1, 0
.LBB43_1981:
	s_delay_alu instid0(SALU_CYCLE_1)
	s_and_b32 vcc_lo, exec_lo, s0
	s_cbranch_vccnz .LBB43_2044
; %bb.1982:
	s_and_not1_b32 vcc_lo, exec_lo, s18
	s_cbranch_vccnz .LBB43_1984
.LBB43_1983:
	global_load_u8 v3, v[22:23], off
	v_mov_b32_e32 v4, 0
	s_mov_b32 s19, -1
	s_wait_loadcnt 0x0
	v_cmp_ne_u16_e32 vcc_lo, 0, v3
	v_cndmask_b32_e64 v5, 0, 0x3ff00000, vcc_lo
.LBB43_1984:
	s_branch .LBB43_1911
.LBB43_1985:
	s_cmp_lt_i32 s16, 5
	s_cbranch_scc1 .LBB43_1990
; %bb.1986:
	s_cmp_lt_i32 s16, 8
	s_cbranch_scc1 .LBB43_1991
; %bb.1987:
	;; [unrolled: 3-line block ×3, first 2 shown]
	s_cmp_gt_i32 s16, 9
	s_cbranch_scc0 .LBB43_1993
; %bb.1989:
	global_load_b64 v[4:5], v[22:23], off
	s_mov_b32 s0, 0
	s_branch .LBB43_1994
.LBB43_1990:
	s_mov_b32 s0, -1
                                        ; implicit-def: $vgpr4_vgpr5
	s_branch .LBB43_2012
.LBB43_1991:
	s_mov_b32 s0, -1
                                        ; implicit-def: $vgpr4_vgpr5
	s_branch .LBB43_2000
.LBB43_1992:
	s_mov_b32 s0, -1
                                        ; implicit-def: $vgpr4_vgpr5
	s_branch .LBB43_1997
.LBB43_1993:
	s_mov_b32 s0, -1
                                        ; implicit-def: $vgpr4_vgpr5
.LBB43_1994:
	s_delay_alu instid0(SALU_CYCLE_1)
	s_and_not1_b32 vcc_lo, exec_lo, s0
	s_cbranch_vccnz .LBB43_1996
; %bb.1995:
	global_load_b32 v3, v[22:23], off
	s_wait_loadcnt 0x0
	v_cvt_f64_f32_e32 v[4:5], v3
.LBB43_1996:
	s_mov_b32 s0, 0
.LBB43_1997:
	s_delay_alu instid0(SALU_CYCLE_1)
	s_and_not1_b32 vcc_lo, exec_lo, s0
	s_cbranch_vccnz .LBB43_1999
; %bb.1998:
	global_load_b32 v3, v[22:23], off
	s_wait_loadcnt 0x0
	v_cvt_f32_f16_e32 v3, v3
	s_delay_alu instid0(VALU_DEP_1)
	v_cvt_f64_f32_e32 v[4:5], v3
.LBB43_1999:
	s_mov_b32 s0, 0
.LBB43_2000:
	s_delay_alu instid0(SALU_CYCLE_1)
	s_and_not1_b32 vcc_lo, exec_lo, s0
	s_cbranch_vccnz .LBB43_2011
; %bb.2001:
	s_cmp_lt_i32 s16, 6
	s_cbranch_scc1 .LBB43_2004
; %bb.2002:
	s_cmp_gt_i32 s16, 6
	s_cbranch_scc0 .LBB43_2005
; %bb.2003:
	s_wait_loadcnt 0x0
	global_load_b64 v[4:5], v[22:23], off
	s_mov_b32 s0, 0
	s_branch .LBB43_2006
.LBB43_2004:
	s_mov_b32 s0, -1
                                        ; implicit-def: $vgpr4_vgpr5
	s_branch .LBB43_2009
.LBB43_2005:
	s_mov_b32 s0, -1
                                        ; implicit-def: $vgpr4_vgpr5
.LBB43_2006:
	s_delay_alu instid0(SALU_CYCLE_1)
	s_and_not1_b32 vcc_lo, exec_lo, s0
	s_cbranch_vccnz .LBB43_2008
; %bb.2007:
	global_load_b32 v3, v[22:23], off
	s_wait_loadcnt 0x0
	v_cvt_f64_f32_e32 v[4:5], v3
.LBB43_2008:
	s_mov_b32 s0, 0
.LBB43_2009:
	s_delay_alu instid0(SALU_CYCLE_1)
	s_and_not1_b32 vcc_lo, exec_lo, s0
	s_cbranch_vccnz .LBB43_2011
; %bb.2010:
	global_load_u16 v3, v[22:23], off
	s_wait_loadcnt 0x0
	v_cvt_f32_f16_e32 v3, v3
	s_delay_alu instid0(VALU_DEP_1)
	v_cvt_f64_f32_e32 v[4:5], v3
.LBB43_2011:
	s_mov_b32 s0, 0
.LBB43_2012:
	s_delay_alu instid0(SALU_CYCLE_1)
	s_and_not1_b32 vcc_lo, exec_lo, s0
	s_cbranch_vccnz .LBB43_2032
; %bb.2013:
	s_cmp_lt_i32 s16, 2
	s_cbranch_scc1 .LBB43_2017
; %bb.2014:
	s_cmp_lt_i32 s16, 3
	s_cbranch_scc1 .LBB43_2018
; %bb.2015:
	s_cmp_gt_i32 s16, 3
	s_cbranch_scc0 .LBB43_2019
; %bb.2016:
	s_wait_loadcnt 0x0
	global_load_b64 v[4:5], v[22:23], off
	s_mov_b32 s0, 0
	s_wait_loadcnt 0x0
	v_cvt_f64_i32_e32 v[24:25], v5
	v_cvt_f64_u32_e32 v[4:5], v4
	s_delay_alu instid0(VALU_DEP_2) | instskip(NEXT) | instid1(VALU_DEP_1)
	v_ldexp_f64 v[24:25], v[24:25], 32
	v_add_f64_e32 v[4:5], v[24:25], v[4:5]
	s_branch .LBB43_2020
.LBB43_2017:
	s_mov_b32 s0, -1
                                        ; implicit-def: $vgpr4_vgpr5
	s_branch .LBB43_2026
.LBB43_2018:
	s_mov_b32 s0, -1
                                        ; implicit-def: $vgpr4_vgpr5
	s_branch .LBB43_2023
.LBB43_2019:
	s_mov_b32 s0, -1
                                        ; implicit-def: $vgpr4_vgpr5
.LBB43_2020:
	s_delay_alu instid0(SALU_CYCLE_1)
	s_and_not1_b32 vcc_lo, exec_lo, s0
	s_cbranch_vccnz .LBB43_2022
; %bb.2021:
	global_load_b32 v3, v[22:23], off
	s_wait_loadcnt 0x0
	v_cvt_f64_i32_e32 v[4:5], v3
.LBB43_2022:
	s_mov_b32 s0, 0
.LBB43_2023:
	s_delay_alu instid0(SALU_CYCLE_1)
	s_and_not1_b32 vcc_lo, exec_lo, s0
	s_cbranch_vccnz .LBB43_2025
; %bb.2024:
	global_load_i16 v3, v[22:23], off
	s_wait_loadcnt 0x0
	v_cvt_f64_i32_e32 v[4:5], v3
.LBB43_2025:
	s_mov_b32 s0, 0
.LBB43_2026:
	s_delay_alu instid0(SALU_CYCLE_1)
	s_and_not1_b32 vcc_lo, exec_lo, s0
	s_cbranch_vccnz .LBB43_2032
; %bb.2027:
	s_cmp_gt_i32 s16, 0
	s_mov_b32 s0, 0
	s_cbranch_scc0 .LBB43_2029
; %bb.2028:
	global_load_i8 v3, v[22:23], off
	s_wait_loadcnt 0x0
	v_cvt_f64_i32_e32 v[4:5], v3
	s_branch .LBB43_2030
.LBB43_2029:
	s_mov_b32 s0, -1
                                        ; implicit-def: $vgpr4_vgpr5
.LBB43_2030:
	s_delay_alu instid0(SALU_CYCLE_1)
	s_and_not1_b32 vcc_lo, exec_lo, s0
	s_cbranch_vccnz .LBB43_2032
; %bb.2031:
	global_load_u8 v3, v[22:23], off
	s_wait_loadcnt 0x0
	v_cvt_f64_u32_e32 v[4:5], v3
.LBB43_2032:
.LBB43_2033:
	v_mov_b32_e32 v21, 0
	s_and_b32 s17, 0xffff, s17
	s_delay_alu instid0(SALU_CYCLE_1) | instskip(NEXT) | instid1(VALU_DEP_1)
	s_cmp_lt_i32 s17, 11
	v_add_nc_u64_e32 v[20:21], s[12:13], v[20:21]
	s_cbranch_scc1 .LBB43_2040
; %bb.2034:
	s_cmp_gt_i32 s17, 25
	s_mov_b32 s18, 0
	s_cbranch_scc0 .LBB43_2041
; %bb.2035:
	s_cmp_gt_i32 s17, 28
	s_cbranch_scc0 .LBB43_2042
; %bb.2036:
	s_cmp_gt_i32 s17, 43
	;; [unrolled: 3-line block ×3, first 2 shown]
	s_cbranch_scc0 .LBB43_2045
; %bb.2038:
	s_cmp_eq_u32 s17, 46
	s_mov_b32 s20, 0
	s_cbranch_scc0 .LBB43_2046
; %bb.2039:
	global_load_b32 v3, v[20:21], off
	s_mov_b32 s0, 0
	s_mov_b32 s19, -1
	s_wait_loadcnt 0x0
	v_lshlrev_b32_e32 v3, 16, v3
	s_wait_xcnt 0x1
	s_delay_alu instid0(VALU_DEP_1)
	v_cvt_f64_f32_e32 v[22:23], v3
	s_branch .LBB43_2048
.LBB43_2040:
	s_mov_b32 s0, -1
	s_mov_b32 s19, 0
                                        ; implicit-def: $vgpr22_vgpr23
	s_branch .LBB43_2114
.LBB43_2041:
	s_mov_b32 s20, -1
	s_mov_b32 s19, 0
	s_mov_b32 s0, 0
                                        ; implicit-def: $vgpr22_vgpr23
	s_branch .LBB43_2077
.LBB43_2042:
	s_mov_b32 s20, -1
	s_mov_b32 s19, 0
	s_mov_b32 s0, 0
                                        ; implicit-def: $vgpr22_vgpr23
	s_branch .LBB43_2058
.LBB43_2043:
	s_mov_b32 s20, -1
	s_mov_b32 s19, 0
	s_mov_b32 s0, 0
                                        ; implicit-def: $vgpr22_vgpr23
	s_branch .LBB43_2053
.LBB43_2044:
	s_or_b32 s1, s1, exec_lo
	s_trap 2
	s_cbranch_execz .LBB43_1983
	s_branch .LBB43_1984
.LBB43_2045:
	s_mov_b32 s20, -1
	s_mov_b32 s19, 0
	s_mov_b32 s0, 0
	s_branch .LBB43_2047
.LBB43_2046:
	s_mov_b32 s0, -1
	s_mov_b32 s19, 0
.LBB43_2047:
                                        ; implicit-def: $vgpr22_vgpr23
.LBB43_2048:
	s_and_b32 vcc_lo, exec_lo, s20
	s_cbranch_vccz .LBB43_2052
; %bb.2049:
	s_cmp_eq_u32 s17, 44
	s_cbranch_scc0 .LBB43_2051
; %bb.2050:
	global_load_u8 v3, v[20:21], off
	s_mov_b32 s0, 0
	s_mov_b32 s19, -1
	s_wait_loadcnt 0x0
	v_lshlrev_b32_e32 v7, 23, v3
	v_cmp_ne_u32_e32 vcc_lo, 0xff, v3
	s_wait_xcnt 0x1
	s_delay_alu instid0(VALU_DEP_2) | instskip(NEXT) | instid1(VALU_DEP_1)
	v_cvt_f64_f32_e32 v[22:23], v7
	v_cndmask_b32_e32 v7, 0x20000000, v22, vcc_lo
	s_delay_alu instid0(VALU_DEP_2) | instskip(SKIP_1) | instid1(VALU_DEP_2)
	v_cndmask_b32_e32 v9, 0x7ff80000, v23, vcc_lo
	v_cmp_ne_u32_e32 vcc_lo, 0, v3
	v_cndmask_b32_e32 v23, 0x38000000, v9, vcc_lo
	s_delay_alu instid0(VALU_DEP_4)
	v_cndmask_b32_e32 v22, 0, v7, vcc_lo
	s_branch .LBB43_2052
.LBB43_2051:
	s_mov_b32 s0, -1
                                        ; implicit-def: $vgpr22_vgpr23
.LBB43_2052:
	s_mov_b32 s20, 0
.LBB43_2053:
	s_delay_alu instid0(SALU_CYCLE_1)
	s_and_b32 vcc_lo, exec_lo, s20
	s_cbranch_vccz .LBB43_2057
; %bb.2054:
	s_cmp_eq_u32 s17, 29
	s_cbranch_scc0 .LBB43_2056
; %bb.2055:
	global_load_b64 v[22:23], v[20:21], off
	s_mov_b32 s0, 0
	s_mov_b32 s19, -1
	s_mov_b32 s20, 0
	s_wait_loadcnt 0x0
	v_cvt_f64_u32_e32 v[24:25], v23
	v_cvt_f64_u32_e32 v[22:23], v22
	s_delay_alu instid0(VALU_DEP_2) | instskip(NEXT) | instid1(VALU_DEP_1)
	v_ldexp_f64 v[24:25], v[24:25], 32
	v_add_f64_e32 v[22:23], v[24:25], v[22:23]
	s_branch .LBB43_2058
.LBB43_2056:
	s_mov_b32 s0, -1
                                        ; implicit-def: $vgpr22_vgpr23
.LBB43_2057:
	s_mov_b32 s20, 0
.LBB43_2058:
	s_delay_alu instid0(SALU_CYCLE_1)
	s_and_b32 vcc_lo, exec_lo, s20
	s_cbranch_vccz .LBB43_2076
; %bb.2059:
	s_cmp_lt_i32 s17, 27
	s_cbranch_scc1 .LBB43_2062
; %bb.2060:
	s_cmp_gt_i32 s17, 27
	s_cbranch_scc0 .LBB43_2063
; %bb.2061:
	global_load_b32 v3, v[20:21], off
	s_mov_b32 s19, 0
	s_wait_loadcnt 0x0
	s_wait_xcnt 0x1
	v_cvt_f64_u32_e32 v[22:23], v3
	s_branch .LBB43_2064
.LBB43_2062:
	s_mov_b32 s19, -1
                                        ; implicit-def: $vgpr22_vgpr23
	s_branch .LBB43_2067
.LBB43_2063:
	s_mov_b32 s19, -1
                                        ; implicit-def: $vgpr22_vgpr23
.LBB43_2064:
	s_delay_alu instid0(SALU_CYCLE_1)
	s_and_not1_b32 vcc_lo, exec_lo, s19
	s_cbranch_vccnz .LBB43_2066
; %bb.2065:
	global_load_u16 v3, v[20:21], off
	s_wait_loadcnt 0x0
	s_wait_xcnt 0x1
	v_cvt_f64_u32_e32 v[22:23], v3
.LBB43_2066:
	s_mov_b32 s19, 0
.LBB43_2067:
	s_delay_alu instid0(SALU_CYCLE_1)
	s_and_not1_b32 vcc_lo, exec_lo, s19
	s_cbranch_vccnz .LBB43_2075
; %bb.2068:
	global_load_u8 v3, v[20:21], off
	s_mov_b32 s19, 0
	s_mov_b32 s20, exec_lo
	s_wait_loadcnt 0x0
	v_cmpx_lt_i16_e32 0x7f, v3
	s_xor_b32 s20, exec_lo, s20
	s_cbranch_execz .LBB43_2089
; %bb.2069:
	s_mov_b32 s19, -1
	s_mov_b32 s21, exec_lo
	v_cmpx_eq_u16_e32 0x80, v3
; %bb.2070:
	s_xor_b32 s19, exec_lo, -1
; %bb.2071:
	s_or_b32 exec_lo, exec_lo, s21
	s_delay_alu instid0(SALU_CYCLE_1)
	s_and_b32 s19, s19, exec_lo
	s_or_saveexec_b32 s20, s20
	v_mov_b64_e32 v[22:23], 0x7ff8000020000000
	s_xor_b32 exec_lo, exec_lo, s20
	s_cbranch_execnz .LBB43_2090
.LBB43_2072:
	s_or_b32 exec_lo, exec_lo, s20
	s_and_saveexec_b32 s20, s19
	s_cbranch_execz .LBB43_2074
.LBB43_2073:
	v_and_b32_e32 v7, 0xffff, v3
	v_lshlrev_b32_e32 v3, 24, v3
	s_delay_alu instid0(VALU_DEP_2) | instskip(SKIP_1) | instid1(VALU_DEP_3)
	v_and_b32_e32 v9, 7, v7
	v_bfe_u32 v15, v7, 3, 4
	v_and_b32_e32 v3, 0x80000000, v3
	s_delay_alu instid0(VALU_DEP_3) | instskip(NEXT) | instid1(VALU_DEP_3)
	v_clz_i32_u32_e32 v11, v9
	v_cmp_eq_u32_e32 vcc_lo, 0, v15
	s_delay_alu instid0(VALU_DEP_2) | instskip(NEXT) | instid1(VALU_DEP_1)
	v_min_u32_e32 v11, 32, v11
	v_subrev_nc_u32_e32 v13, 28, v11
	v_sub_nc_u32_e32 v11, 29, v11
	s_delay_alu instid0(VALU_DEP_2) | instskip(NEXT) | instid1(VALU_DEP_2)
	v_lshlrev_b32_e32 v7, v13, v7
	v_cndmask_b32_e32 v11, v15, v11, vcc_lo
	s_delay_alu instid0(VALU_DEP_2) | instskip(NEXT) | instid1(VALU_DEP_1)
	v_and_b32_e32 v7, 7, v7
	v_cndmask_b32_e32 v7, v9, v7, vcc_lo
	s_delay_alu instid0(VALU_DEP_3) | instskip(NEXT) | instid1(VALU_DEP_2)
	v_lshl_add_u32 v9, v11, 23, 0x3b800000
	v_lshlrev_b32_e32 v7, 20, v7
	s_delay_alu instid0(VALU_DEP_1) | instskip(NEXT) | instid1(VALU_DEP_1)
	v_or3_b32 v3, v3, v9, v7
	v_cvt_f64_f32_e32 v[22:23], v3
.LBB43_2074:
	s_or_b32 exec_lo, exec_lo, s20
.LBB43_2075:
	s_mov_b32 s19, -1
.LBB43_2076:
	s_mov_b32 s20, 0
.LBB43_2077:
	s_delay_alu instid0(SALU_CYCLE_1)
	s_and_b32 vcc_lo, exec_lo, s20
	s_cbranch_vccz .LBB43_2110
; %bb.2078:
	s_cmp_gt_i32 s17, 22
	s_cbranch_scc0 .LBB43_2088
; %bb.2079:
	s_cmp_lt_i32 s17, 24
	s_cbranch_scc1 .LBB43_2091
; %bb.2080:
	s_cmp_gt_i32 s17, 24
	s_cbranch_scc0 .LBB43_2092
; %bb.2081:
	global_load_u8 v3, v[20:21], off
	s_mov_b32 s19, exec_lo
	s_wait_loadcnt 0x0
	v_cmpx_lt_i16_e32 0x7f, v3
	s_xor_b32 s19, exec_lo, s19
	s_cbranch_execz .LBB43_2104
; %bb.2082:
	s_mov_b32 s18, -1
	s_mov_b32 s20, exec_lo
	v_cmpx_eq_u16_e32 0x80, v3
; %bb.2083:
	s_xor_b32 s18, exec_lo, -1
; %bb.2084:
	s_or_b32 exec_lo, exec_lo, s20
	s_delay_alu instid0(SALU_CYCLE_1)
	s_and_b32 s18, s18, exec_lo
	s_or_saveexec_b32 s19, s19
	v_mov_b64_e32 v[22:23], 0x7ff8000020000000
	s_xor_b32 exec_lo, exec_lo, s19
	s_cbranch_execnz .LBB43_2105
.LBB43_2085:
	s_or_b32 exec_lo, exec_lo, s19
	s_and_saveexec_b32 s19, s18
	s_cbranch_execz .LBB43_2087
.LBB43_2086:
	v_and_b32_e32 v7, 0xffff, v3
	v_lshlrev_b32_e32 v3, 24, v3
	s_delay_alu instid0(VALU_DEP_2) | instskip(SKIP_1) | instid1(VALU_DEP_3)
	v_and_b32_e32 v9, 3, v7
	v_bfe_u32 v15, v7, 2, 5
	v_and_b32_e32 v3, 0x80000000, v3
	s_delay_alu instid0(VALU_DEP_3) | instskip(NEXT) | instid1(VALU_DEP_3)
	v_clz_i32_u32_e32 v11, v9
	v_cmp_eq_u32_e32 vcc_lo, 0, v15
	s_delay_alu instid0(VALU_DEP_2) | instskip(NEXT) | instid1(VALU_DEP_1)
	v_min_u32_e32 v11, 32, v11
	v_subrev_nc_u32_e32 v13, 29, v11
	v_sub_nc_u32_e32 v11, 30, v11
	s_delay_alu instid0(VALU_DEP_2) | instskip(NEXT) | instid1(VALU_DEP_2)
	v_lshlrev_b32_e32 v7, v13, v7
	v_cndmask_b32_e32 v11, v15, v11, vcc_lo
	s_delay_alu instid0(VALU_DEP_2) | instskip(NEXT) | instid1(VALU_DEP_1)
	v_and_b32_e32 v7, 3, v7
	v_cndmask_b32_e32 v7, v9, v7, vcc_lo
	s_delay_alu instid0(VALU_DEP_3) | instskip(NEXT) | instid1(VALU_DEP_2)
	v_lshl_add_u32 v9, v11, 23, 0x37800000
	v_lshlrev_b32_e32 v7, 21, v7
	s_delay_alu instid0(VALU_DEP_1) | instskip(NEXT) | instid1(VALU_DEP_1)
	v_or3_b32 v3, v3, v9, v7
	v_cvt_f64_f32_e32 v[22:23], v3
.LBB43_2087:
	s_or_b32 exec_lo, exec_lo, s19
	s_mov_b32 s18, 0
	s_branch .LBB43_2093
.LBB43_2088:
	s_mov_b32 s18, -1
                                        ; implicit-def: $vgpr22_vgpr23
	s_branch .LBB43_2099
.LBB43_2089:
	s_or_saveexec_b32 s20, s20
	v_mov_b64_e32 v[22:23], 0x7ff8000020000000
	s_xor_b32 exec_lo, exec_lo, s20
	s_cbranch_execz .LBB43_2072
.LBB43_2090:
	v_cmp_ne_u16_e32 vcc_lo, 0, v3
	v_mov_b64_e32 v[22:23], 0
	s_and_not1_b32 s19, s19, exec_lo
	s_and_b32 s21, vcc_lo, exec_lo
	s_delay_alu instid0(SALU_CYCLE_1)
	s_or_b32 s19, s19, s21
	s_or_b32 exec_lo, exec_lo, s20
	s_and_saveexec_b32 s20, s19
	s_cbranch_execnz .LBB43_2073
	s_branch .LBB43_2074
.LBB43_2091:
	s_mov_b32 s18, -1
                                        ; implicit-def: $vgpr22_vgpr23
	s_branch .LBB43_2096
.LBB43_2092:
	s_mov_b32 s18, -1
                                        ; implicit-def: $vgpr22_vgpr23
.LBB43_2093:
	s_delay_alu instid0(SALU_CYCLE_1)
	s_and_b32 vcc_lo, exec_lo, s18
	s_cbranch_vccz .LBB43_2095
; %bb.2094:
	global_load_u8 v3, v[20:21], off
	s_wait_loadcnt 0x0
	v_lshlrev_b32_e32 v3, 24, v3
	s_delay_alu instid0(VALU_DEP_1) | instskip(NEXT) | instid1(VALU_DEP_1)
	v_and_b32_e32 v7, 0x7f000000, v3
	v_clz_i32_u32_e32 v9, v7
	v_cmp_ne_u32_e32 vcc_lo, 0, v7
	v_add_nc_u32_e32 v13, 0x1000000, v7
	s_delay_alu instid0(VALU_DEP_3) | instskip(NEXT) | instid1(VALU_DEP_1)
	v_min_u32_e32 v9, 32, v9
	v_sub_nc_u32_e64 v9, v9, 4 clamp
	s_delay_alu instid0(VALU_DEP_1) | instskip(NEXT) | instid1(VALU_DEP_1)
	v_dual_lshlrev_b32 v11, v9, v7 :: v_dual_lshlrev_b32 v9, 23, v9
	v_lshrrev_b32_e32 v11, 4, v11
	s_delay_alu instid0(VALU_DEP_1) | instskip(SKIP_1) | instid1(VALU_DEP_2)
	v_sub_nc_u32_e32 v9, v11, v9
	v_ashrrev_i32_e32 v11, 8, v13
	v_add_nc_u32_e32 v9, 0x3c000000, v9
	s_delay_alu instid0(VALU_DEP_1) | instskip(NEXT) | instid1(VALU_DEP_1)
	v_and_or_b32 v9, 0x7f800000, v11, v9
	v_cndmask_b32_e32 v7, 0, v9, vcc_lo
	s_delay_alu instid0(VALU_DEP_1) | instskip(SKIP_1) | instid1(VALU_DEP_1)
	v_and_or_b32 v3, 0x80000000, v3, v7
	s_wait_xcnt 0x1
	v_cvt_f64_f32_e32 v[22:23], v3
.LBB43_2095:
	s_mov_b32 s18, 0
.LBB43_2096:
	s_delay_alu instid0(SALU_CYCLE_1)
	s_and_not1_b32 vcc_lo, exec_lo, s18
	s_cbranch_vccnz .LBB43_2098
; %bb.2097:
	global_load_u8 v3, v[20:21], off
	s_wait_loadcnt 0x0
	v_lshlrev_b32_e32 v7, 25, v3
	v_lshlrev_b16 v3, 8, v3
	s_delay_alu instid0(VALU_DEP_2) | instskip(NEXT) | instid1(VALU_DEP_2)
	v_lshrrev_b32_e32 v9, 4, v7
	v_and_or_b32 v11, 0x7f00, v3, 0.5
	v_cmp_gt_u32_e32 vcc_lo, 0x8000000, v7
	v_bfe_i32 v3, v3, 0, 16
	s_delay_alu instid0(VALU_DEP_4) | instskip(NEXT) | instid1(VALU_DEP_4)
	v_or_b32_e32 v9, 0x70000000, v9
	v_add_f32_e32 v11, -0.5, v11
	s_delay_alu instid0(VALU_DEP_2) | instskip(NEXT) | instid1(VALU_DEP_1)
	v_mul_f32_e32 v9, 0x7800000, v9
	v_cndmask_b32_e32 v7, v9, v11, vcc_lo
	s_delay_alu instid0(VALU_DEP_1) | instskip(SKIP_1) | instid1(VALU_DEP_1)
	v_and_or_b32 v3, 0x80000000, v3, v7
	s_wait_xcnt 0x1
	v_cvt_f64_f32_e32 v[22:23], v3
.LBB43_2098:
	s_mov_b32 s18, 0
	s_mov_b32 s19, -1
.LBB43_2099:
	s_and_not1_b32 vcc_lo, exec_lo, s18
	s_mov_b32 s18, 0
	s_cbranch_vccnz .LBB43_2110
; %bb.2100:
	s_cmp_gt_i32 s17, 14
	s_cbranch_scc0 .LBB43_2103
; %bb.2101:
	s_cmp_eq_u32 s17, 15
	s_cbranch_scc0 .LBB43_2106
; %bb.2102:
	global_load_u16 v3, v[20:21], off
	s_mov_b32 s0, 0
	s_mov_b32 s19, -1
	s_wait_loadcnt 0x0
	v_lshlrev_b32_e32 v3, 16, v3
	s_wait_xcnt 0x1
	s_delay_alu instid0(VALU_DEP_1)
	v_cvt_f64_f32_e32 v[22:23], v3
	s_branch .LBB43_2108
.LBB43_2103:
	s_mov_b32 s18, -1
	s_branch .LBB43_2107
.LBB43_2104:
	s_or_saveexec_b32 s19, s19
	v_mov_b64_e32 v[22:23], 0x7ff8000020000000
	s_xor_b32 exec_lo, exec_lo, s19
	s_cbranch_execz .LBB43_2085
.LBB43_2105:
	v_cmp_ne_u16_e32 vcc_lo, 0, v3
	v_mov_b64_e32 v[22:23], 0
	s_and_not1_b32 s18, s18, exec_lo
	s_and_b32 s20, vcc_lo, exec_lo
	s_delay_alu instid0(SALU_CYCLE_1)
	s_or_b32 s18, s18, s20
	s_or_b32 exec_lo, exec_lo, s19
	s_and_saveexec_b32 s19, s18
	s_cbranch_execnz .LBB43_2086
	s_branch .LBB43_2087
.LBB43_2106:
	s_mov_b32 s0, -1
.LBB43_2107:
                                        ; implicit-def: $vgpr22_vgpr23
.LBB43_2108:
	s_and_b32 vcc_lo, exec_lo, s18
	s_mov_b32 s18, 0
	s_cbranch_vccz .LBB43_2110
; %bb.2109:
	s_cmp_lg_u32 s17, 11
	s_mov_b32 s18, -1
	s_cselect_b32 s0, -1, 0
.LBB43_2110:
	s_delay_alu instid0(SALU_CYCLE_1)
	s_and_b32 vcc_lo, exec_lo, s0
	s_cbranch_vccnz .LBB43_2177
; %bb.2111:
	s_and_not1_b32 vcc_lo, exec_lo, s18
	s_cbranch_vccnz .LBB43_2113
.LBB43_2112:
	global_load_u8 v3, v[20:21], off
	s_wait_xcnt 0x1
	v_mov_b32_e32 v22, 0
	s_mov_b32 s19, -1
	s_wait_loadcnt 0x0
	v_cmp_ne_u16_e32 vcc_lo, 0, v3
	v_cndmask_b32_e64 v23, 0, 0x3ff00000, vcc_lo
.LBB43_2113:
	s_mov_b32 s0, 0
.LBB43_2114:
	s_delay_alu instid0(SALU_CYCLE_1)
	s_and_b32 vcc_lo, exec_lo, s0
	s_cbranch_vccz .LBB43_2163
; %bb.2115:
	s_cmp_lt_i32 s17, 5
	s_cbranch_scc1 .LBB43_2120
; %bb.2116:
	s_cmp_lt_i32 s17, 8
	s_cbranch_scc1 .LBB43_2121
	;; [unrolled: 3-line block ×3, first 2 shown]
; %bb.2118:
	s_cmp_gt_i32 s17, 9
	s_cbranch_scc0 .LBB43_2123
; %bb.2119:
	global_load_b64 v[22:23], v[20:21], off
	s_mov_b32 s0, 0
	s_branch .LBB43_2124
.LBB43_2120:
	s_mov_b32 s0, -1
                                        ; implicit-def: $vgpr22_vgpr23
	s_branch .LBB43_2142
.LBB43_2121:
	s_mov_b32 s0, -1
                                        ; implicit-def: $vgpr22_vgpr23
	s_branch .LBB43_2130
.LBB43_2122:
	s_mov_b32 s0, -1
                                        ; implicit-def: $vgpr22_vgpr23
	s_branch .LBB43_2127
.LBB43_2123:
	s_mov_b32 s0, -1
                                        ; implicit-def: $vgpr22_vgpr23
.LBB43_2124:
	s_delay_alu instid0(SALU_CYCLE_1)
	s_and_not1_b32 vcc_lo, exec_lo, s0
	s_cbranch_vccnz .LBB43_2126
; %bb.2125:
	global_load_b32 v3, v[20:21], off
	s_wait_loadcnt 0x0
	s_wait_xcnt 0x1
	v_cvt_f64_f32_e32 v[22:23], v3
.LBB43_2126:
	s_mov_b32 s0, 0
.LBB43_2127:
	s_delay_alu instid0(SALU_CYCLE_1)
	s_and_not1_b32 vcc_lo, exec_lo, s0
	s_cbranch_vccnz .LBB43_2129
; %bb.2128:
	global_load_b32 v3, v[20:21], off
	s_wait_loadcnt 0x0
	v_cvt_f32_f16_e32 v3, v3
	s_wait_xcnt 0x1
	s_delay_alu instid0(VALU_DEP_1)
	v_cvt_f64_f32_e32 v[22:23], v3
.LBB43_2129:
	s_mov_b32 s0, 0
.LBB43_2130:
	s_delay_alu instid0(SALU_CYCLE_1)
	s_and_not1_b32 vcc_lo, exec_lo, s0
	s_cbranch_vccnz .LBB43_2141
; %bb.2131:
	s_cmp_lt_i32 s17, 6
	s_cbranch_scc1 .LBB43_2134
; %bb.2132:
	s_cmp_gt_i32 s17, 6
	s_cbranch_scc0 .LBB43_2135
; %bb.2133:
	s_wait_loadcnt 0x0
	global_load_b64 v[22:23], v[20:21], off
	s_mov_b32 s0, 0
	s_branch .LBB43_2136
.LBB43_2134:
	s_mov_b32 s0, -1
                                        ; implicit-def: $vgpr22_vgpr23
	s_branch .LBB43_2139
.LBB43_2135:
	s_mov_b32 s0, -1
                                        ; implicit-def: $vgpr22_vgpr23
.LBB43_2136:
	s_delay_alu instid0(SALU_CYCLE_1)
	s_and_not1_b32 vcc_lo, exec_lo, s0
	s_cbranch_vccnz .LBB43_2138
; %bb.2137:
	global_load_b32 v3, v[20:21], off
	s_wait_loadcnt 0x0
	s_wait_xcnt 0x1
	v_cvt_f64_f32_e32 v[22:23], v3
.LBB43_2138:
	s_mov_b32 s0, 0
.LBB43_2139:
	s_delay_alu instid0(SALU_CYCLE_1)
	s_and_not1_b32 vcc_lo, exec_lo, s0
	s_cbranch_vccnz .LBB43_2141
; %bb.2140:
	global_load_u16 v3, v[20:21], off
	s_wait_loadcnt 0x0
	v_cvt_f32_f16_e32 v3, v3
	s_wait_xcnt 0x1
	s_delay_alu instid0(VALU_DEP_1)
	v_cvt_f64_f32_e32 v[22:23], v3
.LBB43_2141:
	s_mov_b32 s0, 0
.LBB43_2142:
	s_delay_alu instid0(SALU_CYCLE_1)
	s_and_not1_b32 vcc_lo, exec_lo, s0
	s_cbranch_vccnz .LBB43_2162
; %bb.2143:
	s_cmp_lt_i32 s17, 2
	s_cbranch_scc1 .LBB43_2147
; %bb.2144:
	s_cmp_lt_i32 s17, 3
	s_cbranch_scc1 .LBB43_2148
; %bb.2145:
	s_cmp_gt_i32 s17, 3
	s_cbranch_scc0 .LBB43_2149
; %bb.2146:
	s_wait_loadcnt 0x0
	global_load_b64 v[22:23], v[20:21], off
	s_mov_b32 s0, 0
	s_wait_loadcnt 0x0
	v_cvt_f64_i32_e32 v[24:25], v23
	v_cvt_f64_u32_e32 v[22:23], v22
	s_delay_alu instid0(VALU_DEP_2) | instskip(NEXT) | instid1(VALU_DEP_1)
	v_ldexp_f64 v[24:25], v[24:25], 32
	v_add_f64_e32 v[22:23], v[24:25], v[22:23]
	s_branch .LBB43_2150
.LBB43_2147:
	s_mov_b32 s0, -1
                                        ; implicit-def: $vgpr22_vgpr23
	s_branch .LBB43_2156
.LBB43_2148:
	s_mov_b32 s0, -1
                                        ; implicit-def: $vgpr22_vgpr23
	s_branch .LBB43_2153
.LBB43_2149:
	s_mov_b32 s0, -1
                                        ; implicit-def: $vgpr22_vgpr23
.LBB43_2150:
	s_delay_alu instid0(SALU_CYCLE_1)
	s_and_not1_b32 vcc_lo, exec_lo, s0
	s_cbranch_vccnz .LBB43_2152
; %bb.2151:
	global_load_b32 v3, v[20:21], off
	s_wait_loadcnt 0x0
	s_wait_xcnt 0x1
	v_cvt_f64_i32_e32 v[22:23], v3
.LBB43_2152:
	s_mov_b32 s0, 0
.LBB43_2153:
	s_delay_alu instid0(SALU_CYCLE_1)
	s_and_not1_b32 vcc_lo, exec_lo, s0
	s_cbranch_vccnz .LBB43_2155
; %bb.2154:
	global_load_i16 v3, v[20:21], off
	s_wait_loadcnt 0x0
	s_wait_xcnt 0x1
	v_cvt_f64_i32_e32 v[22:23], v3
.LBB43_2155:
	s_mov_b32 s0, 0
.LBB43_2156:
	s_delay_alu instid0(SALU_CYCLE_1)
	s_and_not1_b32 vcc_lo, exec_lo, s0
	s_cbranch_vccnz .LBB43_2162
; %bb.2157:
	s_cmp_gt_i32 s17, 0
	s_mov_b32 s0, 0
	s_cbranch_scc0 .LBB43_2159
; %bb.2158:
	global_load_i8 v3, v[20:21], off
	s_wait_loadcnt 0x0
	s_wait_xcnt 0x1
	v_cvt_f64_i32_e32 v[22:23], v3
	s_branch .LBB43_2160
.LBB43_2159:
	s_mov_b32 s0, -1
                                        ; implicit-def: $vgpr22_vgpr23
.LBB43_2160:
	s_delay_alu instid0(SALU_CYCLE_1)
	s_and_not1_b32 vcc_lo, exec_lo, s0
	s_cbranch_vccnz .LBB43_2162
; %bb.2161:
	global_load_u8 v3, v[20:21], off
	s_wait_loadcnt 0x0
	s_wait_xcnt 0x1
	v_cvt_f64_u32_e32 v[22:23], v3
.LBB43_2162:
	s_mov_b32 s19, -1
.LBB43_2163:
	s_delay_alu instid0(SALU_CYCLE_1)
	s_and_not1_b32 vcc_lo, exec_lo, s19
	s_cbranch_vccnz .LBB43_2774
; %bb.2164:
	s_wait_loadcnt 0x0
	s_delay_alu instid0(VALU_DEP_1) | instskip(SKIP_1) | instid1(VALU_DEP_1)
	v_mul_f64_e32 v[20:21], s[8:9], v[22:23]
	s_mov_b32 s18, exec_lo
	v_cmpx_nlt_f64_e32 s[10:11], v[20:21]
	s_cbranch_execz .LBB43_2166
; %bb.2165:
	v_mul_f64_e32 v[22:23], 0x3ff71547652b82fe, v[20:21]
	s_mov_b64 s[20:21], 0x3e5ade156a5dcb37
	v_cmp_nlt_f64_e32 vcc_lo, 0x40900000, v[20:21]
	v_cmp_ngt_f64_e64 s0, 0xc090cc00, v[20:21]
	s_delay_alu instid0(VALU_DEP_3) | instskip(NEXT) | instid1(VALU_DEP_1)
	v_rndne_f64_e32 v[22:23], v[22:23]
	v_fmamk_f64 v[24:25], v[22:23], 0xbfe62e42fefa39ef, v[20:21]
	v_cvt_i32_f64_e32 v3, v[22:23]
	s_delay_alu instid0(VALU_DEP_2) | instskip(NEXT) | instid1(VALU_DEP_1)
	v_fmamk_f64 v[24:25], v[22:23], 0xbc7abc9e3b39803f, v[24:25]
	v_fmaak_f64 v[26:27], s[20:21], v[24:25], 0x3e928af3fca7ab0c
	s_delay_alu instid0(VALU_DEP_1) | instskip(NEXT) | instid1(VALU_DEP_1)
	v_fmaak_f64 v[26:27], v[24:25], v[26:27], 0x3ec71dee623fde64
	v_fmaak_f64 v[26:27], v[24:25], v[26:27], 0x3efa01997c89e6b0
	s_delay_alu instid0(VALU_DEP_1) | instskip(NEXT) | instid1(VALU_DEP_1)
	v_fmaak_f64 v[26:27], v[24:25], v[26:27], 0x3f2a01a014761f6e
	;; [unrolled: 3-line block ×4, first 2 shown]
	v_fmaak_f64 v[26:27], v[24:25], v[26:27], 0x3fe000000000000b
	s_delay_alu instid0(VALU_DEP_1) | instskip(NEXT) | instid1(VALU_DEP_1)
	v_fma_f64 v[26:27], v[24:25], v[26:27], 1.0
	v_fma_f64 v[22:23], v[24:25], v[26:27], 1.0
	s_delay_alu instid0(VALU_DEP_1) | instskip(NEXT) | instid1(VALU_DEP_1)
	v_ldexp_f64 v[22:23], v[22:23], v3
	v_cndmask_b32_e32 v3, 0x7ff00000, v23, vcc_lo
	s_and_b32 vcc_lo, s0, vcc_lo
	s_delay_alu instid0(VALU_DEP_1) | instid1(SALU_CYCLE_1)
	v_dual_cndmask_b32 v20, 0, v22, vcc_lo :: v_dual_cndmask_b32 v21, 0, v3, s0
	s_delay_alu instid0(VALU_DEP_1) | instskip(SKIP_1) | instid1(VALU_DEP_1)
	v_mul_f64_e32 v[4:5], v[4:5], v[20:21]
	v_add_f64_e32 v[20:21], 1.0, v[20:21]
	v_div_scale_f64 v[22:23], null, v[20:21], v[20:21], v[4:5]
	s_delay_alu instid0(VALU_DEP_1) | instskip(SKIP_1) | instid1(TRANS32_DEP_1)
	v_rcp_f64_e32 v[24:25], v[22:23]
	v_nop
	v_fma_f64 v[26:27], -v[22:23], v[24:25], 1.0
	s_delay_alu instid0(VALU_DEP_1) | instskip(NEXT) | instid1(VALU_DEP_1)
	v_fmac_f64_e32 v[24:25], v[24:25], v[26:27]
	v_fma_f64 v[26:27], -v[22:23], v[24:25], 1.0
	s_delay_alu instid0(VALU_DEP_1) | instskip(SKIP_1) | instid1(VALU_DEP_1)
	v_fmac_f64_e32 v[24:25], v[24:25], v[26:27]
	v_div_scale_f64 v[26:27], vcc_lo, v[4:5], v[20:21], v[4:5]
	v_mul_f64_e32 v[28:29], v[26:27], v[24:25]
	s_delay_alu instid0(VALU_DEP_1) | instskip(NEXT) | instid1(VALU_DEP_1)
	v_fma_f64 v[22:23], -v[22:23], v[28:29], v[26:27]
	v_div_fmas_f64 v[22:23], v[22:23], v[24:25], v[28:29]
	s_delay_alu instid0(VALU_DEP_1)
	v_div_fixup_f64 v[4:5], v[22:23], v[20:21], v[4:5]
.LBB43_2166:
	s_or_b32 exec_lo, exec_lo, s18
	v_mov_b32_e32 v9, 0
	s_cmp_lt_i32 s16, 11
	s_delay_alu instid0(VALU_DEP_1)
	v_add_nc_u64_e32 v[20:21], s[6:7], v[8:9]
	s_cbranch_scc1 .LBB43_2173
; %bb.2167:
	s_cmp_gt_i32 s16, 25
	s_mov_b32 s18, 0
	s_cbranch_scc0 .LBB43_2174
; %bb.2168:
	s_cmp_gt_i32 s16, 28
	s_cbranch_scc0 .LBB43_2175
; %bb.2169:
	s_cmp_gt_i32 s16, 43
	;; [unrolled: 3-line block ×3, first 2 shown]
	s_cbranch_scc0 .LBB43_2178
; %bb.2171:
	s_cmp_eq_u32 s16, 46
	s_mov_b32 s20, 0
	s_cbranch_scc0 .LBB43_2179
; %bb.2172:
	global_load_b32 v3, v[20:21], off
	s_mov_b32 s0, 0
	s_mov_b32 s19, -1
	s_wait_loadcnt 0x0
	v_lshlrev_b32_e32 v3, 16, v3
	s_delay_alu instid0(VALU_DEP_1)
	v_cvt_f64_f32_e32 v[8:9], v3
	s_branch .LBB43_2181
.LBB43_2173:
	s_mov_b32 s0, -1
	s_mov_b32 s19, 0
                                        ; implicit-def: $vgpr8_vgpr9
	s_branch .LBB43_2247
.LBB43_2174:
	s_mov_b32 s20, -1
	s_mov_b32 s19, 0
	s_mov_b32 s0, 0
                                        ; implicit-def: $vgpr8_vgpr9
	s_branch .LBB43_2210
.LBB43_2175:
	s_mov_b32 s20, -1
	s_mov_b32 s19, 0
	s_mov_b32 s0, 0
                                        ; implicit-def: $vgpr8_vgpr9
	s_branch .LBB43_2191
.LBB43_2176:
	s_mov_b32 s20, -1
	s_mov_b32 s19, 0
	s_mov_b32 s0, 0
                                        ; implicit-def: $vgpr8_vgpr9
	s_branch .LBB43_2186
.LBB43_2177:
	s_or_b32 s1, s1, exec_lo
	s_trap 2
	s_cbranch_execz .LBB43_2112
	s_branch .LBB43_2113
.LBB43_2178:
	s_mov_b32 s20, -1
	s_mov_b32 s19, 0
	s_mov_b32 s0, 0
	s_branch .LBB43_2180
.LBB43_2179:
	s_mov_b32 s0, -1
	s_mov_b32 s19, 0
.LBB43_2180:
                                        ; implicit-def: $vgpr8_vgpr9
.LBB43_2181:
	s_and_b32 vcc_lo, exec_lo, s20
	s_cbranch_vccz .LBB43_2185
; %bb.2182:
	s_cmp_eq_u32 s16, 44
	s_cbranch_scc0 .LBB43_2184
; %bb.2183:
	global_load_u8 v3, v[20:21], off
	s_mov_b32 s0, 0
	s_mov_b32 s19, -1
	s_wait_loadcnt 0x0
	v_cmp_ne_u32_e32 vcc_lo, 0xff, v3
	v_lshlrev_b32_e32 v7, 23, v3
	s_delay_alu instid0(VALU_DEP_1) | instskip(NEXT) | instid1(VALU_DEP_1)
	v_cvt_f64_f32_e32 v[8:9], v7
	v_cndmask_b32_e32 v7, 0x20000000, v8, vcc_lo
	s_delay_alu instid0(VALU_DEP_2) | instskip(SKIP_1) | instid1(VALU_DEP_2)
	v_cndmask_b32_e32 v8, 0x7ff80000, v9, vcc_lo
	v_cmp_ne_u32_e32 vcc_lo, 0, v3
	v_cndmask_b32_e32 v9, 0x38000000, v8, vcc_lo
	s_delay_alu instid0(VALU_DEP_4)
	v_cndmask_b32_e32 v8, 0, v7, vcc_lo
	s_branch .LBB43_2185
.LBB43_2184:
	s_mov_b32 s0, -1
                                        ; implicit-def: $vgpr8_vgpr9
.LBB43_2185:
	s_mov_b32 s20, 0
.LBB43_2186:
	s_delay_alu instid0(SALU_CYCLE_1)
	s_and_b32 vcc_lo, exec_lo, s20
	s_cbranch_vccz .LBB43_2190
; %bb.2187:
	s_cmp_eq_u32 s16, 29
	s_cbranch_scc0 .LBB43_2189
; %bb.2188:
	global_load_b64 v[8:9], v[20:21], off
	s_mov_b32 s0, 0
	s_mov_b32 s19, -1
	s_mov_b32 s20, 0
	s_wait_loadcnt 0x0
	v_cvt_f64_u32_e32 v[22:23], v9
	v_cvt_f64_u32_e32 v[8:9], v8
	s_delay_alu instid0(VALU_DEP_2) | instskip(NEXT) | instid1(VALU_DEP_1)
	v_ldexp_f64 v[22:23], v[22:23], 32
	v_add_f64_e32 v[8:9], v[22:23], v[8:9]
	s_branch .LBB43_2191
.LBB43_2189:
	s_mov_b32 s0, -1
                                        ; implicit-def: $vgpr8_vgpr9
.LBB43_2190:
	s_mov_b32 s20, 0
.LBB43_2191:
	s_delay_alu instid0(SALU_CYCLE_1)
	s_and_b32 vcc_lo, exec_lo, s20
	s_cbranch_vccz .LBB43_2209
; %bb.2192:
	s_cmp_lt_i32 s16, 27
	s_cbranch_scc1 .LBB43_2195
; %bb.2193:
	s_cmp_gt_i32 s16, 27
	s_cbranch_scc0 .LBB43_2196
; %bb.2194:
	global_load_b32 v3, v[20:21], off
	s_mov_b32 s19, 0
	s_wait_loadcnt 0x0
	v_cvt_f64_u32_e32 v[8:9], v3
	s_branch .LBB43_2197
.LBB43_2195:
	s_mov_b32 s19, -1
                                        ; implicit-def: $vgpr8_vgpr9
	s_branch .LBB43_2200
.LBB43_2196:
	s_mov_b32 s19, -1
                                        ; implicit-def: $vgpr8_vgpr9
.LBB43_2197:
	s_delay_alu instid0(SALU_CYCLE_1)
	s_and_not1_b32 vcc_lo, exec_lo, s19
	s_cbranch_vccnz .LBB43_2199
; %bb.2198:
	global_load_u16 v3, v[20:21], off
	s_wait_loadcnt 0x0
	v_cvt_f64_u32_e32 v[8:9], v3
.LBB43_2199:
	s_mov_b32 s19, 0
.LBB43_2200:
	s_delay_alu instid0(SALU_CYCLE_1)
	s_and_not1_b32 vcc_lo, exec_lo, s19
	s_cbranch_vccnz .LBB43_2208
; %bb.2201:
	global_load_u8 v3, v[20:21], off
	s_mov_b32 s19, 0
	s_mov_b32 s20, exec_lo
	s_wait_loadcnt 0x0
	v_cmpx_lt_i16_e32 0x7f, v3
	s_xor_b32 s20, exec_lo, s20
	s_cbranch_execz .LBB43_2222
; %bb.2202:
	s_mov_b32 s19, -1
	s_mov_b32 s21, exec_lo
	v_cmpx_eq_u16_e32 0x80, v3
; %bb.2203:
	s_xor_b32 s19, exec_lo, -1
; %bb.2204:
	s_or_b32 exec_lo, exec_lo, s21
	s_delay_alu instid0(SALU_CYCLE_1)
	s_and_b32 s19, s19, exec_lo
	s_or_saveexec_b32 s20, s20
	v_mov_b64_e32 v[8:9], 0x7ff8000020000000
	s_xor_b32 exec_lo, exec_lo, s20
	s_cbranch_execnz .LBB43_2223
.LBB43_2205:
	s_or_b32 exec_lo, exec_lo, s20
	s_and_saveexec_b32 s20, s19
	s_cbranch_execz .LBB43_2207
.LBB43_2206:
	v_and_b32_e32 v7, 0xffff, v3
	s_delay_alu instid0(VALU_DEP_1) | instskip(SKIP_1) | instid1(VALU_DEP_2)
	v_and_b32_e32 v8, 7, v7
	v_bfe_u32 v13, v7, 3, 4
	v_clz_i32_u32_e32 v9, v8
	s_delay_alu instid0(VALU_DEP_2) | instskip(NEXT) | instid1(VALU_DEP_2)
	v_cmp_eq_u32_e32 vcc_lo, 0, v13
	v_min_u32_e32 v9, 32, v9
	s_delay_alu instid0(VALU_DEP_1) | instskip(NEXT) | instid1(VALU_DEP_1)
	v_subrev_nc_u32_e32 v11, 28, v9
	v_dual_lshlrev_b32 v7, v11, v7 :: v_dual_sub_nc_u32 v9, 29, v9
	s_delay_alu instid0(VALU_DEP_1) | instskip(NEXT) | instid1(VALU_DEP_2)
	v_and_b32_e32 v7, 7, v7
	v_dual_lshlrev_b32 v3, 24, v3 :: v_dual_cndmask_b32 v9, v13, v9, vcc_lo
	s_delay_alu instid0(VALU_DEP_2) | instskip(NEXT) | instid1(VALU_DEP_2)
	v_cndmask_b32_e32 v7, v8, v7, vcc_lo
	v_and_b32_e32 v3, 0x80000000, v3
	s_delay_alu instid0(VALU_DEP_3) | instskip(NEXT) | instid1(VALU_DEP_3)
	v_lshl_add_u32 v8, v9, 23, 0x3b800000
	v_lshlrev_b32_e32 v7, 20, v7
	s_delay_alu instid0(VALU_DEP_1) | instskip(NEXT) | instid1(VALU_DEP_1)
	v_or3_b32 v3, v3, v8, v7
	v_cvt_f64_f32_e32 v[8:9], v3
.LBB43_2207:
	s_or_b32 exec_lo, exec_lo, s20
.LBB43_2208:
	s_mov_b32 s19, -1
.LBB43_2209:
	s_mov_b32 s20, 0
.LBB43_2210:
	s_delay_alu instid0(SALU_CYCLE_1)
	s_and_b32 vcc_lo, exec_lo, s20
	s_cbranch_vccz .LBB43_2243
; %bb.2211:
	s_cmp_gt_i32 s16, 22
	s_cbranch_scc0 .LBB43_2221
; %bb.2212:
	s_cmp_lt_i32 s16, 24
	s_cbranch_scc1 .LBB43_2224
; %bb.2213:
	s_cmp_gt_i32 s16, 24
	s_cbranch_scc0 .LBB43_2225
; %bb.2214:
	global_load_u8 v3, v[20:21], off
	s_mov_b32 s19, exec_lo
	s_wait_loadcnt 0x0
	v_cmpx_lt_i16_e32 0x7f, v3
	s_xor_b32 s19, exec_lo, s19
	s_cbranch_execz .LBB43_2237
; %bb.2215:
	s_mov_b32 s18, -1
	s_mov_b32 s20, exec_lo
	v_cmpx_eq_u16_e32 0x80, v3
; %bb.2216:
	s_xor_b32 s18, exec_lo, -1
; %bb.2217:
	s_or_b32 exec_lo, exec_lo, s20
	s_delay_alu instid0(SALU_CYCLE_1)
	s_and_b32 s18, s18, exec_lo
	s_or_saveexec_b32 s19, s19
	v_mov_b64_e32 v[8:9], 0x7ff8000020000000
	s_xor_b32 exec_lo, exec_lo, s19
	s_cbranch_execnz .LBB43_2238
.LBB43_2218:
	s_or_b32 exec_lo, exec_lo, s19
	s_and_saveexec_b32 s19, s18
	s_cbranch_execz .LBB43_2220
.LBB43_2219:
	v_and_b32_e32 v7, 0xffff, v3
	s_delay_alu instid0(VALU_DEP_1) | instskip(SKIP_1) | instid1(VALU_DEP_2)
	v_and_b32_e32 v8, 3, v7
	v_bfe_u32 v13, v7, 2, 5
	v_clz_i32_u32_e32 v9, v8
	s_delay_alu instid0(VALU_DEP_2) | instskip(NEXT) | instid1(VALU_DEP_2)
	v_cmp_eq_u32_e32 vcc_lo, 0, v13
	v_min_u32_e32 v9, 32, v9
	s_delay_alu instid0(VALU_DEP_1) | instskip(NEXT) | instid1(VALU_DEP_1)
	v_subrev_nc_u32_e32 v11, 29, v9
	v_dual_lshlrev_b32 v7, v11, v7 :: v_dual_sub_nc_u32 v9, 30, v9
	s_delay_alu instid0(VALU_DEP_1) | instskip(NEXT) | instid1(VALU_DEP_2)
	v_and_b32_e32 v7, 3, v7
	v_dual_lshlrev_b32 v3, 24, v3 :: v_dual_cndmask_b32 v9, v13, v9, vcc_lo
	s_delay_alu instid0(VALU_DEP_2) | instskip(NEXT) | instid1(VALU_DEP_2)
	v_cndmask_b32_e32 v7, v8, v7, vcc_lo
	v_and_b32_e32 v3, 0x80000000, v3
	s_delay_alu instid0(VALU_DEP_3) | instskip(NEXT) | instid1(VALU_DEP_3)
	v_lshl_add_u32 v8, v9, 23, 0x37800000
	v_lshlrev_b32_e32 v7, 21, v7
	s_delay_alu instid0(VALU_DEP_1) | instskip(NEXT) | instid1(VALU_DEP_1)
	v_or3_b32 v3, v3, v8, v7
	v_cvt_f64_f32_e32 v[8:9], v3
.LBB43_2220:
	s_or_b32 exec_lo, exec_lo, s19
	s_mov_b32 s18, 0
	s_branch .LBB43_2226
.LBB43_2221:
	s_mov_b32 s18, -1
                                        ; implicit-def: $vgpr8_vgpr9
	s_branch .LBB43_2232
.LBB43_2222:
	s_or_saveexec_b32 s20, s20
	v_mov_b64_e32 v[8:9], 0x7ff8000020000000
	s_xor_b32 exec_lo, exec_lo, s20
	s_cbranch_execz .LBB43_2205
.LBB43_2223:
	v_cmp_ne_u16_e32 vcc_lo, 0, v3
	v_mov_b64_e32 v[8:9], 0
	s_and_not1_b32 s19, s19, exec_lo
	s_and_b32 s21, vcc_lo, exec_lo
	s_delay_alu instid0(SALU_CYCLE_1)
	s_or_b32 s19, s19, s21
	s_or_b32 exec_lo, exec_lo, s20
	s_and_saveexec_b32 s20, s19
	s_cbranch_execnz .LBB43_2206
	s_branch .LBB43_2207
.LBB43_2224:
	s_mov_b32 s18, -1
                                        ; implicit-def: $vgpr8_vgpr9
	s_branch .LBB43_2229
.LBB43_2225:
	s_mov_b32 s18, -1
                                        ; implicit-def: $vgpr8_vgpr9
.LBB43_2226:
	s_delay_alu instid0(SALU_CYCLE_1)
	s_and_b32 vcc_lo, exec_lo, s18
	s_cbranch_vccz .LBB43_2228
; %bb.2227:
	global_load_u8 v3, v[20:21], off
	s_wait_loadcnt 0x0
	v_lshlrev_b32_e32 v3, 24, v3
	s_delay_alu instid0(VALU_DEP_1) | instskip(NEXT) | instid1(VALU_DEP_1)
	v_and_b32_e32 v7, 0x7f000000, v3
	v_clz_i32_u32_e32 v8, v7
	v_add_nc_u32_e32 v11, 0x1000000, v7
	v_cmp_ne_u32_e32 vcc_lo, 0, v7
	s_delay_alu instid0(VALU_DEP_3) | instskip(NEXT) | instid1(VALU_DEP_1)
	v_min_u32_e32 v8, 32, v8
	v_sub_nc_u32_e64 v8, v8, 4 clamp
	s_delay_alu instid0(VALU_DEP_1) | instskip(NEXT) | instid1(VALU_DEP_1)
	v_dual_lshlrev_b32 v9, v8, v7 :: v_dual_lshlrev_b32 v8, 23, v8
	v_lshrrev_b32_e32 v9, 4, v9
	s_delay_alu instid0(VALU_DEP_1) | instskip(NEXT) | instid1(VALU_DEP_1)
	v_dual_sub_nc_u32 v8, v9, v8 :: v_dual_ashrrev_i32 v9, 8, v11
	v_add_nc_u32_e32 v8, 0x3c000000, v8
	s_delay_alu instid0(VALU_DEP_1) | instskip(NEXT) | instid1(VALU_DEP_1)
	v_and_or_b32 v8, 0x7f800000, v9, v8
	v_cndmask_b32_e32 v7, 0, v8, vcc_lo
	s_delay_alu instid0(VALU_DEP_1) | instskip(NEXT) | instid1(VALU_DEP_1)
	v_and_or_b32 v3, 0x80000000, v3, v7
	v_cvt_f64_f32_e32 v[8:9], v3
.LBB43_2228:
	s_mov_b32 s18, 0
.LBB43_2229:
	s_delay_alu instid0(SALU_CYCLE_1)
	s_and_not1_b32 vcc_lo, exec_lo, s18
	s_cbranch_vccnz .LBB43_2231
; %bb.2230:
	global_load_u8 v3, v[20:21], off
	s_wait_loadcnt 0x0
	v_lshlrev_b32_e32 v7, 25, v3
	v_lshlrev_b16 v3, 8, v3
	s_delay_alu instid0(VALU_DEP_1) | instskip(SKIP_1) | instid1(VALU_DEP_2)
	v_and_or_b32 v9, 0x7f00, v3, 0.5
	v_bfe_i32 v3, v3, 0, 16
	v_dual_add_f32 v9, -0.5, v9 :: v_dual_lshrrev_b32 v8, 4, v7
	v_cmp_gt_u32_e32 vcc_lo, 0x8000000, v7
	s_delay_alu instid0(VALU_DEP_2) | instskip(NEXT) | instid1(VALU_DEP_1)
	v_or_b32_e32 v8, 0x70000000, v8
	v_mul_f32_e32 v8, 0x7800000, v8
	s_delay_alu instid0(VALU_DEP_1) | instskip(NEXT) | instid1(VALU_DEP_1)
	v_cndmask_b32_e32 v7, v8, v9, vcc_lo
	v_and_or_b32 v3, 0x80000000, v3, v7
	s_delay_alu instid0(VALU_DEP_1)
	v_cvt_f64_f32_e32 v[8:9], v3
.LBB43_2231:
	s_mov_b32 s18, 0
	s_mov_b32 s19, -1
.LBB43_2232:
	s_and_not1_b32 vcc_lo, exec_lo, s18
	s_mov_b32 s18, 0
	s_cbranch_vccnz .LBB43_2243
; %bb.2233:
	s_cmp_gt_i32 s16, 14
	s_cbranch_scc0 .LBB43_2236
; %bb.2234:
	s_cmp_eq_u32 s16, 15
	s_cbranch_scc0 .LBB43_2239
; %bb.2235:
	global_load_u16 v3, v[20:21], off
	s_mov_b32 s0, 0
	s_mov_b32 s19, -1
	s_wait_loadcnt 0x0
	v_lshlrev_b32_e32 v3, 16, v3
	s_delay_alu instid0(VALU_DEP_1)
	v_cvt_f64_f32_e32 v[8:9], v3
	s_branch .LBB43_2241
.LBB43_2236:
	s_mov_b32 s18, -1
	s_branch .LBB43_2240
.LBB43_2237:
	s_or_saveexec_b32 s19, s19
	v_mov_b64_e32 v[8:9], 0x7ff8000020000000
	s_xor_b32 exec_lo, exec_lo, s19
	s_cbranch_execz .LBB43_2218
.LBB43_2238:
	v_cmp_ne_u16_e32 vcc_lo, 0, v3
	v_mov_b64_e32 v[8:9], 0
	s_and_not1_b32 s18, s18, exec_lo
	s_and_b32 s20, vcc_lo, exec_lo
	s_delay_alu instid0(SALU_CYCLE_1)
	s_or_b32 s18, s18, s20
	s_or_b32 exec_lo, exec_lo, s19
	s_and_saveexec_b32 s19, s18
	s_cbranch_execnz .LBB43_2219
	s_branch .LBB43_2220
.LBB43_2239:
	s_mov_b32 s0, -1
.LBB43_2240:
                                        ; implicit-def: $vgpr8_vgpr9
.LBB43_2241:
	s_and_b32 vcc_lo, exec_lo, s18
	s_mov_b32 s18, 0
	s_cbranch_vccz .LBB43_2243
; %bb.2242:
	s_cmp_lg_u32 s16, 11
	s_mov_b32 s18, -1
	s_cselect_b32 s0, -1, 0
.LBB43_2243:
	s_delay_alu instid0(SALU_CYCLE_1)
	s_and_b32 vcc_lo, exec_lo, s0
	s_cbranch_vccnz .LBB43_2308
; %bb.2244:
	s_and_not1_b32 vcc_lo, exec_lo, s18
	s_cbranch_vccnz .LBB43_2246
.LBB43_2245:
	global_load_u8 v3, v[20:21], off
	v_mov_b32_e32 v8, 0
	s_mov_b32 s19, -1
	s_wait_loadcnt 0x0
	v_cmp_ne_u16_e32 vcc_lo, 0, v3
	v_cndmask_b32_e64 v9, 0, 0x3ff00000, vcc_lo
.LBB43_2246:
	s_mov_b32 s0, 0
.LBB43_2247:
	s_delay_alu instid0(SALU_CYCLE_1)
	s_and_b32 vcc_lo, exec_lo, s0
	s_cbranch_vccz .LBB43_2296
; %bb.2248:
	s_cmp_lt_i32 s16, 5
	s_cbranch_scc1 .LBB43_2253
; %bb.2249:
	s_cmp_lt_i32 s16, 8
	s_cbranch_scc1 .LBB43_2254
	;; [unrolled: 3-line block ×3, first 2 shown]
; %bb.2251:
	s_cmp_gt_i32 s16, 9
	s_cbranch_scc0 .LBB43_2256
; %bb.2252:
	global_load_b64 v[8:9], v[20:21], off
	s_mov_b32 s0, 0
	s_branch .LBB43_2257
.LBB43_2253:
	s_mov_b32 s0, -1
                                        ; implicit-def: $vgpr8_vgpr9
	s_branch .LBB43_2275
.LBB43_2254:
	s_mov_b32 s0, -1
                                        ; implicit-def: $vgpr8_vgpr9
	s_branch .LBB43_2263
.LBB43_2255:
	s_mov_b32 s0, -1
                                        ; implicit-def: $vgpr8_vgpr9
	s_branch .LBB43_2260
.LBB43_2256:
	s_mov_b32 s0, -1
                                        ; implicit-def: $vgpr8_vgpr9
.LBB43_2257:
	s_delay_alu instid0(SALU_CYCLE_1)
	s_and_not1_b32 vcc_lo, exec_lo, s0
	s_cbranch_vccnz .LBB43_2259
; %bb.2258:
	global_load_b32 v3, v[20:21], off
	s_wait_loadcnt 0x0
	v_cvt_f64_f32_e32 v[8:9], v3
.LBB43_2259:
	s_mov_b32 s0, 0
.LBB43_2260:
	s_delay_alu instid0(SALU_CYCLE_1)
	s_and_not1_b32 vcc_lo, exec_lo, s0
	s_cbranch_vccnz .LBB43_2262
; %bb.2261:
	global_load_b32 v3, v[20:21], off
	s_wait_loadcnt 0x0
	v_cvt_f32_f16_e32 v3, v3
	s_delay_alu instid0(VALU_DEP_1)
	v_cvt_f64_f32_e32 v[8:9], v3
.LBB43_2262:
	s_mov_b32 s0, 0
.LBB43_2263:
	s_delay_alu instid0(SALU_CYCLE_1)
	s_and_not1_b32 vcc_lo, exec_lo, s0
	s_cbranch_vccnz .LBB43_2274
; %bb.2264:
	s_cmp_lt_i32 s16, 6
	s_cbranch_scc1 .LBB43_2267
; %bb.2265:
	s_cmp_gt_i32 s16, 6
	s_cbranch_scc0 .LBB43_2268
; %bb.2266:
	s_wait_loadcnt 0x0
	global_load_b64 v[8:9], v[20:21], off
	s_mov_b32 s0, 0
	s_branch .LBB43_2269
.LBB43_2267:
	s_mov_b32 s0, -1
                                        ; implicit-def: $vgpr8_vgpr9
	s_branch .LBB43_2272
.LBB43_2268:
	s_mov_b32 s0, -1
                                        ; implicit-def: $vgpr8_vgpr9
.LBB43_2269:
	s_delay_alu instid0(SALU_CYCLE_1)
	s_and_not1_b32 vcc_lo, exec_lo, s0
	s_cbranch_vccnz .LBB43_2271
; %bb.2270:
	global_load_b32 v3, v[20:21], off
	s_wait_loadcnt 0x0
	v_cvt_f64_f32_e32 v[8:9], v3
.LBB43_2271:
	s_mov_b32 s0, 0
.LBB43_2272:
	s_delay_alu instid0(SALU_CYCLE_1)
	s_and_not1_b32 vcc_lo, exec_lo, s0
	s_cbranch_vccnz .LBB43_2274
; %bb.2273:
	global_load_u16 v3, v[20:21], off
	s_wait_loadcnt 0x0
	v_cvt_f32_f16_e32 v3, v3
	s_delay_alu instid0(VALU_DEP_1)
	v_cvt_f64_f32_e32 v[8:9], v3
.LBB43_2274:
	s_mov_b32 s0, 0
.LBB43_2275:
	s_delay_alu instid0(SALU_CYCLE_1)
	s_and_not1_b32 vcc_lo, exec_lo, s0
	s_cbranch_vccnz .LBB43_2295
; %bb.2276:
	s_cmp_lt_i32 s16, 2
	s_cbranch_scc1 .LBB43_2280
; %bb.2277:
	s_cmp_lt_i32 s16, 3
	s_cbranch_scc1 .LBB43_2281
; %bb.2278:
	s_cmp_gt_i32 s16, 3
	s_cbranch_scc0 .LBB43_2282
; %bb.2279:
	s_wait_loadcnt 0x0
	global_load_b64 v[8:9], v[20:21], off
	s_mov_b32 s0, 0
	s_wait_loadcnt 0x0
	v_cvt_f64_i32_e32 v[22:23], v9
	v_cvt_f64_u32_e32 v[8:9], v8
	s_delay_alu instid0(VALU_DEP_2) | instskip(NEXT) | instid1(VALU_DEP_1)
	v_ldexp_f64 v[22:23], v[22:23], 32
	v_add_f64_e32 v[8:9], v[22:23], v[8:9]
	s_branch .LBB43_2283
.LBB43_2280:
	s_mov_b32 s0, -1
                                        ; implicit-def: $vgpr8_vgpr9
	s_branch .LBB43_2289
.LBB43_2281:
	s_mov_b32 s0, -1
                                        ; implicit-def: $vgpr8_vgpr9
	s_branch .LBB43_2286
.LBB43_2282:
	s_mov_b32 s0, -1
                                        ; implicit-def: $vgpr8_vgpr9
.LBB43_2283:
	s_delay_alu instid0(SALU_CYCLE_1)
	s_and_not1_b32 vcc_lo, exec_lo, s0
	s_cbranch_vccnz .LBB43_2285
; %bb.2284:
	global_load_b32 v3, v[20:21], off
	s_wait_loadcnt 0x0
	v_cvt_f64_i32_e32 v[8:9], v3
.LBB43_2285:
	s_mov_b32 s0, 0
.LBB43_2286:
	s_delay_alu instid0(SALU_CYCLE_1)
	s_and_not1_b32 vcc_lo, exec_lo, s0
	s_cbranch_vccnz .LBB43_2288
; %bb.2287:
	global_load_i16 v3, v[20:21], off
	s_wait_loadcnt 0x0
	v_cvt_f64_i32_e32 v[8:9], v3
.LBB43_2288:
	s_mov_b32 s0, 0
.LBB43_2289:
	s_delay_alu instid0(SALU_CYCLE_1)
	s_and_not1_b32 vcc_lo, exec_lo, s0
	s_cbranch_vccnz .LBB43_2295
; %bb.2290:
	s_cmp_gt_i32 s16, 0
	s_mov_b32 s0, 0
	s_cbranch_scc0 .LBB43_2292
; %bb.2291:
	global_load_i8 v3, v[20:21], off
	s_wait_loadcnt 0x0
	v_cvt_f64_i32_e32 v[8:9], v3
	s_branch .LBB43_2293
.LBB43_2292:
	s_mov_b32 s0, -1
                                        ; implicit-def: $vgpr8_vgpr9
.LBB43_2293:
	s_delay_alu instid0(SALU_CYCLE_1)
	s_and_not1_b32 vcc_lo, exec_lo, s0
	s_cbranch_vccnz .LBB43_2295
; %bb.2294:
	global_load_u8 v3, v[20:21], off
	s_wait_loadcnt 0x0
	v_cvt_f64_u32_e32 v[8:9], v3
.LBB43_2295:
	s_mov_b32 s19, -1
.LBB43_2296:
	s_delay_alu instid0(SALU_CYCLE_1)
	s_and_not1_b32 vcc_lo, exec_lo, s19
	s_cbranch_vccnz .LBB43_2774
; %bb.2297:
	v_mov_b32_e32 v19, 0
	s_cmp_lt_i32 s17, 11
	s_delay_alu instid0(VALU_DEP_1)
	v_add_nc_u64_e32 v[18:19], s[12:13], v[18:19]
	s_cbranch_scc1 .LBB43_2304
; %bb.2298:
	s_cmp_gt_i32 s17, 25
	s_mov_b32 s18, 0
	s_cbranch_scc0 .LBB43_2305
; %bb.2299:
	s_cmp_gt_i32 s17, 28
	s_cbranch_scc0 .LBB43_2306
; %bb.2300:
	s_cmp_gt_i32 s17, 43
	;; [unrolled: 3-line block ×3, first 2 shown]
	s_cbranch_scc0 .LBB43_2309
; %bb.2302:
	s_cmp_eq_u32 s17, 46
	s_mov_b32 s20, 0
	s_cbranch_scc0 .LBB43_2312
; %bb.2303:
	global_load_b32 v3, v[18:19], off
	s_mov_b32 s0, 0
	s_mov_b32 s19, -1
	s_wait_loadcnt 0x0
	v_lshlrev_b32_e32 v3, 16, v3
	s_wait_xcnt 0x1
	s_delay_alu instid0(VALU_DEP_1)
	v_cvt_f64_f32_e32 v[20:21], v3
	s_branch .LBB43_2314
.LBB43_2304:
	s_mov_b32 s0, -1
	s_mov_b32 s19, 0
                                        ; implicit-def: $vgpr20_vgpr21
	s_branch .LBB43_2380
.LBB43_2305:
	s_mov_b32 s20, -1
	s_mov_b32 s19, 0
	s_mov_b32 s0, 0
                                        ; implicit-def: $vgpr20_vgpr21
	s_branch .LBB43_2343
.LBB43_2306:
	s_mov_b32 s20, -1
	s_mov_b32 s19, 0
	s_mov_b32 s0, 0
                                        ; implicit-def: $vgpr20_vgpr21
	s_branch .LBB43_2324
.LBB43_2307:
	s_mov_b32 s20, -1
	s_mov_b32 s19, 0
	s_mov_b32 s0, 0
                                        ; implicit-def: $vgpr20_vgpr21
	s_branch .LBB43_2319
.LBB43_2308:
	s_or_b32 s1, s1, exec_lo
	s_trap 2
	s_cbranch_execz .LBB43_2245
	s_branch .LBB43_2246
.LBB43_2309:
	s_mov_b32 s20, -1
	s_mov_b32 s19, 0
	s_mov_b32 s0, 0
	s_branch .LBB43_2313
.LBB43_2310:
	s_and_not1_saveexec_b32 s55, s55
	s_cbranch_execz .LBB43_1127
.LBB43_2311:
	v_add_f32_e64 v3, 0x42800000, |v2|
	s_and_not1_b32 s54, s54, exec_lo
	s_delay_alu instid0(VALU_DEP_1) | instskip(NEXT) | instid1(VALU_DEP_1)
	v_and_b32_e32 v3, 0xff, v3
	v_cmp_ne_u32_e32 vcc_lo, 0, v3
	s_and_b32 s56, vcc_lo, exec_lo
	s_delay_alu instid0(SALU_CYCLE_1)
	s_or_b32 s54, s54, s56
	s_or_b32 exec_lo, exec_lo, s55
	v_mov_b32_e32 v5, 0
	s_and_saveexec_b32 s55, s54
	s_cbranch_execnz .LBB43_1128
	s_branch .LBB43_1129
.LBB43_2312:
	s_mov_b32 s0, -1
	s_mov_b32 s19, 0
.LBB43_2313:
                                        ; implicit-def: $vgpr20_vgpr21
.LBB43_2314:
	s_and_b32 vcc_lo, exec_lo, s20
	s_cbranch_vccz .LBB43_2318
; %bb.2315:
	s_cmp_eq_u32 s17, 44
	s_cbranch_scc0 .LBB43_2317
; %bb.2316:
	global_load_u8 v3, v[18:19], off
	s_mov_b32 s0, 0
	s_mov_b32 s19, -1
	s_wait_loadcnt 0x0
	v_lshlrev_b32_e32 v7, 23, v3
	v_cmp_ne_u32_e32 vcc_lo, 0xff, v3
	s_wait_xcnt 0x1
	s_delay_alu instid0(VALU_DEP_2) | instskip(NEXT) | instid1(VALU_DEP_1)
	v_cvt_f64_f32_e32 v[20:21], v7
	v_cndmask_b32_e32 v7, 0x20000000, v20, vcc_lo
	s_delay_alu instid0(VALU_DEP_2) | instskip(SKIP_1) | instid1(VALU_DEP_2)
	v_cndmask_b32_e32 v11, 0x7ff80000, v21, vcc_lo
	v_cmp_ne_u32_e32 vcc_lo, 0, v3
	v_cndmask_b32_e32 v21, 0x38000000, v11, vcc_lo
	s_delay_alu instid0(VALU_DEP_4)
	v_cndmask_b32_e32 v20, 0, v7, vcc_lo
	s_branch .LBB43_2318
.LBB43_2317:
	s_mov_b32 s0, -1
                                        ; implicit-def: $vgpr20_vgpr21
.LBB43_2318:
	s_mov_b32 s20, 0
.LBB43_2319:
	s_delay_alu instid0(SALU_CYCLE_1)
	s_and_b32 vcc_lo, exec_lo, s20
	s_cbranch_vccz .LBB43_2323
; %bb.2320:
	s_cmp_eq_u32 s17, 29
	s_cbranch_scc0 .LBB43_2322
; %bb.2321:
	global_load_b64 v[20:21], v[18:19], off
	s_mov_b32 s0, 0
	s_mov_b32 s19, -1
	s_mov_b32 s20, 0
	s_wait_loadcnt 0x0
	v_cvt_f64_u32_e32 v[22:23], v21
	v_cvt_f64_u32_e32 v[20:21], v20
	s_delay_alu instid0(VALU_DEP_2) | instskip(NEXT) | instid1(VALU_DEP_1)
	v_ldexp_f64 v[22:23], v[22:23], 32
	v_add_f64_e32 v[20:21], v[22:23], v[20:21]
	s_branch .LBB43_2324
.LBB43_2322:
	s_mov_b32 s0, -1
                                        ; implicit-def: $vgpr20_vgpr21
.LBB43_2323:
	s_mov_b32 s20, 0
.LBB43_2324:
	s_delay_alu instid0(SALU_CYCLE_1)
	s_and_b32 vcc_lo, exec_lo, s20
	s_cbranch_vccz .LBB43_2342
; %bb.2325:
	s_cmp_lt_i32 s17, 27
	s_cbranch_scc1 .LBB43_2328
; %bb.2326:
	s_cmp_gt_i32 s17, 27
	s_cbranch_scc0 .LBB43_2329
; %bb.2327:
	global_load_b32 v3, v[18:19], off
	s_mov_b32 s19, 0
	s_wait_loadcnt 0x0
	s_wait_xcnt 0x1
	v_cvt_f64_u32_e32 v[20:21], v3
	s_branch .LBB43_2330
.LBB43_2328:
	s_mov_b32 s19, -1
                                        ; implicit-def: $vgpr20_vgpr21
	s_branch .LBB43_2333
.LBB43_2329:
	s_mov_b32 s19, -1
                                        ; implicit-def: $vgpr20_vgpr21
.LBB43_2330:
	s_delay_alu instid0(SALU_CYCLE_1)
	s_and_not1_b32 vcc_lo, exec_lo, s19
	s_cbranch_vccnz .LBB43_2332
; %bb.2331:
	global_load_u16 v3, v[18:19], off
	s_wait_loadcnt 0x0
	s_wait_xcnt 0x1
	v_cvt_f64_u32_e32 v[20:21], v3
.LBB43_2332:
	s_mov_b32 s19, 0
.LBB43_2333:
	s_delay_alu instid0(SALU_CYCLE_1)
	s_and_not1_b32 vcc_lo, exec_lo, s19
	s_cbranch_vccnz .LBB43_2341
; %bb.2334:
	global_load_u8 v3, v[18:19], off
	s_mov_b32 s19, 0
	s_mov_b32 s20, exec_lo
	s_wait_loadcnt 0x0
	v_cmpx_lt_i16_e32 0x7f, v3
	s_xor_b32 s20, exec_lo, s20
	s_cbranch_execz .LBB43_2355
; %bb.2335:
	s_mov_b32 s19, -1
	s_mov_b32 s21, exec_lo
	v_cmpx_eq_u16_e32 0x80, v3
; %bb.2336:
	s_xor_b32 s19, exec_lo, -1
; %bb.2337:
	s_or_b32 exec_lo, exec_lo, s21
	s_delay_alu instid0(SALU_CYCLE_1)
	s_and_b32 s19, s19, exec_lo
	s_or_saveexec_b32 s20, s20
	v_mov_b64_e32 v[20:21], 0x7ff8000020000000
	s_xor_b32 exec_lo, exec_lo, s20
	s_cbranch_execnz .LBB43_2356
.LBB43_2338:
	s_or_b32 exec_lo, exec_lo, s20
	s_and_saveexec_b32 s20, s19
	s_cbranch_execz .LBB43_2340
.LBB43_2339:
	v_and_b32_e32 v7, 0xffff, v3
	s_delay_alu instid0(VALU_DEP_1) | instskip(SKIP_1) | instid1(VALU_DEP_2)
	v_and_b32_e32 v11, 7, v7
	v_bfe_u32 v17, v7, 3, 4
	v_clz_i32_u32_e32 v13, v11
	s_delay_alu instid0(VALU_DEP_2) | instskip(NEXT) | instid1(VALU_DEP_2)
	v_cmp_eq_u32_e32 vcc_lo, 0, v17
	v_min_u32_e32 v13, 32, v13
	s_delay_alu instid0(VALU_DEP_1) | instskip(NEXT) | instid1(VALU_DEP_1)
	v_subrev_nc_u32_e32 v15, 28, v13
	v_dual_lshlrev_b32 v7, v15, v7 :: v_dual_sub_nc_u32 v13, 29, v13
	s_delay_alu instid0(VALU_DEP_1) | instskip(NEXT) | instid1(VALU_DEP_2)
	v_and_b32_e32 v7, 7, v7
	v_dual_lshlrev_b32 v3, 24, v3 :: v_dual_cndmask_b32 v13, v17, v13, vcc_lo
	s_delay_alu instid0(VALU_DEP_2) | instskip(NEXT) | instid1(VALU_DEP_2)
	v_cndmask_b32_e32 v7, v11, v7, vcc_lo
	v_and_b32_e32 v3, 0x80000000, v3
	s_delay_alu instid0(VALU_DEP_3) | instskip(NEXT) | instid1(VALU_DEP_3)
	v_lshl_add_u32 v11, v13, 23, 0x3b800000
	v_lshlrev_b32_e32 v7, 20, v7
	s_delay_alu instid0(VALU_DEP_1) | instskip(NEXT) | instid1(VALU_DEP_1)
	v_or3_b32 v3, v3, v11, v7
	v_cvt_f64_f32_e32 v[20:21], v3
.LBB43_2340:
	s_or_b32 exec_lo, exec_lo, s20
.LBB43_2341:
	s_mov_b32 s19, -1
.LBB43_2342:
	s_mov_b32 s20, 0
.LBB43_2343:
	s_delay_alu instid0(SALU_CYCLE_1)
	s_and_b32 vcc_lo, exec_lo, s20
	s_cbranch_vccz .LBB43_2376
; %bb.2344:
	s_cmp_gt_i32 s17, 22
	s_cbranch_scc0 .LBB43_2354
; %bb.2345:
	s_cmp_lt_i32 s17, 24
	s_cbranch_scc1 .LBB43_2357
; %bb.2346:
	s_cmp_gt_i32 s17, 24
	s_cbranch_scc0 .LBB43_2358
; %bb.2347:
	global_load_u8 v3, v[18:19], off
	s_mov_b32 s19, exec_lo
	s_wait_loadcnt 0x0
	v_cmpx_lt_i16_e32 0x7f, v3
	s_xor_b32 s19, exec_lo, s19
	s_cbranch_execz .LBB43_2370
; %bb.2348:
	s_mov_b32 s18, -1
	s_mov_b32 s20, exec_lo
	v_cmpx_eq_u16_e32 0x80, v3
; %bb.2349:
	s_xor_b32 s18, exec_lo, -1
; %bb.2350:
	s_or_b32 exec_lo, exec_lo, s20
	s_delay_alu instid0(SALU_CYCLE_1)
	s_and_b32 s18, s18, exec_lo
	s_or_saveexec_b32 s19, s19
	v_mov_b64_e32 v[20:21], 0x7ff8000020000000
	s_xor_b32 exec_lo, exec_lo, s19
	s_cbranch_execnz .LBB43_2371
.LBB43_2351:
	s_or_b32 exec_lo, exec_lo, s19
	s_and_saveexec_b32 s19, s18
	s_cbranch_execz .LBB43_2353
.LBB43_2352:
	v_and_b32_e32 v7, 0xffff, v3
	s_delay_alu instid0(VALU_DEP_1) | instskip(SKIP_1) | instid1(VALU_DEP_2)
	v_and_b32_e32 v11, 3, v7
	v_bfe_u32 v17, v7, 2, 5
	v_clz_i32_u32_e32 v13, v11
	s_delay_alu instid0(VALU_DEP_2) | instskip(NEXT) | instid1(VALU_DEP_2)
	v_cmp_eq_u32_e32 vcc_lo, 0, v17
	v_min_u32_e32 v13, 32, v13
	s_delay_alu instid0(VALU_DEP_1) | instskip(NEXT) | instid1(VALU_DEP_1)
	v_subrev_nc_u32_e32 v15, 29, v13
	v_dual_lshlrev_b32 v7, v15, v7 :: v_dual_sub_nc_u32 v13, 30, v13
	s_delay_alu instid0(VALU_DEP_1) | instskip(NEXT) | instid1(VALU_DEP_2)
	v_and_b32_e32 v7, 3, v7
	v_dual_lshlrev_b32 v3, 24, v3 :: v_dual_cndmask_b32 v13, v17, v13, vcc_lo
	s_delay_alu instid0(VALU_DEP_2) | instskip(NEXT) | instid1(VALU_DEP_2)
	v_cndmask_b32_e32 v7, v11, v7, vcc_lo
	v_and_b32_e32 v3, 0x80000000, v3
	s_delay_alu instid0(VALU_DEP_3) | instskip(NEXT) | instid1(VALU_DEP_3)
	v_lshl_add_u32 v11, v13, 23, 0x37800000
	v_lshlrev_b32_e32 v7, 21, v7
	s_delay_alu instid0(VALU_DEP_1) | instskip(NEXT) | instid1(VALU_DEP_1)
	v_or3_b32 v3, v3, v11, v7
	v_cvt_f64_f32_e32 v[20:21], v3
.LBB43_2353:
	s_or_b32 exec_lo, exec_lo, s19
	s_mov_b32 s18, 0
	s_branch .LBB43_2359
.LBB43_2354:
	s_mov_b32 s18, -1
                                        ; implicit-def: $vgpr20_vgpr21
	s_branch .LBB43_2365
.LBB43_2355:
	s_or_saveexec_b32 s20, s20
	v_mov_b64_e32 v[20:21], 0x7ff8000020000000
	s_xor_b32 exec_lo, exec_lo, s20
	s_cbranch_execz .LBB43_2338
.LBB43_2356:
	v_cmp_ne_u16_e32 vcc_lo, 0, v3
	v_mov_b64_e32 v[20:21], 0
	s_and_not1_b32 s19, s19, exec_lo
	s_and_b32 s21, vcc_lo, exec_lo
	s_delay_alu instid0(SALU_CYCLE_1)
	s_or_b32 s19, s19, s21
	s_or_b32 exec_lo, exec_lo, s20
	s_and_saveexec_b32 s20, s19
	s_cbranch_execnz .LBB43_2339
	s_branch .LBB43_2340
.LBB43_2357:
	s_mov_b32 s18, -1
                                        ; implicit-def: $vgpr20_vgpr21
	s_branch .LBB43_2362
.LBB43_2358:
	s_mov_b32 s18, -1
                                        ; implicit-def: $vgpr20_vgpr21
.LBB43_2359:
	s_delay_alu instid0(SALU_CYCLE_1)
	s_and_b32 vcc_lo, exec_lo, s18
	s_cbranch_vccz .LBB43_2361
; %bb.2360:
	global_load_u8 v3, v[18:19], off
	s_wait_loadcnt 0x0
	v_lshlrev_b32_e32 v3, 24, v3
	s_delay_alu instid0(VALU_DEP_1) | instskip(NEXT) | instid1(VALU_DEP_1)
	v_and_b32_e32 v7, 0x7f000000, v3
	v_clz_i32_u32_e32 v11, v7
	v_add_nc_u32_e32 v15, 0x1000000, v7
	v_cmp_ne_u32_e32 vcc_lo, 0, v7
	s_delay_alu instid0(VALU_DEP_3) | instskip(NEXT) | instid1(VALU_DEP_1)
	v_min_u32_e32 v11, 32, v11
	v_sub_nc_u32_e64 v11, v11, 4 clamp
	s_delay_alu instid0(VALU_DEP_1) | instskip(NEXT) | instid1(VALU_DEP_1)
	v_lshlrev_b32_e32 v13, v11, v7
	v_dual_lshlrev_b32 v11, 23, v11 :: v_dual_lshrrev_b32 v13, 4, v13
	s_delay_alu instid0(VALU_DEP_1) | instskip(SKIP_1) | instid1(VALU_DEP_2)
	v_sub_nc_u32_e32 v11, v13, v11
	v_ashrrev_i32_e32 v13, 8, v15
	v_add_nc_u32_e32 v11, 0x3c000000, v11
	s_delay_alu instid0(VALU_DEP_1) | instskip(NEXT) | instid1(VALU_DEP_1)
	v_and_or_b32 v11, 0x7f800000, v13, v11
	v_cndmask_b32_e32 v7, 0, v11, vcc_lo
	s_delay_alu instid0(VALU_DEP_1) | instskip(SKIP_1) | instid1(VALU_DEP_1)
	v_and_or_b32 v3, 0x80000000, v3, v7
	s_wait_xcnt 0x1
	v_cvt_f64_f32_e32 v[20:21], v3
.LBB43_2361:
	s_mov_b32 s18, 0
.LBB43_2362:
	s_delay_alu instid0(SALU_CYCLE_1)
	s_and_not1_b32 vcc_lo, exec_lo, s18
	s_cbranch_vccnz .LBB43_2364
; %bb.2363:
	global_load_u8 v3, v[18:19], off
	s_wait_loadcnt 0x0
	v_lshlrev_b32_e32 v7, 25, v3
	v_lshlrev_b16 v3, 8, v3
	s_delay_alu instid0(VALU_DEP_1) | instskip(SKIP_1) | instid1(VALU_DEP_2)
	v_and_or_b32 v13, 0x7f00, v3, 0.5
	v_bfe_i32 v3, v3, 0, 16
	v_dual_add_f32 v13, -0.5, v13 :: v_dual_lshrrev_b32 v11, 4, v7
	v_cmp_gt_u32_e32 vcc_lo, 0x8000000, v7
	s_delay_alu instid0(VALU_DEP_2) | instskip(NEXT) | instid1(VALU_DEP_1)
	v_or_b32_e32 v11, 0x70000000, v11
	v_mul_f32_e32 v11, 0x7800000, v11
	s_delay_alu instid0(VALU_DEP_1) | instskip(NEXT) | instid1(VALU_DEP_1)
	v_cndmask_b32_e32 v7, v11, v13, vcc_lo
	v_and_or_b32 v3, 0x80000000, v3, v7
	s_wait_xcnt 0x1
	s_delay_alu instid0(VALU_DEP_1)
	v_cvt_f64_f32_e32 v[20:21], v3
.LBB43_2364:
	s_mov_b32 s18, 0
	s_mov_b32 s19, -1
.LBB43_2365:
	s_and_not1_b32 vcc_lo, exec_lo, s18
	s_mov_b32 s18, 0
	s_cbranch_vccnz .LBB43_2376
; %bb.2366:
	s_cmp_gt_i32 s17, 14
	s_cbranch_scc0 .LBB43_2369
; %bb.2367:
	s_cmp_eq_u32 s17, 15
	s_cbranch_scc0 .LBB43_2372
; %bb.2368:
	global_load_u16 v3, v[18:19], off
	s_mov_b32 s0, 0
	s_mov_b32 s19, -1
	s_wait_loadcnt 0x0
	v_lshlrev_b32_e32 v3, 16, v3
	s_wait_xcnt 0x1
	s_delay_alu instid0(VALU_DEP_1)
	v_cvt_f64_f32_e32 v[20:21], v3
	s_branch .LBB43_2374
.LBB43_2369:
	s_mov_b32 s18, -1
	s_branch .LBB43_2373
.LBB43_2370:
	s_or_saveexec_b32 s19, s19
	v_mov_b64_e32 v[20:21], 0x7ff8000020000000
	s_xor_b32 exec_lo, exec_lo, s19
	s_cbranch_execz .LBB43_2351
.LBB43_2371:
	v_cmp_ne_u16_e32 vcc_lo, 0, v3
	v_mov_b64_e32 v[20:21], 0
	s_and_not1_b32 s18, s18, exec_lo
	s_and_b32 s20, vcc_lo, exec_lo
	s_delay_alu instid0(SALU_CYCLE_1)
	s_or_b32 s18, s18, s20
	s_or_b32 exec_lo, exec_lo, s19
	s_and_saveexec_b32 s19, s18
	s_cbranch_execnz .LBB43_2352
	s_branch .LBB43_2353
.LBB43_2372:
	s_mov_b32 s0, -1
.LBB43_2373:
                                        ; implicit-def: $vgpr20_vgpr21
.LBB43_2374:
	s_and_b32 vcc_lo, exec_lo, s18
	s_mov_b32 s18, 0
	s_cbranch_vccz .LBB43_2376
; %bb.2375:
	s_cmp_lg_u32 s17, 11
	s_mov_b32 s18, -1
	s_cselect_b32 s0, -1, 0
.LBB43_2376:
	s_delay_alu instid0(SALU_CYCLE_1)
	s_and_b32 vcc_lo, exec_lo, s0
	s_cbranch_vccnz .LBB43_2443
; %bb.2377:
	s_and_not1_b32 vcc_lo, exec_lo, s18
	s_cbranch_vccnz .LBB43_2379
.LBB43_2378:
	global_load_u8 v3, v[18:19], off
	s_wait_xcnt 0x1
	v_mov_b32_e32 v20, 0
	s_mov_b32 s19, -1
	s_wait_loadcnt 0x0
	v_cmp_ne_u16_e32 vcc_lo, 0, v3
	v_cndmask_b32_e64 v21, 0, 0x3ff00000, vcc_lo
.LBB43_2379:
	s_mov_b32 s0, 0
.LBB43_2380:
	s_delay_alu instid0(SALU_CYCLE_1)
	s_and_b32 vcc_lo, exec_lo, s0
	s_cbranch_vccz .LBB43_2429
; %bb.2381:
	s_cmp_lt_i32 s17, 5
	s_cbranch_scc1 .LBB43_2386
; %bb.2382:
	s_cmp_lt_i32 s17, 8
	s_cbranch_scc1 .LBB43_2387
	;; [unrolled: 3-line block ×3, first 2 shown]
; %bb.2384:
	s_cmp_gt_i32 s17, 9
	s_cbranch_scc0 .LBB43_2389
; %bb.2385:
	global_load_b64 v[20:21], v[18:19], off
	s_mov_b32 s0, 0
	s_branch .LBB43_2390
.LBB43_2386:
	s_mov_b32 s0, -1
                                        ; implicit-def: $vgpr20_vgpr21
	s_branch .LBB43_2408
.LBB43_2387:
	s_mov_b32 s0, -1
                                        ; implicit-def: $vgpr20_vgpr21
	s_branch .LBB43_2396
.LBB43_2388:
	s_mov_b32 s0, -1
                                        ; implicit-def: $vgpr20_vgpr21
	s_branch .LBB43_2393
.LBB43_2389:
	s_mov_b32 s0, -1
                                        ; implicit-def: $vgpr20_vgpr21
.LBB43_2390:
	s_delay_alu instid0(SALU_CYCLE_1)
	s_and_not1_b32 vcc_lo, exec_lo, s0
	s_cbranch_vccnz .LBB43_2392
; %bb.2391:
	global_load_b32 v3, v[18:19], off
	s_wait_loadcnt 0x0
	s_wait_xcnt 0x1
	v_cvt_f64_f32_e32 v[20:21], v3
.LBB43_2392:
	s_mov_b32 s0, 0
.LBB43_2393:
	s_delay_alu instid0(SALU_CYCLE_1)
	s_and_not1_b32 vcc_lo, exec_lo, s0
	s_cbranch_vccnz .LBB43_2395
; %bb.2394:
	global_load_b32 v3, v[18:19], off
	s_wait_loadcnt 0x0
	v_cvt_f32_f16_e32 v3, v3
	s_wait_xcnt 0x1
	s_delay_alu instid0(VALU_DEP_1)
	v_cvt_f64_f32_e32 v[20:21], v3
.LBB43_2395:
	s_mov_b32 s0, 0
.LBB43_2396:
	s_delay_alu instid0(SALU_CYCLE_1)
	s_and_not1_b32 vcc_lo, exec_lo, s0
	s_cbranch_vccnz .LBB43_2407
; %bb.2397:
	s_cmp_lt_i32 s17, 6
	s_cbranch_scc1 .LBB43_2400
; %bb.2398:
	s_cmp_gt_i32 s17, 6
	s_cbranch_scc0 .LBB43_2401
; %bb.2399:
	s_wait_loadcnt 0x0
	global_load_b64 v[20:21], v[18:19], off
	s_mov_b32 s0, 0
	s_branch .LBB43_2402
.LBB43_2400:
	s_mov_b32 s0, -1
                                        ; implicit-def: $vgpr20_vgpr21
	s_branch .LBB43_2405
.LBB43_2401:
	s_mov_b32 s0, -1
                                        ; implicit-def: $vgpr20_vgpr21
.LBB43_2402:
	s_delay_alu instid0(SALU_CYCLE_1)
	s_and_not1_b32 vcc_lo, exec_lo, s0
	s_cbranch_vccnz .LBB43_2404
; %bb.2403:
	global_load_b32 v3, v[18:19], off
	s_wait_loadcnt 0x0
	s_wait_xcnt 0x1
	v_cvt_f64_f32_e32 v[20:21], v3
.LBB43_2404:
	s_mov_b32 s0, 0
.LBB43_2405:
	s_delay_alu instid0(SALU_CYCLE_1)
	s_and_not1_b32 vcc_lo, exec_lo, s0
	s_cbranch_vccnz .LBB43_2407
; %bb.2406:
	global_load_u16 v3, v[18:19], off
	s_wait_loadcnt 0x0
	v_cvt_f32_f16_e32 v3, v3
	s_wait_xcnt 0x1
	s_delay_alu instid0(VALU_DEP_1)
	v_cvt_f64_f32_e32 v[20:21], v3
.LBB43_2407:
	s_mov_b32 s0, 0
.LBB43_2408:
	s_delay_alu instid0(SALU_CYCLE_1)
	s_and_not1_b32 vcc_lo, exec_lo, s0
	s_cbranch_vccnz .LBB43_2428
; %bb.2409:
	s_cmp_lt_i32 s17, 2
	s_cbranch_scc1 .LBB43_2413
; %bb.2410:
	s_cmp_lt_i32 s17, 3
	s_cbranch_scc1 .LBB43_2414
; %bb.2411:
	s_cmp_gt_i32 s17, 3
	s_cbranch_scc0 .LBB43_2415
; %bb.2412:
	s_wait_loadcnt 0x0
	global_load_b64 v[20:21], v[18:19], off
	s_mov_b32 s0, 0
	s_wait_loadcnt 0x0
	v_cvt_f64_i32_e32 v[22:23], v21
	v_cvt_f64_u32_e32 v[20:21], v20
	s_delay_alu instid0(VALU_DEP_2) | instskip(NEXT) | instid1(VALU_DEP_1)
	v_ldexp_f64 v[22:23], v[22:23], 32
	v_add_f64_e32 v[20:21], v[22:23], v[20:21]
	s_branch .LBB43_2416
.LBB43_2413:
	s_mov_b32 s0, -1
                                        ; implicit-def: $vgpr20_vgpr21
	s_branch .LBB43_2422
.LBB43_2414:
	s_mov_b32 s0, -1
                                        ; implicit-def: $vgpr20_vgpr21
	s_branch .LBB43_2419
.LBB43_2415:
	s_mov_b32 s0, -1
                                        ; implicit-def: $vgpr20_vgpr21
.LBB43_2416:
	s_delay_alu instid0(SALU_CYCLE_1)
	s_and_not1_b32 vcc_lo, exec_lo, s0
	s_cbranch_vccnz .LBB43_2418
; %bb.2417:
	global_load_b32 v3, v[18:19], off
	s_wait_loadcnt 0x0
	s_wait_xcnt 0x1
	v_cvt_f64_i32_e32 v[20:21], v3
.LBB43_2418:
	s_mov_b32 s0, 0
.LBB43_2419:
	s_delay_alu instid0(SALU_CYCLE_1)
	s_and_not1_b32 vcc_lo, exec_lo, s0
	s_cbranch_vccnz .LBB43_2421
; %bb.2420:
	global_load_i16 v3, v[18:19], off
	s_wait_loadcnt 0x0
	s_wait_xcnt 0x1
	v_cvt_f64_i32_e32 v[20:21], v3
.LBB43_2421:
	s_mov_b32 s0, 0
.LBB43_2422:
	s_delay_alu instid0(SALU_CYCLE_1)
	s_and_not1_b32 vcc_lo, exec_lo, s0
	s_cbranch_vccnz .LBB43_2428
; %bb.2423:
	s_cmp_gt_i32 s17, 0
	s_mov_b32 s0, 0
	s_cbranch_scc0 .LBB43_2425
; %bb.2424:
	global_load_i8 v3, v[18:19], off
	s_wait_loadcnt 0x0
	s_wait_xcnt 0x1
	v_cvt_f64_i32_e32 v[20:21], v3
	s_branch .LBB43_2426
.LBB43_2425:
	s_mov_b32 s0, -1
                                        ; implicit-def: $vgpr20_vgpr21
.LBB43_2426:
	s_delay_alu instid0(SALU_CYCLE_1)
	s_and_not1_b32 vcc_lo, exec_lo, s0
	s_cbranch_vccnz .LBB43_2428
; %bb.2427:
	global_load_u8 v3, v[18:19], off
	s_wait_loadcnt 0x0
	s_wait_xcnt 0x1
	v_cvt_f64_u32_e32 v[20:21], v3
.LBB43_2428:
	s_mov_b32 s19, -1
.LBB43_2429:
	s_delay_alu instid0(SALU_CYCLE_1)
	s_and_not1_b32 vcc_lo, exec_lo, s19
	s_cbranch_vccnz .LBB43_2774
; %bb.2430:
	s_wait_loadcnt 0x0
	s_delay_alu instid0(VALU_DEP_1) | instskip(SKIP_1) | instid1(VALU_DEP_1)
	v_mul_f64_e32 v[18:19], s[8:9], v[20:21]
	s_mov_b32 s18, exec_lo
	v_cmpx_nlt_f64_e32 s[10:11], v[18:19]
	s_cbranch_execz .LBB43_2432
; %bb.2431:
	v_mul_f64_e32 v[20:21], 0x3ff71547652b82fe, v[18:19]
	s_mov_b64 s[20:21], 0x3e5ade156a5dcb37
	v_cmp_nlt_f64_e32 vcc_lo, 0x40900000, v[18:19]
	v_cmp_ngt_f64_e64 s0, 0xc090cc00, v[18:19]
	s_delay_alu instid0(VALU_DEP_3) | instskip(NEXT) | instid1(VALU_DEP_1)
	v_rndne_f64_e32 v[20:21], v[20:21]
	v_fmamk_f64 v[22:23], v[20:21], 0xbfe62e42fefa39ef, v[18:19]
	v_cvt_i32_f64_e32 v3, v[20:21]
	s_delay_alu instid0(VALU_DEP_2) | instskip(NEXT) | instid1(VALU_DEP_1)
	v_fmamk_f64 v[22:23], v[20:21], 0xbc7abc9e3b39803f, v[22:23]
	v_fmaak_f64 v[24:25], s[20:21], v[22:23], 0x3e928af3fca7ab0c
	s_delay_alu instid0(VALU_DEP_1) | instskip(NEXT) | instid1(VALU_DEP_1)
	v_fmaak_f64 v[24:25], v[22:23], v[24:25], 0x3ec71dee623fde64
	v_fmaak_f64 v[24:25], v[22:23], v[24:25], 0x3efa01997c89e6b0
	s_delay_alu instid0(VALU_DEP_1) | instskip(NEXT) | instid1(VALU_DEP_1)
	v_fmaak_f64 v[24:25], v[22:23], v[24:25], 0x3f2a01a014761f6e
	;; [unrolled: 3-line block ×4, first 2 shown]
	v_fmaak_f64 v[24:25], v[22:23], v[24:25], 0x3fe000000000000b
	s_delay_alu instid0(VALU_DEP_1) | instskip(NEXT) | instid1(VALU_DEP_1)
	v_fma_f64 v[24:25], v[22:23], v[24:25], 1.0
	v_fma_f64 v[20:21], v[22:23], v[24:25], 1.0
	s_delay_alu instid0(VALU_DEP_1) | instskip(NEXT) | instid1(VALU_DEP_1)
	v_ldexp_f64 v[20:21], v[20:21], v3
	v_cndmask_b32_e32 v3, 0x7ff00000, v21, vcc_lo
	s_and_b32 vcc_lo, s0, vcc_lo
	s_delay_alu instid0(VALU_DEP_1) | instid1(SALU_CYCLE_1)
	v_dual_cndmask_b32 v18, 0, v20, vcc_lo :: v_dual_cndmask_b32 v19, 0, v3, s0
	s_delay_alu instid0(VALU_DEP_1) | instskip(SKIP_1) | instid1(VALU_DEP_1)
	v_mul_f64_e32 v[8:9], v[8:9], v[18:19]
	v_add_f64_e32 v[18:19], 1.0, v[18:19]
	v_div_scale_f64 v[20:21], null, v[18:19], v[18:19], v[8:9]
	s_delay_alu instid0(VALU_DEP_1) | instskip(SKIP_1) | instid1(TRANS32_DEP_1)
	v_rcp_f64_e32 v[22:23], v[20:21]
	v_nop
	v_fma_f64 v[24:25], -v[20:21], v[22:23], 1.0
	s_delay_alu instid0(VALU_DEP_1) | instskip(NEXT) | instid1(VALU_DEP_1)
	v_fmac_f64_e32 v[22:23], v[22:23], v[24:25]
	v_fma_f64 v[24:25], -v[20:21], v[22:23], 1.0
	s_delay_alu instid0(VALU_DEP_1) | instskip(SKIP_1) | instid1(VALU_DEP_1)
	v_fmac_f64_e32 v[22:23], v[22:23], v[24:25]
	v_div_scale_f64 v[24:25], vcc_lo, v[8:9], v[18:19], v[8:9]
	v_mul_f64_e32 v[26:27], v[24:25], v[22:23]
	s_delay_alu instid0(VALU_DEP_1) | instskip(NEXT) | instid1(VALU_DEP_1)
	v_fma_f64 v[20:21], -v[20:21], v[26:27], v[24:25]
	v_div_fmas_f64 v[20:21], v[20:21], v[22:23], v[26:27]
	s_delay_alu instid0(VALU_DEP_1)
	v_div_fixup_f64 v[8:9], v[20:21], v[18:19], v[8:9]
.LBB43_2432:
	s_or_b32 exec_lo, exec_lo, s18
	v_mov_b32_e32 v13, 0
	s_cmp_lt_i32 s16, 11
	s_delay_alu instid0(VALU_DEP_1)
	v_add_nc_u64_e32 v[18:19], s[6:7], v[12:13]
	s_cbranch_scc1 .LBB43_2439
; %bb.2433:
	s_cmp_gt_i32 s16, 25
	s_mov_b32 s6, 0
	s_cbranch_scc0 .LBB43_2440
; %bb.2434:
	s_cmp_gt_i32 s16, 28
	s_cbranch_scc0 .LBB43_2441
; %bb.2435:
	s_cmp_gt_i32 s16, 43
	;; [unrolled: 3-line block ×3, first 2 shown]
	s_cbranch_scc0 .LBB43_2444
; %bb.2437:
	s_cmp_eq_u32 s16, 46
	s_mov_b32 s18, 0
	s_cbranch_scc0 .LBB43_2445
; %bb.2438:
	global_load_b32 v3, v[18:19], off
	s_mov_b32 s0, 0
	s_mov_b32 s7, -1
	s_wait_loadcnt 0x0
	v_lshlrev_b32_e32 v3, 16, v3
	s_delay_alu instid0(VALU_DEP_1)
	v_cvt_f64_f32_e32 v[12:13], v3
	s_branch .LBB43_2447
.LBB43_2439:
	s_mov_b32 s0, -1
	s_mov_b32 s7, 0
                                        ; implicit-def: $vgpr12_vgpr13
	s_branch .LBB43_2513
.LBB43_2440:
	s_mov_b32 s18, -1
	s_mov_b32 s7, 0
	s_mov_b32 s0, 0
                                        ; implicit-def: $vgpr12_vgpr13
	s_branch .LBB43_2476
.LBB43_2441:
	s_mov_b32 s18, -1
	s_mov_b32 s7, 0
	s_mov_b32 s0, 0
                                        ; implicit-def: $vgpr12_vgpr13
	s_branch .LBB43_2457
.LBB43_2442:
	s_mov_b32 s18, -1
	s_mov_b32 s7, 0
	s_mov_b32 s0, 0
                                        ; implicit-def: $vgpr12_vgpr13
	s_branch .LBB43_2452
.LBB43_2443:
	s_or_b32 s1, s1, exec_lo
	s_trap 2
	s_cbranch_execz .LBB43_2378
	s_branch .LBB43_2379
.LBB43_2444:
	s_mov_b32 s18, -1
	s_mov_b32 s7, 0
	s_mov_b32 s0, 0
	s_branch .LBB43_2446
.LBB43_2445:
	s_mov_b32 s0, -1
	s_mov_b32 s7, 0
.LBB43_2446:
                                        ; implicit-def: $vgpr12_vgpr13
.LBB43_2447:
	s_and_b32 vcc_lo, exec_lo, s18
	s_cbranch_vccz .LBB43_2451
; %bb.2448:
	s_cmp_eq_u32 s16, 44
	s_cbranch_scc0 .LBB43_2450
; %bb.2449:
	global_load_u8 v3, v[18:19], off
	s_mov_b32 s0, 0
	s_mov_b32 s7, -1
	s_wait_loadcnt 0x0
	v_lshlrev_b32_e32 v7, 23, v3
	v_cmp_ne_u32_e32 vcc_lo, 0xff, v3
	s_delay_alu instid0(VALU_DEP_2) | instskip(NEXT) | instid1(VALU_DEP_1)
	v_cvt_f64_f32_e32 v[12:13], v7
	v_cndmask_b32_e32 v7, 0x20000000, v12, vcc_lo
	s_delay_alu instid0(VALU_DEP_2) | instskip(SKIP_1) | instid1(VALU_DEP_2)
	v_cndmask_b32_e32 v11, 0x7ff80000, v13, vcc_lo
	v_cmp_ne_u32_e32 vcc_lo, 0, v3
	v_cndmask_b32_e32 v13, 0x38000000, v11, vcc_lo
	s_delay_alu instid0(VALU_DEP_4)
	v_cndmask_b32_e32 v12, 0, v7, vcc_lo
	s_branch .LBB43_2451
.LBB43_2450:
	s_mov_b32 s0, -1
                                        ; implicit-def: $vgpr12_vgpr13
.LBB43_2451:
	s_mov_b32 s18, 0
.LBB43_2452:
	s_delay_alu instid0(SALU_CYCLE_1)
	s_and_b32 vcc_lo, exec_lo, s18
	s_cbranch_vccz .LBB43_2456
; %bb.2453:
	s_cmp_eq_u32 s16, 29
	s_cbranch_scc0 .LBB43_2455
; %bb.2454:
	global_load_b64 v[12:13], v[18:19], off
	s_mov_b32 s0, 0
	s_mov_b32 s7, -1
	s_mov_b32 s18, 0
	s_wait_loadcnt 0x0
	v_cvt_f64_u32_e32 v[20:21], v13
	v_cvt_f64_u32_e32 v[12:13], v12
	s_delay_alu instid0(VALU_DEP_2) | instskip(NEXT) | instid1(VALU_DEP_1)
	v_ldexp_f64 v[20:21], v[20:21], 32
	v_add_f64_e32 v[12:13], v[20:21], v[12:13]
	s_branch .LBB43_2457
.LBB43_2455:
	s_mov_b32 s0, -1
                                        ; implicit-def: $vgpr12_vgpr13
.LBB43_2456:
	s_mov_b32 s18, 0
.LBB43_2457:
	s_delay_alu instid0(SALU_CYCLE_1)
	s_and_b32 vcc_lo, exec_lo, s18
	s_cbranch_vccz .LBB43_2475
; %bb.2458:
	s_cmp_lt_i32 s16, 27
	s_cbranch_scc1 .LBB43_2461
; %bb.2459:
	s_cmp_gt_i32 s16, 27
	s_cbranch_scc0 .LBB43_2462
; %bb.2460:
	global_load_b32 v3, v[18:19], off
	s_mov_b32 s7, 0
	s_wait_loadcnt 0x0
	v_cvt_f64_u32_e32 v[12:13], v3
	s_branch .LBB43_2463
.LBB43_2461:
	s_mov_b32 s7, -1
                                        ; implicit-def: $vgpr12_vgpr13
	s_branch .LBB43_2466
.LBB43_2462:
	s_mov_b32 s7, -1
                                        ; implicit-def: $vgpr12_vgpr13
.LBB43_2463:
	s_delay_alu instid0(SALU_CYCLE_1)
	s_and_not1_b32 vcc_lo, exec_lo, s7
	s_cbranch_vccnz .LBB43_2465
; %bb.2464:
	global_load_u16 v3, v[18:19], off
	s_wait_loadcnt 0x0
	v_cvt_f64_u32_e32 v[12:13], v3
.LBB43_2465:
	s_mov_b32 s7, 0
.LBB43_2466:
	s_delay_alu instid0(SALU_CYCLE_1)
	s_and_not1_b32 vcc_lo, exec_lo, s7
	s_cbranch_vccnz .LBB43_2474
; %bb.2467:
	global_load_u8 v3, v[18:19], off
	s_mov_b32 s7, 0
	s_mov_b32 s18, exec_lo
	s_wait_loadcnt 0x0
	v_cmpx_lt_i16_e32 0x7f, v3
	s_xor_b32 s18, exec_lo, s18
	s_cbranch_execz .LBB43_2488
; %bb.2468:
	s_mov_b32 s7, -1
	s_mov_b32 s19, exec_lo
	v_cmpx_eq_u16_e32 0x80, v3
; %bb.2469:
	s_xor_b32 s7, exec_lo, -1
; %bb.2470:
	s_or_b32 exec_lo, exec_lo, s19
	s_delay_alu instid0(SALU_CYCLE_1)
	s_and_b32 s7, s7, exec_lo
	s_or_saveexec_b32 s18, s18
	v_mov_b64_e32 v[12:13], 0x7ff8000020000000
	s_xor_b32 exec_lo, exec_lo, s18
	s_cbranch_execnz .LBB43_2489
.LBB43_2471:
	s_or_b32 exec_lo, exec_lo, s18
	s_and_saveexec_b32 s18, s7
	s_cbranch_execz .LBB43_2473
.LBB43_2472:
	v_and_b32_e32 v7, 0xffff, v3
	s_delay_alu instid0(VALU_DEP_1) | instskip(SKIP_1) | instid1(VALU_DEP_2)
	v_and_b32_e32 v11, 7, v7
	v_bfe_u32 v15, v7, 3, 4
	v_clz_i32_u32_e32 v12, v11
	s_delay_alu instid0(VALU_DEP_2) | instskip(NEXT) | instid1(VALU_DEP_2)
	v_cmp_eq_u32_e32 vcc_lo, 0, v15
	v_min_u32_e32 v12, 32, v12
	s_delay_alu instid0(VALU_DEP_1) | instskip(NEXT) | instid1(VALU_DEP_1)
	v_subrev_nc_u32_e32 v13, 28, v12
	v_dual_lshlrev_b32 v7, v13, v7 :: v_dual_sub_nc_u32 v12, 29, v12
	s_delay_alu instid0(VALU_DEP_1) | instskip(NEXT) | instid1(VALU_DEP_2)
	v_and_b32_e32 v7, 7, v7
	v_dual_cndmask_b32 v12, v15, v12 :: v_dual_lshlrev_b32 v3, 24, v3
	s_delay_alu instid0(VALU_DEP_2) | instskip(NEXT) | instid1(VALU_DEP_2)
	v_cndmask_b32_e32 v7, v11, v7, vcc_lo
	v_and_b32_e32 v3, 0x80000000, v3
	s_delay_alu instid0(VALU_DEP_3) | instskip(NEXT) | instid1(VALU_DEP_3)
	v_lshl_add_u32 v11, v12, 23, 0x3b800000
	v_lshlrev_b32_e32 v7, 20, v7
	s_delay_alu instid0(VALU_DEP_1) | instskip(NEXT) | instid1(VALU_DEP_1)
	v_or3_b32 v3, v3, v11, v7
	v_cvt_f64_f32_e32 v[12:13], v3
.LBB43_2473:
	s_or_b32 exec_lo, exec_lo, s18
.LBB43_2474:
	s_mov_b32 s7, -1
.LBB43_2475:
	s_mov_b32 s18, 0
.LBB43_2476:
	s_delay_alu instid0(SALU_CYCLE_1)
	s_and_b32 vcc_lo, exec_lo, s18
	s_cbranch_vccz .LBB43_2509
; %bb.2477:
	s_cmp_gt_i32 s16, 22
	s_cbranch_scc0 .LBB43_2487
; %bb.2478:
	s_cmp_lt_i32 s16, 24
	s_cbranch_scc1 .LBB43_2490
; %bb.2479:
	s_cmp_gt_i32 s16, 24
	s_cbranch_scc0 .LBB43_2491
; %bb.2480:
	global_load_u8 v3, v[18:19], off
	s_mov_b32 s7, exec_lo
	s_wait_loadcnt 0x0
	v_cmpx_lt_i16_e32 0x7f, v3
	s_xor_b32 s7, exec_lo, s7
	s_cbranch_execz .LBB43_2503
; %bb.2481:
	s_mov_b32 s6, -1
	s_mov_b32 s18, exec_lo
	v_cmpx_eq_u16_e32 0x80, v3
; %bb.2482:
	s_xor_b32 s6, exec_lo, -1
; %bb.2483:
	s_or_b32 exec_lo, exec_lo, s18
	s_delay_alu instid0(SALU_CYCLE_1)
	s_and_b32 s6, s6, exec_lo
	s_or_saveexec_b32 s7, s7
	v_mov_b64_e32 v[12:13], 0x7ff8000020000000
	s_xor_b32 exec_lo, exec_lo, s7
	s_cbranch_execnz .LBB43_2504
.LBB43_2484:
	s_or_b32 exec_lo, exec_lo, s7
	s_and_saveexec_b32 s7, s6
	s_cbranch_execz .LBB43_2486
.LBB43_2485:
	v_and_b32_e32 v7, 0xffff, v3
	s_delay_alu instid0(VALU_DEP_1) | instskip(SKIP_1) | instid1(VALU_DEP_2)
	v_and_b32_e32 v11, 3, v7
	v_bfe_u32 v15, v7, 2, 5
	v_clz_i32_u32_e32 v12, v11
	s_delay_alu instid0(VALU_DEP_2) | instskip(NEXT) | instid1(VALU_DEP_2)
	v_cmp_eq_u32_e32 vcc_lo, 0, v15
	v_min_u32_e32 v12, 32, v12
	s_delay_alu instid0(VALU_DEP_1) | instskip(NEXT) | instid1(VALU_DEP_1)
	v_subrev_nc_u32_e32 v13, 29, v12
	v_dual_lshlrev_b32 v7, v13, v7 :: v_dual_sub_nc_u32 v12, 30, v12
	s_delay_alu instid0(VALU_DEP_1) | instskip(NEXT) | instid1(VALU_DEP_2)
	v_and_b32_e32 v7, 3, v7
	v_dual_cndmask_b32 v12, v15, v12 :: v_dual_lshlrev_b32 v3, 24, v3
	s_delay_alu instid0(VALU_DEP_2) | instskip(NEXT) | instid1(VALU_DEP_2)
	v_cndmask_b32_e32 v7, v11, v7, vcc_lo
	v_and_b32_e32 v3, 0x80000000, v3
	s_delay_alu instid0(VALU_DEP_3) | instskip(NEXT) | instid1(VALU_DEP_3)
	v_lshl_add_u32 v11, v12, 23, 0x37800000
	v_lshlrev_b32_e32 v7, 21, v7
	s_delay_alu instid0(VALU_DEP_1) | instskip(NEXT) | instid1(VALU_DEP_1)
	v_or3_b32 v3, v3, v11, v7
	v_cvt_f64_f32_e32 v[12:13], v3
.LBB43_2486:
	s_or_b32 exec_lo, exec_lo, s7
	s_mov_b32 s6, 0
	s_branch .LBB43_2492
.LBB43_2487:
	s_mov_b32 s6, -1
                                        ; implicit-def: $vgpr12_vgpr13
	s_branch .LBB43_2498
.LBB43_2488:
	s_or_saveexec_b32 s18, s18
	v_mov_b64_e32 v[12:13], 0x7ff8000020000000
	s_xor_b32 exec_lo, exec_lo, s18
	s_cbranch_execz .LBB43_2471
.LBB43_2489:
	v_cmp_ne_u16_e32 vcc_lo, 0, v3
	v_mov_b64_e32 v[12:13], 0
	s_and_not1_b32 s7, s7, exec_lo
	s_and_b32 s19, vcc_lo, exec_lo
	s_delay_alu instid0(SALU_CYCLE_1)
	s_or_b32 s7, s7, s19
	s_or_b32 exec_lo, exec_lo, s18
	s_and_saveexec_b32 s18, s7
	s_cbranch_execnz .LBB43_2472
	s_branch .LBB43_2473
.LBB43_2490:
	s_mov_b32 s6, -1
                                        ; implicit-def: $vgpr12_vgpr13
	s_branch .LBB43_2495
.LBB43_2491:
	s_mov_b32 s6, -1
                                        ; implicit-def: $vgpr12_vgpr13
.LBB43_2492:
	s_delay_alu instid0(SALU_CYCLE_1)
	s_and_b32 vcc_lo, exec_lo, s6
	s_cbranch_vccz .LBB43_2494
; %bb.2493:
	global_load_u8 v3, v[18:19], off
	s_wait_loadcnt 0x0
	v_lshlrev_b32_e32 v3, 24, v3
	s_delay_alu instid0(VALU_DEP_1) | instskip(NEXT) | instid1(VALU_DEP_1)
	v_and_b32_e32 v7, 0x7f000000, v3
	v_clz_i32_u32_e32 v11, v7
	v_add_nc_u32_e32 v13, 0x1000000, v7
	v_cmp_ne_u32_e32 vcc_lo, 0, v7
	s_delay_alu instid0(VALU_DEP_3) | instskip(NEXT) | instid1(VALU_DEP_1)
	v_min_u32_e32 v11, 32, v11
	v_sub_nc_u32_e64 v11, v11, 4 clamp
	s_delay_alu instid0(VALU_DEP_1) | instskip(NEXT) | instid1(VALU_DEP_1)
	v_lshlrev_b32_e32 v12, v11, v7
	v_dual_lshlrev_b32 v11, 23, v11 :: v_dual_lshrrev_b32 v12, 4, v12
	s_delay_alu instid0(VALU_DEP_1) | instskip(NEXT) | instid1(VALU_DEP_1)
	v_dual_sub_nc_u32 v11, v12, v11 :: v_dual_ashrrev_i32 v12, 8, v13
	v_add_nc_u32_e32 v11, 0x3c000000, v11
	s_delay_alu instid0(VALU_DEP_1) | instskip(NEXT) | instid1(VALU_DEP_1)
	v_and_or_b32 v11, 0x7f800000, v12, v11
	v_cndmask_b32_e32 v7, 0, v11, vcc_lo
	s_delay_alu instid0(VALU_DEP_1) | instskip(NEXT) | instid1(VALU_DEP_1)
	v_and_or_b32 v3, 0x80000000, v3, v7
	v_cvt_f64_f32_e32 v[12:13], v3
.LBB43_2494:
	s_mov_b32 s6, 0
.LBB43_2495:
	s_delay_alu instid0(SALU_CYCLE_1)
	s_and_not1_b32 vcc_lo, exec_lo, s6
	s_cbranch_vccnz .LBB43_2497
; %bb.2496:
	global_load_u8 v3, v[18:19], off
	s_wait_loadcnt 0x0
	v_lshlrev_b32_e32 v7, 25, v3
	v_lshlrev_b16 v3, 8, v3
	s_delay_alu instid0(VALU_DEP_1) | instskip(SKIP_1) | instid1(VALU_DEP_2)
	v_and_or_b32 v12, 0x7f00, v3, 0.5
	v_bfe_i32 v3, v3, 0, 16
	v_dual_add_f32 v12, -0.5, v12 :: v_dual_lshrrev_b32 v11, 4, v7
	v_cmp_gt_u32_e32 vcc_lo, 0x8000000, v7
	s_delay_alu instid0(VALU_DEP_2) | instskip(NEXT) | instid1(VALU_DEP_1)
	v_or_b32_e32 v11, 0x70000000, v11
	v_mul_f32_e32 v11, 0x7800000, v11
	s_delay_alu instid0(VALU_DEP_1) | instskip(NEXT) | instid1(VALU_DEP_1)
	v_cndmask_b32_e32 v7, v11, v12, vcc_lo
	v_and_or_b32 v3, 0x80000000, v3, v7
	s_delay_alu instid0(VALU_DEP_1)
	v_cvt_f64_f32_e32 v[12:13], v3
.LBB43_2497:
	s_mov_b32 s6, 0
	s_mov_b32 s7, -1
.LBB43_2498:
	s_and_not1_b32 vcc_lo, exec_lo, s6
	s_mov_b32 s6, 0
	s_cbranch_vccnz .LBB43_2509
; %bb.2499:
	s_cmp_gt_i32 s16, 14
	s_cbranch_scc0 .LBB43_2502
; %bb.2500:
	s_cmp_eq_u32 s16, 15
	s_cbranch_scc0 .LBB43_2505
; %bb.2501:
	global_load_u16 v3, v[18:19], off
	s_mov_b32 s0, 0
	s_mov_b32 s7, -1
	s_wait_loadcnt 0x0
	v_lshlrev_b32_e32 v3, 16, v3
	s_delay_alu instid0(VALU_DEP_1)
	v_cvt_f64_f32_e32 v[12:13], v3
	s_branch .LBB43_2507
.LBB43_2502:
	s_mov_b32 s6, -1
	s_branch .LBB43_2506
.LBB43_2503:
	s_or_saveexec_b32 s7, s7
	v_mov_b64_e32 v[12:13], 0x7ff8000020000000
	s_xor_b32 exec_lo, exec_lo, s7
	s_cbranch_execz .LBB43_2484
.LBB43_2504:
	v_cmp_ne_u16_e32 vcc_lo, 0, v3
	v_mov_b64_e32 v[12:13], 0
	s_and_not1_b32 s6, s6, exec_lo
	s_and_b32 s18, vcc_lo, exec_lo
	s_delay_alu instid0(SALU_CYCLE_1)
	s_or_b32 s6, s6, s18
	s_or_b32 exec_lo, exec_lo, s7
	s_and_saveexec_b32 s7, s6
	s_cbranch_execnz .LBB43_2485
	s_branch .LBB43_2486
.LBB43_2505:
	s_mov_b32 s0, -1
.LBB43_2506:
                                        ; implicit-def: $vgpr12_vgpr13
.LBB43_2507:
	s_and_b32 vcc_lo, exec_lo, s6
	s_mov_b32 s6, 0
	s_cbranch_vccz .LBB43_2509
; %bb.2508:
	s_cmp_lg_u32 s16, 11
	s_mov_b32 s6, -1
	s_cselect_b32 s0, -1, 0
.LBB43_2509:
	s_delay_alu instid0(SALU_CYCLE_1)
	s_and_b32 vcc_lo, exec_lo, s0
	s_cbranch_vccnz .LBB43_2574
; %bb.2510:
	s_and_not1_b32 vcc_lo, exec_lo, s6
	s_cbranch_vccnz .LBB43_2512
.LBB43_2511:
	global_load_u8 v3, v[18:19], off
	v_mov_b32_e32 v12, 0
	s_mov_b32 s7, -1
	s_wait_loadcnt 0x0
	v_cmp_ne_u16_e32 vcc_lo, 0, v3
	v_cndmask_b32_e64 v13, 0, 0x3ff00000, vcc_lo
.LBB43_2512:
	s_mov_b32 s0, 0
.LBB43_2513:
	s_delay_alu instid0(SALU_CYCLE_1)
	s_and_b32 vcc_lo, exec_lo, s0
	s_cbranch_vccz .LBB43_2562
; %bb.2514:
	s_cmp_lt_i32 s16, 5
	s_cbranch_scc1 .LBB43_2519
; %bb.2515:
	s_cmp_lt_i32 s16, 8
	s_cbranch_scc1 .LBB43_2520
	;; [unrolled: 3-line block ×3, first 2 shown]
; %bb.2517:
	s_cmp_gt_i32 s16, 9
	s_cbranch_scc0 .LBB43_2522
; %bb.2518:
	global_load_b64 v[12:13], v[18:19], off
	s_mov_b32 s0, 0
	s_branch .LBB43_2523
.LBB43_2519:
	s_mov_b32 s0, -1
                                        ; implicit-def: $vgpr12_vgpr13
	s_branch .LBB43_2541
.LBB43_2520:
	s_mov_b32 s0, -1
                                        ; implicit-def: $vgpr12_vgpr13
	s_branch .LBB43_2529
.LBB43_2521:
	s_mov_b32 s0, -1
                                        ; implicit-def: $vgpr12_vgpr13
	s_branch .LBB43_2526
.LBB43_2522:
	s_mov_b32 s0, -1
                                        ; implicit-def: $vgpr12_vgpr13
.LBB43_2523:
	s_delay_alu instid0(SALU_CYCLE_1)
	s_and_not1_b32 vcc_lo, exec_lo, s0
	s_cbranch_vccnz .LBB43_2525
; %bb.2524:
	global_load_b32 v3, v[18:19], off
	s_wait_loadcnt 0x0
	v_cvt_f64_f32_e32 v[12:13], v3
.LBB43_2525:
	s_mov_b32 s0, 0
.LBB43_2526:
	s_delay_alu instid0(SALU_CYCLE_1)
	s_and_not1_b32 vcc_lo, exec_lo, s0
	s_cbranch_vccnz .LBB43_2528
; %bb.2527:
	global_load_b32 v3, v[18:19], off
	s_wait_loadcnt 0x0
	v_cvt_f32_f16_e32 v3, v3
	s_delay_alu instid0(VALU_DEP_1)
	v_cvt_f64_f32_e32 v[12:13], v3
.LBB43_2528:
	s_mov_b32 s0, 0
.LBB43_2529:
	s_delay_alu instid0(SALU_CYCLE_1)
	s_and_not1_b32 vcc_lo, exec_lo, s0
	s_cbranch_vccnz .LBB43_2540
; %bb.2530:
	s_cmp_lt_i32 s16, 6
	s_cbranch_scc1 .LBB43_2533
; %bb.2531:
	s_cmp_gt_i32 s16, 6
	s_cbranch_scc0 .LBB43_2534
; %bb.2532:
	s_wait_loadcnt 0x0
	global_load_b64 v[12:13], v[18:19], off
	s_mov_b32 s0, 0
	s_branch .LBB43_2535
.LBB43_2533:
	s_mov_b32 s0, -1
                                        ; implicit-def: $vgpr12_vgpr13
	s_branch .LBB43_2538
.LBB43_2534:
	s_mov_b32 s0, -1
                                        ; implicit-def: $vgpr12_vgpr13
.LBB43_2535:
	s_delay_alu instid0(SALU_CYCLE_1)
	s_and_not1_b32 vcc_lo, exec_lo, s0
	s_cbranch_vccnz .LBB43_2537
; %bb.2536:
	global_load_b32 v3, v[18:19], off
	s_wait_loadcnt 0x0
	v_cvt_f64_f32_e32 v[12:13], v3
.LBB43_2537:
	s_mov_b32 s0, 0
.LBB43_2538:
	s_delay_alu instid0(SALU_CYCLE_1)
	s_and_not1_b32 vcc_lo, exec_lo, s0
	s_cbranch_vccnz .LBB43_2540
; %bb.2539:
	global_load_u16 v3, v[18:19], off
	s_wait_loadcnt 0x0
	v_cvt_f32_f16_e32 v3, v3
	s_delay_alu instid0(VALU_DEP_1)
	v_cvt_f64_f32_e32 v[12:13], v3
.LBB43_2540:
	s_mov_b32 s0, 0
.LBB43_2541:
	s_delay_alu instid0(SALU_CYCLE_1)
	s_and_not1_b32 vcc_lo, exec_lo, s0
	s_cbranch_vccnz .LBB43_2561
; %bb.2542:
	s_cmp_lt_i32 s16, 2
	s_cbranch_scc1 .LBB43_2546
; %bb.2543:
	s_cmp_lt_i32 s16, 3
	s_cbranch_scc1 .LBB43_2547
; %bb.2544:
	s_cmp_gt_i32 s16, 3
	s_cbranch_scc0 .LBB43_2548
; %bb.2545:
	s_wait_loadcnt 0x0
	global_load_b64 v[12:13], v[18:19], off
	s_mov_b32 s0, 0
	s_wait_loadcnt 0x0
	v_cvt_f64_i32_e32 v[20:21], v13
	v_cvt_f64_u32_e32 v[12:13], v12
	s_delay_alu instid0(VALU_DEP_2) | instskip(NEXT) | instid1(VALU_DEP_1)
	v_ldexp_f64 v[20:21], v[20:21], 32
	v_add_f64_e32 v[12:13], v[20:21], v[12:13]
	s_branch .LBB43_2549
.LBB43_2546:
	s_mov_b32 s0, -1
                                        ; implicit-def: $vgpr12_vgpr13
	s_branch .LBB43_2555
.LBB43_2547:
	s_mov_b32 s0, -1
                                        ; implicit-def: $vgpr12_vgpr13
	s_branch .LBB43_2552
.LBB43_2548:
	s_mov_b32 s0, -1
                                        ; implicit-def: $vgpr12_vgpr13
.LBB43_2549:
	s_delay_alu instid0(SALU_CYCLE_1)
	s_and_not1_b32 vcc_lo, exec_lo, s0
	s_cbranch_vccnz .LBB43_2551
; %bb.2550:
	global_load_b32 v3, v[18:19], off
	s_wait_loadcnt 0x0
	v_cvt_f64_i32_e32 v[12:13], v3
.LBB43_2551:
	s_mov_b32 s0, 0
.LBB43_2552:
	s_delay_alu instid0(SALU_CYCLE_1)
	s_and_not1_b32 vcc_lo, exec_lo, s0
	s_cbranch_vccnz .LBB43_2554
; %bb.2553:
	global_load_i16 v3, v[18:19], off
	s_wait_loadcnt 0x0
	v_cvt_f64_i32_e32 v[12:13], v3
.LBB43_2554:
	s_mov_b32 s0, 0
.LBB43_2555:
	s_delay_alu instid0(SALU_CYCLE_1)
	s_and_not1_b32 vcc_lo, exec_lo, s0
	s_cbranch_vccnz .LBB43_2561
; %bb.2556:
	s_cmp_gt_i32 s16, 0
	s_mov_b32 s0, 0
	s_cbranch_scc0 .LBB43_2558
; %bb.2557:
	global_load_i8 v3, v[18:19], off
	s_wait_loadcnt 0x0
	v_cvt_f64_i32_e32 v[12:13], v3
	s_branch .LBB43_2559
.LBB43_2558:
	s_mov_b32 s0, -1
                                        ; implicit-def: $vgpr12_vgpr13
.LBB43_2559:
	s_delay_alu instid0(SALU_CYCLE_1)
	s_and_not1_b32 vcc_lo, exec_lo, s0
	s_cbranch_vccnz .LBB43_2561
; %bb.2560:
	global_load_u8 v3, v[18:19], off
	s_wait_loadcnt 0x0
	v_cvt_f64_u32_e32 v[12:13], v3
.LBB43_2561:
	s_mov_b32 s7, -1
.LBB43_2562:
	s_delay_alu instid0(SALU_CYCLE_1)
	s_and_not1_b32 vcc_lo, exec_lo, s7
	s_cbranch_vccnz .LBB43_2774
; %bb.2563:
	v_mov_b32_e32 v17, 0
	s_cmp_lt_i32 s17, 11
	s_delay_alu instid0(VALU_DEP_1)
	v_add_nc_u64_e32 v[16:17], s[12:13], v[16:17]
	s_cbranch_scc1 .LBB43_2570
; %bb.2564:
	s_cmp_gt_i32 s17, 25
	s_mov_b32 s6, 0
	s_cbranch_scc0 .LBB43_2571
; %bb.2565:
	s_cmp_gt_i32 s17, 28
	s_cbranch_scc0 .LBB43_2572
; %bb.2566:
	s_cmp_gt_i32 s17, 43
	;; [unrolled: 3-line block ×3, first 2 shown]
	s_cbranch_scc0 .LBB43_2575
; %bb.2568:
	s_cmp_eq_u32 s17, 46
	s_mov_b32 s12, 0
	s_cbranch_scc0 .LBB43_2576
; %bb.2569:
	global_load_b32 v3, v[16:17], off
	s_mov_b32 s0, 0
	s_mov_b32 s7, -1
	s_wait_loadcnt 0x0
	v_lshlrev_b32_e32 v3, 16, v3
	s_wait_xcnt 0x1
	s_delay_alu instid0(VALU_DEP_1)
	v_cvt_f64_f32_e32 v[18:19], v3
	s_branch .LBB43_2578
.LBB43_2570:
	s_mov_b32 s0, -1
	s_mov_b32 s7, 0
                                        ; implicit-def: $vgpr18_vgpr19
	s_branch .LBB43_2644
.LBB43_2571:
	s_mov_b32 s12, -1
	s_mov_b32 s7, 0
	s_mov_b32 s0, 0
                                        ; implicit-def: $vgpr18_vgpr19
	s_branch .LBB43_2607
.LBB43_2572:
	s_mov_b32 s12, -1
	s_mov_b32 s7, 0
	s_mov_b32 s0, 0
                                        ; implicit-def: $vgpr18_vgpr19
	s_branch .LBB43_2588
.LBB43_2573:
	s_mov_b32 s12, -1
	s_mov_b32 s7, 0
	s_mov_b32 s0, 0
                                        ; implicit-def: $vgpr18_vgpr19
	s_branch .LBB43_2583
.LBB43_2574:
	s_or_b32 s1, s1, exec_lo
	s_trap 2
	s_cbranch_execz .LBB43_2511
	s_branch .LBB43_2512
.LBB43_2575:
	s_mov_b32 s12, -1
	s_mov_b32 s7, 0
	s_mov_b32 s0, 0
	s_branch .LBB43_2577
.LBB43_2576:
	s_mov_b32 s0, -1
	s_mov_b32 s7, 0
.LBB43_2577:
                                        ; implicit-def: $vgpr18_vgpr19
.LBB43_2578:
	s_and_b32 vcc_lo, exec_lo, s12
	s_cbranch_vccz .LBB43_2582
; %bb.2579:
	s_cmp_eq_u32 s17, 44
	s_cbranch_scc0 .LBB43_2581
; %bb.2580:
	global_load_u8 v3, v[16:17], off
	s_mov_b32 s0, 0
	s_mov_b32 s7, -1
	s_wait_loadcnt 0x0
	v_lshlrev_b32_e32 v7, 23, v3
	v_cmp_ne_u32_e32 vcc_lo, 0xff, v3
	s_wait_xcnt 0x1
	s_delay_alu instid0(VALU_DEP_2) | instskip(NEXT) | instid1(VALU_DEP_1)
	v_cvt_f64_f32_e32 v[18:19], v7
	v_cndmask_b32_e32 v7, 0x20000000, v18, vcc_lo
	s_delay_alu instid0(VALU_DEP_2) | instskip(SKIP_1) | instid1(VALU_DEP_2)
	v_cndmask_b32_e32 v11, 0x7ff80000, v19, vcc_lo
	v_cmp_ne_u32_e32 vcc_lo, 0, v3
	v_cndmask_b32_e32 v19, 0x38000000, v11, vcc_lo
	s_delay_alu instid0(VALU_DEP_4)
	v_cndmask_b32_e32 v18, 0, v7, vcc_lo
	s_branch .LBB43_2582
.LBB43_2581:
	s_mov_b32 s0, -1
                                        ; implicit-def: $vgpr18_vgpr19
.LBB43_2582:
	s_mov_b32 s12, 0
.LBB43_2583:
	s_delay_alu instid0(SALU_CYCLE_1)
	s_and_b32 vcc_lo, exec_lo, s12
	s_cbranch_vccz .LBB43_2587
; %bb.2584:
	s_cmp_eq_u32 s17, 29
	s_cbranch_scc0 .LBB43_2586
; %bb.2585:
	global_load_b64 v[18:19], v[16:17], off
	s_mov_b32 s0, 0
	s_mov_b32 s7, -1
	s_mov_b32 s12, 0
	s_wait_loadcnt 0x0
	v_cvt_f64_u32_e32 v[20:21], v19
	v_cvt_f64_u32_e32 v[18:19], v18
	s_delay_alu instid0(VALU_DEP_2) | instskip(NEXT) | instid1(VALU_DEP_1)
	v_ldexp_f64 v[20:21], v[20:21], 32
	v_add_f64_e32 v[18:19], v[20:21], v[18:19]
	s_branch .LBB43_2588
.LBB43_2586:
	s_mov_b32 s0, -1
                                        ; implicit-def: $vgpr18_vgpr19
.LBB43_2587:
	s_mov_b32 s12, 0
.LBB43_2588:
	s_delay_alu instid0(SALU_CYCLE_1)
	s_and_b32 vcc_lo, exec_lo, s12
	s_cbranch_vccz .LBB43_2606
; %bb.2589:
	s_cmp_lt_i32 s17, 27
	s_cbranch_scc1 .LBB43_2592
; %bb.2590:
	s_cmp_gt_i32 s17, 27
	s_cbranch_scc0 .LBB43_2593
; %bb.2591:
	global_load_b32 v3, v[16:17], off
	s_mov_b32 s7, 0
	s_wait_loadcnt 0x0
	s_wait_xcnt 0x1
	v_cvt_f64_u32_e32 v[18:19], v3
	s_branch .LBB43_2594
.LBB43_2592:
	s_mov_b32 s7, -1
                                        ; implicit-def: $vgpr18_vgpr19
	s_branch .LBB43_2597
.LBB43_2593:
	s_mov_b32 s7, -1
                                        ; implicit-def: $vgpr18_vgpr19
.LBB43_2594:
	s_delay_alu instid0(SALU_CYCLE_1)
	s_and_not1_b32 vcc_lo, exec_lo, s7
	s_cbranch_vccnz .LBB43_2596
; %bb.2595:
	global_load_u16 v3, v[16:17], off
	s_wait_loadcnt 0x0
	s_wait_xcnt 0x1
	v_cvt_f64_u32_e32 v[18:19], v3
.LBB43_2596:
	s_mov_b32 s7, 0
.LBB43_2597:
	s_delay_alu instid0(SALU_CYCLE_1)
	s_and_not1_b32 vcc_lo, exec_lo, s7
	s_cbranch_vccnz .LBB43_2605
; %bb.2598:
	global_load_u8 v3, v[16:17], off
	s_mov_b32 s7, 0
	s_mov_b32 s12, exec_lo
	s_wait_loadcnt 0x0
	v_cmpx_lt_i16_e32 0x7f, v3
	s_xor_b32 s12, exec_lo, s12
	s_cbranch_execz .LBB43_2619
; %bb.2599:
	s_mov_b32 s7, -1
	s_mov_b32 s13, exec_lo
	v_cmpx_eq_u16_e32 0x80, v3
; %bb.2600:
	s_xor_b32 s7, exec_lo, -1
; %bb.2601:
	s_or_b32 exec_lo, exec_lo, s13
	s_delay_alu instid0(SALU_CYCLE_1)
	s_and_b32 s7, s7, exec_lo
	s_or_saveexec_b32 s12, s12
	v_mov_b64_e32 v[18:19], 0x7ff8000020000000
	s_xor_b32 exec_lo, exec_lo, s12
	s_cbranch_execnz .LBB43_2620
.LBB43_2602:
	s_or_b32 exec_lo, exec_lo, s12
	s_and_saveexec_b32 s12, s7
	s_cbranch_execz .LBB43_2604
.LBB43_2603:
	v_and_b32_e32 v7, 0xffff, v3
	v_lshlrev_b32_e32 v3, 24, v3
	s_delay_alu instid0(VALU_DEP_2) | instskip(SKIP_1) | instid1(VALU_DEP_3)
	v_and_b32_e32 v11, 7, v7
	v_bfe_u32 v19, v7, 3, 4
	v_and_b32_e32 v3, 0x80000000, v3
	s_delay_alu instid0(VALU_DEP_3) | instskip(NEXT) | instid1(VALU_DEP_3)
	v_clz_i32_u32_e32 v15, v11
	v_cmp_eq_u32_e32 vcc_lo, 0, v19
	s_delay_alu instid0(VALU_DEP_2) | instskip(NEXT) | instid1(VALU_DEP_1)
	v_min_u32_e32 v15, 32, v15
	v_subrev_nc_u32_e32 v18, 28, v15
	v_sub_nc_u32_e32 v15, 29, v15
	s_delay_alu instid0(VALU_DEP_2) | instskip(NEXT) | instid1(VALU_DEP_2)
	v_lshlrev_b32_e32 v7, v18, v7
	v_cndmask_b32_e32 v15, v19, v15, vcc_lo
	s_delay_alu instid0(VALU_DEP_2) | instskip(NEXT) | instid1(VALU_DEP_1)
	v_and_b32_e32 v7, 7, v7
	v_cndmask_b32_e32 v7, v11, v7, vcc_lo
	s_delay_alu instid0(VALU_DEP_3) | instskip(NEXT) | instid1(VALU_DEP_2)
	v_lshl_add_u32 v11, v15, 23, 0x3b800000
	v_lshlrev_b32_e32 v7, 20, v7
	s_delay_alu instid0(VALU_DEP_1) | instskip(NEXT) | instid1(VALU_DEP_1)
	v_or3_b32 v3, v3, v11, v7
	v_cvt_f64_f32_e32 v[18:19], v3
.LBB43_2604:
	s_or_b32 exec_lo, exec_lo, s12
.LBB43_2605:
	s_mov_b32 s7, -1
.LBB43_2606:
	s_mov_b32 s12, 0
.LBB43_2607:
	s_delay_alu instid0(SALU_CYCLE_1)
	s_and_b32 vcc_lo, exec_lo, s12
	s_cbranch_vccz .LBB43_2640
; %bb.2608:
	s_cmp_gt_i32 s17, 22
	s_cbranch_scc0 .LBB43_2618
; %bb.2609:
	s_cmp_lt_i32 s17, 24
	s_cbranch_scc1 .LBB43_2621
; %bb.2610:
	s_cmp_gt_i32 s17, 24
	s_cbranch_scc0 .LBB43_2622
; %bb.2611:
	global_load_u8 v3, v[16:17], off
	s_mov_b32 s7, exec_lo
	s_wait_loadcnt 0x0
	v_cmpx_lt_i16_e32 0x7f, v3
	s_xor_b32 s7, exec_lo, s7
	s_cbranch_execz .LBB43_2634
; %bb.2612:
	s_mov_b32 s6, -1
	s_mov_b32 s12, exec_lo
	v_cmpx_eq_u16_e32 0x80, v3
; %bb.2613:
	s_xor_b32 s6, exec_lo, -1
; %bb.2614:
	s_or_b32 exec_lo, exec_lo, s12
	s_delay_alu instid0(SALU_CYCLE_1)
	s_and_b32 s6, s6, exec_lo
	s_or_saveexec_b32 s7, s7
	v_mov_b64_e32 v[18:19], 0x7ff8000020000000
	s_xor_b32 exec_lo, exec_lo, s7
	s_cbranch_execnz .LBB43_2635
.LBB43_2615:
	s_or_b32 exec_lo, exec_lo, s7
	s_and_saveexec_b32 s7, s6
	s_cbranch_execz .LBB43_2617
.LBB43_2616:
	v_and_b32_e32 v7, 0xffff, v3
	v_lshlrev_b32_e32 v3, 24, v3
	s_delay_alu instid0(VALU_DEP_2) | instskip(SKIP_1) | instid1(VALU_DEP_3)
	v_and_b32_e32 v11, 3, v7
	v_bfe_u32 v19, v7, 2, 5
	v_and_b32_e32 v3, 0x80000000, v3
	s_delay_alu instid0(VALU_DEP_3) | instskip(NEXT) | instid1(VALU_DEP_3)
	v_clz_i32_u32_e32 v15, v11
	v_cmp_eq_u32_e32 vcc_lo, 0, v19
	s_delay_alu instid0(VALU_DEP_2) | instskip(NEXT) | instid1(VALU_DEP_1)
	v_min_u32_e32 v15, 32, v15
	v_subrev_nc_u32_e32 v18, 29, v15
	v_sub_nc_u32_e32 v15, 30, v15
	s_delay_alu instid0(VALU_DEP_2) | instskip(NEXT) | instid1(VALU_DEP_2)
	v_lshlrev_b32_e32 v7, v18, v7
	v_cndmask_b32_e32 v15, v19, v15, vcc_lo
	s_delay_alu instid0(VALU_DEP_2) | instskip(NEXT) | instid1(VALU_DEP_1)
	v_and_b32_e32 v7, 3, v7
	v_cndmask_b32_e32 v7, v11, v7, vcc_lo
	s_delay_alu instid0(VALU_DEP_3) | instskip(NEXT) | instid1(VALU_DEP_2)
	v_lshl_add_u32 v11, v15, 23, 0x37800000
	v_lshlrev_b32_e32 v7, 21, v7
	s_delay_alu instid0(VALU_DEP_1) | instskip(NEXT) | instid1(VALU_DEP_1)
	v_or3_b32 v3, v3, v11, v7
	v_cvt_f64_f32_e32 v[18:19], v3
.LBB43_2617:
	s_or_b32 exec_lo, exec_lo, s7
	s_mov_b32 s6, 0
	s_branch .LBB43_2623
.LBB43_2618:
	s_mov_b32 s6, -1
                                        ; implicit-def: $vgpr18_vgpr19
	s_branch .LBB43_2629
.LBB43_2619:
	s_or_saveexec_b32 s12, s12
	v_mov_b64_e32 v[18:19], 0x7ff8000020000000
	s_xor_b32 exec_lo, exec_lo, s12
	s_cbranch_execz .LBB43_2602
.LBB43_2620:
	v_cmp_ne_u16_e32 vcc_lo, 0, v3
	v_mov_b64_e32 v[18:19], 0
	s_and_not1_b32 s7, s7, exec_lo
	s_and_b32 s13, vcc_lo, exec_lo
	s_delay_alu instid0(SALU_CYCLE_1)
	s_or_b32 s7, s7, s13
	s_or_b32 exec_lo, exec_lo, s12
	s_and_saveexec_b32 s12, s7
	s_cbranch_execnz .LBB43_2603
	s_branch .LBB43_2604
.LBB43_2621:
	s_mov_b32 s6, -1
                                        ; implicit-def: $vgpr18_vgpr19
	s_branch .LBB43_2626
.LBB43_2622:
	s_mov_b32 s6, -1
                                        ; implicit-def: $vgpr18_vgpr19
.LBB43_2623:
	s_delay_alu instid0(SALU_CYCLE_1)
	s_and_b32 vcc_lo, exec_lo, s6
	s_cbranch_vccz .LBB43_2625
; %bb.2624:
	global_load_u8 v3, v[16:17], off
	s_wait_loadcnt 0x0
	v_lshlrev_b32_e32 v3, 24, v3
	s_delay_alu instid0(VALU_DEP_1) | instskip(NEXT) | instid1(VALU_DEP_1)
	v_and_b32_e32 v7, 0x7f000000, v3
	v_clz_i32_u32_e32 v11, v7
	s_wait_xcnt 0x1
	v_add_nc_u32_e32 v18, 0x1000000, v7
	v_cmp_ne_u32_e32 vcc_lo, 0, v7
	s_delay_alu instid0(VALU_DEP_3) | instskip(NEXT) | instid1(VALU_DEP_1)
	v_min_u32_e32 v11, 32, v11
	v_sub_nc_u32_e64 v11, v11, 4 clamp
	s_delay_alu instid0(VALU_DEP_1) | instskip(SKIP_1) | instid1(VALU_DEP_2)
	v_lshlrev_b32_e32 v15, v11, v7
	v_lshlrev_b32_e32 v11, 23, v11
	v_lshrrev_b32_e32 v15, 4, v15
	s_delay_alu instid0(VALU_DEP_1) | instskip(NEXT) | instid1(VALU_DEP_1)
	v_dual_sub_nc_u32 v11, v15, v11 :: v_dual_ashrrev_i32 v15, 8, v18
	v_add_nc_u32_e32 v11, 0x3c000000, v11
	s_delay_alu instid0(VALU_DEP_1) | instskip(NEXT) | instid1(VALU_DEP_1)
	v_and_or_b32 v11, 0x7f800000, v15, v11
	v_cndmask_b32_e32 v7, 0, v11, vcc_lo
	s_delay_alu instid0(VALU_DEP_1) | instskip(NEXT) | instid1(VALU_DEP_1)
	v_and_or_b32 v3, 0x80000000, v3, v7
	v_cvt_f64_f32_e32 v[18:19], v3
.LBB43_2625:
	s_mov_b32 s6, 0
.LBB43_2626:
	s_delay_alu instid0(SALU_CYCLE_1)
	s_and_not1_b32 vcc_lo, exec_lo, s6
	s_cbranch_vccnz .LBB43_2628
; %bb.2627:
	global_load_u8 v3, v[16:17], off
	s_wait_loadcnt 0x0
	v_lshlrev_b32_e32 v7, 25, v3
	v_lshlrev_b16 v3, 8, v3
	s_delay_alu instid0(VALU_DEP_2) | instskip(NEXT) | instid1(VALU_DEP_2)
	v_lshrrev_b32_e32 v11, 4, v7
	v_and_or_b32 v15, 0x7f00, v3, 0.5
	v_cmp_gt_u32_e32 vcc_lo, 0x8000000, v7
	v_bfe_i32 v3, v3, 0, 16
	s_delay_alu instid0(VALU_DEP_4) | instskip(NEXT) | instid1(VALU_DEP_4)
	v_or_b32_e32 v11, 0x70000000, v11
	v_add_f32_e32 v15, -0.5, v15
	s_delay_alu instid0(VALU_DEP_2) | instskip(NEXT) | instid1(VALU_DEP_1)
	v_mul_f32_e32 v11, 0x7800000, v11
	v_cndmask_b32_e32 v7, v11, v15, vcc_lo
	s_delay_alu instid0(VALU_DEP_1) | instskip(SKIP_1) | instid1(VALU_DEP_1)
	v_and_or_b32 v3, 0x80000000, v3, v7
	s_wait_xcnt 0x1
	v_cvt_f64_f32_e32 v[18:19], v3
.LBB43_2628:
	s_mov_b32 s6, 0
	s_mov_b32 s7, -1
.LBB43_2629:
	s_and_not1_b32 vcc_lo, exec_lo, s6
	s_mov_b32 s6, 0
	s_cbranch_vccnz .LBB43_2640
; %bb.2630:
	s_cmp_gt_i32 s17, 14
	s_cbranch_scc0 .LBB43_2633
; %bb.2631:
	s_cmp_eq_u32 s17, 15
	s_cbranch_scc0 .LBB43_2636
; %bb.2632:
	global_load_u16 v3, v[16:17], off
	s_mov_b32 s0, 0
	s_mov_b32 s7, -1
	s_wait_loadcnt 0x0
	v_lshlrev_b32_e32 v3, 16, v3
	s_wait_xcnt 0x1
	s_delay_alu instid0(VALU_DEP_1)
	v_cvt_f64_f32_e32 v[18:19], v3
	s_branch .LBB43_2638
.LBB43_2633:
	s_mov_b32 s6, -1
	s_branch .LBB43_2637
.LBB43_2634:
	s_or_saveexec_b32 s7, s7
	v_mov_b64_e32 v[18:19], 0x7ff8000020000000
	s_xor_b32 exec_lo, exec_lo, s7
	s_cbranch_execz .LBB43_2615
.LBB43_2635:
	v_cmp_ne_u16_e32 vcc_lo, 0, v3
	v_mov_b64_e32 v[18:19], 0
	s_and_not1_b32 s6, s6, exec_lo
	s_and_b32 s12, vcc_lo, exec_lo
	s_delay_alu instid0(SALU_CYCLE_1)
	s_or_b32 s6, s6, s12
	s_or_b32 exec_lo, exec_lo, s7
	s_and_saveexec_b32 s7, s6
	s_cbranch_execnz .LBB43_2616
	s_branch .LBB43_2617
.LBB43_2636:
	s_mov_b32 s0, -1
.LBB43_2637:
                                        ; implicit-def: $vgpr18_vgpr19
.LBB43_2638:
	s_and_b32 vcc_lo, exec_lo, s6
	s_mov_b32 s6, 0
	s_cbranch_vccz .LBB43_2640
; %bb.2639:
	s_cmp_lg_u32 s17, 11
	s_mov_b32 s6, -1
	s_cselect_b32 s0, -1, 0
.LBB43_2640:
	s_delay_alu instid0(SALU_CYCLE_1)
	s_and_b32 vcc_lo, exec_lo, s0
	s_cbranch_vccnz .LBB43_3176
; %bb.2641:
	s_and_not1_b32 vcc_lo, exec_lo, s6
	s_cbranch_vccnz .LBB43_2643
.LBB43_2642:
	global_load_u8 v3, v[16:17], off
	s_wait_xcnt 0x1
	v_mov_b32_e32 v18, 0
	s_mov_b32 s7, -1
	s_wait_loadcnt 0x0
	v_cmp_ne_u16_e32 vcc_lo, 0, v3
	v_cndmask_b32_e64 v19, 0, 0x3ff00000, vcc_lo
.LBB43_2643:
	s_mov_b32 s0, 0
.LBB43_2644:
	s_delay_alu instid0(SALU_CYCLE_1)
	s_and_b32 vcc_lo, exec_lo, s0
	s_cbranch_vccz .LBB43_2693
; %bb.2645:
	s_cmp_lt_i32 s17, 5
	s_cbranch_scc1 .LBB43_2650
; %bb.2646:
	s_cmp_lt_i32 s17, 8
	s_cbranch_scc1 .LBB43_2651
	;; [unrolled: 3-line block ×3, first 2 shown]
; %bb.2648:
	s_cmp_gt_i32 s17, 9
	s_cbranch_scc0 .LBB43_2653
; %bb.2649:
	global_load_b64 v[18:19], v[16:17], off
	s_mov_b32 s0, 0
	s_branch .LBB43_2654
.LBB43_2650:
	s_mov_b32 s0, -1
                                        ; implicit-def: $vgpr18_vgpr19
	s_branch .LBB43_2672
.LBB43_2651:
	s_mov_b32 s0, -1
                                        ; implicit-def: $vgpr18_vgpr19
	s_branch .LBB43_2660
.LBB43_2652:
	s_mov_b32 s0, -1
                                        ; implicit-def: $vgpr18_vgpr19
	s_branch .LBB43_2657
.LBB43_2653:
	s_mov_b32 s0, -1
                                        ; implicit-def: $vgpr18_vgpr19
.LBB43_2654:
	s_delay_alu instid0(SALU_CYCLE_1)
	s_and_not1_b32 vcc_lo, exec_lo, s0
	s_cbranch_vccnz .LBB43_2656
; %bb.2655:
	global_load_b32 v3, v[16:17], off
	s_wait_loadcnt 0x0
	s_wait_xcnt 0x1
	v_cvt_f64_f32_e32 v[18:19], v3
.LBB43_2656:
	s_mov_b32 s0, 0
.LBB43_2657:
	s_delay_alu instid0(SALU_CYCLE_1)
	s_and_not1_b32 vcc_lo, exec_lo, s0
	s_cbranch_vccnz .LBB43_2659
; %bb.2658:
	global_load_b32 v3, v[16:17], off
	s_wait_loadcnt 0x0
	v_cvt_f32_f16_e32 v3, v3
	s_wait_xcnt 0x1
	s_delay_alu instid0(VALU_DEP_1)
	v_cvt_f64_f32_e32 v[18:19], v3
.LBB43_2659:
	s_mov_b32 s0, 0
.LBB43_2660:
	s_delay_alu instid0(SALU_CYCLE_1)
	s_and_not1_b32 vcc_lo, exec_lo, s0
	s_cbranch_vccnz .LBB43_2671
; %bb.2661:
	s_cmp_lt_i32 s17, 6
	s_cbranch_scc1 .LBB43_2664
; %bb.2662:
	s_cmp_gt_i32 s17, 6
	s_cbranch_scc0 .LBB43_2665
; %bb.2663:
	s_wait_loadcnt 0x0
	global_load_b64 v[18:19], v[16:17], off
	s_mov_b32 s0, 0
	s_branch .LBB43_2666
.LBB43_2664:
	s_mov_b32 s0, -1
                                        ; implicit-def: $vgpr18_vgpr19
	s_branch .LBB43_2669
.LBB43_2665:
	s_mov_b32 s0, -1
                                        ; implicit-def: $vgpr18_vgpr19
.LBB43_2666:
	s_delay_alu instid0(SALU_CYCLE_1)
	s_and_not1_b32 vcc_lo, exec_lo, s0
	s_cbranch_vccnz .LBB43_2668
; %bb.2667:
	global_load_b32 v3, v[16:17], off
	s_wait_loadcnt 0x0
	s_wait_xcnt 0x1
	v_cvt_f64_f32_e32 v[18:19], v3
.LBB43_2668:
	s_mov_b32 s0, 0
.LBB43_2669:
	s_delay_alu instid0(SALU_CYCLE_1)
	s_and_not1_b32 vcc_lo, exec_lo, s0
	s_cbranch_vccnz .LBB43_2671
; %bb.2670:
	global_load_u16 v3, v[16:17], off
	s_wait_loadcnt 0x0
	v_cvt_f32_f16_e32 v3, v3
	s_wait_xcnt 0x1
	s_delay_alu instid0(VALU_DEP_1)
	v_cvt_f64_f32_e32 v[18:19], v3
.LBB43_2671:
	s_mov_b32 s0, 0
.LBB43_2672:
	s_delay_alu instid0(SALU_CYCLE_1)
	s_and_not1_b32 vcc_lo, exec_lo, s0
	s_cbranch_vccnz .LBB43_2692
; %bb.2673:
	s_cmp_lt_i32 s17, 2
	s_cbranch_scc1 .LBB43_2677
; %bb.2674:
	s_cmp_lt_i32 s17, 3
	s_cbranch_scc1 .LBB43_2678
; %bb.2675:
	s_cmp_gt_i32 s17, 3
	s_cbranch_scc0 .LBB43_2679
; %bb.2676:
	s_wait_loadcnt 0x0
	global_load_b64 v[18:19], v[16:17], off
	s_mov_b32 s0, 0
	s_wait_loadcnt 0x0
	v_cvt_f64_i32_e32 v[20:21], v19
	v_cvt_f64_u32_e32 v[18:19], v18
	s_delay_alu instid0(VALU_DEP_2) | instskip(NEXT) | instid1(VALU_DEP_1)
	v_ldexp_f64 v[20:21], v[20:21], 32
	v_add_f64_e32 v[18:19], v[20:21], v[18:19]
	s_branch .LBB43_2680
.LBB43_2677:
	s_mov_b32 s0, -1
                                        ; implicit-def: $vgpr18_vgpr19
	s_branch .LBB43_2686
.LBB43_2678:
	s_mov_b32 s0, -1
                                        ; implicit-def: $vgpr18_vgpr19
	s_branch .LBB43_2683
.LBB43_2679:
	s_mov_b32 s0, -1
                                        ; implicit-def: $vgpr18_vgpr19
.LBB43_2680:
	s_delay_alu instid0(SALU_CYCLE_1)
	s_and_not1_b32 vcc_lo, exec_lo, s0
	s_cbranch_vccnz .LBB43_2682
; %bb.2681:
	global_load_b32 v3, v[16:17], off
	s_wait_loadcnt 0x0
	s_wait_xcnt 0x1
	v_cvt_f64_i32_e32 v[18:19], v3
.LBB43_2682:
	s_mov_b32 s0, 0
.LBB43_2683:
	s_delay_alu instid0(SALU_CYCLE_1)
	s_and_not1_b32 vcc_lo, exec_lo, s0
	s_cbranch_vccnz .LBB43_2685
; %bb.2684:
	global_load_i16 v3, v[16:17], off
	s_wait_loadcnt 0x0
	s_wait_xcnt 0x1
	v_cvt_f64_i32_e32 v[18:19], v3
.LBB43_2685:
	s_mov_b32 s0, 0
.LBB43_2686:
	s_delay_alu instid0(SALU_CYCLE_1)
	s_and_not1_b32 vcc_lo, exec_lo, s0
	s_cbranch_vccnz .LBB43_2692
; %bb.2687:
	s_cmp_gt_i32 s17, 0
	s_mov_b32 s0, 0
	s_cbranch_scc0 .LBB43_2689
; %bb.2688:
	global_load_i8 v3, v[16:17], off
	s_wait_loadcnt 0x0
	s_wait_xcnt 0x1
	v_cvt_f64_i32_e32 v[18:19], v3
	s_branch .LBB43_2690
.LBB43_2689:
	s_mov_b32 s0, -1
                                        ; implicit-def: $vgpr18_vgpr19
.LBB43_2690:
	s_delay_alu instid0(SALU_CYCLE_1)
	s_and_not1_b32 vcc_lo, exec_lo, s0
	s_cbranch_vccnz .LBB43_2692
; %bb.2691:
	global_load_u8 v3, v[16:17], off
	s_wait_loadcnt 0x0
	s_wait_xcnt 0x1
	v_cvt_f64_u32_e32 v[18:19], v3
.LBB43_2692:
	s_mov_b32 s7, -1
.LBB43_2693:
	s_delay_alu instid0(SALU_CYCLE_1)
	s_and_not1_b32 vcc_lo, exec_lo, s7
	s_cbranch_vccnz .LBB43_2774
; %bb.2694:
	s_wait_loadcnt 0x0
	s_delay_alu instid0(VALU_DEP_1) | instskip(SKIP_1) | instid1(VALU_DEP_1)
	v_mul_f64_e32 v[16:17], s[8:9], v[18:19]
	s_mov_b32 s6, exec_lo
	v_cmpx_nlt_f64_e32 s[10:11], v[16:17]
	s_cbranch_execz .LBB43_2696
; %bb.2695:
	v_mul_f64_e32 v[18:19], 0x3ff71547652b82fe, v[16:17]
	s_mov_b64 s[8:9], 0x3e5ade156a5dcb37
	v_cmp_nlt_f64_e32 vcc_lo, 0x40900000, v[16:17]
	v_cmp_ngt_f64_e64 s0, 0xc090cc00, v[16:17]
	s_delay_alu instid0(VALU_DEP_3) | instskip(NEXT) | instid1(VALU_DEP_1)
	v_rndne_f64_e32 v[18:19], v[18:19]
	v_fmamk_f64 v[20:21], v[18:19], 0xbfe62e42fefa39ef, v[16:17]
	v_cvt_i32_f64_e32 v3, v[18:19]
	s_delay_alu instid0(VALU_DEP_2) | instskip(NEXT) | instid1(VALU_DEP_1)
	v_fmamk_f64 v[20:21], v[18:19], 0xbc7abc9e3b39803f, v[20:21]
	v_fmaak_f64 v[22:23], s[8:9], v[20:21], 0x3e928af3fca7ab0c
	s_delay_alu instid0(VALU_DEP_1) | instskip(NEXT) | instid1(VALU_DEP_1)
	v_fmaak_f64 v[22:23], v[20:21], v[22:23], 0x3ec71dee623fde64
	v_fmaak_f64 v[22:23], v[20:21], v[22:23], 0x3efa01997c89e6b0
	s_delay_alu instid0(VALU_DEP_1) | instskip(NEXT) | instid1(VALU_DEP_1)
	v_fmaak_f64 v[22:23], v[20:21], v[22:23], 0x3f2a01a014761f6e
	;; [unrolled: 3-line block ×4, first 2 shown]
	v_fmaak_f64 v[22:23], v[20:21], v[22:23], 0x3fe000000000000b
	s_delay_alu instid0(VALU_DEP_1) | instskip(NEXT) | instid1(VALU_DEP_1)
	v_fma_f64 v[22:23], v[20:21], v[22:23], 1.0
	v_fma_f64 v[18:19], v[20:21], v[22:23], 1.0
	s_delay_alu instid0(VALU_DEP_1) | instskip(NEXT) | instid1(VALU_DEP_1)
	v_ldexp_f64 v[18:19], v[18:19], v3
	v_cndmask_b32_e32 v3, 0x7ff00000, v19, vcc_lo
	s_and_b32 vcc_lo, s0, vcc_lo
	s_delay_alu instid0(VALU_DEP_1) | instid1(SALU_CYCLE_1)
	v_dual_cndmask_b32 v16, 0, v18, vcc_lo :: v_dual_cndmask_b32 v17, 0, v3, s0
	s_delay_alu instid0(VALU_DEP_1) | instskip(SKIP_1) | instid1(VALU_DEP_1)
	v_mul_f64_e32 v[12:13], v[12:13], v[16:17]
	v_add_f64_e32 v[16:17], 1.0, v[16:17]
	v_div_scale_f64 v[18:19], null, v[16:17], v[16:17], v[12:13]
	s_delay_alu instid0(VALU_DEP_1) | instskip(SKIP_1) | instid1(TRANS32_DEP_1)
	v_rcp_f64_e32 v[20:21], v[18:19]
	v_nop
	v_fma_f64 v[22:23], -v[18:19], v[20:21], 1.0
	s_delay_alu instid0(VALU_DEP_1) | instskip(NEXT) | instid1(VALU_DEP_1)
	v_fmac_f64_e32 v[20:21], v[20:21], v[22:23]
	v_fma_f64 v[22:23], -v[18:19], v[20:21], 1.0
	s_delay_alu instid0(VALU_DEP_1) | instskip(SKIP_1) | instid1(VALU_DEP_1)
	v_fmac_f64_e32 v[20:21], v[20:21], v[22:23]
	v_div_scale_f64 v[22:23], vcc_lo, v[12:13], v[16:17], v[12:13]
	v_mul_f64_e32 v[24:25], v[22:23], v[20:21]
	s_delay_alu instid0(VALU_DEP_1) | instskip(NEXT) | instid1(VALU_DEP_1)
	v_fma_f64 v[18:19], -v[18:19], v[24:25], v[22:23]
	v_div_fmas_f64 v[18:19], v[18:19], v[20:21], v[24:25]
	s_delay_alu instid0(VALU_DEP_1)
	v_div_fixup_f64 v[12:13], v[18:19], v[16:17], v[12:13]
.LBB43_2696:
	s_or_b32 exec_lo, exec_lo, s6
	s_load_b32 s0, s[2:3], 0x1b0
	v_mov_b32_e32 v3, 0
	s_delay_alu instid0(VALU_DEP_1) | instskip(SKIP_2) | instid1(SALU_CYCLE_1)
	v_add_nc_u64_e32 v[16:17], s[4:5], v[2:3]
	s_wait_kmcnt 0x0
	s_and_b32 s6, s0, 0xff
	s_cmp_lt_i32 s6, 11
	s_cbranch_scc1 .LBB43_2819
; %bb.2697:
	s_and_b32 s2, 0xffff, s6
	s_mov_b32 s8, -1
	s_mov_b32 s3, 0
	s_cmp_gt_i32 s2, 25
	s_mov_b32 s7, 0
	s_mov_b32 s0, 0
	s_cbranch_scc0 .LBB43_2730
; %bb.2698:
	s_cmp_gt_i32 s2, 28
	s_cbranch_scc0 .LBB43_2713
; %bb.2699:
	s_cmp_gt_i32 s2, 43
	;; [unrolled: 3-line block ×3, first 2 shown]
	s_cbranch_scc0 .LBB43_2703
; %bb.2701:
	s_mov_b32 s0, -1
	s_mov_b32 s8, 0
	s_cmp_eq_u32 s2, 46
	s_cbranch_scc0 .LBB43_2703
; %bb.2702:
	v_cvt_f32_f64_e32 v2, v[0:1]
	s_mov_b32 s0, 0
	s_mov_b32 s7, -1
	s_delay_alu instid0(VALU_DEP_1) | instskip(SKIP_1) | instid1(VALU_DEP_2)
	v_bfe_u32 v3, v2, 16, 1
	v_cmp_o_f32_e32 vcc_lo, v2, v2
	v_add3_u32 v3, v2, v3, 0x7fff
	s_delay_alu instid0(VALU_DEP_1) | instskip(NEXT) | instid1(VALU_DEP_1)
	v_lshrrev_b32_e32 v3, 16, v3
	v_cndmask_b32_e32 v2, 0x7fc0, v3, vcc_lo
	global_store_b32 v[16:17], v2, off
.LBB43_2703:
	s_and_b32 vcc_lo, exec_lo, s8
	s_cbranch_vccz .LBB43_2708
; %bb.2704:
	s_cmp_eq_u32 s2, 44
	s_mov_b32 s0, -1
	s_cbranch_scc0 .LBB43_2708
; %bb.2705:
	s_wait_xcnt 0x0
	v_cvt_f32_f64_e32 v2, v[0:1]
	v_mov_b32_e32 v3, 0xff
	s_mov_b32 s7, exec_lo
	s_delay_alu instid0(VALU_DEP_2) | instskip(NEXT) | instid1(VALU_DEP_1)
	v_bfe_u32 v7, v2, 23, 8
	v_cmpx_ne_u32_e32 0xff, v7
	s_cbranch_execz .LBB43_2707
; %bb.2706:
	v_and_b32_e32 v3, 0x400000, v2
	v_and_or_b32 v7, 0x3fffff, v2, v7
	v_lshrrev_b32_e32 v2, 23, v2
	s_delay_alu instid0(VALU_DEP_3) | instskip(NEXT) | instid1(VALU_DEP_3)
	v_cmp_ne_u32_e32 vcc_lo, 0, v3
	v_cmp_ne_u32_e64 s0, 0, v7
	s_and_b32 s0, vcc_lo, s0
	s_delay_alu instid0(SALU_CYCLE_1) | instskip(NEXT) | instid1(VALU_DEP_1)
	v_cndmask_b32_e64 v3, 0, 1, s0
	v_add_nc_u32_e32 v3, v2, v3
.LBB43_2707:
	s_or_b32 exec_lo, exec_lo, s7
	s_mov_b32 s0, 0
	s_mov_b32 s7, -1
	global_store_b8 v[16:17], v3, off
.LBB43_2708:
	s_mov_b32 s8, 0
.LBB43_2709:
	s_delay_alu instid0(SALU_CYCLE_1)
	s_and_b32 vcc_lo, exec_lo, s8
	s_cbranch_vccz .LBB43_2712
; %bb.2710:
	s_cmp_eq_u32 s2, 29
	s_mov_b32 s0, -1
	s_cbranch_scc0 .LBB43_2712
; %bb.2711:
	s_wait_xcnt 0x0
	v_trunc_f64_e32 v[2:3], v[0:1]
	s_mov_b32 s0, 0
	s_mov_b32 s7, -1
	s_delay_alu instid0(VALU_DEP_1) | instskip(NEXT) | instid1(VALU_DEP_1)
	v_ldexp_f64 v[18:19], v[2:3], 0xffffffe0
	v_floor_f64_e32 v[18:19], v[18:19]
	s_delay_alu instid0(VALU_DEP_1) | instskip(SKIP_1) | instid1(VALU_DEP_2)
	v_fmamk_f64 v[2:3], v[18:19], 0xc1f00000, v[2:3]
	v_cvt_u32_f64_e32 v19, v[18:19]
	v_cvt_u32_f64_e32 v18, v[2:3]
	global_store_b64 v[16:17], v[18:19], off
.LBB43_2712:
	s_mov_b32 s8, 0
.LBB43_2713:
	s_delay_alu instid0(SALU_CYCLE_1)
	s_and_b32 vcc_lo, exec_lo, s8
	s_cbranch_vccz .LBB43_2729
; %bb.2714:
	s_cmp_lt_i32 s2, 27
	s_mov_b32 s7, -1
	s_cbranch_scc1 .LBB43_2720
; %bb.2715:
	s_wait_xcnt 0x0
	v_cvt_u32_f64_e32 v2, v[0:1]
	s_cmp_gt_i32 s2, 27
	s_cbranch_scc0 .LBB43_2717
; %bb.2716:
	s_mov_b32 s7, 0
	global_store_b32 v[16:17], v2, off
.LBB43_2717:
	s_and_not1_b32 vcc_lo, exec_lo, s7
	s_cbranch_vccnz .LBB43_2719
; %bb.2718:
	global_store_b16 v[16:17], v2, off
.LBB43_2719:
	s_mov_b32 s7, 0
.LBB43_2720:
	s_delay_alu instid0(SALU_CYCLE_1)
	s_and_not1_b32 vcc_lo, exec_lo, s7
	s_cbranch_vccnz .LBB43_2728
; %bb.2721:
	s_wait_xcnt 0x0
	v_cvt_f32_f64_e32 v2, v[0:1]
	v_mov_b32_e32 v7, 0x80
	s_mov_b32 s7, exec_lo
	s_delay_alu instid0(VALU_DEP_2) | instskip(NEXT) | instid1(VALU_DEP_1)
	v_and_b32_e32 v3, 0x7fffffff, v2
	v_cmpx_gt_u32_e32 0x43800000, v3
	s_cbranch_execz .LBB43_2727
; %bb.2722:
	v_cmp_lt_u32_e32 vcc_lo, 0x3bffffff, v3
	s_mov_b32 s8, 0
                                        ; implicit-def: $vgpr3
	s_and_saveexec_b32 s9, vcc_lo
	s_delay_alu instid0(SALU_CYCLE_1)
	s_xor_b32 s9, exec_lo, s9
	s_cbranch_execz .LBB43_3177
; %bb.2723:
	v_bfe_u32 v3, v2, 20, 1
	s_mov_b32 s8, exec_lo
	s_delay_alu instid0(VALU_DEP_1) | instskip(NEXT) | instid1(VALU_DEP_1)
	v_add3_u32 v3, v2, v3, 0x487ffff
	v_lshrrev_b32_e32 v3, 20, v3
	s_and_not1_saveexec_b32 s9, s9
	s_cbranch_execnz .LBB43_3178
.LBB43_2724:
	s_or_b32 exec_lo, exec_lo, s9
	v_mov_b32_e32 v7, 0
	s_and_saveexec_b32 s9, s8
.LBB43_2725:
	v_lshrrev_b32_e32 v2, 24, v2
	s_delay_alu instid0(VALU_DEP_1)
	v_and_or_b32 v7, 0x80, v2, v3
.LBB43_2726:
	s_or_b32 exec_lo, exec_lo, s9
.LBB43_2727:
	s_delay_alu instid0(SALU_CYCLE_1)
	s_or_b32 exec_lo, exec_lo, s7
	global_store_b8 v[16:17], v7, off
.LBB43_2728:
	s_mov_b32 s7, -1
.LBB43_2729:
	s_mov_b32 s8, 0
.LBB43_2730:
	s_delay_alu instid0(SALU_CYCLE_1)
	s_and_b32 vcc_lo, exec_lo, s8
	s_cbranch_vccz .LBB43_2770
; %bb.2731:
	s_cmp_gt_i32 s2, 22
	s_mov_b32 s3, -1
	s_cbranch_scc0 .LBB43_2763
; %bb.2732:
	s_cmp_lt_i32 s2, 24
	s_cbranch_scc1 .LBB43_2752
; %bb.2733:
	s_cmp_gt_i32 s2, 24
	s_cbranch_scc0 .LBB43_2741
; %bb.2734:
	s_wait_xcnt 0x0
	v_cvt_f32_f64_e32 v2, v[0:1]
	v_mov_b32_e32 v7, 0x80
	s_mov_b32 s3, exec_lo
	s_delay_alu instid0(VALU_DEP_2) | instskip(NEXT) | instid1(VALU_DEP_1)
	v_and_b32_e32 v3, 0x7fffffff, v2
	v_cmpx_gt_u32_e32 0x47800000, v3
	s_cbranch_execz .LBB43_2740
; %bb.2735:
	v_cmp_lt_u32_e32 vcc_lo, 0x37ffffff, v3
	s_mov_b32 s7, 0
                                        ; implicit-def: $vgpr3
	s_and_saveexec_b32 s8, vcc_lo
	s_delay_alu instid0(SALU_CYCLE_1)
	s_xor_b32 s8, exec_lo, s8
	s_cbranch_execz .LBB43_3180
; %bb.2736:
	v_bfe_u32 v3, v2, 21, 1
	s_mov_b32 s7, exec_lo
	s_delay_alu instid0(VALU_DEP_1) | instskip(NEXT) | instid1(VALU_DEP_1)
	v_add3_u32 v3, v2, v3, 0x88fffff
	v_lshrrev_b32_e32 v3, 21, v3
	s_and_not1_saveexec_b32 s8, s8
	s_cbranch_execnz .LBB43_3181
.LBB43_2737:
	s_or_b32 exec_lo, exec_lo, s8
	v_mov_b32_e32 v7, 0
	s_and_saveexec_b32 s8, s7
.LBB43_2738:
	v_lshrrev_b32_e32 v2, 24, v2
	s_delay_alu instid0(VALU_DEP_1)
	v_and_or_b32 v7, 0x80, v2, v3
.LBB43_2739:
	s_or_b32 exec_lo, exec_lo, s8
.LBB43_2740:
	s_delay_alu instid0(SALU_CYCLE_1)
	s_or_b32 exec_lo, exec_lo, s3
	s_mov_b32 s3, 0
	global_store_b8 v[16:17], v7, off
.LBB43_2741:
	s_and_b32 vcc_lo, exec_lo, s3
	s_cbranch_vccz .LBB43_2751
; %bb.2742:
	s_wait_xcnt 0x0
	v_cvt_f32_f64_e32 v2, v[0:1]
	s_mov_b32 s3, exec_lo
                                        ; implicit-def: $vgpr3
	s_delay_alu instid0(VALU_DEP_1) | instskip(NEXT) | instid1(VALU_DEP_1)
	v_and_b32_e32 v7, 0x7fffffff, v2
	v_cmpx_gt_u32_e32 0x43f00000, v7
	s_xor_b32 s3, exec_lo, s3
	s_cbranch_execz .LBB43_2748
; %bb.2743:
	s_mov_b32 s7, exec_lo
                                        ; implicit-def: $vgpr3
	v_cmpx_lt_u32_e32 0x3c7fffff, v7
	s_xor_b32 s7, exec_lo, s7
; %bb.2744:
	v_bfe_u32 v3, v2, 20, 1
	s_delay_alu instid0(VALU_DEP_1) | instskip(NEXT) | instid1(VALU_DEP_1)
	v_add3_u32 v3, v2, v3, 0x407ffff
	v_and_b32_e32 v7, 0xff00000, v3
	v_lshrrev_b32_e32 v3, 20, v3
	s_delay_alu instid0(VALU_DEP_2) | instskip(NEXT) | instid1(VALU_DEP_2)
	v_cmp_ne_u32_e32 vcc_lo, 0x7f00000, v7
	v_cndmask_b32_e32 v3, 0x7e, v3, vcc_lo
; %bb.2745:
	s_and_not1_saveexec_b32 s7, s7
; %bb.2746:
	v_add_f32_e64 v3, 0x46800000, |v2|
; %bb.2747:
	s_or_b32 exec_lo, exec_lo, s7
                                        ; implicit-def: $vgpr7
.LBB43_2748:
	s_and_not1_saveexec_b32 s3, s3
; %bb.2749:
	v_mov_b32_e32 v3, 0x7f
	v_cmp_lt_u32_e32 vcc_lo, 0x7f800000, v7
	s_delay_alu instid0(VALU_DEP_2)
	v_cndmask_b32_e32 v3, 0x7e, v3, vcc_lo
; %bb.2750:
	s_or_b32 exec_lo, exec_lo, s3
	v_lshrrev_b32_e32 v2, 24, v2
	s_delay_alu instid0(VALU_DEP_1)
	v_and_or_b32 v2, 0x80, v2, v3
	global_store_b8 v[16:17], v2, off
.LBB43_2751:
	s_mov_b32 s3, 0
.LBB43_2752:
	s_delay_alu instid0(SALU_CYCLE_1)
	s_and_not1_b32 vcc_lo, exec_lo, s3
	s_cbranch_vccnz .LBB43_2762
; %bb.2753:
	s_wait_xcnt 0x0
	v_cvt_f32_f64_e32 v2, v[0:1]
	s_mov_b32 s3, exec_lo
                                        ; implicit-def: $vgpr3
	s_delay_alu instid0(VALU_DEP_1) | instskip(NEXT) | instid1(VALU_DEP_1)
	v_and_b32_e32 v7, 0x7fffffff, v2
	v_cmpx_gt_u32_e32 0x47800000, v7
	s_xor_b32 s3, exec_lo, s3
	s_cbranch_execz .LBB43_2759
; %bb.2754:
	s_mov_b32 s7, exec_lo
                                        ; implicit-def: $vgpr3
	v_cmpx_lt_u32_e32 0x387fffff, v7
	s_xor_b32 s7, exec_lo, s7
; %bb.2755:
	v_bfe_u32 v3, v2, 21, 1
	s_delay_alu instid0(VALU_DEP_1) | instskip(NEXT) | instid1(VALU_DEP_1)
	v_add3_u32 v3, v2, v3, 0x80fffff
	v_lshrrev_b32_e32 v3, 21, v3
; %bb.2756:
	s_and_not1_saveexec_b32 s7, s7
; %bb.2757:
	v_add_f32_e64 v3, 0x43000000, |v2|
; %bb.2758:
	s_or_b32 exec_lo, exec_lo, s7
                                        ; implicit-def: $vgpr7
.LBB43_2759:
	s_and_not1_saveexec_b32 s3, s3
; %bb.2760:
	v_mov_b32_e32 v3, 0x7f
	v_cmp_lt_u32_e32 vcc_lo, 0x7f800000, v7
	s_delay_alu instid0(VALU_DEP_2)
	v_cndmask_b32_e32 v3, 0x7c, v3, vcc_lo
; %bb.2761:
	s_or_b32 exec_lo, exec_lo, s3
	v_lshrrev_b32_e32 v2, 24, v2
	s_delay_alu instid0(VALU_DEP_1)
	v_and_or_b32 v2, 0x80, v2, v3
	global_store_b8 v[16:17], v2, off
.LBB43_2762:
	s_mov_b32 s3, 0
	s_mov_b32 s7, -1
.LBB43_2763:
	s_and_not1_b32 vcc_lo, exec_lo, s3
	s_mov_b32 s3, 0
	s_cbranch_vccnz .LBB43_2770
; %bb.2764:
	s_cmp_gt_i32 s2, 14
	s_mov_b32 s3, -1
	s_cbranch_scc0 .LBB43_2768
; %bb.2765:
	s_cmp_eq_u32 s2, 15
	s_mov_b32 s0, -1
	s_cbranch_scc0 .LBB43_2767
; %bb.2766:
	s_wait_xcnt 0x0
	v_cvt_f32_f64_e32 v2, v[0:1]
	s_mov_b32 s0, 0
	s_mov_b32 s7, -1
	s_delay_alu instid0(VALU_DEP_1) | instskip(SKIP_1) | instid1(VALU_DEP_2)
	v_bfe_u32 v3, v2, 16, 1
	v_cmp_o_f32_e32 vcc_lo, v2, v2
	v_add3_u32 v3, v2, v3, 0x7fff
	s_delay_alu instid0(VALU_DEP_1) | instskip(NEXT) | instid1(VALU_DEP_1)
	v_lshrrev_b32_e32 v3, 16, v3
	v_cndmask_b32_e32 v2, 0x7fc0, v3, vcc_lo
	global_store_b16 v[16:17], v2, off
.LBB43_2767:
	s_mov_b32 s3, 0
.LBB43_2768:
	s_delay_alu instid0(SALU_CYCLE_1)
	s_and_b32 vcc_lo, exec_lo, s3
	s_mov_b32 s3, 0
	s_cbranch_vccz .LBB43_2770
; %bb.2769:
	s_cmp_lg_u32 s2, 11
	s_mov_b32 s3, -1
	s_cselect_b32 s0, -1, 0
.LBB43_2770:
	s_delay_alu instid0(SALU_CYCLE_1)
	s_and_b32 vcc_lo, exec_lo, s0
	s_cbranch_vccnz .LBB43_3179
; %bb.2771:
	s_and_not1_b32 vcc_lo, exec_lo, s3
	s_cbranch_vccnz .LBB43_2773
.LBB43_2772:
	v_cmp_neq_f64_e32 vcc_lo, 0, v[0:1]
	s_mov_b32 s7, -1
	s_wait_xcnt 0x0
	v_cndmask_b32_e64 v2, 0, 1, vcc_lo
	global_store_b8 v[16:17], v2, off
.LBB43_2773:
	s_mov_b32 s0, 0
	s_branch .LBB43_2820
.LBB43_2774:
	s_mov_b32 s0, 0
	s_wait_xcnt 0x0
	s_mov_b32 s3, 0
                                        ; implicit-def: $vgpr0_vgpr1
                                        ; implicit-def: $sgpr6
                                        ; implicit-def: $vgpr12_vgpr13
.LBB43_2775:
	s_and_not1_b32 s2, s14, exec_lo
	s_and_b32 s1, s1, exec_lo
	s_and_b32 s0, s0, exec_lo
	s_and_b32 s34, s3, exec_lo
	s_or_b32 s14, s2, s1
.LBB43_2776:
	s_wait_xcnt 0x0
	s_or_b32 exec_lo, exec_lo, s15
	s_and_saveexec_b32 s1, s14
	s_cbranch_execz .LBB43_2779
; %bb.2777:
	; divergent unreachable
	s_or_b32 exec_lo, exec_lo, s1
	s_and_saveexec_b32 s1, s34
	s_delay_alu instid0(SALU_CYCLE_1)
	s_xor_b32 s1, exec_lo, s1
	s_cbranch_execnz .LBB43_2780
.LBB43_2778:
	s_or_b32 exec_lo, exec_lo, s1
	s_and_saveexec_b32 s1, s0
	s_cbranch_execnz .LBB43_2781
	s_branch .LBB43_2818
.LBB43_2779:
	s_or_b32 exec_lo, exec_lo, s1
	s_and_saveexec_b32 s1, s34
	s_delay_alu instid0(SALU_CYCLE_1)
	s_xor_b32 s1, exec_lo, s1
	s_cbranch_execz .LBB43_2778
.LBB43_2780:
	s_wait_loadcnt 0x0
	s_delay_alu instid0(VALU_DEP_1)
	v_cmp_neq_f64_e32 vcc_lo, 0, v[12:13]
	v_cndmask_b32_e64 v2, 0, 1, vcc_lo
	global_store_b8 v[0:1], v2, off
	s_wait_xcnt 0x0
	s_or_b32 exec_lo, exec_lo, s1
	s_and_saveexec_b32 s1, s0
	s_cbranch_execz .LBB43_2818
.LBB43_2781:
	s_sext_i32_i16 s1, s6
	s_mov_b32 s0, -1
	s_cmp_lt_i32 s1, 5
	s_cbranch_scc1 .LBB43_2802
; %bb.2782:
	s_cmp_lt_i32 s1, 8
	s_cbranch_scc1 .LBB43_2792
; %bb.2783:
	;; [unrolled: 3-line block ×3, first 2 shown]
	s_cmp_gt_i32 s1, 9
	s_cbranch_scc0 .LBB43_2786
; %bb.2785:
	v_mov_b32_e32 v14, 0
	s_mov_b32 s0, 0
	s_delay_alu instid0(VALU_DEP_1)
	v_mov_b32_e32 v15, v14
	s_wait_loadcnt 0x0
	global_store_b128 v[0:1], v[12:15], off
.LBB43_2786:
	s_and_not1_b32 vcc_lo, exec_lo, s0
	s_cbranch_vccnz .LBB43_2788
; %bb.2787:
	s_wait_loadcnt 0x0
	v_cvt_f32_f64_e32 v2, v[12:13]
	v_mov_b32_e32 v3, 0
	global_store_b64 v[0:1], v[2:3], off
.LBB43_2788:
	s_mov_b32 s0, 0
.LBB43_2789:
	s_delay_alu instid0(SALU_CYCLE_1)
	s_and_not1_b32 vcc_lo, exec_lo, s0
	s_cbranch_vccnz .LBB43_2791
; %bb.2790:
	s_wait_loadcnt 0x0
	v_and_or_b32 v2, 0x1ff, v13, v12
	v_lshrrev_b32_e32 v3, 8, v13
	v_bfe_u32 v4, v13, 20, 11
	s_delay_alu instid0(VALU_DEP_3) | instskip(NEXT) | instid1(VALU_DEP_2)
	v_cmp_ne_u32_e32 vcc_lo, 0, v2
	v_sub_nc_u32_e32 v5, 0x3f1, v4
	v_add_nc_u32_e32 v4, 0xfffffc10, v4
	v_cndmask_b32_e64 v2, 0, 1, vcc_lo
	s_delay_alu instid0(VALU_DEP_1) | instskip(NEXT) | instid1(VALU_DEP_4)
	v_and_or_b32 v2, 0xffe, v3, v2
	v_med3_i32 v3, v5, 0, 13
	s_delay_alu instid0(VALU_DEP_2) | instskip(NEXT) | instid1(VALU_DEP_1)
	v_or_b32_e32 v5, 0x1000, v2
	v_lshrrev_b32_e32 v6, v3, v5
	s_delay_alu instid0(VALU_DEP_1) | instskip(NEXT) | instid1(VALU_DEP_1)
	v_lshlrev_b32_e32 v3, v3, v6
	v_cmp_ne_u32_e32 vcc_lo, v3, v5
	v_lshl_or_b32 v5, v4, 12, v2
	v_cndmask_b32_e64 v3, 0, 1, vcc_lo
	v_cmp_gt_i32_e32 vcc_lo, 1, v4
	s_delay_alu instid0(VALU_DEP_2) | instskip(NEXT) | instid1(VALU_DEP_1)
	v_or_b32_e32 v3, v6, v3
	v_cndmask_b32_e32 v3, v5, v3, vcc_lo
	s_delay_alu instid0(VALU_DEP_1) | instskip(NEXT) | instid1(VALU_DEP_1)
	v_dual_lshrrev_b32 v3, 2, v3 :: v_dual_bitop2_b32 v5, 7, v3 bitop3:0x40
	v_cmp_lt_i32_e32 vcc_lo, 5, v5
	v_cndmask_b32_e64 v6, 0, 1, vcc_lo
	v_cmp_eq_u32_e32 vcc_lo, 3, v5
	v_cndmask_b32_e64 v5, 0, 1, vcc_lo
	v_cmp_ne_u32_e32 vcc_lo, 0, v2
	s_delay_alu instid0(VALU_DEP_2) | instskip(NEXT) | instid1(VALU_DEP_1)
	v_or_b32_e32 v5, v5, v6
	v_dual_mov_b32 v6, 0x7e00 :: v_dual_add_nc_u32 v3, v3, v5
	s_delay_alu instid0(VALU_DEP_1) | instskip(SKIP_2) | instid1(VALU_DEP_4)
	v_cndmask_b32_e32 v2, 0x7c00, v6, vcc_lo
	v_cmp_gt_i32_e32 vcc_lo, 31, v4
	v_lshrrev_b32_e32 v5, 16, v13
	v_cndmask_b32_e32 v3, 0x7c00, v3, vcc_lo
	v_cmp_eq_u32_e32 vcc_lo, 0x40f, v4
	s_delay_alu instid0(VALU_DEP_2) | instskip(NEXT) | instid1(VALU_DEP_4)
	v_cndmask_b32_e32 v2, v3, v2, vcc_lo
	v_and_b32_e32 v3, 0x8000, v5
	s_delay_alu instid0(VALU_DEP_1)
	v_bitop3_b32 v2, v3, 0xffff, v2 bitop3:0xc8
	global_store_b32 v[0:1], v2, off
.LBB43_2791:
	s_mov_b32 s0, 0
.LBB43_2792:
	s_delay_alu instid0(SALU_CYCLE_1)
	s_and_not1_b32 vcc_lo, exec_lo, s0
	s_cbranch_vccnz .LBB43_2801
; %bb.2793:
	s_sext_i32_i16 s1, s6
	s_mov_b32 s0, -1
	s_cmp_lt_i32 s1, 6
	s_cbranch_scc1 .LBB43_2799
; %bb.2794:
	s_cmp_gt_i32 s1, 6
	s_cbranch_scc0 .LBB43_2796
; %bb.2795:
	s_mov_b32 s0, 0
	s_wait_loadcnt 0x0
	global_store_b64 v[0:1], v[12:13], off
.LBB43_2796:
	s_and_not1_b32 vcc_lo, exec_lo, s0
	s_cbranch_vccnz .LBB43_2798
; %bb.2797:
	s_wait_loadcnt 0x0
	v_cvt_f32_f64_e32 v2, v[12:13]
	global_store_b32 v[0:1], v2, off
.LBB43_2798:
	s_mov_b32 s0, 0
.LBB43_2799:
	s_delay_alu instid0(SALU_CYCLE_1)
	s_and_not1_b32 vcc_lo, exec_lo, s0
	s_cbranch_vccnz .LBB43_2801
; %bb.2800:
	s_wait_loadcnt 0x0
	v_and_or_b32 v2, 0x1ff, v13, v12
	v_lshrrev_b32_e32 v3, 8, v13
	v_bfe_u32 v4, v13, 20, 11
	s_delay_alu instid0(VALU_DEP_3) | instskip(NEXT) | instid1(VALU_DEP_2)
	v_cmp_ne_u32_e32 vcc_lo, 0, v2
	v_sub_nc_u32_e32 v5, 0x3f1, v4
	v_add_nc_u32_e32 v4, 0xfffffc10, v4
	v_cndmask_b32_e64 v2, 0, 1, vcc_lo
	s_delay_alu instid0(VALU_DEP_1) | instskip(NEXT) | instid1(VALU_DEP_4)
	v_and_or_b32 v2, 0xffe, v3, v2
	v_med3_i32 v3, v5, 0, 13
	s_delay_alu instid0(VALU_DEP_2) | instskip(NEXT) | instid1(VALU_DEP_1)
	v_or_b32_e32 v5, 0x1000, v2
	v_lshrrev_b32_e32 v6, v3, v5
	s_delay_alu instid0(VALU_DEP_1) | instskip(NEXT) | instid1(VALU_DEP_1)
	v_lshlrev_b32_e32 v3, v3, v6
	v_cmp_ne_u32_e32 vcc_lo, v3, v5
	v_lshl_or_b32 v5, v4, 12, v2
	v_cndmask_b32_e64 v3, 0, 1, vcc_lo
	v_cmp_gt_i32_e32 vcc_lo, 1, v4
	s_delay_alu instid0(VALU_DEP_2) | instskip(NEXT) | instid1(VALU_DEP_1)
	v_or_b32_e32 v3, v6, v3
	v_cndmask_b32_e32 v3, v5, v3, vcc_lo
	s_delay_alu instid0(VALU_DEP_1) | instskip(NEXT) | instid1(VALU_DEP_1)
	v_dual_lshrrev_b32 v3, 2, v3 :: v_dual_bitop2_b32 v5, 7, v3 bitop3:0x40
	v_cmp_lt_i32_e32 vcc_lo, 5, v5
	v_cndmask_b32_e64 v6, 0, 1, vcc_lo
	v_cmp_eq_u32_e32 vcc_lo, 3, v5
	v_cndmask_b32_e64 v5, 0, 1, vcc_lo
	v_cmp_ne_u32_e32 vcc_lo, 0, v2
	s_delay_alu instid0(VALU_DEP_2) | instskip(NEXT) | instid1(VALU_DEP_1)
	v_or_b32_e32 v5, v5, v6
	v_dual_mov_b32 v6, 0x7e00 :: v_dual_add_nc_u32 v3, v3, v5
	s_delay_alu instid0(VALU_DEP_1) | instskip(SKIP_1) | instid1(VALU_DEP_3)
	v_cndmask_b32_e32 v2, 0x7c00, v6, vcc_lo
	v_cmp_gt_i32_e32 vcc_lo, 31, v4
	v_cndmask_b32_e32 v3, 0x7c00, v3, vcc_lo
	v_cmp_eq_u32_e32 vcc_lo, 0x40f, v4
	s_delay_alu instid0(VALU_DEP_2) | instskip(NEXT) | instid1(VALU_DEP_1)
	v_dual_cndmask_b32 v2, v3, v2 :: v_dual_lshrrev_b32 v3, 16, v13
	v_and_or_b32 v2, 0x8000, v3, v2
	global_store_b16 v[0:1], v2, off
.LBB43_2801:
	s_mov_b32 s0, 0
.LBB43_2802:
	s_delay_alu instid0(SALU_CYCLE_1)
	s_and_not1_b32 vcc_lo, exec_lo, s0
	s_cbranch_vccnz .LBB43_2818
; %bb.2803:
	s_sext_i32_i16 s1, s6
	s_mov_b32 s0, -1
	s_cmp_lt_i32 s1, 2
	s_cbranch_scc1 .LBB43_2813
; %bb.2804:
	s_cmp_lt_i32 s1, 3
	s_cbranch_scc1 .LBB43_2810
; %bb.2805:
	s_cmp_gt_i32 s1, 3
	s_cbranch_scc0 .LBB43_2807
; %bb.2806:
	s_wait_loadcnt 0x0
	v_trunc_f64_e32 v[2:3], v[12:13]
	s_mov_b32 s0, 0
	s_delay_alu instid0(VALU_DEP_1) | instskip(NEXT) | instid1(VALU_DEP_1)
	v_ldexp_f64 v[4:5], v[2:3], 0xffffffe0
	v_floor_f64_e32 v[4:5], v[4:5]
	s_delay_alu instid0(VALU_DEP_1) | instskip(SKIP_1) | instid1(VALU_DEP_2)
	v_fmamk_f64 v[2:3], v[4:5], 0xc1f00000, v[2:3]
	v_cvt_i32_f64_e32 v5, v[4:5]
	v_cvt_u32_f64_e32 v4, v[2:3]
	global_store_b64 v[0:1], v[4:5], off
.LBB43_2807:
	s_and_not1_b32 vcc_lo, exec_lo, s0
	s_cbranch_vccnz .LBB43_2809
; %bb.2808:
	s_wait_loadcnt 0x0
	v_cvt_i32_f64_e32 v2, v[12:13]
	global_store_b32 v[0:1], v2, off
.LBB43_2809:
	s_mov_b32 s0, 0
.LBB43_2810:
	s_delay_alu instid0(SALU_CYCLE_1)
	s_and_not1_b32 vcc_lo, exec_lo, s0
	s_cbranch_vccnz .LBB43_2812
; %bb.2811:
	s_wait_loadcnt 0x0
	v_cvt_i32_f64_e32 v2, v[12:13]
	global_store_b16 v[0:1], v2, off
.LBB43_2812:
	s_mov_b32 s0, 0
.LBB43_2813:
	s_delay_alu instid0(SALU_CYCLE_1)
	s_and_not1_b32 vcc_lo, exec_lo, s0
	s_cbranch_vccnz .LBB43_2818
; %bb.2814:
	s_sext_i32_i16 s0, s6
	s_delay_alu instid0(SALU_CYCLE_1)
	s_cmp_gt_i32 s0, 0
	s_mov_b32 s0, -1
	s_cbranch_scc0 .LBB43_2816
; %bb.2815:
	s_wait_loadcnt 0x0
	v_cvt_i32_f64_e32 v2, v[12:13]
	s_mov_b32 s0, 0
	global_store_b8 v[0:1], v2, off
.LBB43_2816:
	s_and_not1_b32 vcc_lo, exec_lo, s0
	s_cbranch_vccnz .LBB43_2818
; %bb.2817:
	s_wait_loadcnt 0x0
	v_trunc_f64_e32 v[2:3], v[12:13]
	s_delay_alu instid0(VALU_DEP_1) | instskip(NEXT) | instid1(VALU_DEP_1)
	v_ldexp_f64 v[4:5], v[2:3], 0xffffffe0
	v_floor_f64_e32 v[4:5], v[4:5]
	s_delay_alu instid0(VALU_DEP_1) | instskip(NEXT) | instid1(VALU_DEP_1)
	v_fmamk_f64 v[2:3], v[4:5], 0xc1f00000, v[2:3]
	v_cvt_u32_f64_e32 v2, v[2:3]
	global_store_b8 v[0:1], v2, off
	s_endpgm
.LBB43_2818:
	s_endpgm
.LBB43_2819:
	s_mov_b32 s0, -1
	s_mov_b32 s7, 0
.LBB43_2820:
	s_and_b32 vcc_lo, exec_lo, s0
	s_cbranch_vccz .LBB43_2859
; %bb.2821:
	s_and_b32 s0, 0xffff, s6
	s_mov_b32 s2, -1
	s_cmp_lt_i32 s0, 5
	s_cbranch_scc1 .LBB43_2842
; %bb.2822:
	s_cmp_lt_i32 s0, 8
	s_cbranch_scc1 .LBB43_2832
; %bb.2823:
	;; [unrolled: 3-line block ×3, first 2 shown]
	s_cmp_gt_i32 s0, 9
	s_cbranch_scc0 .LBB43_2826
; %bb.2825:
	s_wait_xcnt 0x0
	v_mov_b32_e32 v2, 0
	s_mov_b32 s2, 0
	s_delay_alu instid0(VALU_DEP_1)
	v_mov_b32_e32 v3, v2
	global_store_b128 v[16:17], v[0:3], off
.LBB43_2826:
	s_and_not1_b32 vcc_lo, exec_lo, s2
	s_cbranch_vccnz .LBB43_2828
; %bb.2827:
	s_wait_xcnt 0x0
	v_cvt_f32_f64_e32 v2, v[0:1]
	v_mov_b32_e32 v3, 0
	global_store_b64 v[16:17], v[2:3], off
.LBB43_2828:
	s_mov_b32 s2, 0
.LBB43_2829:
	s_delay_alu instid0(SALU_CYCLE_1)
	s_and_not1_b32 vcc_lo, exec_lo, s2
	s_cbranch_vccnz .LBB43_2831
; %bb.2830:
	s_wait_xcnt 0x0
	v_and_or_b32 v2, 0x1ff, v1, v0
	v_lshrrev_b32_e32 v3, 8, v1
	v_bfe_u32 v7, v1, 20, 11
	s_delay_alu instid0(VALU_DEP_3) | instskip(NEXT) | instid1(VALU_DEP_2)
	v_cmp_ne_u32_e32 vcc_lo, 0, v2
	v_sub_nc_u32_e32 v11, 0x3f1, v7
	v_add_nc_u32_e32 v7, 0xfffffc10, v7
	v_cndmask_b32_e64 v2, 0, 1, vcc_lo
	s_delay_alu instid0(VALU_DEP_1) | instskip(NEXT) | instid1(VALU_DEP_4)
	v_and_or_b32 v2, 0xffe, v3, v2
	v_med3_i32 v3, v11, 0, 13
	s_delay_alu instid0(VALU_DEP_2) | instskip(NEXT) | instid1(VALU_DEP_1)
	v_or_b32_e32 v11, 0x1000, v2
	v_lshrrev_b32_e32 v15, v3, v11
	s_delay_alu instid0(VALU_DEP_1) | instskip(NEXT) | instid1(VALU_DEP_1)
	v_lshlrev_b32_e32 v3, v3, v15
	v_cmp_ne_u32_e32 vcc_lo, v3, v11
	v_lshl_or_b32 v11, v7, 12, v2
	v_cndmask_b32_e64 v3, 0, 1, vcc_lo
	v_cmp_gt_i32_e32 vcc_lo, 1, v7
	s_delay_alu instid0(VALU_DEP_2) | instskip(NEXT) | instid1(VALU_DEP_1)
	v_or_b32_e32 v3, v15, v3
	v_cndmask_b32_e32 v3, v11, v3, vcc_lo
	s_delay_alu instid0(VALU_DEP_1) | instskip(NEXT) | instid1(VALU_DEP_1)
	v_dual_lshrrev_b32 v3, 2, v3 :: v_dual_bitop2_b32 v11, 7, v3 bitop3:0x40
	v_cmp_lt_i32_e32 vcc_lo, 5, v11
	v_cndmask_b32_e64 v15, 0, 1, vcc_lo
	v_cmp_eq_u32_e32 vcc_lo, 3, v11
	v_cndmask_b32_e64 v11, 0, 1, vcc_lo
	v_cmp_ne_u32_e32 vcc_lo, 0, v2
	s_delay_alu instid0(VALU_DEP_2) | instskip(SKIP_1) | instid1(VALU_DEP_2)
	v_or_b32_e32 v11, v11, v15
	v_mov_b32_e32 v15, 0x7e00
	v_add_nc_u32_e32 v3, v3, v11
	s_delay_alu instid0(VALU_DEP_2) | instskip(SKIP_2) | instid1(VALU_DEP_4)
	v_cndmask_b32_e32 v2, 0x7c00, v15, vcc_lo
	v_cmp_gt_i32_e32 vcc_lo, 31, v7
	v_lshrrev_b32_e32 v11, 16, v1
	v_cndmask_b32_e32 v3, 0x7c00, v3, vcc_lo
	v_cmp_eq_u32_e32 vcc_lo, 0x40f, v7
	s_delay_alu instid0(VALU_DEP_2) | instskip(NEXT) | instid1(VALU_DEP_4)
	v_cndmask_b32_e32 v2, v3, v2, vcc_lo
	v_and_b32_e32 v3, 0x8000, v11
	s_delay_alu instid0(VALU_DEP_1)
	v_bitop3_b32 v2, v3, 0xffff, v2 bitop3:0xc8
	global_store_b32 v[16:17], v2, off
.LBB43_2831:
	s_mov_b32 s2, 0
.LBB43_2832:
	s_delay_alu instid0(SALU_CYCLE_1)
	s_and_not1_b32 vcc_lo, exec_lo, s2
	s_cbranch_vccnz .LBB43_2841
; %bb.2833:
	s_cmp_lt_i32 s0, 6
	s_mov_b32 s2, -1
	s_cbranch_scc1 .LBB43_2839
; %bb.2834:
	s_cmp_gt_i32 s0, 6
	s_cbranch_scc0 .LBB43_2836
; %bb.2835:
	s_mov_b32 s2, 0
	global_store_b64 v[16:17], v[0:1], off
.LBB43_2836:
	s_and_not1_b32 vcc_lo, exec_lo, s2
	s_cbranch_vccnz .LBB43_2838
; %bb.2837:
	s_wait_xcnt 0x0
	v_cvt_f32_f64_e32 v2, v[0:1]
	global_store_b32 v[16:17], v2, off
.LBB43_2838:
	s_mov_b32 s2, 0
.LBB43_2839:
	s_delay_alu instid0(SALU_CYCLE_1)
	s_and_not1_b32 vcc_lo, exec_lo, s2
	s_cbranch_vccnz .LBB43_2841
; %bb.2840:
	s_wait_xcnt 0x0
	v_and_or_b32 v2, 0x1ff, v1, v0
	v_lshrrev_b32_e32 v3, 8, v1
	v_bfe_u32 v7, v1, 20, 11
	s_delay_alu instid0(VALU_DEP_3) | instskip(NEXT) | instid1(VALU_DEP_2)
	v_cmp_ne_u32_e32 vcc_lo, 0, v2
	v_sub_nc_u32_e32 v11, 0x3f1, v7
	v_add_nc_u32_e32 v7, 0xfffffc10, v7
	v_cndmask_b32_e64 v2, 0, 1, vcc_lo
	s_delay_alu instid0(VALU_DEP_1) | instskip(NEXT) | instid1(VALU_DEP_4)
	v_and_or_b32 v2, 0xffe, v3, v2
	v_med3_i32 v3, v11, 0, 13
	s_delay_alu instid0(VALU_DEP_2) | instskip(NEXT) | instid1(VALU_DEP_1)
	v_or_b32_e32 v11, 0x1000, v2
	v_lshrrev_b32_e32 v15, v3, v11
	s_delay_alu instid0(VALU_DEP_1) | instskip(NEXT) | instid1(VALU_DEP_1)
	v_lshlrev_b32_e32 v3, v3, v15
	v_cmp_ne_u32_e32 vcc_lo, v3, v11
	v_lshl_or_b32 v11, v7, 12, v2
	v_cndmask_b32_e64 v3, 0, 1, vcc_lo
	v_cmp_gt_i32_e32 vcc_lo, 1, v7
	s_delay_alu instid0(VALU_DEP_2) | instskip(NEXT) | instid1(VALU_DEP_1)
	v_or_b32_e32 v3, v15, v3
	v_cndmask_b32_e32 v3, v11, v3, vcc_lo
	s_delay_alu instid0(VALU_DEP_1) | instskip(NEXT) | instid1(VALU_DEP_1)
	v_dual_lshrrev_b32 v3, 2, v3 :: v_dual_bitop2_b32 v11, 7, v3 bitop3:0x40
	v_cmp_lt_i32_e32 vcc_lo, 5, v11
	v_cndmask_b32_e64 v15, 0, 1, vcc_lo
	v_cmp_eq_u32_e32 vcc_lo, 3, v11
	v_cndmask_b32_e64 v11, 0, 1, vcc_lo
	v_cmp_ne_u32_e32 vcc_lo, 0, v2
	s_delay_alu instid0(VALU_DEP_2) | instskip(SKIP_1) | instid1(VALU_DEP_2)
	v_or_b32_e32 v11, v11, v15
	v_mov_b32_e32 v15, 0x7e00
	v_add_nc_u32_e32 v3, v3, v11
	s_delay_alu instid0(VALU_DEP_2) | instskip(SKIP_1) | instid1(VALU_DEP_3)
	v_cndmask_b32_e32 v2, 0x7c00, v15, vcc_lo
	v_cmp_gt_i32_e32 vcc_lo, 31, v7
	v_cndmask_b32_e32 v3, 0x7c00, v3, vcc_lo
	v_cmp_eq_u32_e32 vcc_lo, 0x40f, v7
	s_delay_alu instid0(VALU_DEP_2) | instskip(NEXT) | instid1(VALU_DEP_1)
	v_dual_cndmask_b32 v2, v3, v2 :: v_dual_lshrrev_b32 v3, 16, v1
	v_and_or_b32 v2, 0x8000, v3, v2
	global_store_b16 v[16:17], v2, off
.LBB43_2841:
	s_mov_b32 s2, 0
.LBB43_2842:
	s_delay_alu instid0(SALU_CYCLE_1)
	s_and_not1_b32 vcc_lo, exec_lo, s2
	s_cbranch_vccnz .LBB43_2858
; %bb.2843:
	s_cmp_lt_i32 s0, 2
	s_mov_b32 s2, -1
	s_cbranch_scc1 .LBB43_2853
; %bb.2844:
	s_cmp_lt_i32 s0, 3
	s_cbranch_scc1 .LBB43_2850
; %bb.2845:
	s_cmp_gt_i32 s0, 3
	s_cbranch_scc0 .LBB43_2847
; %bb.2846:
	s_wait_xcnt 0x0
	v_trunc_f64_e32 v[2:3], v[0:1]
	s_mov_b32 s2, 0
	s_delay_alu instid0(VALU_DEP_1) | instskip(NEXT) | instid1(VALU_DEP_1)
	v_ldexp_f64 v[18:19], v[2:3], 0xffffffe0
	v_floor_f64_e32 v[18:19], v[18:19]
	s_delay_alu instid0(VALU_DEP_1) | instskip(SKIP_1) | instid1(VALU_DEP_2)
	v_fmamk_f64 v[2:3], v[18:19], 0xc1f00000, v[2:3]
	v_cvt_i32_f64_e32 v19, v[18:19]
	v_cvt_u32_f64_e32 v18, v[2:3]
	global_store_b64 v[16:17], v[18:19], off
.LBB43_2847:
	s_and_not1_b32 vcc_lo, exec_lo, s2
	s_cbranch_vccnz .LBB43_2849
; %bb.2848:
	s_wait_xcnt 0x0
	v_cvt_i32_f64_e32 v2, v[0:1]
	global_store_b32 v[16:17], v2, off
.LBB43_2849:
	s_mov_b32 s2, 0
.LBB43_2850:
	s_delay_alu instid0(SALU_CYCLE_1)
	s_and_not1_b32 vcc_lo, exec_lo, s2
	s_cbranch_vccnz .LBB43_2852
; %bb.2851:
	s_wait_xcnt 0x0
	v_cvt_i32_f64_e32 v2, v[0:1]
	global_store_b16 v[16:17], v2, off
.LBB43_2852:
	s_mov_b32 s2, 0
.LBB43_2853:
	s_delay_alu instid0(SALU_CYCLE_1)
	s_and_not1_b32 vcc_lo, exec_lo, s2
	s_cbranch_vccnz .LBB43_2858
; %bb.2854:
	s_cmp_gt_i32 s0, 0
	s_mov_b32 s0, -1
	s_cbranch_scc0 .LBB43_2856
; %bb.2855:
	s_wait_xcnt 0x0
	v_cvt_i32_f64_e32 v2, v[0:1]
	s_mov_b32 s0, 0
	global_store_b8 v[16:17], v2, off
.LBB43_2856:
	s_and_not1_b32 vcc_lo, exec_lo, s0
	s_cbranch_vccnz .LBB43_2858
; %bb.2857:
	s_wait_xcnt 0x0
	v_trunc_f64_e32 v[0:1], v[0:1]
	s_delay_alu instid0(VALU_DEP_1) | instskip(NEXT) | instid1(VALU_DEP_1)
	v_ldexp_f64 v[2:3], v[0:1], 0xffffffe0
	v_floor_f64_e32 v[2:3], v[2:3]
	s_delay_alu instid0(VALU_DEP_1) | instskip(NEXT) | instid1(VALU_DEP_1)
	v_fmamk_f64 v[0:1], v[2:3], 0xc1f00000, v[0:1]
	v_cvt_u32_f64_e32 v0, v[0:1]
	global_store_b8 v[16:17], v0, off
.LBB43_2858:
	s_mov_b32 s7, -1
.LBB43_2859:
	s_delay_alu instid0(SALU_CYCLE_1)
	s_and_not1_b32 vcc_lo, exec_lo, s7
	s_cbranch_vccnz .LBB43_3174
; %bb.2860:
	s_wait_xcnt 0x0
	v_mov_b32_e32 v7, 0
	s_and_b32 s2, 0xffff, s6
	s_delay_alu instid0(SALU_CYCLE_1) | instskip(NEXT) | instid1(VALU_DEP_1)
	s_cmp_lt_i32 s2, 11
	v_add_nc_u64_e32 v[0:1], s[4:5], v[6:7]
	s_cbranch_scc1 .LBB43_2938
; %bb.2861:
	s_mov_b32 s8, -1
	s_mov_b32 s3, 0
	s_cmp_gt_i32 s2, 25
	s_mov_b32 s7, 0
	s_mov_b32 s0, 0
	s_cbranch_scc0 .LBB43_2894
; %bb.2862:
	s_cmp_gt_i32 s2, 28
	s_cbranch_scc0 .LBB43_2877
; %bb.2863:
	s_cmp_gt_i32 s2, 43
	;; [unrolled: 3-line block ×3, first 2 shown]
	s_cbranch_scc0 .LBB43_2867
; %bb.2865:
	s_mov_b32 s0, -1
	s_mov_b32 s8, 0
	s_cmp_eq_u32 s2, 46
	s_cbranch_scc0 .LBB43_2867
; %bb.2866:
	v_cvt_f32_f64_e32 v2, v[4:5]
	s_mov_b32 s0, 0
	s_mov_b32 s7, -1
	s_delay_alu instid0(VALU_DEP_1) | instskip(SKIP_1) | instid1(VALU_DEP_2)
	v_bfe_u32 v3, v2, 16, 1
	v_cmp_o_f32_e32 vcc_lo, v2, v2
	v_add3_u32 v3, v2, v3, 0x7fff
	s_delay_alu instid0(VALU_DEP_1) | instskip(NEXT) | instid1(VALU_DEP_1)
	v_lshrrev_b32_e32 v3, 16, v3
	v_cndmask_b32_e32 v2, 0x7fc0, v3, vcc_lo
	global_store_b32 v[0:1], v2, off
.LBB43_2867:
	s_and_b32 vcc_lo, exec_lo, s8
	s_cbranch_vccz .LBB43_2872
; %bb.2868:
	s_cmp_eq_u32 s2, 44
	s_mov_b32 s0, -1
	s_cbranch_scc0 .LBB43_2872
; %bb.2869:
	s_wait_xcnt 0x0
	v_cvt_f32_f64_e32 v2, v[4:5]
	v_mov_b32_e32 v3, 0xff
	s_mov_b32 s7, exec_lo
	s_delay_alu instid0(VALU_DEP_2) | instskip(NEXT) | instid1(VALU_DEP_1)
	v_bfe_u32 v6, v2, 23, 8
	v_cmpx_ne_u32_e32 0xff, v6
	s_cbranch_execz .LBB43_2871
; %bb.2870:
	v_and_b32_e32 v3, 0x400000, v2
	v_and_or_b32 v6, 0x3fffff, v2, v6
	v_lshrrev_b32_e32 v2, 23, v2
	s_delay_alu instid0(VALU_DEP_3) | instskip(NEXT) | instid1(VALU_DEP_3)
	v_cmp_ne_u32_e32 vcc_lo, 0, v3
	v_cmp_ne_u32_e64 s0, 0, v6
	s_and_b32 s0, vcc_lo, s0
	s_delay_alu instid0(SALU_CYCLE_1) | instskip(NEXT) | instid1(VALU_DEP_1)
	v_cndmask_b32_e64 v3, 0, 1, s0
	v_add_nc_u32_e32 v3, v2, v3
.LBB43_2871:
	s_or_b32 exec_lo, exec_lo, s7
	s_mov_b32 s0, 0
	s_mov_b32 s7, -1
	global_store_b8 v[0:1], v3, off
.LBB43_2872:
	s_mov_b32 s8, 0
.LBB43_2873:
	s_delay_alu instid0(SALU_CYCLE_1)
	s_and_b32 vcc_lo, exec_lo, s8
	s_cbranch_vccz .LBB43_2876
; %bb.2874:
	s_cmp_eq_u32 s2, 29
	s_mov_b32 s0, -1
	s_cbranch_scc0 .LBB43_2876
; %bb.2875:
	s_wait_xcnt 0x0
	v_trunc_f64_e32 v[2:3], v[4:5]
	s_mov_b32 s0, 0
	s_mov_b32 s7, -1
	s_delay_alu instid0(VALU_DEP_1) | instskip(NEXT) | instid1(VALU_DEP_1)
	v_ldexp_f64 v[6:7], v[2:3], 0xffffffe0
	v_floor_f64_e32 v[6:7], v[6:7]
	s_delay_alu instid0(VALU_DEP_1) | instskip(SKIP_1) | instid1(VALU_DEP_2)
	v_fmamk_f64 v[2:3], v[6:7], 0xc1f00000, v[2:3]
	v_cvt_u32_f64_e32 v7, v[6:7]
	v_cvt_u32_f64_e32 v6, v[2:3]
	global_store_b64 v[0:1], v[6:7], off
.LBB43_2876:
	s_mov_b32 s8, 0
.LBB43_2877:
	s_delay_alu instid0(SALU_CYCLE_1)
	s_and_b32 vcc_lo, exec_lo, s8
	s_cbranch_vccz .LBB43_2893
; %bb.2878:
	s_cmp_lt_i32 s2, 27
	s_mov_b32 s7, -1
	s_cbranch_scc1 .LBB43_2884
; %bb.2879:
	s_cmp_gt_i32 s2, 27
	s_cbranch_scc0 .LBB43_2881
; %bb.2880:
	s_wait_xcnt 0x0
	v_cvt_u32_f64_e32 v2, v[4:5]
	s_mov_b32 s7, 0
	global_store_b32 v[0:1], v2, off
.LBB43_2881:
	s_and_not1_b32 vcc_lo, exec_lo, s7
	s_cbranch_vccnz .LBB43_2883
; %bb.2882:
	s_wait_xcnt 0x0
	v_cvt_u32_f64_e32 v2, v[4:5]
	global_store_b16 v[0:1], v2, off
.LBB43_2883:
	s_mov_b32 s7, 0
.LBB43_2884:
	s_delay_alu instid0(SALU_CYCLE_1)
	s_and_not1_b32 vcc_lo, exec_lo, s7
	s_cbranch_vccnz .LBB43_2892
; %bb.2885:
	s_wait_xcnt 0x0
	v_cvt_f32_f64_e32 v2, v[4:5]
	v_mov_b32_e32 v6, 0x80
	s_mov_b32 s7, exec_lo
	s_delay_alu instid0(VALU_DEP_2) | instskip(NEXT) | instid1(VALU_DEP_1)
	v_and_b32_e32 v3, 0x7fffffff, v2
	v_cmpx_gt_u32_e32 0x43800000, v3
	s_cbranch_execz .LBB43_2891
; %bb.2886:
	v_cmp_lt_u32_e32 vcc_lo, 0x3bffffff, v3
	s_mov_b32 s8, 0
                                        ; implicit-def: $vgpr3
	s_and_saveexec_b32 s9, vcc_lo
	s_delay_alu instid0(SALU_CYCLE_1)
	s_xor_b32 s9, exec_lo, s9
	s_cbranch_execz .LBB43_3182
; %bb.2887:
	v_bfe_u32 v3, v2, 20, 1
	s_mov_b32 s8, exec_lo
	s_delay_alu instid0(VALU_DEP_1) | instskip(NEXT) | instid1(VALU_DEP_1)
	v_add3_u32 v3, v2, v3, 0x487ffff
	v_lshrrev_b32_e32 v3, 20, v3
	s_and_not1_saveexec_b32 s9, s9
	s_cbranch_execnz .LBB43_3183
.LBB43_2888:
	s_or_b32 exec_lo, exec_lo, s9
	v_mov_b32_e32 v6, 0
	s_and_saveexec_b32 s9, s8
.LBB43_2889:
	v_lshrrev_b32_e32 v2, 24, v2
	s_delay_alu instid0(VALU_DEP_1)
	v_and_or_b32 v6, 0x80, v2, v3
.LBB43_2890:
	s_or_b32 exec_lo, exec_lo, s9
.LBB43_2891:
	s_delay_alu instid0(SALU_CYCLE_1)
	s_or_b32 exec_lo, exec_lo, s7
	global_store_b8 v[0:1], v6, off
.LBB43_2892:
	s_mov_b32 s7, -1
.LBB43_2893:
	s_mov_b32 s8, 0
.LBB43_2894:
	s_delay_alu instid0(SALU_CYCLE_1)
	s_and_b32 vcc_lo, exec_lo, s8
	s_cbranch_vccz .LBB43_2934
; %bb.2895:
	s_cmp_gt_i32 s2, 22
	s_mov_b32 s3, -1
	s_cbranch_scc0 .LBB43_2927
; %bb.2896:
	s_cmp_lt_i32 s2, 24
	s_cbranch_scc1 .LBB43_2916
; %bb.2897:
	s_cmp_gt_i32 s2, 24
	s_cbranch_scc0 .LBB43_2905
; %bb.2898:
	s_wait_xcnt 0x0
	v_cvt_f32_f64_e32 v2, v[4:5]
	v_mov_b32_e32 v6, 0x80
	s_mov_b32 s3, exec_lo
	s_delay_alu instid0(VALU_DEP_2) | instskip(NEXT) | instid1(VALU_DEP_1)
	v_and_b32_e32 v3, 0x7fffffff, v2
	v_cmpx_gt_u32_e32 0x47800000, v3
	s_cbranch_execz .LBB43_2904
; %bb.2899:
	v_cmp_lt_u32_e32 vcc_lo, 0x37ffffff, v3
	s_mov_b32 s7, 0
                                        ; implicit-def: $vgpr3
	s_and_saveexec_b32 s8, vcc_lo
	s_delay_alu instid0(SALU_CYCLE_1)
	s_xor_b32 s8, exec_lo, s8
	s_cbranch_execz .LBB43_3185
; %bb.2900:
	v_bfe_u32 v3, v2, 21, 1
	s_mov_b32 s7, exec_lo
	s_delay_alu instid0(VALU_DEP_1) | instskip(NEXT) | instid1(VALU_DEP_1)
	v_add3_u32 v3, v2, v3, 0x88fffff
	v_lshrrev_b32_e32 v3, 21, v3
	s_and_not1_saveexec_b32 s8, s8
	s_cbranch_execnz .LBB43_3186
.LBB43_2901:
	s_or_b32 exec_lo, exec_lo, s8
	v_mov_b32_e32 v6, 0
	s_and_saveexec_b32 s8, s7
.LBB43_2902:
	v_lshrrev_b32_e32 v2, 24, v2
	s_delay_alu instid0(VALU_DEP_1)
	v_and_or_b32 v6, 0x80, v2, v3
.LBB43_2903:
	s_or_b32 exec_lo, exec_lo, s8
.LBB43_2904:
	s_delay_alu instid0(SALU_CYCLE_1)
	s_or_b32 exec_lo, exec_lo, s3
	s_mov_b32 s3, 0
	global_store_b8 v[0:1], v6, off
.LBB43_2905:
	s_and_b32 vcc_lo, exec_lo, s3
	s_cbranch_vccz .LBB43_2915
; %bb.2906:
	s_wait_xcnt 0x0
	v_cvt_f32_f64_e32 v2, v[4:5]
	s_mov_b32 s3, exec_lo
                                        ; implicit-def: $vgpr3
	s_delay_alu instid0(VALU_DEP_1) | instskip(NEXT) | instid1(VALU_DEP_1)
	v_and_b32_e32 v6, 0x7fffffff, v2
	v_cmpx_gt_u32_e32 0x43f00000, v6
	s_xor_b32 s3, exec_lo, s3
	s_cbranch_execz .LBB43_2912
; %bb.2907:
	s_mov_b32 s7, exec_lo
                                        ; implicit-def: $vgpr3
	v_cmpx_lt_u32_e32 0x3c7fffff, v6
	s_xor_b32 s7, exec_lo, s7
; %bb.2908:
	v_bfe_u32 v3, v2, 20, 1
	s_delay_alu instid0(VALU_DEP_1) | instskip(NEXT) | instid1(VALU_DEP_1)
	v_add3_u32 v3, v2, v3, 0x407ffff
	v_and_b32_e32 v6, 0xff00000, v3
	v_lshrrev_b32_e32 v3, 20, v3
	s_delay_alu instid0(VALU_DEP_2) | instskip(NEXT) | instid1(VALU_DEP_2)
	v_cmp_ne_u32_e32 vcc_lo, 0x7f00000, v6
	v_cndmask_b32_e32 v3, 0x7e, v3, vcc_lo
; %bb.2909:
	s_and_not1_saveexec_b32 s7, s7
; %bb.2910:
	v_add_f32_e64 v3, 0x46800000, |v2|
; %bb.2911:
	s_or_b32 exec_lo, exec_lo, s7
                                        ; implicit-def: $vgpr6
.LBB43_2912:
	s_and_not1_saveexec_b32 s3, s3
; %bb.2913:
	v_mov_b32_e32 v3, 0x7f
	v_cmp_lt_u32_e32 vcc_lo, 0x7f800000, v6
	s_delay_alu instid0(VALU_DEP_2)
	v_cndmask_b32_e32 v3, 0x7e, v3, vcc_lo
; %bb.2914:
	s_or_b32 exec_lo, exec_lo, s3
	v_lshrrev_b32_e32 v2, 24, v2
	s_delay_alu instid0(VALU_DEP_1)
	v_and_or_b32 v2, 0x80, v2, v3
	global_store_b8 v[0:1], v2, off
.LBB43_2915:
	s_mov_b32 s3, 0
.LBB43_2916:
	s_delay_alu instid0(SALU_CYCLE_1)
	s_and_not1_b32 vcc_lo, exec_lo, s3
	s_cbranch_vccnz .LBB43_2926
; %bb.2917:
	s_wait_xcnt 0x0
	v_cvt_f32_f64_e32 v2, v[4:5]
	s_mov_b32 s3, exec_lo
                                        ; implicit-def: $vgpr3
	s_delay_alu instid0(VALU_DEP_1) | instskip(NEXT) | instid1(VALU_DEP_1)
	v_and_b32_e32 v6, 0x7fffffff, v2
	v_cmpx_gt_u32_e32 0x47800000, v6
	s_xor_b32 s3, exec_lo, s3
	s_cbranch_execz .LBB43_2923
; %bb.2918:
	s_mov_b32 s7, exec_lo
                                        ; implicit-def: $vgpr3
	v_cmpx_lt_u32_e32 0x387fffff, v6
	s_xor_b32 s7, exec_lo, s7
; %bb.2919:
	v_bfe_u32 v3, v2, 21, 1
	s_delay_alu instid0(VALU_DEP_1) | instskip(NEXT) | instid1(VALU_DEP_1)
	v_add3_u32 v3, v2, v3, 0x80fffff
	v_lshrrev_b32_e32 v3, 21, v3
; %bb.2920:
	s_and_not1_saveexec_b32 s7, s7
; %bb.2921:
	v_add_f32_e64 v3, 0x43000000, |v2|
; %bb.2922:
	s_or_b32 exec_lo, exec_lo, s7
                                        ; implicit-def: $vgpr6
.LBB43_2923:
	s_and_not1_saveexec_b32 s3, s3
; %bb.2924:
	v_mov_b32_e32 v3, 0x7f
	v_cmp_lt_u32_e32 vcc_lo, 0x7f800000, v6
	s_delay_alu instid0(VALU_DEP_2)
	v_cndmask_b32_e32 v3, 0x7c, v3, vcc_lo
; %bb.2925:
	s_or_b32 exec_lo, exec_lo, s3
	v_lshrrev_b32_e32 v2, 24, v2
	s_delay_alu instid0(VALU_DEP_1)
	v_and_or_b32 v2, 0x80, v2, v3
	global_store_b8 v[0:1], v2, off
.LBB43_2926:
	s_mov_b32 s3, 0
	s_mov_b32 s7, -1
.LBB43_2927:
	s_and_not1_b32 vcc_lo, exec_lo, s3
	s_mov_b32 s3, 0
	s_cbranch_vccnz .LBB43_2934
; %bb.2928:
	s_cmp_gt_i32 s2, 14
	s_mov_b32 s3, -1
	s_cbranch_scc0 .LBB43_2932
; %bb.2929:
	s_cmp_eq_u32 s2, 15
	s_mov_b32 s0, -1
	s_cbranch_scc0 .LBB43_2931
; %bb.2930:
	s_wait_xcnt 0x0
	v_cvt_f32_f64_e32 v2, v[4:5]
	s_mov_b32 s0, 0
	s_mov_b32 s7, -1
	s_delay_alu instid0(VALU_DEP_1) | instskip(SKIP_1) | instid1(VALU_DEP_2)
	v_bfe_u32 v3, v2, 16, 1
	v_cmp_o_f32_e32 vcc_lo, v2, v2
	v_add3_u32 v3, v2, v3, 0x7fff
	s_delay_alu instid0(VALU_DEP_1) | instskip(NEXT) | instid1(VALU_DEP_1)
	v_lshrrev_b32_e32 v3, 16, v3
	v_cndmask_b32_e32 v2, 0x7fc0, v3, vcc_lo
	global_store_b16 v[0:1], v2, off
.LBB43_2931:
	s_mov_b32 s3, 0
.LBB43_2932:
	s_delay_alu instid0(SALU_CYCLE_1)
	s_and_b32 vcc_lo, exec_lo, s3
	s_mov_b32 s3, 0
	s_cbranch_vccz .LBB43_2934
; %bb.2933:
	s_cmp_lg_u32 s2, 11
	s_mov_b32 s3, -1
	s_cselect_b32 s0, -1, 0
.LBB43_2934:
	s_delay_alu instid0(SALU_CYCLE_1)
	s_and_b32 vcc_lo, exec_lo, s0
	s_cbranch_vccnz .LBB43_3184
; %bb.2935:
	s_and_not1_b32 vcc_lo, exec_lo, s3
	s_cbranch_vccnz .LBB43_2937
.LBB43_2936:
	v_cmp_neq_f64_e32 vcc_lo, 0, v[4:5]
	s_mov_b32 s7, -1
	s_wait_xcnt 0x0
	v_cndmask_b32_e64 v2, 0, 1, vcc_lo
	global_store_b8 v[0:1], v2, off
.LBB43_2937:
	s_mov_b32 s0, 0
	s_branch .LBB43_2939
.LBB43_2938:
	s_mov_b32 s0, -1
	s_mov_b32 s7, 0
.LBB43_2939:
	s_and_b32 vcc_lo, exec_lo, s0
	s_cbranch_vccz .LBB43_2978
; %bb.2940:
	s_cmp_lt_i32 s2, 5
	s_mov_b32 s0, -1
	s_cbranch_scc1 .LBB43_2961
; %bb.2941:
	s_cmp_lt_i32 s2, 8
	s_cbranch_scc1 .LBB43_2951
; %bb.2942:
	s_cmp_lt_i32 s2, 9
	s_cbranch_scc1 .LBB43_2948
; %bb.2943:
	s_cmp_gt_i32 s2, 9
	s_cbranch_scc0 .LBB43_2945
; %bb.2944:
	s_wait_xcnt 0x0
	v_mov_b32_e32 v6, 0
	s_mov_b32 s0, 0
	s_delay_alu instid0(VALU_DEP_1)
	v_mov_b32_e32 v7, v6
	global_store_b128 v[0:1], v[4:7], off
.LBB43_2945:
	s_and_not1_b32 vcc_lo, exec_lo, s0
	s_cbranch_vccnz .LBB43_2947
; %bb.2946:
	s_wait_xcnt 0x0
	v_cvt_f32_f64_e32 v2, v[4:5]
	v_mov_b32_e32 v3, 0
	global_store_b64 v[0:1], v[2:3], off
.LBB43_2947:
	s_mov_b32 s0, 0
.LBB43_2948:
	s_delay_alu instid0(SALU_CYCLE_1)
	s_and_not1_b32 vcc_lo, exec_lo, s0
	s_cbranch_vccnz .LBB43_2950
; %bb.2949:
	s_wait_xcnt 0x0
	v_and_or_b32 v2, 0x1ff, v5, v4
	v_lshrrev_b32_e32 v3, 8, v5
	v_bfe_u32 v6, v5, 20, 11
	s_delay_alu instid0(VALU_DEP_3) | instskip(NEXT) | instid1(VALU_DEP_2)
	v_cmp_ne_u32_e32 vcc_lo, 0, v2
	v_sub_nc_u32_e32 v7, 0x3f1, v6
	v_cndmask_b32_e64 v2, 0, 1, vcc_lo
	s_delay_alu instid0(VALU_DEP_1) | instskip(NEXT) | instid1(VALU_DEP_3)
	v_and_or_b32 v2, 0xffe, v3, v2
	v_med3_i32 v3, v7, 0, 13
	s_delay_alu instid0(VALU_DEP_2) | instskip(NEXT) | instid1(VALU_DEP_1)
	v_or_b32_e32 v7, 0x1000, v2
	v_lshrrev_b32_e32 v11, v3, v7
	s_delay_alu instid0(VALU_DEP_1) | instskip(NEXT) | instid1(VALU_DEP_1)
	v_lshlrev_b32_e32 v3, v3, v11
	v_cmp_ne_u32_e32 vcc_lo, v3, v7
	v_cndmask_b32_e64 v3, 0, 1, vcc_lo
	s_delay_alu instid0(VALU_DEP_1) | instskip(SKIP_1) | instid1(VALU_DEP_1)
	v_or_b32_e32 v3, v11, v3
	v_add_nc_u32_e32 v6, 0xfffffc10, v6
	v_lshl_or_b32 v7, v6, 12, v2
	v_cmp_gt_i32_e32 vcc_lo, 1, v6
	s_delay_alu instid0(VALU_DEP_2) | instskip(NEXT) | instid1(VALU_DEP_1)
	v_cndmask_b32_e32 v3, v7, v3, vcc_lo
	v_dual_lshrrev_b32 v3, 2, v3 :: v_dual_bitop2_b32 v7, 7, v3 bitop3:0x40
	s_delay_alu instid0(VALU_DEP_1) | instskip(SKIP_4) | instid1(VALU_DEP_2)
	v_cmp_lt_i32_e32 vcc_lo, 5, v7
	v_cndmask_b32_e64 v11, 0, 1, vcc_lo
	v_cmp_eq_u32_e32 vcc_lo, 3, v7
	v_cndmask_b32_e64 v7, 0, 1, vcc_lo
	v_cmp_ne_u32_e32 vcc_lo, 0, v2
	v_or_b32_e32 v7, v7, v11
	v_mov_b32_e32 v11, 0x7e00
	s_delay_alu instid0(VALU_DEP_2) | instskip(NEXT) | instid1(VALU_DEP_2)
	v_add_nc_u32_e32 v3, v3, v7
	v_cndmask_b32_e32 v2, 0x7c00, v11, vcc_lo
	v_cmp_gt_i32_e32 vcc_lo, 31, v6
	v_lshrrev_b32_e32 v7, 16, v5
	s_delay_alu instid0(VALU_DEP_4) | instskip(SKIP_1) | instid1(VALU_DEP_2)
	v_cndmask_b32_e32 v3, 0x7c00, v3, vcc_lo
	v_cmp_eq_u32_e32 vcc_lo, 0x40f, v6
	v_cndmask_b32_e32 v2, v3, v2, vcc_lo
	s_delay_alu instid0(VALU_DEP_4) | instskip(NEXT) | instid1(VALU_DEP_1)
	v_and_b32_e32 v3, 0x8000, v7
	v_bitop3_b32 v2, v3, 0xffff, v2 bitop3:0xc8
	global_store_b32 v[0:1], v2, off
.LBB43_2950:
	s_mov_b32 s0, 0
.LBB43_2951:
	s_delay_alu instid0(SALU_CYCLE_1)
	s_and_not1_b32 vcc_lo, exec_lo, s0
	s_cbranch_vccnz .LBB43_2960
; %bb.2952:
	s_cmp_lt_i32 s2, 6
	s_mov_b32 s0, -1
	s_cbranch_scc1 .LBB43_2958
; %bb.2953:
	s_cmp_gt_i32 s2, 6
	s_cbranch_scc0 .LBB43_2955
; %bb.2954:
	s_mov_b32 s0, 0
	global_store_b64 v[0:1], v[4:5], off
.LBB43_2955:
	s_and_not1_b32 vcc_lo, exec_lo, s0
	s_cbranch_vccnz .LBB43_2957
; %bb.2956:
	s_wait_xcnt 0x0
	v_cvt_f32_f64_e32 v2, v[4:5]
	global_store_b32 v[0:1], v2, off
.LBB43_2957:
	s_mov_b32 s0, 0
.LBB43_2958:
	s_delay_alu instid0(SALU_CYCLE_1)
	s_and_not1_b32 vcc_lo, exec_lo, s0
	s_cbranch_vccnz .LBB43_2960
; %bb.2959:
	s_wait_xcnt 0x0
	v_and_or_b32 v2, 0x1ff, v5, v4
	v_lshrrev_b32_e32 v3, 8, v5
	v_bfe_u32 v6, v5, 20, 11
	s_delay_alu instid0(VALU_DEP_3) | instskip(NEXT) | instid1(VALU_DEP_2)
	v_cmp_ne_u32_e32 vcc_lo, 0, v2
	v_sub_nc_u32_e32 v7, 0x3f1, v6
	v_cndmask_b32_e64 v2, 0, 1, vcc_lo
	s_delay_alu instid0(VALU_DEP_1) | instskip(NEXT) | instid1(VALU_DEP_3)
	v_and_or_b32 v2, 0xffe, v3, v2
	v_med3_i32 v3, v7, 0, 13
	s_delay_alu instid0(VALU_DEP_2) | instskip(NEXT) | instid1(VALU_DEP_1)
	v_or_b32_e32 v7, 0x1000, v2
	v_lshrrev_b32_e32 v11, v3, v7
	s_delay_alu instid0(VALU_DEP_1) | instskip(NEXT) | instid1(VALU_DEP_1)
	v_lshlrev_b32_e32 v3, v3, v11
	v_cmp_ne_u32_e32 vcc_lo, v3, v7
	v_cndmask_b32_e64 v3, 0, 1, vcc_lo
	s_delay_alu instid0(VALU_DEP_1) | instskip(SKIP_1) | instid1(VALU_DEP_1)
	v_or_b32_e32 v3, v11, v3
	v_add_nc_u32_e32 v6, 0xfffffc10, v6
	v_lshl_or_b32 v7, v6, 12, v2
	v_cmp_gt_i32_e32 vcc_lo, 1, v6
	s_delay_alu instid0(VALU_DEP_2) | instskip(NEXT) | instid1(VALU_DEP_1)
	v_cndmask_b32_e32 v3, v7, v3, vcc_lo
	v_dual_lshrrev_b32 v3, 2, v3 :: v_dual_bitop2_b32 v7, 7, v3 bitop3:0x40
	s_delay_alu instid0(VALU_DEP_1) | instskip(SKIP_4) | instid1(VALU_DEP_2)
	v_cmp_lt_i32_e32 vcc_lo, 5, v7
	v_cndmask_b32_e64 v11, 0, 1, vcc_lo
	v_cmp_eq_u32_e32 vcc_lo, 3, v7
	v_cndmask_b32_e64 v7, 0, 1, vcc_lo
	v_cmp_ne_u32_e32 vcc_lo, 0, v2
	v_or_b32_e32 v7, v7, v11
	v_mov_b32_e32 v11, 0x7e00
	s_delay_alu instid0(VALU_DEP_2) | instskip(NEXT) | instid1(VALU_DEP_2)
	v_add_nc_u32_e32 v3, v3, v7
	v_cndmask_b32_e32 v2, 0x7c00, v11, vcc_lo
	v_cmp_gt_i32_e32 vcc_lo, 31, v6
	s_delay_alu instid0(VALU_DEP_3) | instskip(SKIP_1) | instid1(VALU_DEP_2)
	v_cndmask_b32_e32 v3, 0x7c00, v3, vcc_lo
	v_cmp_eq_u32_e32 vcc_lo, 0x40f, v6
	v_dual_cndmask_b32 v2, v3, v2 :: v_dual_lshrrev_b32 v3, 16, v5
	s_delay_alu instid0(VALU_DEP_1)
	v_and_or_b32 v2, 0x8000, v3, v2
	global_store_b16 v[0:1], v2, off
.LBB43_2960:
	s_mov_b32 s0, 0
.LBB43_2961:
	s_delay_alu instid0(SALU_CYCLE_1)
	s_and_not1_b32 vcc_lo, exec_lo, s0
	s_cbranch_vccnz .LBB43_2977
; %bb.2962:
	s_cmp_lt_i32 s2, 2
	s_mov_b32 s0, -1
	s_cbranch_scc1 .LBB43_2972
; %bb.2963:
	s_cmp_lt_i32 s2, 3
	s_cbranch_scc1 .LBB43_2969
; %bb.2964:
	s_cmp_gt_i32 s2, 3
	s_cbranch_scc0 .LBB43_2966
; %bb.2965:
	s_wait_xcnt 0x0
	v_trunc_f64_e32 v[2:3], v[4:5]
	s_mov_b32 s0, 0
	s_delay_alu instid0(VALU_DEP_1) | instskip(NEXT) | instid1(VALU_DEP_1)
	v_ldexp_f64 v[6:7], v[2:3], 0xffffffe0
	v_floor_f64_e32 v[6:7], v[6:7]
	s_delay_alu instid0(VALU_DEP_1) | instskip(SKIP_1) | instid1(VALU_DEP_2)
	v_fmamk_f64 v[2:3], v[6:7], 0xc1f00000, v[2:3]
	v_cvt_i32_f64_e32 v7, v[6:7]
	v_cvt_u32_f64_e32 v6, v[2:3]
	global_store_b64 v[0:1], v[6:7], off
.LBB43_2966:
	s_and_not1_b32 vcc_lo, exec_lo, s0
	s_cbranch_vccnz .LBB43_2968
; %bb.2967:
	s_wait_xcnt 0x0
	v_cvt_i32_f64_e32 v2, v[4:5]
	global_store_b32 v[0:1], v2, off
.LBB43_2968:
	s_mov_b32 s0, 0
.LBB43_2969:
	s_delay_alu instid0(SALU_CYCLE_1)
	s_and_not1_b32 vcc_lo, exec_lo, s0
	s_cbranch_vccnz .LBB43_2971
; %bb.2970:
	s_wait_xcnt 0x0
	v_cvt_i32_f64_e32 v2, v[4:5]
	global_store_b16 v[0:1], v2, off
.LBB43_2971:
	s_mov_b32 s0, 0
.LBB43_2972:
	s_delay_alu instid0(SALU_CYCLE_1)
	s_and_not1_b32 vcc_lo, exec_lo, s0
	s_cbranch_vccnz .LBB43_2977
; %bb.2973:
	s_cmp_gt_i32 s2, 0
	s_mov_b32 s0, -1
	s_cbranch_scc0 .LBB43_2975
; %bb.2974:
	s_wait_xcnt 0x0
	v_cvt_i32_f64_e32 v2, v[4:5]
	s_mov_b32 s0, 0
	global_store_b8 v[0:1], v2, off
.LBB43_2975:
	s_and_not1_b32 vcc_lo, exec_lo, s0
	s_cbranch_vccnz .LBB43_2977
; %bb.2976:
	s_wait_xcnt 0x0
	v_trunc_f64_e32 v[2:3], v[4:5]
	s_delay_alu instid0(VALU_DEP_1) | instskip(NEXT) | instid1(VALU_DEP_1)
	v_ldexp_f64 v[4:5], v[2:3], 0xffffffe0
	v_floor_f64_e32 v[4:5], v[4:5]
	s_delay_alu instid0(VALU_DEP_1) | instskip(NEXT) | instid1(VALU_DEP_1)
	v_fmamk_f64 v[2:3], v[4:5], 0xc1f00000, v[2:3]
	v_cvt_u32_f64_e32 v2, v[2:3]
	global_store_b8 v[0:1], v2, off
.LBB43_2977:
	s_mov_b32 s7, -1
.LBB43_2978:
	s_delay_alu instid0(SALU_CYCLE_1)
	s_and_not1_b32 vcc_lo, exec_lo, s7
	s_cbranch_vccnz .LBB43_3174
; %bb.2979:
	v_mov_b32_e32 v11, 0
	s_cmp_lt_i32 s2, 11
	s_wait_xcnt 0x0
	s_delay_alu instid0(VALU_DEP_1)
	v_add_nc_u64_e32 v[0:1], s[4:5], v[10:11]
	s_cbranch_scc1 .LBB43_3057
; %bb.2980:
	s_mov_b32 s8, -1
	s_mov_b32 s3, 0
	s_cmp_gt_i32 s2, 25
	s_mov_b32 s7, 0
	s_mov_b32 s0, 0
	s_cbranch_scc0 .LBB43_3013
; %bb.2981:
	s_cmp_gt_i32 s2, 28
	s_cbranch_scc0 .LBB43_2996
; %bb.2982:
	s_cmp_gt_i32 s2, 43
	;; [unrolled: 3-line block ×3, first 2 shown]
	s_cbranch_scc0 .LBB43_2986
; %bb.2984:
	s_mov_b32 s0, -1
	s_mov_b32 s8, 0
	s_cmp_eq_u32 s2, 46
	s_cbranch_scc0 .LBB43_2986
; %bb.2985:
	v_cvt_f32_f64_e32 v2, v[8:9]
	s_mov_b32 s0, 0
	s_mov_b32 s7, -1
	s_delay_alu instid0(VALU_DEP_1) | instskip(SKIP_1) | instid1(VALU_DEP_2)
	v_bfe_u32 v3, v2, 16, 1
	v_cmp_o_f32_e32 vcc_lo, v2, v2
	v_add3_u32 v3, v2, v3, 0x7fff
	s_delay_alu instid0(VALU_DEP_1) | instskip(NEXT) | instid1(VALU_DEP_1)
	v_lshrrev_b32_e32 v3, 16, v3
	v_cndmask_b32_e32 v2, 0x7fc0, v3, vcc_lo
	global_store_b32 v[0:1], v2, off
.LBB43_2986:
	s_and_b32 vcc_lo, exec_lo, s8
	s_cbranch_vccz .LBB43_2991
; %bb.2987:
	s_cmp_eq_u32 s2, 44
	s_mov_b32 s0, -1
	s_cbranch_scc0 .LBB43_2991
; %bb.2988:
	s_wait_xcnt 0x0
	v_cvt_f32_f64_e32 v2, v[8:9]
	v_mov_b32_e32 v3, 0xff
	s_mov_b32 s7, exec_lo
	s_delay_alu instid0(VALU_DEP_2) | instskip(NEXT) | instid1(VALU_DEP_1)
	v_bfe_u32 v4, v2, 23, 8
	v_cmpx_ne_u32_e32 0xff, v4
	s_cbranch_execz .LBB43_2990
; %bb.2989:
	v_and_b32_e32 v3, 0x400000, v2
	v_and_or_b32 v4, 0x3fffff, v2, v4
	v_lshrrev_b32_e32 v2, 23, v2
	s_delay_alu instid0(VALU_DEP_3) | instskip(NEXT) | instid1(VALU_DEP_3)
	v_cmp_ne_u32_e32 vcc_lo, 0, v3
	v_cmp_ne_u32_e64 s0, 0, v4
	s_and_b32 s0, vcc_lo, s0
	s_delay_alu instid0(SALU_CYCLE_1) | instskip(NEXT) | instid1(VALU_DEP_1)
	v_cndmask_b32_e64 v3, 0, 1, s0
	v_add_nc_u32_e32 v3, v2, v3
.LBB43_2990:
	s_or_b32 exec_lo, exec_lo, s7
	s_mov_b32 s0, 0
	s_mov_b32 s7, -1
	global_store_b8 v[0:1], v3, off
.LBB43_2991:
	s_mov_b32 s8, 0
.LBB43_2992:
	s_delay_alu instid0(SALU_CYCLE_1)
	s_and_b32 vcc_lo, exec_lo, s8
	s_cbranch_vccz .LBB43_2995
; %bb.2993:
	s_cmp_eq_u32 s2, 29
	s_mov_b32 s0, -1
	s_cbranch_scc0 .LBB43_2995
; %bb.2994:
	s_wait_xcnt 0x0
	v_trunc_f64_e32 v[2:3], v[8:9]
	s_mov_b32 s0, 0
	s_mov_b32 s7, -1
	s_delay_alu instid0(VALU_DEP_1) | instskip(NEXT) | instid1(VALU_DEP_1)
	v_ldexp_f64 v[4:5], v[2:3], 0xffffffe0
	v_floor_f64_e32 v[4:5], v[4:5]
	s_delay_alu instid0(VALU_DEP_1) | instskip(SKIP_1) | instid1(VALU_DEP_2)
	v_fmamk_f64 v[2:3], v[4:5], 0xc1f00000, v[2:3]
	v_cvt_u32_f64_e32 v5, v[4:5]
	v_cvt_u32_f64_e32 v4, v[2:3]
	global_store_b64 v[0:1], v[4:5], off
.LBB43_2995:
	s_mov_b32 s8, 0
.LBB43_2996:
	s_delay_alu instid0(SALU_CYCLE_1)
	s_and_b32 vcc_lo, exec_lo, s8
	s_cbranch_vccz .LBB43_3012
; %bb.2997:
	s_cmp_lt_i32 s2, 27
	s_mov_b32 s7, -1
	s_cbranch_scc1 .LBB43_3003
; %bb.2998:
	s_cmp_gt_i32 s2, 27
	s_cbranch_scc0 .LBB43_3000
; %bb.2999:
	s_wait_xcnt 0x0
	v_cvt_u32_f64_e32 v2, v[8:9]
	s_mov_b32 s7, 0
	global_store_b32 v[0:1], v2, off
.LBB43_3000:
	s_and_not1_b32 vcc_lo, exec_lo, s7
	s_cbranch_vccnz .LBB43_3002
; %bb.3001:
	s_wait_xcnt 0x0
	v_cvt_u32_f64_e32 v2, v[8:9]
	global_store_b16 v[0:1], v2, off
.LBB43_3002:
	s_mov_b32 s7, 0
.LBB43_3003:
	s_delay_alu instid0(SALU_CYCLE_1)
	s_and_not1_b32 vcc_lo, exec_lo, s7
	s_cbranch_vccnz .LBB43_3011
; %bb.3004:
	s_wait_xcnt 0x0
	v_cvt_f32_f64_e32 v2, v[8:9]
	v_mov_b32_e32 v4, 0x80
	s_mov_b32 s7, exec_lo
	s_delay_alu instid0(VALU_DEP_2) | instskip(NEXT) | instid1(VALU_DEP_1)
	v_and_b32_e32 v3, 0x7fffffff, v2
	v_cmpx_gt_u32_e32 0x43800000, v3
	s_cbranch_execz .LBB43_3010
; %bb.3005:
	v_cmp_lt_u32_e32 vcc_lo, 0x3bffffff, v3
	s_mov_b32 s8, 0
                                        ; implicit-def: $vgpr3
	s_and_saveexec_b32 s9, vcc_lo
	s_delay_alu instid0(SALU_CYCLE_1)
	s_xor_b32 s9, exec_lo, s9
	s_cbranch_execz .LBB43_3187
; %bb.3006:
	v_bfe_u32 v3, v2, 20, 1
	s_mov_b32 s8, exec_lo
	s_delay_alu instid0(VALU_DEP_1) | instskip(NEXT) | instid1(VALU_DEP_1)
	v_add3_u32 v3, v2, v3, 0x487ffff
	v_lshrrev_b32_e32 v3, 20, v3
	s_and_not1_saveexec_b32 s9, s9
	s_cbranch_execnz .LBB43_3188
.LBB43_3007:
	s_or_b32 exec_lo, exec_lo, s9
	v_mov_b32_e32 v4, 0
	s_and_saveexec_b32 s9, s8
.LBB43_3008:
	v_lshrrev_b32_e32 v2, 24, v2
	s_delay_alu instid0(VALU_DEP_1)
	v_and_or_b32 v4, 0x80, v2, v3
.LBB43_3009:
	s_or_b32 exec_lo, exec_lo, s9
.LBB43_3010:
	s_delay_alu instid0(SALU_CYCLE_1)
	s_or_b32 exec_lo, exec_lo, s7
	global_store_b8 v[0:1], v4, off
.LBB43_3011:
	s_mov_b32 s7, -1
.LBB43_3012:
	s_mov_b32 s8, 0
.LBB43_3013:
	s_delay_alu instid0(SALU_CYCLE_1)
	s_and_b32 vcc_lo, exec_lo, s8
	s_cbranch_vccz .LBB43_3053
; %bb.3014:
	s_cmp_gt_i32 s2, 22
	s_mov_b32 s3, -1
	s_cbranch_scc0 .LBB43_3046
; %bb.3015:
	s_cmp_lt_i32 s2, 24
	s_cbranch_scc1 .LBB43_3035
; %bb.3016:
	s_cmp_gt_i32 s2, 24
	s_cbranch_scc0 .LBB43_3024
; %bb.3017:
	s_wait_xcnt 0x0
	v_cvt_f32_f64_e32 v2, v[8:9]
	v_mov_b32_e32 v4, 0x80
	s_mov_b32 s3, exec_lo
	s_delay_alu instid0(VALU_DEP_2) | instskip(NEXT) | instid1(VALU_DEP_1)
	v_and_b32_e32 v3, 0x7fffffff, v2
	v_cmpx_gt_u32_e32 0x47800000, v3
	s_cbranch_execz .LBB43_3023
; %bb.3018:
	v_cmp_lt_u32_e32 vcc_lo, 0x37ffffff, v3
	s_mov_b32 s7, 0
                                        ; implicit-def: $vgpr3
	s_and_saveexec_b32 s8, vcc_lo
	s_delay_alu instid0(SALU_CYCLE_1)
	s_xor_b32 s8, exec_lo, s8
	s_cbranch_execz .LBB43_3190
; %bb.3019:
	v_bfe_u32 v3, v2, 21, 1
	s_mov_b32 s7, exec_lo
	s_delay_alu instid0(VALU_DEP_1) | instskip(NEXT) | instid1(VALU_DEP_1)
	v_add3_u32 v3, v2, v3, 0x88fffff
	v_lshrrev_b32_e32 v3, 21, v3
	s_and_not1_saveexec_b32 s8, s8
	s_cbranch_execnz .LBB43_3191
.LBB43_3020:
	s_or_b32 exec_lo, exec_lo, s8
	v_mov_b32_e32 v4, 0
	s_and_saveexec_b32 s8, s7
.LBB43_3021:
	v_lshrrev_b32_e32 v2, 24, v2
	s_delay_alu instid0(VALU_DEP_1)
	v_and_or_b32 v4, 0x80, v2, v3
.LBB43_3022:
	s_or_b32 exec_lo, exec_lo, s8
.LBB43_3023:
	s_delay_alu instid0(SALU_CYCLE_1)
	s_or_b32 exec_lo, exec_lo, s3
	s_mov_b32 s3, 0
	global_store_b8 v[0:1], v4, off
.LBB43_3024:
	s_and_b32 vcc_lo, exec_lo, s3
	s_cbranch_vccz .LBB43_3034
; %bb.3025:
	s_wait_xcnt 0x0
	v_cvt_f32_f64_e32 v2, v[8:9]
	s_mov_b32 s3, exec_lo
                                        ; implicit-def: $vgpr3
	s_delay_alu instid0(VALU_DEP_1) | instskip(NEXT) | instid1(VALU_DEP_1)
	v_and_b32_e32 v4, 0x7fffffff, v2
	v_cmpx_gt_u32_e32 0x43f00000, v4
	s_xor_b32 s3, exec_lo, s3
	s_cbranch_execz .LBB43_3031
; %bb.3026:
	s_mov_b32 s7, exec_lo
                                        ; implicit-def: $vgpr3
	v_cmpx_lt_u32_e32 0x3c7fffff, v4
	s_xor_b32 s7, exec_lo, s7
; %bb.3027:
	v_bfe_u32 v3, v2, 20, 1
	s_delay_alu instid0(VALU_DEP_1) | instskip(NEXT) | instid1(VALU_DEP_1)
	v_add3_u32 v3, v2, v3, 0x407ffff
	v_and_b32_e32 v4, 0xff00000, v3
	v_lshrrev_b32_e32 v3, 20, v3
	s_delay_alu instid0(VALU_DEP_2) | instskip(NEXT) | instid1(VALU_DEP_2)
	v_cmp_ne_u32_e32 vcc_lo, 0x7f00000, v4
	v_cndmask_b32_e32 v3, 0x7e, v3, vcc_lo
; %bb.3028:
	s_and_not1_saveexec_b32 s7, s7
; %bb.3029:
	v_add_f32_e64 v3, 0x46800000, |v2|
; %bb.3030:
	s_or_b32 exec_lo, exec_lo, s7
                                        ; implicit-def: $vgpr4
.LBB43_3031:
	s_and_not1_saveexec_b32 s3, s3
; %bb.3032:
	v_mov_b32_e32 v3, 0x7f
	v_cmp_lt_u32_e32 vcc_lo, 0x7f800000, v4
	s_delay_alu instid0(VALU_DEP_2)
	v_cndmask_b32_e32 v3, 0x7e, v3, vcc_lo
; %bb.3033:
	s_or_b32 exec_lo, exec_lo, s3
	v_lshrrev_b32_e32 v2, 24, v2
	s_delay_alu instid0(VALU_DEP_1)
	v_and_or_b32 v2, 0x80, v2, v3
	global_store_b8 v[0:1], v2, off
.LBB43_3034:
	s_mov_b32 s3, 0
.LBB43_3035:
	s_delay_alu instid0(SALU_CYCLE_1)
	s_and_not1_b32 vcc_lo, exec_lo, s3
	s_cbranch_vccnz .LBB43_3045
; %bb.3036:
	s_wait_xcnt 0x0
	v_cvt_f32_f64_e32 v2, v[8:9]
	s_mov_b32 s3, exec_lo
                                        ; implicit-def: $vgpr3
	s_delay_alu instid0(VALU_DEP_1) | instskip(NEXT) | instid1(VALU_DEP_1)
	v_and_b32_e32 v4, 0x7fffffff, v2
	v_cmpx_gt_u32_e32 0x47800000, v4
	s_xor_b32 s3, exec_lo, s3
	s_cbranch_execz .LBB43_3042
; %bb.3037:
	s_mov_b32 s7, exec_lo
                                        ; implicit-def: $vgpr3
	v_cmpx_lt_u32_e32 0x387fffff, v4
	s_xor_b32 s7, exec_lo, s7
; %bb.3038:
	v_bfe_u32 v3, v2, 21, 1
	s_delay_alu instid0(VALU_DEP_1) | instskip(NEXT) | instid1(VALU_DEP_1)
	v_add3_u32 v3, v2, v3, 0x80fffff
	v_lshrrev_b32_e32 v3, 21, v3
; %bb.3039:
	s_and_not1_saveexec_b32 s7, s7
; %bb.3040:
	v_add_f32_e64 v3, 0x43000000, |v2|
; %bb.3041:
	s_or_b32 exec_lo, exec_lo, s7
                                        ; implicit-def: $vgpr4
.LBB43_3042:
	s_and_not1_saveexec_b32 s3, s3
; %bb.3043:
	v_mov_b32_e32 v3, 0x7f
	v_cmp_lt_u32_e32 vcc_lo, 0x7f800000, v4
	s_delay_alu instid0(VALU_DEP_2)
	v_cndmask_b32_e32 v3, 0x7c, v3, vcc_lo
; %bb.3044:
	s_or_b32 exec_lo, exec_lo, s3
	v_lshrrev_b32_e32 v2, 24, v2
	s_delay_alu instid0(VALU_DEP_1)
	v_and_or_b32 v2, 0x80, v2, v3
	global_store_b8 v[0:1], v2, off
.LBB43_3045:
	s_mov_b32 s3, 0
	s_mov_b32 s7, -1
.LBB43_3046:
	s_and_not1_b32 vcc_lo, exec_lo, s3
	s_mov_b32 s3, 0
	s_cbranch_vccnz .LBB43_3053
; %bb.3047:
	s_cmp_gt_i32 s2, 14
	s_mov_b32 s3, -1
	s_cbranch_scc0 .LBB43_3051
; %bb.3048:
	s_cmp_eq_u32 s2, 15
	s_mov_b32 s0, -1
	s_cbranch_scc0 .LBB43_3050
; %bb.3049:
	s_wait_xcnt 0x0
	v_cvt_f32_f64_e32 v2, v[8:9]
	s_mov_b32 s0, 0
	s_mov_b32 s7, -1
	s_delay_alu instid0(VALU_DEP_1) | instskip(SKIP_1) | instid1(VALU_DEP_2)
	v_bfe_u32 v3, v2, 16, 1
	v_cmp_o_f32_e32 vcc_lo, v2, v2
	v_add3_u32 v3, v2, v3, 0x7fff
	s_delay_alu instid0(VALU_DEP_1) | instskip(NEXT) | instid1(VALU_DEP_1)
	v_lshrrev_b32_e32 v3, 16, v3
	v_cndmask_b32_e32 v2, 0x7fc0, v3, vcc_lo
	global_store_b16 v[0:1], v2, off
.LBB43_3050:
	s_mov_b32 s3, 0
.LBB43_3051:
	s_delay_alu instid0(SALU_CYCLE_1)
	s_and_b32 vcc_lo, exec_lo, s3
	s_mov_b32 s3, 0
	s_cbranch_vccz .LBB43_3053
; %bb.3052:
	s_cmp_lg_u32 s2, 11
	s_mov_b32 s3, -1
	s_cselect_b32 s0, -1, 0
.LBB43_3053:
	s_delay_alu instid0(SALU_CYCLE_1)
	s_and_b32 vcc_lo, exec_lo, s0
	s_cbranch_vccnz .LBB43_3189
; %bb.3054:
	s_and_not1_b32 vcc_lo, exec_lo, s3
	s_cbranch_vccnz .LBB43_3056
.LBB43_3055:
	v_cmp_neq_f64_e32 vcc_lo, 0, v[8:9]
	s_mov_b32 s7, -1
	s_wait_xcnt 0x0
	v_cndmask_b32_e64 v2, 0, 1, vcc_lo
	global_store_b8 v[0:1], v2, off
.LBB43_3056:
	s_mov_b32 s0, 0
	s_branch .LBB43_3058
.LBB43_3057:
	s_mov_b32 s0, -1
	s_mov_b32 s7, 0
.LBB43_3058:
	s_and_b32 vcc_lo, exec_lo, s0
	s_cbranch_vccz .LBB43_3097
; %bb.3059:
	s_cmp_lt_i32 s2, 5
	s_mov_b32 s0, -1
	s_cbranch_scc1 .LBB43_3080
; %bb.3060:
	s_cmp_lt_i32 s2, 8
	s_cbranch_scc1 .LBB43_3070
; %bb.3061:
	s_cmp_lt_i32 s2, 9
	s_cbranch_scc1 .LBB43_3067
; %bb.3062:
	s_cmp_gt_i32 s2, 9
	s_cbranch_scc0 .LBB43_3064
; %bb.3063:
	v_mov_b32_e32 v10, 0
	s_mov_b32 s0, 0
	s_delay_alu instid0(VALU_DEP_1)
	v_mov_b32_e32 v11, v10
	global_store_b128 v[0:1], v[8:11], off
.LBB43_3064:
	s_and_not1_b32 vcc_lo, exec_lo, s0
	s_cbranch_vccnz .LBB43_3066
; %bb.3065:
	s_wait_xcnt 0x0
	v_cvt_f32_f64_e32 v2, v[8:9]
	v_mov_b32_e32 v3, 0
	global_store_b64 v[0:1], v[2:3], off
.LBB43_3066:
	s_mov_b32 s0, 0
.LBB43_3067:
	s_delay_alu instid0(SALU_CYCLE_1)
	s_and_not1_b32 vcc_lo, exec_lo, s0
	s_cbranch_vccnz .LBB43_3069
; %bb.3068:
	s_wait_xcnt 0x0
	v_and_or_b32 v2, 0x1ff, v9, v8
	v_lshrrev_b32_e32 v3, 8, v9
	v_bfe_u32 v4, v9, 20, 11
	s_delay_alu instid0(VALU_DEP_3) | instskip(NEXT) | instid1(VALU_DEP_2)
	v_cmp_ne_u32_e32 vcc_lo, 0, v2
	v_sub_nc_u32_e32 v5, 0x3f1, v4
	v_add_nc_u32_e32 v4, 0xfffffc10, v4
	v_cndmask_b32_e64 v2, 0, 1, vcc_lo
	s_delay_alu instid0(VALU_DEP_1) | instskip(NEXT) | instid1(VALU_DEP_4)
	v_and_or_b32 v2, 0xffe, v3, v2
	v_med3_i32 v3, v5, 0, 13
	s_delay_alu instid0(VALU_DEP_2) | instskip(NEXT) | instid1(VALU_DEP_1)
	v_or_b32_e32 v5, 0x1000, v2
	v_lshrrev_b32_e32 v6, v3, v5
	s_delay_alu instid0(VALU_DEP_1) | instskip(NEXT) | instid1(VALU_DEP_1)
	v_lshlrev_b32_e32 v3, v3, v6
	v_cmp_ne_u32_e32 vcc_lo, v3, v5
	v_lshl_or_b32 v5, v4, 12, v2
	v_cndmask_b32_e64 v3, 0, 1, vcc_lo
	v_cmp_gt_i32_e32 vcc_lo, 1, v4
	s_delay_alu instid0(VALU_DEP_2) | instskip(NEXT) | instid1(VALU_DEP_1)
	v_or_b32_e32 v3, v6, v3
	v_cndmask_b32_e32 v3, v5, v3, vcc_lo
	s_delay_alu instid0(VALU_DEP_1) | instskip(NEXT) | instid1(VALU_DEP_1)
	v_dual_lshrrev_b32 v3, 2, v3 :: v_dual_bitop2_b32 v5, 7, v3 bitop3:0x40
	v_cmp_lt_i32_e32 vcc_lo, 5, v5
	v_cndmask_b32_e64 v6, 0, 1, vcc_lo
	v_cmp_eq_u32_e32 vcc_lo, 3, v5
	v_cndmask_b32_e64 v5, 0, 1, vcc_lo
	v_cmp_ne_u32_e32 vcc_lo, 0, v2
	s_delay_alu instid0(VALU_DEP_2) | instskip(NEXT) | instid1(VALU_DEP_1)
	v_or_b32_e32 v5, v5, v6
	v_dual_mov_b32 v6, 0x7e00 :: v_dual_add_nc_u32 v3, v3, v5
	s_delay_alu instid0(VALU_DEP_1) | instskip(SKIP_2) | instid1(VALU_DEP_4)
	v_cndmask_b32_e32 v2, 0x7c00, v6, vcc_lo
	v_cmp_gt_i32_e32 vcc_lo, 31, v4
	v_lshrrev_b32_e32 v5, 16, v9
	v_cndmask_b32_e32 v3, 0x7c00, v3, vcc_lo
	v_cmp_eq_u32_e32 vcc_lo, 0x40f, v4
	s_delay_alu instid0(VALU_DEP_2) | instskip(NEXT) | instid1(VALU_DEP_4)
	v_cndmask_b32_e32 v2, v3, v2, vcc_lo
	v_and_b32_e32 v3, 0x8000, v5
	s_delay_alu instid0(VALU_DEP_1)
	v_bitop3_b32 v2, v3, 0xffff, v2 bitop3:0xc8
	global_store_b32 v[0:1], v2, off
.LBB43_3069:
	s_mov_b32 s0, 0
.LBB43_3070:
	s_delay_alu instid0(SALU_CYCLE_1)
	s_and_not1_b32 vcc_lo, exec_lo, s0
	s_cbranch_vccnz .LBB43_3079
; %bb.3071:
	s_cmp_lt_i32 s2, 6
	s_mov_b32 s0, -1
	s_cbranch_scc1 .LBB43_3077
; %bb.3072:
	s_cmp_gt_i32 s2, 6
	s_cbranch_scc0 .LBB43_3074
; %bb.3073:
	s_mov_b32 s0, 0
	global_store_b64 v[0:1], v[8:9], off
.LBB43_3074:
	s_and_not1_b32 vcc_lo, exec_lo, s0
	s_cbranch_vccnz .LBB43_3076
; %bb.3075:
	s_wait_xcnt 0x0
	v_cvt_f32_f64_e32 v2, v[8:9]
	global_store_b32 v[0:1], v2, off
.LBB43_3076:
	s_mov_b32 s0, 0
.LBB43_3077:
	s_delay_alu instid0(SALU_CYCLE_1)
	s_and_not1_b32 vcc_lo, exec_lo, s0
	s_cbranch_vccnz .LBB43_3079
; %bb.3078:
	s_wait_xcnt 0x0
	v_and_or_b32 v2, 0x1ff, v9, v8
	v_lshrrev_b32_e32 v3, 8, v9
	v_bfe_u32 v4, v9, 20, 11
	s_delay_alu instid0(VALU_DEP_3) | instskip(NEXT) | instid1(VALU_DEP_2)
	v_cmp_ne_u32_e32 vcc_lo, 0, v2
	v_sub_nc_u32_e32 v5, 0x3f1, v4
	v_add_nc_u32_e32 v4, 0xfffffc10, v4
	v_cndmask_b32_e64 v2, 0, 1, vcc_lo
	s_delay_alu instid0(VALU_DEP_1) | instskip(NEXT) | instid1(VALU_DEP_4)
	v_and_or_b32 v2, 0xffe, v3, v2
	v_med3_i32 v3, v5, 0, 13
	s_delay_alu instid0(VALU_DEP_2) | instskip(NEXT) | instid1(VALU_DEP_1)
	v_or_b32_e32 v5, 0x1000, v2
	v_lshrrev_b32_e32 v6, v3, v5
	s_delay_alu instid0(VALU_DEP_1) | instskip(NEXT) | instid1(VALU_DEP_1)
	v_lshlrev_b32_e32 v3, v3, v6
	v_cmp_ne_u32_e32 vcc_lo, v3, v5
	v_lshl_or_b32 v5, v4, 12, v2
	v_cndmask_b32_e64 v3, 0, 1, vcc_lo
	v_cmp_gt_i32_e32 vcc_lo, 1, v4
	s_delay_alu instid0(VALU_DEP_2) | instskip(NEXT) | instid1(VALU_DEP_1)
	v_or_b32_e32 v3, v6, v3
	v_cndmask_b32_e32 v3, v5, v3, vcc_lo
	s_delay_alu instid0(VALU_DEP_1) | instskip(NEXT) | instid1(VALU_DEP_1)
	v_dual_lshrrev_b32 v3, 2, v3 :: v_dual_bitop2_b32 v5, 7, v3 bitop3:0x40
	v_cmp_lt_i32_e32 vcc_lo, 5, v5
	v_cndmask_b32_e64 v6, 0, 1, vcc_lo
	v_cmp_eq_u32_e32 vcc_lo, 3, v5
	v_cndmask_b32_e64 v5, 0, 1, vcc_lo
	v_cmp_ne_u32_e32 vcc_lo, 0, v2
	s_delay_alu instid0(VALU_DEP_2) | instskip(NEXT) | instid1(VALU_DEP_1)
	v_or_b32_e32 v5, v5, v6
	v_dual_mov_b32 v6, 0x7e00 :: v_dual_add_nc_u32 v3, v3, v5
	s_delay_alu instid0(VALU_DEP_1) | instskip(SKIP_1) | instid1(VALU_DEP_3)
	v_cndmask_b32_e32 v2, 0x7c00, v6, vcc_lo
	v_cmp_gt_i32_e32 vcc_lo, 31, v4
	v_cndmask_b32_e32 v3, 0x7c00, v3, vcc_lo
	v_cmp_eq_u32_e32 vcc_lo, 0x40f, v4
	s_delay_alu instid0(VALU_DEP_2) | instskip(NEXT) | instid1(VALU_DEP_1)
	v_dual_cndmask_b32 v2, v3, v2 :: v_dual_lshrrev_b32 v3, 16, v9
	v_and_or_b32 v2, 0x8000, v3, v2
	global_store_b16 v[0:1], v2, off
.LBB43_3079:
	s_mov_b32 s0, 0
.LBB43_3080:
	s_delay_alu instid0(SALU_CYCLE_1)
	s_and_not1_b32 vcc_lo, exec_lo, s0
	s_cbranch_vccnz .LBB43_3096
; %bb.3081:
	s_cmp_lt_i32 s2, 2
	s_mov_b32 s0, -1
	s_cbranch_scc1 .LBB43_3091
; %bb.3082:
	s_cmp_lt_i32 s2, 3
	s_cbranch_scc1 .LBB43_3088
; %bb.3083:
	s_cmp_gt_i32 s2, 3
	s_cbranch_scc0 .LBB43_3085
; %bb.3084:
	s_wait_xcnt 0x0
	v_trunc_f64_e32 v[2:3], v[8:9]
	s_mov_b32 s0, 0
	s_delay_alu instid0(VALU_DEP_1) | instskip(NEXT) | instid1(VALU_DEP_1)
	v_ldexp_f64 v[4:5], v[2:3], 0xffffffe0
	v_floor_f64_e32 v[4:5], v[4:5]
	s_delay_alu instid0(VALU_DEP_1) | instskip(SKIP_1) | instid1(VALU_DEP_2)
	v_fmamk_f64 v[2:3], v[4:5], 0xc1f00000, v[2:3]
	v_cvt_i32_f64_e32 v5, v[4:5]
	v_cvt_u32_f64_e32 v4, v[2:3]
	global_store_b64 v[0:1], v[4:5], off
.LBB43_3085:
	s_and_not1_b32 vcc_lo, exec_lo, s0
	s_cbranch_vccnz .LBB43_3087
; %bb.3086:
	s_wait_xcnt 0x0
	v_cvt_i32_f64_e32 v2, v[8:9]
	global_store_b32 v[0:1], v2, off
.LBB43_3087:
	s_mov_b32 s0, 0
.LBB43_3088:
	s_delay_alu instid0(SALU_CYCLE_1)
	s_and_not1_b32 vcc_lo, exec_lo, s0
	s_cbranch_vccnz .LBB43_3090
; %bb.3089:
	s_wait_xcnt 0x0
	v_cvt_i32_f64_e32 v2, v[8:9]
	global_store_b16 v[0:1], v2, off
.LBB43_3090:
	s_mov_b32 s0, 0
.LBB43_3091:
	s_delay_alu instid0(SALU_CYCLE_1)
	s_and_not1_b32 vcc_lo, exec_lo, s0
	s_cbranch_vccnz .LBB43_3096
; %bb.3092:
	s_cmp_gt_i32 s2, 0
	s_mov_b32 s0, -1
	s_cbranch_scc0 .LBB43_3094
; %bb.3093:
	s_wait_xcnt 0x0
	v_cvt_i32_f64_e32 v2, v[8:9]
	s_mov_b32 s0, 0
	global_store_b8 v[0:1], v2, off
.LBB43_3094:
	s_and_not1_b32 vcc_lo, exec_lo, s0
	s_cbranch_vccnz .LBB43_3096
; %bb.3095:
	s_wait_xcnt 0x0
	v_trunc_f64_e32 v[2:3], v[8:9]
	s_delay_alu instid0(VALU_DEP_1) | instskip(NEXT) | instid1(VALU_DEP_1)
	v_ldexp_f64 v[4:5], v[2:3], 0xffffffe0
	v_floor_f64_e32 v[4:5], v[4:5]
	s_delay_alu instid0(VALU_DEP_1) | instskip(NEXT) | instid1(VALU_DEP_1)
	v_fmamk_f64 v[2:3], v[4:5], 0xc1f00000, v[2:3]
	v_cvt_u32_f64_e32 v2, v[2:3]
	global_store_b8 v[0:1], v2, off
.LBB43_3096:
	s_mov_b32 s7, -1
.LBB43_3097:
	s_delay_alu instid0(SALU_CYCLE_1)
	s_and_not1_b32 vcc_lo, exec_lo, s7
	s_cbranch_vccnz .LBB43_3174
; %bb.3098:
	v_mov_b32_e32 v15, 0
	s_cmp_lt_i32 s2, 11
	s_wait_xcnt 0x0
	s_delay_alu instid0(VALU_DEP_1)
	v_add_nc_u64_e32 v[0:1], s[4:5], v[14:15]
	s_cbranch_scc1 .LBB43_3175
; %bb.3099:
	s_mov_b32 s4, -1
	s_mov_b32 s3, 0
	s_cmp_gt_i32 s2, 25
	s_mov_b32 s0, 0
	s_cbranch_scc0 .LBB43_3132
; %bb.3100:
	s_cmp_gt_i32 s2, 28
	s_cbranch_scc0 .LBB43_3116
; %bb.3101:
	s_cmp_gt_i32 s2, 43
	;; [unrolled: 3-line block ×3, first 2 shown]
	s_cbranch_scc0 .LBB43_3106
; %bb.3103:
	s_cmp_eq_u32 s2, 46
	s_mov_b32 s0, -1
	s_cbranch_scc0 .LBB43_3105
; %bb.3104:
	v_cvt_f32_f64_e32 v2, v[12:13]
	s_mov_b32 s0, 0
	s_delay_alu instid0(VALU_DEP_1) | instskip(SKIP_1) | instid1(VALU_DEP_2)
	v_bfe_u32 v3, v2, 16, 1
	v_cmp_o_f32_e32 vcc_lo, v2, v2
	v_add3_u32 v3, v2, v3, 0x7fff
	s_delay_alu instid0(VALU_DEP_1) | instskip(NEXT) | instid1(VALU_DEP_1)
	v_lshrrev_b32_e32 v3, 16, v3
	v_cndmask_b32_e32 v2, 0x7fc0, v3, vcc_lo
	global_store_b32 v[0:1], v2, off
.LBB43_3105:
	s_mov_b32 s4, 0
.LBB43_3106:
	s_delay_alu instid0(SALU_CYCLE_1)
	s_and_b32 vcc_lo, exec_lo, s4
	s_cbranch_vccz .LBB43_3111
; %bb.3107:
	s_cmp_eq_u32 s2, 44
	s_mov_b32 s0, -1
	s_cbranch_scc0 .LBB43_3111
; %bb.3108:
	s_wait_xcnt 0x0
	v_cvt_f32_f64_e32 v2, v[12:13]
	v_mov_b32_e32 v3, 0xff
	s_mov_b32 s4, exec_lo
	s_delay_alu instid0(VALU_DEP_2) | instskip(NEXT) | instid1(VALU_DEP_1)
	v_bfe_u32 v4, v2, 23, 8
	v_cmpx_ne_u32_e32 0xff, v4
	s_cbranch_execz .LBB43_3110
; %bb.3109:
	v_and_b32_e32 v3, 0x400000, v2
	v_and_or_b32 v4, 0x3fffff, v2, v4
	v_lshrrev_b32_e32 v2, 23, v2
	s_delay_alu instid0(VALU_DEP_3) | instskip(NEXT) | instid1(VALU_DEP_3)
	v_cmp_ne_u32_e32 vcc_lo, 0, v3
	v_cmp_ne_u32_e64 s0, 0, v4
	s_and_b32 s0, vcc_lo, s0
	s_delay_alu instid0(SALU_CYCLE_1) | instskip(NEXT) | instid1(VALU_DEP_1)
	v_cndmask_b32_e64 v3, 0, 1, s0
	v_add_nc_u32_e32 v3, v2, v3
.LBB43_3110:
	s_or_b32 exec_lo, exec_lo, s4
	s_mov_b32 s0, 0
	global_store_b8 v[0:1], v3, off
.LBB43_3111:
	s_mov_b32 s4, 0
.LBB43_3112:
	s_delay_alu instid0(SALU_CYCLE_1)
	s_and_b32 vcc_lo, exec_lo, s4
	s_cbranch_vccz .LBB43_3115
; %bb.3113:
	s_cmp_eq_u32 s2, 29
	s_mov_b32 s0, -1
	s_cbranch_scc0 .LBB43_3115
; %bb.3114:
	s_wait_xcnt 0x0
	v_trunc_f64_e32 v[2:3], v[12:13]
	s_mov_b32 s0, 0
	s_delay_alu instid0(VALU_DEP_1) | instskip(NEXT) | instid1(VALU_DEP_1)
	v_ldexp_f64 v[4:5], v[2:3], 0xffffffe0
	v_floor_f64_e32 v[4:5], v[4:5]
	s_delay_alu instid0(VALU_DEP_1) | instskip(SKIP_1) | instid1(VALU_DEP_2)
	v_fmamk_f64 v[2:3], v[4:5], 0xc1f00000, v[2:3]
	v_cvt_u32_f64_e32 v5, v[4:5]
	v_cvt_u32_f64_e32 v4, v[2:3]
	global_store_b64 v[0:1], v[4:5], off
.LBB43_3115:
	s_mov_b32 s4, 0
.LBB43_3116:
	s_delay_alu instid0(SALU_CYCLE_1)
	s_and_b32 vcc_lo, exec_lo, s4
	s_cbranch_vccz .LBB43_3131
; %bb.3117:
	s_cmp_lt_i32 s2, 27
	s_mov_b32 s4, -1
	s_cbranch_scc1 .LBB43_3123
; %bb.3118:
	s_wait_xcnt 0x0
	v_cvt_u32_f64_e32 v2, v[12:13]
	s_cmp_gt_i32 s2, 27
	s_cbranch_scc0 .LBB43_3120
; %bb.3119:
	s_mov_b32 s4, 0
	global_store_b32 v[0:1], v2, off
.LBB43_3120:
	s_and_not1_b32 vcc_lo, exec_lo, s4
	s_cbranch_vccnz .LBB43_3122
; %bb.3121:
	global_store_b16 v[0:1], v2, off
.LBB43_3122:
	s_mov_b32 s4, 0
.LBB43_3123:
	s_delay_alu instid0(SALU_CYCLE_1)
	s_and_not1_b32 vcc_lo, exec_lo, s4
	s_cbranch_vccnz .LBB43_3131
; %bb.3124:
	s_wait_xcnt 0x0
	v_cvt_f32_f64_e32 v2, v[12:13]
	v_mov_b32_e32 v4, 0x80
	s_mov_b32 s4, exec_lo
	s_delay_alu instid0(VALU_DEP_2) | instskip(NEXT) | instid1(VALU_DEP_1)
	v_and_b32_e32 v3, 0x7fffffff, v2
	v_cmpx_gt_u32_e32 0x43800000, v3
	s_cbranch_execz .LBB43_3130
; %bb.3125:
	v_cmp_lt_u32_e32 vcc_lo, 0x3bffffff, v3
	s_mov_b32 s5, 0
                                        ; implicit-def: $vgpr3
	s_and_saveexec_b32 s7, vcc_lo
	s_delay_alu instid0(SALU_CYCLE_1)
	s_xor_b32 s7, exec_lo, s7
	s_cbranch_execz .LBB43_3192
; %bb.3126:
	v_bfe_u32 v3, v2, 20, 1
	s_mov_b32 s5, exec_lo
	s_delay_alu instid0(VALU_DEP_1) | instskip(NEXT) | instid1(VALU_DEP_1)
	v_add3_u32 v3, v2, v3, 0x487ffff
	v_lshrrev_b32_e32 v3, 20, v3
	s_and_not1_saveexec_b32 s7, s7
	s_cbranch_execnz .LBB43_3193
.LBB43_3127:
	s_or_b32 exec_lo, exec_lo, s7
	v_mov_b32_e32 v4, 0
	s_and_saveexec_b32 s7, s5
.LBB43_3128:
	v_lshrrev_b32_e32 v2, 24, v2
	s_delay_alu instid0(VALU_DEP_1)
	v_and_or_b32 v4, 0x80, v2, v3
.LBB43_3129:
	s_or_b32 exec_lo, exec_lo, s7
.LBB43_3130:
	s_delay_alu instid0(SALU_CYCLE_1)
	s_or_b32 exec_lo, exec_lo, s4
	global_store_b8 v[0:1], v4, off
.LBB43_3131:
	s_mov_b32 s4, 0
.LBB43_3132:
	s_delay_alu instid0(SALU_CYCLE_1)
	s_and_b32 vcc_lo, exec_lo, s4
	s_cbranch_vccz .LBB43_3172
; %bb.3133:
	s_cmp_gt_i32 s2, 22
	s_mov_b32 s3, -1
	s_cbranch_scc0 .LBB43_3165
; %bb.3134:
	s_cmp_lt_i32 s2, 24
	s_cbranch_scc1 .LBB43_3154
; %bb.3135:
	s_cmp_gt_i32 s2, 24
	s_cbranch_scc0 .LBB43_3143
; %bb.3136:
	s_wait_xcnt 0x0
	v_cvt_f32_f64_e32 v2, v[12:13]
	v_mov_b32_e32 v4, 0x80
	s_mov_b32 s3, exec_lo
	s_delay_alu instid0(VALU_DEP_2) | instskip(NEXT) | instid1(VALU_DEP_1)
	v_and_b32_e32 v3, 0x7fffffff, v2
	v_cmpx_gt_u32_e32 0x47800000, v3
	s_cbranch_execz .LBB43_3142
; %bb.3137:
	v_cmp_lt_u32_e32 vcc_lo, 0x37ffffff, v3
	s_mov_b32 s4, 0
                                        ; implicit-def: $vgpr3
	s_and_saveexec_b32 s5, vcc_lo
	s_delay_alu instid0(SALU_CYCLE_1)
	s_xor_b32 s5, exec_lo, s5
	s_cbranch_execz .LBB43_3195
; %bb.3138:
	v_bfe_u32 v3, v2, 21, 1
	s_mov_b32 s4, exec_lo
	s_delay_alu instid0(VALU_DEP_1) | instskip(NEXT) | instid1(VALU_DEP_1)
	v_add3_u32 v3, v2, v3, 0x88fffff
	v_lshrrev_b32_e32 v3, 21, v3
	s_and_not1_saveexec_b32 s5, s5
	s_cbranch_execnz .LBB43_3196
.LBB43_3139:
	s_or_b32 exec_lo, exec_lo, s5
	v_mov_b32_e32 v4, 0
	s_and_saveexec_b32 s5, s4
.LBB43_3140:
	v_lshrrev_b32_e32 v2, 24, v2
	s_delay_alu instid0(VALU_DEP_1)
	v_and_or_b32 v4, 0x80, v2, v3
.LBB43_3141:
	s_or_b32 exec_lo, exec_lo, s5
.LBB43_3142:
	s_delay_alu instid0(SALU_CYCLE_1)
	s_or_b32 exec_lo, exec_lo, s3
	s_mov_b32 s3, 0
	global_store_b8 v[0:1], v4, off
.LBB43_3143:
	s_and_b32 vcc_lo, exec_lo, s3
	s_cbranch_vccz .LBB43_3153
; %bb.3144:
	s_wait_xcnt 0x0
	v_cvt_f32_f64_e32 v2, v[12:13]
	s_mov_b32 s3, exec_lo
                                        ; implicit-def: $vgpr3
	s_delay_alu instid0(VALU_DEP_1) | instskip(NEXT) | instid1(VALU_DEP_1)
	v_and_b32_e32 v4, 0x7fffffff, v2
	v_cmpx_gt_u32_e32 0x43f00000, v4
	s_xor_b32 s3, exec_lo, s3
	s_cbranch_execz .LBB43_3150
; %bb.3145:
	s_mov_b32 s4, exec_lo
                                        ; implicit-def: $vgpr3
	v_cmpx_lt_u32_e32 0x3c7fffff, v4
	s_xor_b32 s4, exec_lo, s4
; %bb.3146:
	v_bfe_u32 v3, v2, 20, 1
	s_delay_alu instid0(VALU_DEP_1) | instskip(NEXT) | instid1(VALU_DEP_1)
	v_add3_u32 v3, v2, v3, 0x407ffff
	v_and_b32_e32 v4, 0xff00000, v3
	v_lshrrev_b32_e32 v3, 20, v3
	s_delay_alu instid0(VALU_DEP_2) | instskip(NEXT) | instid1(VALU_DEP_2)
	v_cmp_ne_u32_e32 vcc_lo, 0x7f00000, v4
	v_cndmask_b32_e32 v3, 0x7e, v3, vcc_lo
; %bb.3147:
	s_and_not1_saveexec_b32 s4, s4
; %bb.3148:
	v_add_f32_e64 v3, 0x46800000, |v2|
; %bb.3149:
	s_or_b32 exec_lo, exec_lo, s4
                                        ; implicit-def: $vgpr4
.LBB43_3150:
	s_and_not1_saveexec_b32 s3, s3
; %bb.3151:
	v_mov_b32_e32 v3, 0x7f
	v_cmp_lt_u32_e32 vcc_lo, 0x7f800000, v4
	s_delay_alu instid0(VALU_DEP_2)
	v_cndmask_b32_e32 v3, 0x7e, v3, vcc_lo
; %bb.3152:
	s_or_b32 exec_lo, exec_lo, s3
	v_lshrrev_b32_e32 v2, 24, v2
	s_delay_alu instid0(VALU_DEP_1)
	v_and_or_b32 v2, 0x80, v2, v3
	global_store_b8 v[0:1], v2, off
.LBB43_3153:
	s_mov_b32 s3, 0
.LBB43_3154:
	s_delay_alu instid0(SALU_CYCLE_1)
	s_and_not1_b32 vcc_lo, exec_lo, s3
	s_cbranch_vccnz .LBB43_3164
; %bb.3155:
	s_wait_xcnt 0x0
	v_cvt_f32_f64_e32 v2, v[12:13]
	s_mov_b32 s3, exec_lo
                                        ; implicit-def: $vgpr3
	s_delay_alu instid0(VALU_DEP_1) | instskip(NEXT) | instid1(VALU_DEP_1)
	v_and_b32_e32 v4, 0x7fffffff, v2
	v_cmpx_gt_u32_e32 0x47800000, v4
	s_xor_b32 s3, exec_lo, s3
	s_cbranch_execz .LBB43_3161
; %bb.3156:
	s_mov_b32 s4, exec_lo
                                        ; implicit-def: $vgpr3
	v_cmpx_lt_u32_e32 0x387fffff, v4
	s_xor_b32 s4, exec_lo, s4
; %bb.3157:
	v_bfe_u32 v3, v2, 21, 1
	s_delay_alu instid0(VALU_DEP_1) | instskip(NEXT) | instid1(VALU_DEP_1)
	v_add3_u32 v3, v2, v3, 0x80fffff
	v_lshrrev_b32_e32 v3, 21, v3
; %bb.3158:
	s_and_not1_saveexec_b32 s4, s4
; %bb.3159:
	v_add_f32_e64 v3, 0x43000000, |v2|
; %bb.3160:
	s_or_b32 exec_lo, exec_lo, s4
                                        ; implicit-def: $vgpr4
.LBB43_3161:
	s_and_not1_saveexec_b32 s3, s3
; %bb.3162:
	v_mov_b32_e32 v3, 0x7f
	v_cmp_lt_u32_e32 vcc_lo, 0x7f800000, v4
	s_delay_alu instid0(VALU_DEP_2)
	v_cndmask_b32_e32 v3, 0x7c, v3, vcc_lo
; %bb.3163:
	s_or_b32 exec_lo, exec_lo, s3
	v_lshrrev_b32_e32 v2, 24, v2
	s_delay_alu instid0(VALU_DEP_1)
	v_and_or_b32 v2, 0x80, v2, v3
	global_store_b8 v[0:1], v2, off
.LBB43_3164:
	s_mov_b32 s3, 0
.LBB43_3165:
	s_delay_alu instid0(SALU_CYCLE_1)
	s_and_not1_b32 vcc_lo, exec_lo, s3
	s_mov_b32 s3, 0
	s_cbranch_vccnz .LBB43_3172
; %bb.3166:
	s_cmp_gt_i32 s2, 14
	s_mov_b32 s3, -1
	s_cbranch_scc0 .LBB43_3170
; %bb.3167:
	s_cmp_eq_u32 s2, 15
	s_mov_b32 s0, -1
	s_cbranch_scc0 .LBB43_3169
; %bb.3168:
	s_wait_xcnt 0x0
	v_cvt_f32_f64_e32 v2, v[12:13]
	s_mov_b32 s0, 0
	s_delay_alu instid0(VALU_DEP_1) | instskip(SKIP_1) | instid1(VALU_DEP_2)
	v_bfe_u32 v3, v2, 16, 1
	v_cmp_o_f32_e32 vcc_lo, v2, v2
	v_add3_u32 v3, v2, v3, 0x7fff
	s_delay_alu instid0(VALU_DEP_1) | instskip(NEXT) | instid1(VALU_DEP_1)
	v_lshrrev_b32_e32 v3, 16, v3
	v_cndmask_b32_e32 v2, 0x7fc0, v3, vcc_lo
	global_store_b16 v[0:1], v2, off
.LBB43_3169:
	s_mov_b32 s3, 0
.LBB43_3170:
	s_delay_alu instid0(SALU_CYCLE_1)
	s_and_b32 vcc_lo, exec_lo, s3
	s_mov_b32 s3, 0
	s_cbranch_vccz .LBB43_3172
; %bb.3171:
	s_cmp_lg_u32 s2, 11
	s_mov_b32 s3, -1
	s_cselect_b32 s0, -1, 0
.LBB43_3172:
	s_delay_alu instid0(SALU_CYCLE_1)
	s_and_b32 vcc_lo, exec_lo, s0
	s_cbranch_vccnz .LBB43_3194
.LBB43_3173:
	s_mov_b32 s0, 0
	s_branch .LBB43_2775
.LBB43_3174:
	s_mov_b32 s0, 0
	s_mov_b32 s3, 0
                                        ; implicit-def: $vgpr0_vgpr1
                                        ; implicit-def: $sgpr6
	s_branch .LBB43_2775
.LBB43_3175:
	s_mov_b32 s3, 0
	s_mov_b32 s0, -1
	s_branch .LBB43_2775
.LBB43_3176:
	s_or_b32 s1, s1, exec_lo
	s_trap 2
	s_cbranch_execz .LBB43_2642
	s_branch .LBB43_2643
.LBB43_3177:
	s_and_not1_saveexec_b32 s9, s9
	s_cbranch_execz .LBB43_2724
.LBB43_3178:
	v_add_f32_e64 v3, 0x46000000, |v2|
	s_and_not1_b32 s8, s8, exec_lo
	s_delay_alu instid0(VALU_DEP_1) | instskip(NEXT) | instid1(VALU_DEP_1)
	v_and_b32_e32 v3, 0xff, v3
	v_cmp_ne_u32_e32 vcc_lo, 0, v3
	s_and_b32 s10, vcc_lo, exec_lo
	s_delay_alu instid0(SALU_CYCLE_1)
	s_or_b32 s8, s8, s10
	s_or_b32 exec_lo, exec_lo, s9
	v_mov_b32_e32 v7, 0
	s_and_saveexec_b32 s9, s8
	s_cbranch_execnz .LBB43_2725
	s_branch .LBB43_2726
.LBB43_3179:
	s_or_b32 s1, s1, exec_lo
	s_trap 2
	s_cbranch_execz .LBB43_2772
	s_branch .LBB43_2773
.LBB43_3180:
	s_and_not1_saveexec_b32 s8, s8
	s_cbranch_execz .LBB43_2737
.LBB43_3181:
	v_add_f32_e64 v3, 0x42800000, |v2|
	s_and_not1_b32 s7, s7, exec_lo
	s_delay_alu instid0(VALU_DEP_1) | instskip(NEXT) | instid1(VALU_DEP_1)
	v_and_b32_e32 v3, 0xff, v3
	v_cmp_ne_u32_e32 vcc_lo, 0, v3
	s_and_b32 s9, vcc_lo, exec_lo
	s_delay_alu instid0(SALU_CYCLE_1)
	s_or_b32 s7, s7, s9
	s_or_b32 exec_lo, exec_lo, s8
	v_mov_b32_e32 v7, 0
	s_and_saveexec_b32 s8, s7
	s_cbranch_execnz .LBB43_2738
	s_branch .LBB43_2739
.LBB43_3182:
	s_and_not1_saveexec_b32 s9, s9
	s_cbranch_execz .LBB43_2888
.LBB43_3183:
	v_add_f32_e64 v3, 0x46000000, |v2|
	s_and_not1_b32 s8, s8, exec_lo
	s_delay_alu instid0(VALU_DEP_1) | instskip(NEXT) | instid1(VALU_DEP_1)
	v_and_b32_e32 v3, 0xff, v3
	v_cmp_ne_u32_e32 vcc_lo, 0, v3
	s_and_b32 s10, vcc_lo, exec_lo
	s_delay_alu instid0(SALU_CYCLE_1)
	s_or_b32 s8, s8, s10
	s_or_b32 exec_lo, exec_lo, s9
	v_mov_b32_e32 v6, 0
	s_and_saveexec_b32 s9, s8
	s_cbranch_execnz .LBB43_2889
	s_branch .LBB43_2890
.LBB43_3184:
	s_or_b32 s1, s1, exec_lo
	s_trap 2
	s_cbranch_execz .LBB43_2936
	s_branch .LBB43_2937
.LBB43_3185:
	s_and_not1_saveexec_b32 s8, s8
	s_cbranch_execz .LBB43_2901
.LBB43_3186:
	v_add_f32_e64 v3, 0x42800000, |v2|
	s_and_not1_b32 s7, s7, exec_lo
	s_delay_alu instid0(VALU_DEP_1) | instskip(NEXT) | instid1(VALU_DEP_1)
	v_and_b32_e32 v3, 0xff, v3
	v_cmp_ne_u32_e32 vcc_lo, 0, v3
	s_and_b32 s9, vcc_lo, exec_lo
	s_delay_alu instid0(SALU_CYCLE_1)
	s_or_b32 s7, s7, s9
	s_or_b32 exec_lo, exec_lo, s8
	v_mov_b32_e32 v6, 0
	s_and_saveexec_b32 s8, s7
	s_cbranch_execnz .LBB43_2902
	s_branch .LBB43_2903
.LBB43_3187:
	s_and_not1_saveexec_b32 s9, s9
	s_cbranch_execz .LBB43_3007
.LBB43_3188:
	v_add_f32_e64 v3, 0x46000000, |v2|
	s_and_not1_b32 s8, s8, exec_lo
	s_delay_alu instid0(VALU_DEP_1) | instskip(NEXT) | instid1(VALU_DEP_1)
	v_and_b32_e32 v3, 0xff, v3
	v_cmp_ne_u32_e32 vcc_lo, 0, v3
	s_and_b32 s10, vcc_lo, exec_lo
	s_delay_alu instid0(SALU_CYCLE_1)
	s_or_b32 s8, s8, s10
	s_or_b32 exec_lo, exec_lo, s9
	v_mov_b32_e32 v4, 0
	s_and_saveexec_b32 s9, s8
	s_cbranch_execnz .LBB43_3008
	s_branch .LBB43_3009
.LBB43_3189:
	s_or_b32 s1, s1, exec_lo
	s_trap 2
	s_cbranch_execz .LBB43_3055
	s_branch .LBB43_3056
.LBB43_3190:
	s_and_not1_saveexec_b32 s8, s8
	s_cbranch_execz .LBB43_3020
.LBB43_3191:
	v_add_f32_e64 v3, 0x42800000, |v2|
	s_and_not1_b32 s7, s7, exec_lo
	s_delay_alu instid0(VALU_DEP_1) | instskip(NEXT) | instid1(VALU_DEP_1)
	v_and_b32_e32 v3, 0xff, v3
	v_cmp_ne_u32_e32 vcc_lo, 0, v3
	s_and_b32 s9, vcc_lo, exec_lo
	s_delay_alu instid0(SALU_CYCLE_1)
	s_or_b32 s7, s7, s9
	s_or_b32 exec_lo, exec_lo, s8
	v_mov_b32_e32 v4, 0
	s_and_saveexec_b32 s8, s7
	s_cbranch_execnz .LBB43_3021
	s_branch .LBB43_3022
.LBB43_3192:
	s_and_not1_saveexec_b32 s7, s7
	s_cbranch_execz .LBB43_3127
.LBB43_3193:
	v_add_f32_e64 v3, 0x46000000, |v2|
	s_and_not1_b32 s5, s5, exec_lo
	s_delay_alu instid0(VALU_DEP_1) | instskip(NEXT) | instid1(VALU_DEP_1)
	v_and_b32_e32 v3, 0xff, v3
	v_cmp_ne_u32_e32 vcc_lo, 0, v3
	s_and_b32 s8, vcc_lo, exec_lo
	s_delay_alu instid0(SALU_CYCLE_1)
	s_or_b32 s5, s5, s8
	s_or_b32 exec_lo, exec_lo, s7
	v_mov_b32_e32 v4, 0
	s_and_saveexec_b32 s7, s5
	s_cbranch_execnz .LBB43_3128
	s_branch .LBB43_3129
.LBB43_3194:
	s_mov_b32 s3, 0
	s_or_b32 s1, s1, exec_lo
	s_trap 2
	s_branch .LBB43_3173
.LBB43_3195:
	s_and_not1_saveexec_b32 s5, s5
	s_cbranch_execz .LBB43_3139
.LBB43_3196:
	v_add_f32_e64 v3, 0x42800000, |v2|
	s_and_not1_b32 s4, s4, exec_lo
	s_delay_alu instid0(VALU_DEP_1) | instskip(NEXT) | instid1(VALU_DEP_1)
	v_and_b32_e32 v3, 0xff, v3
	v_cmp_ne_u32_e32 vcc_lo, 0, v3
	s_and_b32 s7, vcc_lo, exec_lo
	s_delay_alu instid0(SALU_CYCLE_1)
	s_or_b32 s4, s4, s7
	s_or_b32 exec_lo, exec_lo, s5
	v_mov_b32_e32 v4, 0
	s_and_saveexec_b32 s5, s4
	s_cbranch_execnz .LBB43_3140
	s_branch .LBB43_3141
	.section	.rodata,"a",@progbits
	.p2align	6, 0x0
	.amdhsa_kernel _ZN2at6native32elementwise_kernel_manual_unrollILi128ELi4EZNS0_15gpu_kernel_implIZZZNS0_12_GLOBAL__N_124softplus_backward_kernelERNS_18TensorIteratorBaseERKN3c106ScalarES9_ENKUlvE_clEvENKUlvE_clEvEUlddE_EEvS5_RKT_EUlibE0_EEviT1_
		.amdhsa_group_segment_fixed_size 0
		.amdhsa_private_segment_fixed_size 0
		.amdhsa_kernarg_size 448
		.amdhsa_user_sgpr_count 2
		.amdhsa_user_sgpr_dispatch_ptr 0
		.amdhsa_user_sgpr_queue_ptr 0
		.amdhsa_user_sgpr_kernarg_segment_ptr 1
		.amdhsa_user_sgpr_dispatch_id 0
		.amdhsa_user_sgpr_kernarg_preload_length 0
		.amdhsa_user_sgpr_kernarg_preload_offset 0
		.amdhsa_user_sgpr_private_segment_size 0
		.amdhsa_wavefront_size32 1
		.amdhsa_uses_dynamic_stack 0
		.amdhsa_enable_private_segment 0
		.amdhsa_system_sgpr_workgroup_id_x 1
		.amdhsa_system_sgpr_workgroup_id_y 0
		.amdhsa_system_sgpr_workgroup_id_z 0
		.amdhsa_system_sgpr_workgroup_info 0
		.amdhsa_system_vgpr_workitem_id 0
		.amdhsa_next_free_vgpr 32
		.amdhsa_next_free_sgpr 64
		.amdhsa_named_barrier_count 0
		.amdhsa_reserve_vcc 1
		.amdhsa_float_round_mode_32 0
		.amdhsa_float_round_mode_16_64 0
		.amdhsa_float_denorm_mode_32 3
		.amdhsa_float_denorm_mode_16_64 3
		.amdhsa_fp16_overflow 0
		.amdhsa_memory_ordered 1
		.amdhsa_forward_progress 1
		.amdhsa_inst_pref_size 255
		.amdhsa_round_robin_scheduling 0
		.amdhsa_exception_fp_ieee_invalid_op 0
		.amdhsa_exception_fp_denorm_src 0
		.amdhsa_exception_fp_ieee_div_zero 0
		.amdhsa_exception_fp_ieee_overflow 0
		.amdhsa_exception_fp_ieee_underflow 0
		.amdhsa_exception_fp_ieee_inexact 0
		.amdhsa_exception_int_div_zero 0
	.end_amdhsa_kernel
	.section	.text._ZN2at6native32elementwise_kernel_manual_unrollILi128ELi4EZNS0_15gpu_kernel_implIZZZNS0_12_GLOBAL__N_124softplus_backward_kernelERNS_18TensorIteratorBaseERKN3c106ScalarES9_ENKUlvE_clEvENKUlvE_clEvEUlddE_EEvS5_RKT_EUlibE0_EEviT1_,"axG",@progbits,_ZN2at6native32elementwise_kernel_manual_unrollILi128ELi4EZNS0_15gpu_kernel_implIZZZNS0_12_GLOBAL__N_124softplus_backward_kernelERNS_18TensorIteratorBaseERKN3c106ScalarES9_ENKUlvE_clEvENKUlvE_clEvEUlddE_EEvS5_RKT_EUlibE0_EEviT1_,comdat
.Lfunc_end43:
	.size	_ZN2at6native32elementwise_kernel_manual_unrollILi128ELi4EZNS0_15gpu_kernel_implIZZZNS0_12_GLOBAL__N_124softplus_backward_kernelERNS_18TensorIteratorBaseERKN3c106ScalarES9_ENKUlvE_clEvENKUlvE_clEvEUlddE_EEvS5_RKT_EUlibE0_EEviT1_, .Lfunc_end43-_ZN2at6native32elementwise_kernel_manual_unrollILi128ELi4EZNS0_15gpu_kernel_implIZZZNS0_12_GLOBAL__N_124softplus_backward_kernelERNS_18TensorIteratorBaseERKN3c106ScalarES9_ENKUlvE_clEvENKUlvE_clEvEUlddE_EEvS5_RKT_EUlibE0_EEviT1_
                                        ; -- End function
	.set _ZN2at6native32elementwise_kernel_manual_unrollILi128ELi4EZNS0_15gpu_kernel_implIZZZNS0_12_GLOBAL__N_124softplus_backward_kernelERNS_18TensorIteratorBaseERKN3c106ScalarES9_ENKUlvE_clEvENKUlvE_clEvEUlddE_EEvS5_RKT_EUlibE0_EEviT1_.num_vgpr, 32
	.set _ZN2at6native32elementwise_kernel_manual_unrollILi128ELi4EZNS0_15gpu_kernel_implIZZZNS0_12_GLOBAL__N_124softplus_backward_kernelERNS_18TensorIteratorBaseERKN3c106ScalarES9_ENKUlvE_clEvENKUlvE_clEvEUlddE_EEvS5_RKT_EUlibE0_EEviT1_.num_agpr, 0
	.set _ZN2at6native32elementwise_kernel_manual_unrollILi128ELi4EZNS0_15gpu_kernel_implIZZZNS0_12_GLOBAL__N_124softplus_backward_kernelERNS_18TensorIteratorBaseERKN3c106ScalarES9_ENKUlvE_clEvENKUlvE_clEvEUlddE_EEvS5_RKT_EUlibE0_EEviT1_.numbered_sgpr, 64
	.set _ZN2at6native32elementwise_kernel_manual_unrollILi128ELi4EZNS0_15gpu_kernel_implIZZZNS0_12_GLOBAL__N_124softplus_backward_kernelERNS_18TensorIteratorBaseERKN3c106ScalarES9_ENKUlvE_clEvENKUlvE_clEvEUlddE_EEvS5_RKT_EUlibE0_EEviT1_.num_named_barrier, 0
	.set _ZN2at6native32elementwise_kernel_manual_unrollILi128ELi4EZNS0_15gpu_kernel_implIZZZNS0_12_GLOBAL__N_124softplus_backward_kernelERNS_18TensorIteratorBaseERKN3c106ScalarES9_ENKUlvE_clEvENKUlvE_clEvEUlddE_EEvS5_RKT_EUlibE0_EEviT1_.private_seg_size, 0
	.set _ZN2at6native32elementwise_kernel_manual_unrollILi128ELi4EZNS0_15gpu_kernel_implIZZZNS0_12_GLOBAL__N_124softplus_backward_kernelERNS_18TensorIteratorBaseERKN3c106ScalarES9_ENKUlvE_clEvENKUlvE_clEvEUlddE_EEvS5_RKT_EUlibE0_EEviT1_.uses_vcc, 1
	.set _ZN2at6native32elementwise_kernel_manual_unrollILi128ELi4EZNS0_15gpu_kernel_implIZZZNS0_12_GLOBAL__N_124softplus_backward_kernelERNS_18TensorIteratorBaseERKN3c106ScalarES9_ENKUlvE_clEvENKUlvE_clEvEUlddE_EEvS5_RKT_EUlibE0_EEviT1_.uses_flat_scratch, 0
	.set _ZN2at6native32elementwise_kernel_manual_unrollILi128ELi4EZNS0_15gpu_kernel_implIZZZNS0_12_GLOBAL__N_124softplus_backward_kernelERNS_18TensorIteratorBaseERKN3c106ScalarES9_ENKUlvE_clEvENKUlvE_clEvEUlddE_EEvS5_RKT_EUlibE0_EEviT1_.has_dyn_sized_stack, 0
	.set _ZN2at6native32elementwise_kernel_manual_unrollILi128ELi4EZNS0_15gpu_kernel_implIZZZNS0_12_GLOBAL__N_124softplus_backward_kernelERNS_18TensorIteratorBaseERKN3c106ScalarES9_ENKUlvE_clEvENKUlvE_clEvEUlddE_EEvS5_RKT_EUlibE0_EEviT1_.has_recursion, 0
	.set _ZN2at6native32elementwise_kernel_manual_unrollILi128ELi4EZNS0_15gpu_kernel_implIZZZNS0_12_GLOBAL__N_124softplus_backward_kernelERNS_18TensorIteratorBaseERKN3c106ScalarES9_ENKUlvE_clEvENKUlvE_clEvEUlddE_EEvS5_RKT_EUlibE0_EEviT1_.has_indirect_call, 0
	.section	.AMDGPU.csdata,"",@progbits
; Kernel info:
; codeLenInByte = 68488
; TotalNumSgprs: 66
; NumVgprs: 32
; ScratchSize: 0
; MemoryBound: 1
; FloatMode: 240
; IeeeMode: 1
; LDSByteSize: 0 bytes/workgroup (compile time only)
; SGPRBlocks: 0
; VGPRBlocks: 1
; NumSGPRsForWavesPerEU: 66
; NumVGPRsForWavesPerEU: 32
; NamedBarCnt: 0
; Occupancy: 16
; WaveLimiterHint : 1
; COMPUTE_PGM_RSRC2:SCRATCH_EN: 0
; COMPUTE_PGM_RSRC2:USER_SGPR: 2
; COMPUTE_PGM_RSRC2:TRAP_HANDLER: 0
; COMPUTE_PGM_RSRC2:TGID_X_EN: 1
; COMPUTE_PGM_RSRC2:TGID_Y_EN: 0
; COMPUTE_PGM_RSRC2:TGID_Z_EN: 0
; COMPUTE_PGM_RSRC2:TIDIG_COMP_CNT: 0
	.section	.text._ZN2at6native29vectorized_elementwise_kernelILi16EZZZNS0_12_GLOBAL__N_124softplus_backward_kernelERNS_18TensorIteratorBaseERKN3c106ScalarES8_ENKUlvE_clEvENKUlvE0_clEvEUlffE_St5arrayIPcLm3EEEEviT0_T1_,"axG",@progbits,_ZN2at6native29vectorized_elementwise_kernelILi16EZZZNS0_12_GLOBAL__N_124softplus_backward_kernelERNS_18TensorIteratorBaseERKN3c106ScalarES8_ENKUlvE_clEvENKUlvE0_clEvEUlffE_St5arrayIPcLm3EEEEviT0_T1_,comdat
	.globl	_ZN2at6native29vectorized_elementwise_kernelILi16EZZZNS0_12_GLOBAL__N_124softplus_backward_kernelERNS_18TensorIteratorBaseERKN3c106ScalarES8_ENKUlvE_clEvENKUlvE0_clEvEUlffE_St5arrayIPcLm3EEEEviT0_T1_ ; -- Begin function _ZN2at6native29vectorized_elementwise_kernelILi16EZZZNS0_12_GLOBAL__N_124softplus_backward_kernelERNS_18TensorIteratorBaseERKN3c106ScalarES8_ENKUlvE_clEvENKUlvE0_clEvEUlffE_St5arrayIPcLm3EEEEviT0_T1_
	.p2align	8
	.type	_ZN2at6native29vectorized_elementwise_kernelILi16EZZZNS0_12_GLOBAL__N_124softplus_backward_kernelERNS_18TensorIteratorBaseERKN3c106ScalarES8_ENKUlvE_clEvENKUlvE0_clEvEUlffE_St5arrayIPcLm3EEEEviT0_T1_,@function
_ZN2at6native29vectorized_elementwise_kernelILi16EZZZNS0_12_GLOBAL__N_124softplus_backward_kernelERNS_18TensorIteratorBaseERKN3c106ScalarES8_ENKUlvE_clEvENKUlvE0_clEvEUlffE_St5arrayIPcLm3EEEEviT0_T1_: ; @_ZN2at6native29vectorized_elementwise_kernelILi16EZZZNS0_12_GLOBAL__N_124softplus_backward_kernelERNS_18TensorIteratorBaseERKN3c106ScalarES8_ENKUlvE_clEvENKUlvE0_clEvEUlffE_St5arrayIPcLm3EEEEviT0_T1_
; %bb.0:
	s_clause 0x2
	s_load_b96 s[8:10], s[0:1], 0x0
	s_load_b128 s[4:7], s[0:1], 0x10
	s_load_b64 s[12:13], s[0:1], 0x20
	s_wait_xcnt 0x0
	s_bfe_u32 s0, ttmp6, 0x4000c
	s_and_b32 s1, ttmp6, 15
	s_add_co_i32 s0, s0, 1
	s_getreg_b32 s2, hwreg(HW_REG_IB_STS2, 6, 4)
	s_mul_i32 s0, ttmp9, s0
	s_delay_alu instid0(SALU_CYCLE_1) | instskip(SKIP_2) | instid1(SALU_CYCLE_1)
	s_add_co_i32 s1, s1, s0
	s_cmp_eq_u32 s2, 0
	s_cselect_b32 s0, ttmp9, s1
	s_lshl_b32 s2, s0, 10
	s_mov_b32 s0, -1
	s_wait_kmcnt 0x0
	s_sub_co_i32 s8, s8, s2
	s_delay_alu instid0(SALU_CYCLE_1)
	s_cmp_gt_i32 s8, 0x3ff
	s_cbranch_scc0 .LBB44_10
; %bb.1:
	s_ashr_i32 s3, s2, 31
	s_delay_alu instid0(SALU_CYCLE_1)
	s_lshl_b64 s[0:1], s[2:3], 2
	s_mov_b32 s3, exec_lo
	s_add_nc_u64 s[14:15], s[12:13], s[0:1]
	global_load_b128 v[6:9], v0, s[14:15] scale_offset
	s_wait_xcnt 0x0
	s_add_nc_u64 s[14:15], s[6:7], s[0:1]
	global_load_b128 v[2:5], v0, s[14:15] scale_offset
	s_wait_loadcnt 0x1
	v_mul_f32_e32 v1, s9, v6
	s_wait_xcnt 0x0
	s_delay_alu instid0(VALU_DEP_1)
	v_cmpx_nlt_f32_e32 s10, v1
	s_cbranch_execz .LBB44_3
; %bb.2:
	v_mul_f32_e32 v6, 0x3fb8aa3b, v1
	v_cmp_ngt_f32_e32 vcc_lo, 0xc2ce8ed0, v1
	s_delay_alu instid0(VALU_DEP_2) | instskip(SKIP_1) | instid1(VALU_DEP_1)
	v_rndne_f32_e32 v10, v6
	v_fma_f32 v11, 0x3fb8aa3b, v1, -v6
	v_dual_sub_f32 v6, v6, v10 :: v_dual_fmamk_f32 v11, v1, 0x32a5705f, v11
	v_cvt_i32_f32_e32 v10, v10
	s_delay_alu instid0(VALU_DEP_2) | instskip(NEXT) | instid1(VALU_DEP_1)
	v_add_f32_e32 v6, v6, v11
	v_exp_f32_e32 v6, v6
	v_nop
	s_delay_alu instid0(TRANS32_DEP_1) | instskip(NEXT) | instid1(VALU_DEP_1)
	v_ldexp_f32 v6, v6, v10
	v_cndmask_b32_e32 v6, 0, v6, vcc_lo
	v_cmp_nlt_f32_e32 vcc_lo, 0x42b17218, v1
	s_delay_alu instid0(VALU_DEP_2) | instskip(SKIP_1) | instid1(VALU_DEP_1)
	v_cndmask_b32_e32 v1, 0x7f800000, v6, vcc_lo
	s_wait_loadcnt 0x0
	v_dual_mul_f32 v2, v2, v1 :: v_dual_add_f32 v1, 1.0, v1
	s_delay_alu instid0(VALU_DEP_1) | instskip(NEXT) | instid1(VALU_DEP_1)
	v_div_scale_f32 v6, null, v1, v1, v2
	v_rcp_f32_e32 v10, v6
	v_nop
	s_delay_alu instid0(TRANS32_DEP_1) | instskip(NEXT) | instid1(VALU_DEP_1)
	v_fma_f32 v11, -v6, v10, 1.0
	v_fmac_f32_e32 v10, v11, v10
	v_div_scale_f32 v11, vcc_lo, v2, v1, v2
	s_delay_alu instid0(VALU_DEP_1) | instskip(NEXT) | instid1(VALU_DEP_1)
	v_mul_f32_e32 v12, v11, v10
	v_fma_f32 v13, -v6, v12, v11
	s_delay_alu instid0(VALU_DEP_1) | instskip(NEXT) | instid1(VALU_DEP_1)
	v_fmac_f32_e32 v12, v13, v10
	v_fma_f32 v6, -v6, v12, v11
	s_delay_alu instid0(VALU_DEP_1) | instskip(NEXT) | instid1(VALU_DEP_1)
	v_div_fmas_f32 v6, v6, v10, v12
	v_div_fixup_f32 v2, v6, v1, v2
.LBB44_3:
	s_or_b32 exec_lo, exec_lo, s3
	v_mul_f32_e32 v1, s9, v7
	s_mov_b32 s3, exec_lo
	s_delay_alu instid0(VALU_DEP_1)
	v_cmpx_nlt_f32_e32 s10, v1
	s_cbranch_execz .LBB44_5
; %bb.4:
	v_mul_f32_e32 v6, 0x3fb8aa3b, v1
	v_cmp_ngt_f32_e32 vcc_lo, 0xc2ce8ed0, v1
	s_delay_alu instid0(VALU_DEP_2) | instskip(SKIP_1) | instid1(VALU_DEP_2)
	v_rndne_f32_e32 v7, v6
	v_fma_f32 v10, 0x3fb8aa3b, v1, -v6
	v_sub_f32_e32 v6, v6, v7
	s_delay_alu instid0(VALU_DEP_2) | instskip(SKIP_1) | instid1(VALU_DEP_2)
	v_fmamk_f32 v10, v1, 0x32a5705f, v10
	v_cvt_i32_f32_e32 v7, v7
	v_add_f32_e32 v6, v6, v10
	s_delay_alu instid0(VALU_DEP_1) | instskip(SKIP_1) | instid1(TRANS32_DEP_1)
	v_exp_f32_e32 v6, v6
	v_nop
	v_ldexp_f32 v6, v6, v7
	s_delay_alu instid0(VALU_DEP_1) | instskip(SKIP_1) | instid1(VALU_DEP_2)
	v_cndmask_b32_e32 v6, 0, v6, vcc_lo
	v_cmp_nlt_f32_e32 vcc_lo, 0x42b17218, v1
	v_cndmask_b32_e32 v1, 0x7f800000, v6, vcc_lo
	s_wait_loadcnt 0x0
	s_delay_alu instid0(VALU_DEP_1) | instskip(NEXT) | instid1(VALU_DEP_1)
	v_dual_mul_f32 v3, v3, v1 :: v_dual_add_f32 v1, 1.0, v1
	v_div_scale_f32 v6, null, v1, v1, v3
	s_delay_alu instid0(VALU_DEP_1) | instskip(SKIP_1) | instid1(TRANS32_DEP_1)
	v_rcp_f32_e32 v7, v6
	v_nop
	v_fma_f32 v10, -v6, v7, 1.0
	s_delay_alu instid0(VALU_DEP_1) | instskip(SKIP_1) | instid1(VALU_DEP_1)
	v_fmac_f32_e32 v7, v10, v7
	v_div_scale_f32 v10, vcc_lo, v3, v1, v3
	v_mul_f32_e32 v11, v10, v7
	s_delay_alu instid0(VALU_DEP_1) | instskip(NEXT) | instid1(VALU_DEP_1)
	v_fma_f32 v12, -v6, v11, v10
	v_fmac_f32_e32 v11, v12, v7
	s_delay_alu instid0(VALU_DEP_1) | instskip(NEXT) | instid1(VALU_DEP_1)
	v_fma_f32 v6, -v6, v11, v10
	v_div_fmas_f32 v6, v6, v7, v11
	s_delay_alu instid0(VALU_DEP_1)
	v_div_fixup_f32 v3, v6, v1, v3
.LBB44_5:
	s_or_b32 exec_lo, exec_lo, s3
	v_mul_f32_e32 v1, s9, v8
	s_mov_b32 s3, exec_lo
	s_delay_alu instid0(VALU_DEP_1)
	v_cmpx_nlt_f32_e32 s10, v1
	s_cbranch_execz .LBB44_7
; %bb.6:
	v_mul_f32_e32 v6, 0x3fb8aa3b, v1
	v_cmp_ngt_f32_e32 vcc_lo, 0xc2ce8ed0, v1
	s_delay_alu instid0(VALU_DEP_2) | instskip(SKIP_1) | instid1(VALU_DEP_2)
	v_rndne_f32_e32 v7, v6
	v_fma_f32 v8, 0x3fb8aa3b, v1, -v6
	v_sub_f32_e32 v6, v6, v7
	s_delay_alu instid0(VALU_DEP_2) | instskip(SKIP_1) | instid1(VALU_DEP_2)
	v_fmamk_f32 v8, v1, 0x32a5705f, v8
	v_cvt_i32_f32_e32 v7, v7
	v_add_f32_e32 v6, v6, v8
	s_delay_alu instid0(VALU_DEP_1) | instskip(SKIP_1) | instid1(TRANS32_DEP_1)
	v_exp_f32_e32 v6, v6
	v_nop
	v_ldexp_f32 v6, v6, v7
	s_delay_alu instid0(VALU_DEP_1) | instskip(SKIP_1) | instid1(VALU_DEP_2)
	v_cndmask_b32_e32 v6, 0, v6, vcc_lo
	v_cmp_nlt_f32_e32 vcc_lo, 0x42b17218, v1
	v_cndmask_b32_e32 v1, 0x7f800000, v6, vcc_lo
	s_wait_loadcnt 0x0
	s_delay_alu instid0(VALU_DEP_1) | instskip(NEXT) | instid1(VALU_DEP_1)
	v_dual_mul_f32 v4, v4, v1 :: v_dual_add_f32 v1, 1.0, v1
	v_div_scale_f32 v6, null, v1, v1, v4
	s_delay_alu instid0(VALU_DEP_1) | instskip(SKIP_1) | instid1(TRANS32_DEP_1)
	v_rcp_f32_e32 v7, v6
	v_nop
	v_fma_f32 v8, -v6, v7, 1.0
	s_delay_alu instid0(VALU_DEP_1) | instskip(SKIP_1) | instid1(VALU_DEP_1)
	v_fmac_f32_e32 v7, v8, v7
	v_div_scale_f32 v8, vcc_lo, v4, v1, v4
	v_mul_f32_e32 v10, v8, v7
	s_delay_alu instid0(VALU_DEP_1) | instskip(NEXT) | instid1(VALU_DEP_1)
	v_fma_f32 v11, -v6, v10, v8
	v_fmac_f32_e32 v10, v11, v7
	s_delay_alu instid0(VALU_DEP_1) | instskip(NEXT) | instid1(VALU_DEP_1)
	v_fma_f32 v6, -v6, v10, v8
	v_div_fmas_f32 v6, v6, v7, v10
	s_delay_alu instid0(VALU_DEP_1)
	v_div_fixup_f32 v4, v6, v1, v4
.LBB44_7:
	;; [unrolled: 46-line block ×3, first 2 shown]
	s_or_b32 exec_lo, exec_lo, s3
	s_add_nc_u64 s[14:15], s[4:5], s[0:1]
	s_mov_b32 s0, 0
	s_wait_loadcnt 0x0
	global_store_b128 v0, v[2:5], s[14:15] scale_offset
.LBB44_10:
	s_and_b32 vcc_lo, exec_lo, s0
	s_cbranch_vccz .LBB44_37
; %bb.11:
	v_cmp_gt_i32_e64 s0, s8, v0
	v_dual_mov_b32 v14, 0 :: v_dual_bitop2_b32 v1, s2, v0 bitop3:0x54
	v_or_b32_e32 v10, 0x100, v0
	v_dual_mov_b32 v6, 0 :: v_dual_mov_b32 v7, 0
	s_wait_xcnt 0x0
	v_mov_b32_e32 v2, v0
	s_and_saveexec_b32 s1, s0
	s_cbranch_execz .LBB44_13
; %bb.12:
	s_clause 0x1
	global_load_b32 v6, v1, s[6:7] scale_offset
	global_load_b32 v7, v1, s[12:13] scale_offset
	v_or_b32_e32 v2, 0x100, v0
.LBB44_13:
	s_wait_xcnt 0x0
	s_or_b32 exec_lo, exec_lo, s1
	v_mov_b32_e32 v16, 0
	s_mov_b32 s1, exec_lo
	v_cmpx_gt_i32_e64 s8, v2
	s_cbranch_execz .LBB44_15
; %bb.14:
	v_add_nc_u32_e32 v3, s2, v2
	v_add_nc_u32_e32 v2, 0x100, v2
	s_clause 0x1
	global_load_b32 v14, v3, s[6:7] scale_offset
	global_load_b32 v16, v3, s[12:13] scale_offset
.LBB44_15:
	s_wait_xcnt 0x0
	s_or_b32 exec_lo, exec_lo, s1
	v_dual_mov_b32 v11, 0 :: v_dual_mov_b32 v13, 0
	v_mov_b32_e32 v15, 0
	s_mov_b32 s1, exec_lo
	v_cmpx_gt_i32_e64 s8, v2
	s_cbranch_execz .LBB44_17
; %bb.16:
	v_add_nc_u32_e32 v3, s2, v2
	v_add_nc_u32_e32 v2, 0x100, v2
	s_clause 0x1
	global_load_b32 v13, v3, s[6:7] scale_offset
	global_load_b32 v15, v3, s[12:13] scale_offset
.LBB44_17:
	s_wait_xcnt 0x0
	s_or_b32 exec_lo, exec_lo, s1
	v_mov_b32_e32 v12, 0
	s_mov_b32 s1, exec_lo
	v_cmpx_gt_i32_e64 s8, v2
	s_cbranch_execz .LBB44_19
; %bb.18:
	v_add_nc_u32_e32 v2, s2, v2
	s_clause 0x1
	global_load_b32 v11, v2, s[6:7] scale_offset
	global_load_b32 v12, v2, s[12:13] scale_offset
.LBB44_19:
	s_wait_xcnt 0x0
	s_or_b32 exec_lo, exec_lo, s1
	v_mov_b32_e32 v2, 0
	s_delay_alu instid0(VALU_DEP_1)
	v_dual_mov_b32 v3, v2 :: v_dual_mov_b32 v4, v2
	v_mov_b32_e32 v5, v2
	s_and_saveexec_b32 s1, s0
	s_cbranch_execz .LBB44_23
; %bb.20:
	s_wait_loadcnt 0x0
	v_mul_f32_e32 v2, s9, v7
	s_mov_b32 s3, exec_lo
	s_delay_alu instid0(VALU_DEP_1)
	v_cmpx_nlt_f32_e32 s10, v2
	s_cbranch_execz .LBB44_22
; %bb.21:
	v_mul_f32_e32 v3, 0x3fb8aa3b, v2
	v_cmp_ngt_f32_e32 vcc_lo, 0xc2ce8ed0, v2
	s_delay_alu instid0(VALU_DEP_2) | instskip(SKIP_1) | instid1(VALU_DEP_2)
	v_rndne_f32_e32 v4, v3
	v_fma_f32 v5, 0x3fb8aa3b, v2, -v3
	v_sub_f32_e32 v3, v3, v4
	s_delay_alu instid0(VALU_DEP_2) | instskip(SKIP_1) | instid1(VALU_DEP_2)
	v_fmamk_f32 v5, v2, 0x32a5705f, v5
	v_cvt_i32_f32_e32 v4, v4
	v_add_f32_e32 v3, v3, v5
	s_delay_alu instid0(VALU_DEP_1) | instskip(SKIP_1) | instid1(TRANS32_DEP_1)
	v_exp_f32_e32 v3, v3
	v_nop
	v_ldexp_f32 v3, v3, v4
	s_delay_alu instid0(VALU_DEP_1) | instskip(SKIP_1) | instid1(VALU_DEP_2)
	v_cndmask_b32_e32 v3, 0, v3, vcc_lo
	v_cmp_nlt_f32_e32 vcc_lo, 0x42b17218, v2
	v_cndmask_b32_e32 v2, 0x7f800000, v3, vcc_lo
	s_delay_alu instid0(VALU_DEP_1) | instskip(NEXT) | instid1(VALU_DEP_1)
	v_dual_mul_f32 v3, v6, v2 :: v_dual_add_f32 v2, 1.0, v2
	v_div_scale_f32 v4, null, v2, v2, v3
	s_delay_alu instid0(VALU_DEP_1) | instskip(SKIP_1) | instid1(TRANS32_DEP_1)
	v_rcp_f32_e32 v5, v4
	v_nop
	v_fma_f32 v6, -v4, v5, 1.0
	s_delay_alu instid0(VALU_DEP_1) | instskip(SKIP_1) | instid1(VALU_DEP_1)
	v_fmac_f32_e32 v5, v6, v5
	v_div_scale_f32 v6, vcc_lo, v3, v2, v3
	v_mul_f32_e32 v7, v6, v5
	s_delay_alu instid0(VALU_DEP_1) | instskip(NEXT) | instid1(VALU_DEP_1)
	v_fma_f32 v8, -v4, v7, v6
	v_fmac_f32_e32 v7, v8, v5
	s_delay_alu instid0(VALU_DEP_1) | instskip(NEXT) | instid1(VALU_DEP_1)
	v_fma_f32 v4, -v4, v7, v6
	v_div_fmas_f32 v4, v4, v5, v7
	s_delay_alu instid0(VALU_DEP_1)
	v_div_fixup_f32 v6, v4, v2, v3
.LBB44_22:
	s_or_b32 exec_lo, exec_lo, s3
	v_mov_b32_e32 v7, 0
	s_delay_alu instid0(VALU_DEP_1) | instskip(NEXT) | instid1(VALU_DEP_3)
	v_dual_mov_b32 v8, v7 :: v_dual_mov_b32 v9, v7
	v_mov_b64_e32 v[2:3], v[6:7]
	s_delay_alu instid0(VALU_DEP_2)
	v_mov_b64_e32 v[4:5], v[8:9]
.LBB44_23:
	s_or_b32 exec_lo, exec_lo, s1
	s_delay_alu instid0(SALU_CYCLE_1)
	s_mov_b32 s1, exec_lo
	v_cmpx_gt_i32_e64 s8, v10
	s_cbranch_execz .LBB44_27
; %bb.24:
	s_wait_loadcnt 0x0
	v_mul_f32_e32 v3, s9, v16
	s_mov_b32 s3, exec_lo
	s_delay_alu instid0(VALU_DEP_1)
	v_cmpx_nlt_f32_e32 s10, v3
	s_cbranch_execz .LBB44_26
; %bb.25:
	v_mul_f32_e32 v6, 0x3fb8aa3b, v3
	v_cmp_ngt_f32_e32 vcc_lo, 0xc2ce8ed0, v3
	s_delay_alu instid0(VALU_DEP_2) | instskip(SKIP_1) | instid1(VALU_DEP_2)
	v_rndne_f32_e32 v7, v6
	v_fma_f32 v8, 0x3fb8aa3b, v3, -v6
	v_sub_f32_e32 v6, v6, v7
	s_delay_alu instid0(VALU_DEP_2) | instskip(SKIP_1) | instid1(VALU_DEP_2)
	v_fmamk_f32 v8, v3, 0x32a5705f, v8
	v_cvt_i32_f32_e32 v7, v7
	v_add_f32_e32 v6, v6, v8
	s_delay_alu instid0(VALU_DEP_1) | instskip(SKIP_1) | instid1(TRANS32_DEP_1)
	v_exp_f32_e32 v6, v6
	v_nop
	v_ldexp_f32 v6, v6, v7
	s_delay_alu instid0(VALU_DEP_1) | instskip(SKIP_1) | instid1(VALU_DEP_2)
	v_cndmask_b32_e32 v6, 0, v6, vcc_lo
	v_cmp_nlt_f32_e32 vcc_lo, 0x42b17218, v3
	v_cndmask_b32_e32 v3, 0x7f800000, v6, vcc_lo
	s_delay_alu instid0(VALU_DEP_1) | instskip(NEXT) | instid1(VALU_DEP_1)
	v_dual_mul_f32 v6, v14, v3 :: v_dual_add_f32 v3, 1.0, v3
	v_div_scale_f32 v7, null, v3, v3, v6
	s_delay_alu instid0(VALU_DEP_1) | instskip(SKIP_1) | instid1(TRANS32_DEP_1)
	v_rcp_f32_e32 v8, v7
	v_nop
	v_fma_f32 v9, -v7, v8, 1.0
	s_delay_alu instid0(VALU_DEP_1) | instskip(SKIP_1) | instid1(VALU_DEP_1)
	v_fmac_f32_e32 v8, v9, v8
	v_div_scale_f32 v9, vcc_lo, v6, v3, v6
	v_mul_f32_e32 v14, v9, v8
	s_delay_alu instid0(VALU_DEP_1) | instskip(NEXT) | instid1(VALU_DEP_1)
	v_fma_f32 v16, -v7, v14, v9
	v_fmac_f32_e32 v14, v16, v8
	s_delay_alu instid0(VALU_DEP_1) | instskip(NEXT) | instid1(VALU_DEP_1)
	v_fma_f32 v7, -v7, v14, v9
	v_div_fmas_f32 v7, v7, v8, v14
	s_delay_alu instid0(VALU_DEP_1)
	v_div_fixup_f32 v14, v7, v3, v6
.LBB44_26:
	s_or_b32 exec_lo, exec_lo, s3
	s_delay_alu instid0(VALU_DEP_1)
	v_mov_b32_e32 v3, v14
.LBB44_27:
	s_or_b32 exec_lo, exec_lo, s1
	s_wait_loadcnt 0x1
	v_or_b32_e32 v6, 0x200, v0
	s_mov_b32 s1, exec_lo
	s_delay_alu instid0(VALU_DEP_1)
	v_cmpx_gt_i32_e64 s8, v6
	s_cbranch_execz .LBB44_31
; %bb.28:
	s_wait_loadcnt 0x0
	v_mul_f32_e32 v4, s9, v15
	s_mov_b32 s3, exec_lo
	s_delay_alu instid0(VALU_DEP_1)
	v_cmpx_nlt_f32_e32 s10, v4
	s_cbranch_execz .LBB44_30
; %bb.29:
	v_mul_f32_e32 v6, 0x3fb8aa3b, v4
	v_cmp_ngt_f32_e32 vcc_lo, 0xc2ce8ed0, v4
	s_delay_alu instid0(VALU_DEP_2) | instskip(SKIP_1) | instid1(VALU_DEP_2)
	v_rndne_f32_e32 v7, v6
	v_fma_f32 v8, 0x3fb8aa3b, v4, -v6
	v_sub_f32_e32 v6, v6, v7
	s_delay_alu instid0(VALU_DEP_2) | instskip(SKIP_1) | instid1(VALU_DEP_2)
	v_fmamk_f32 v8, v4, 0x32a5705f, v8
	v_cvt_i32_f32_e32 v7, v7
	v_add_f32_e32 v6, v6, v8
	s_delay_alu instid0(VALU_DEP_1) | instskip(SKIP_1) | instid1(TRANS32_DEP_1)
	v_exp_f32_e32 v6, v6
	v_nop
	v_ldexp_f32 v6, v6, v7
	s_delay_alu instid0(VALU_DEP_1) | instskip(SKIP_1) | instid1(VALU_DEP_2)
	v_cndmask_b32_e32 v6, 0, v6, vcc_lo
	v_cmp_nlt_f32_e32 vcc_lo, 0x42b17218, v4
	v_cndmask_b32_e32 v4, 0x7f800000, v6, vcc_lo
	s_delay_alu instid0(VALU_DEP_1) | instskip(NEXT) | instid1(VALU_DEP_1)
	v_dual_mul_f32 v6, v13, v4 :: v_dual_add_f32 v4, 1.0, v4
	v_div_scale_f32 v7, null, v4, v4, v6
	s_delay_alu instid0(VALU_DEP_1) | instskip(SKIP_1) | instid1(TRANS32_DEP_1)
	v_rcp_f32_e32 v8, v7
	v_nop
	v_fma_f32 v9, -v7, v8, 1.0
	s_delay_alu instid0(VALU_DEP_1) | instskip(SKIP_1) | instid1(VALU_DEP_1)
	v_fmac_f32_e32 v8, v9, v8
	v_div_scale_f32 v9, vcc_lo, v6, v4, v6
	v_mul_f32_e32 v13, v9, v8
	s_delay_alu instid0(VALU_DEP_1) | instskip(NEXT) | instid1(VALU_DEP_1)
	v_fma_f32 v14, -v7, v13, v9
	v_fmac_f32_e32 v13, v14, v8
	s_delay_alu instid0(VALU_DEP_1) | instskip(NEXT) | instid1(VALU_DEP_1)
	v_fma_f32 v7, -v7, v13, v9
	v_div_fmas_f32 v7, v7, v8, v13
	s_delay_alu instid0(VALU_DEP_1)
	v_div_fixup_f32 v13, v7, v4, v6
.LBB44_30:
	s_or_b32 exec_lo, exec_lo, s3
	s_delay_alu instid0(VALU_DEP_1)
	v_mov_b32_e32 v4, v13
.LBB44_31:
	s_or_b32 exec_lo, exec_lo, s1
	v_or_b32_e32 v6, 0x300, v0
	s_mov_b32 s1, exec_lo
	s_delay_alu instid0(VALU_DEP_1)
	v_cmpx_gt_i32_e64 s8, v6
	s_cbranch_execnz .LBB44_38
; %bb.32:
	s_or_b32 exec_lo, exec_lo, s1
	s_and_saveexec_b32 s1, s0
	s_delay_alu instid0(SALU_CYCLE_1)
	s_xor_b32 s0, exec_lo, s1
	s_cbranch_execnz .LBB44_41
.LBB44_33:
	s_or_b32 exec_lo, exec_lo, s0
	s_delay_alu instid0(SALU_CYCLE_1)
	s_mov_b32 s0, exec_lo
	v_cmpx_gt_i32_e64 s8, v0
	s_cbranch_execnz .LBB44_42
.LBB44_34:
	s_or_b32 exec_lo, exec_lo, s0
	s_delay_alu instid0(SALU_CYCLE_1)
	s_mov_b32 s0, exec_lo
	v_cmpx_gt_i32_e64 s8, v0
	s_cbranch_execnz .LBB44_43
.LBB44_35:
	s_or_b32 exec_lo, exec_lo, s0
	s_delay_alu instid0(SALU_CYCLE_1)
	s_mov_b32 s0, exec_lo
	v_cmpx_gt_i32_e64 s8, v0
	s_cbranch_execz .LBB44_37
.LBB44_36:
	v_add_nc_u32_e32 v0, s2, v0
	global_store_b32 v0, v5, s[4:5] scale_offset
.LBB44_37:
	s_endpgm
.LBB44_38:
	s_wait_loadcnt 0x0
	v_mul_f32_e32 v5, s9, v12
	s_mov_b32 s3, exec_lo
	s_delay_alu instid0(VALU_DEP_1)
	v_cmpx_nlt_f32_e32 s10, v5
	s_cbranch_execz .LBB44_40
; %bb.39:
	v_mul_f32_e32 v6, 0x3fb8aa3b, v5
	v_cmp_ngt_f32_e32 vcc_lo, 0xc2ce8ed0, v5
	s_delay_alu instid0(VALU_DEP_2) | instskip(SKIP_1) | instid1(VALU_DEP_2)
	v_rndne_f32_e32 v7, v6
	v_fma_f32 v8, 0x3fb8aa3b, v5, -v6
	v_sub_f32_e32 v6, v6, v7
	s_delay_alu instid0(VALU_DEP_2) | instskip(SKIP_1) | instid1(VALU_DEP_2)
	v_fmamk_f32 v8, v5, 0x32a5705f, v8
	v_cvt_i32_f32_e32 v7, v7
	v_add_f32_e32 v6, v6, v8
	s_delay_alu instid0(VALU_DEP_1) | instskip(SKIP_1) | instid1(TRANS32_DEP_1)
	v_exp_f32_e32 v6, v6
	v_nop
	v_ldexp_f32 v6, v6, v7
	s_delay_alu instid0(VALU_DEP_1) | instskip(SKIP_1) | instid1(VALU_DEP_2)
	v_cndmask_b32_e32 v6, 0, v6, vcc_lo
	v_cmp_nlt_f32_e32 vcc_lo, 0x42b17218, v5
	v_cndmask_b32_e32 v5, 0x7f800000, v6, vcc_lo
	s_delay_alu instid0(VALU_DEP_1) | instskip(NEXT) | instid1(VALU_DEP_1)
	v_dual_mul_f32 v6, v11, v5 :: v_dual_add_f32 v5, 1.0, v5
	v_div_scale_f32 v7, null, v5, v5, v6
	s_delay_alu instid0(VALU_DEP_1) | instskip(SKIP_1) | instid1(TRANS32_DEP_1)
	v_rcp_f32_e32 v8, v7
	v_nop
	v_fma_f32 v9, -v7, v8, 1.0
	s_delay_alu instid0(VALU_DEP_1) | instskip(SKIP_1) | instid1(VALU_DEP_1)
	v_fmac_f32_e32 v8, v9, v8
	v_div_scale_f32 v9, vcc_lo, v6, v5, v6
	v_mul_f32_e32 v11, v9, v8
	s_delay_alu instid0(VALU_DEP_1) | instskip(NEXT) | instid1(VALU_DEP_1)
	v_fma_f32 v12, -v7, v11, v9
	v_fmac_f32_e32 v11, v12, v8
	s_delay_alu instid0(VALU_DEP_1) | instskip(NEXT) | instid1(VALU_DEP_1)
	v_fma_f32 v7, -v7, v11, v9
	v_div_fmas_f32 v7, v7, v8, v11
	s_delay_alu instid0(VALU_DEP_1)
	v_div_fixup_f32 v11, v7, v5, v6
.LBB44_40:
	s_or_b32 exec_lo, exec_lo, s3
	s_delay_alu instid0(VALU_DEP_1) | instskip(SKIP_2) | instid1(SALU_CYCLE_1)
	v_mov_b32_e32 v5, v11
	s_or_b32 exec_lo, exec_lo, s1
	s_and_saveexec_b32 s1, s0
	s_xor_b32 s0, exec_lo, s1
	s_cbranch_execz .LBB44_33
.LBB44_41:
	v_mov_b32_e32 v0, v10
	global_store_b32 v1, v2, s[4:5] scale_offset
	s_wait_xcnt 0x0
	s_or_b32 exec_lo, exec_lo, s0
	s_delay_alu instid0(SALU_CYCLE_1)
	s_mov_b32 s0, exec_lo
	v_cmpx_gt_i32_e64 s8, v0
	s_cbranch_execz .LBB44_34
.LBB44_42:
	v_add_nc_u32_e32 v1, s2, v0
	v_add_nc_u32_e32 v0, 0x100, v0
	global_store_b32 v1, v3, s[4:5] scale_offset
	s_wait_xcnt 0x0
	s_or_b32 exec_lo, exec_lo, s0
	s_delay_alu instid0(SALU_CYCLE_1)
	s_mov_b32 s0, exec_lo
	v_cmpx_gt_i32_e64 s8, v0
	s_cbranch_execz .LBB44_35
.LBB44_43:
	v_add_nc_u32_e32 v1, s2, v0
	v_add_nc_u32_e32 v0, 0x100, v0
	global_store_b32 v1, v4, s[4:5] scale_offset
	s_wait_xcnt 0x0
	s_or_b32 exec_lo, exec_lo, s0
	s_delay_alu instid0(SALU_CYCLE_1)
	s_mov_b32 s0, exec_lo
	v_cmpx_gt_i32_e64 s8, v0
	s_cbranch_execnz .LBB44_36
	s_branch .LBB44_37
	.section	.rodata,"a",@progbits
	.p2align	6, 0x0
	.amdhsa_kernel _ZN2at6native29vectorized_elementwise_kernelILi16EZZZNS0_12_GLOBAL__N_124softplus_backward_kernelERNS_18TensorIteratorBaseERKN3c106ScalarES8_ENKUlvE_clEvENKUlvE0_clEvEUlffE_St5arrayIPcLm3EEEEviT0_T1_
		.amdhsa_group_segment_fixed_size 0
		.amdhsa_private_segment_fixed_size 0
		.amdhsa_kernarg_size 40
		.amdhsa_user_sgpr_count 2
		.amdhsa_user_sgpr_dispatch_ptr 0
		.amdhsa_user_sgpr_queue_ptr 0
		.amdhsa_user_sgpr_kernarg_segment_ptr 1
		.amdhsa_user_sgpr_dispatch_id 0
		.amdhsa_user_sgpr_kernarg_preload_length 0
		.amdhsa_user_sgpr_kernarg_preload_offset 0
		.amdhsa_user_sgpr_private_segment_size 0
		.amdhsa_wavefront_size32 1
		.amdhsa_uses_dynamic_stack 0
		.amdhsa_enable_private_segment 0
		.amdhsa_system_sgpr_workgroup_id_x 1
		.amdhsa_system_sgpr_workgroup_id_y 0
		.amdhsa_system_sgpr_workgroup_id_z 0
		.amdhsa_system_sgpr_workgroup_info 0
		.amdhsa_system_vgpr_workitem_id 0
		.amdhsa_next_free_vgpr 17
		.amdhsa_next_free_sgpr 16
		.amdhsa_named_barrier_count 0
		.amdhsa_reserve_vcc 1
		.amdhsa_float_round_mode_32 0
		.amdhsa_float_round_mode_16_64 0
		.amdhsa_float_denorm_mode_32 3
		.amdhsa_float_denorm_mode_16_64 3
		.amdhsa_fp16_overflow 0
		.amdhsa_memory_ordered 1
		.amdhsa_forward_progress 1
		.amdhsa_inst_pref_size 23
		.amdhsa_round_robin_scheduling 0
		.amdhsa_exception_fp_ieee_invalid_op 0
		.amdhsa_exception_fp_denorm_src 0
		.amdhsa_exception_fp_ieee_div_zero 0
		.amdhsa_exception_fp_ieee_overflow 0
		.amdhsa_exception_fp_ieee_underflow 0
		.amdhsa_exception_fp_ieee_inexact 0
		.amdhsa_exception_int_div_zero 0
	.end_amdhsa_kernel
	.section	.text._ZN2at6native29vectorized_elementwise_kernelILi16EZZZNS0_12_GLOBAL__N_124softplus_backward_kernelERNS_18TensorIteratorBaseERKN3c106ScalarES8_ENKUlvE_clEvENKUlvE0_clEvEUlffE_St5arrayIPcLm3EEEEviT0_T1_,"axG",@progbits,_ZN2at6native29vectorized_elementwise_kernelILi16EZZZNS0_12_GLOBAL__N_124softplus_backward_kernelERNS_18TensorIteratorBaseERKN3c106ScalarES8_ENKUlvE_clEvENKUlvE0_clEvEUlffE_St5arrayIPcLm3EEEEviT0_T1_,comdat
.Lfunc_end44:
	.size	_ZN2at6native29vectorized_elementwise_kernelILi16EZZZNS0_12_GLOBAL__N_124softplus_backward_kernelERNS_18TensorIteratorBaseERKN3c106ScalarES8_ENKUlvE_clEvENKUlvE0_clEvEUlffE_St5arrayIPcLm3EEEEviT0_T1_, .Lfunc_end44-_ZN2at6native29vectorized_elementwise_kernelILi16EZZZNS0_12_GLOBAL__N_124softplus_backward_kernelERNS_18TensorIteratorBaseERKN3c106ScalarES8_ENKUlvE_clEvENKUlvE0_clEvEUlffE_St5arrayIPcLm3EEEEviT0_T1_
                                        ; -- End function
	.set _ZN2at6native29vectorized_elementwise_kernelILi16EZZZNS0_12_GLOBAL__N_124softplus_backward_kernelERNS_18TensorIteratorBaseERKN3c106ScalarES8_ENKUlvE_clEvENKUlvE0_clEvEUlffE_St5arrayIPcLm3EEEEviT0_T1_.num_vgpr, 17
	.set _ZN2at6native29vectorized_elementwise_kernelILi16EZZZNS0_12_GLOBAL__N_124softplus_backward_kernelERNS_18TensorIteratorBaseERKN3c106ScalarES8_ENKUlvE_clEvENKUlvE0_clEvEUlffE_St5arrayIPcLm3EEEEviT0_T1_.num_agpr, 0
	.set _ZN2at6native29vectorized_elementwise_kernelILi16EZZZNS0_12_GLOBAL__N_124softplus_backward_kernelERNS_18TensorIteratorBaseERKN3c106ScalarES8_ENKUlvE_clEvENKUlvE0_clEvEUlffE_St5arrayIPcLm3EEEEviT0_T1_.numbered_sgpr, 16
	.set _ZN2at6native29vectorized_elementwise_kernelILi16EZZZNS0_12_GLOBAL__N_124softplus_backward_kernelERNS_18TensorIteratorBaseERKN3c106ScalarES8_ENKUlvE_clEvENKUlvE0_clEvEUlffE_St5arrayIPcLm3EEEEviT0_T1_.num_named_barrier, 0
	.set _ZN2at6native29vectorized_elementwise_kernelILi16EZZZNS0_12_GLOBAL__N_124softplus_backward_kernelERNS_18TensorIteratorBaseERKN3c106ScalarES8_ENKUlvE_clEvENKUlvE0_clEvEUlffE_St5arrayIPcLm3EEEEviT0_T1_.private_seg_size, 0
	.set _ZN2at6native29vectorized_elementwise_kernelILi16EZZZNS0_12_GLOBAL__N_124softplus_backward_kernelERNS_18TensorIteratorBaseERKN3c106ScalarES8_ENKUlvE_clEvENKUlvE0_clEvEUlffE_St5arrayIPcLm3EEEEviT0_T1_.uses_vcc, 1
	.set _ZN2at6native29vectorized_elementwise_kernelILi16EZZZNS0_12_GLOBAL__N_124softplus_backward_kernelERNS_18TensorIteratorBaseERKN3c106ScalarES8_ENKUlvE_clEvENKUlvE0_clEvEUlffE_St5arrayIPcLm3EEEEviT0_T1_.uses_flat_scratch, 0
	.set _ZN2at6native29vectorized_elementwise_kernelILi16EZZZNS0_12_GLOBAL__N_124softplus_backward_kernelERNS_18TensorIteratorBaseERKN3c106ScalarES8_ENKUlvE_clEvENKUlvE0_clEvEUlffE_St5arrayIPcLm3EEEEviT0_T1_.has_dyn_sized_stack, 0
	.set _ZN2at6native29vectorized_elementwise_kernelILi16EZZZNS0_12_GLOBAL__N_124softplus_backward_kernelERNS_18TensorIteratorBaseERKN3c106ScalarES8_ENKUlvE_clEvENKUlvE0_clEvEUlffE_St5arrayIPcLm3EEEEviT0_T1_.has_recursion, 0
	.set _ZN2at6native29vectorized_elementwise_kernelILi16EZZZNS0_12_GLOBAL__N_124softplus_backward_kernelERNS_18TensorIteratorBaseERKN3c106ScalarES8_ENKUlvE_clEvENKUlvE0_clEvEUlffE_St5arrayIPcLm3EEEEviT0_T1_.has_indirect_call, 0
	.section	.AMDGPU.csdata,"",@progbits
; Kernel info:
; codeLenInByte = 2876
; TotalNumSgprs: 18
; NumVgprs: 17
; ScratchSize: 0
; MemoryBound: 0
; FloatMode: 240
; IeeeMode: 1
; LDSByteSize: 0 bytes/workgroup (compile time only)
; SGPRBlocks: 0
; VGPRBlocks: 1
; NumSGPRsForWavesPerEU: 18
; NumVGPRsForWavesPerEU: 17
; NamedBarCnt: 0
; Occupancy: 16
; WaveLimiterHint : 0
; COMPUTE_PGM_RSRC2:SCRATCH_EN: 0
; COMPUTE_PGM_RSRC2:USER_SGPR: 2
; COMPUTE_PGM_RSRC2:TRAP_HANDLER: 0
; COMPUTE_PGM_RSRC2:TGID_X_EN: 1
; COMPUTE_PGM_RSRC2:TGID_Y_EN: 0
; COMPUTE_PGM_RSRC2:TGID_Z_EN: 0
; COMPUTE_PGM_RSRC2:TIDIG_COMP_CNT: 0
	.section	.text._ZN2at6native29vectorized_elementwise_kernelILi8EZZZNS0_12_GLOBAL__N_124softplus_backward_kernelERNS_18TensorIteratorBaseERKN3c106ScalarES8_ENKUlvE_clEvENKUlvE0_clEvEUlffE_St5arrayIPcLm3EEEEviT0_T1_,"axG",@progbits,_ZN2at6native29vectorized_elementwise_kernelILi8EZZZNS0_12_GLOBAL__N_124softplus_backward_kernelERNS_18TensorIteratorBaseERKN3c106ScalarES8_ENKUlvE_clEvENKUlvE0_clEvEUlffE_St5arrayIPcLm3EEEEviT0_T1_,comdat
	.globl	_ZN2at6native29vectorized_elementwise_kernelILi8EZZZNS0_12_GLOBAL__N_124softplus_backward_kernelERNS_18TensorIteratorBaseERKN3c106ScalarES8_ENKUlvE_clEvENKUlvE0_clEvEUlffE_St5arrayIPcLm3EEEEviT0_T1_ ; -- Begin function _ZN2at6native29vectorized_elementwise_kernelILi8EZZZNS0_12_GLOBAL__N_124softplus_backward_kernelERNS_18TensorIteratorBaseERKN3c106ScalarES8_ENKUlvE_clEvENKUlvE0_clEvEUlffE_St5arrayIPcLm3EEEEviT0_T1_
	.p2align	8
	.type	_ZN2at6native29vectorized_elementwise_kernelILi8EZZZNS0_12_GLOBAL__N_124softplus_backward_kernelERNS_18TensorIteratorBaseERKN3c106ScalarES8_ENKUlvE_clEvENKUlvE0_clEvEUlffE_St5arrayIPcLm3EEEEviT0_T1_,@function
_ZN2at6native29vectorized_elementwise_kernelILi8EZZZNS0_12_GLOBAL__N_124softplus_backward_kernelERNS_18TensorIteratorBaseERKN3c106ScalarES8_ENKUlvE_clEvENKUlvE0_clEvEUlffE_St5arrayIPcLm3EEEEviT0_T1_: ; @_ZN2at6native29vectorized_elementwise_kernelILi8EZZZNS0_12_GLOBAL__N_124softplus_backward_kernelERNS_18TensorIteratorBaseERKN3c106ScalarES8_ENKUlvE_clEvENKUlvE0_clEvEUlffE_St5arrayIPcLm3EEEEviT0_T1_
; %bb.0:
	s_clause 0x2
	s_load_b96 s[8:10], s[0:1], 0x0
	s_load_b128 s[4:7], s[0:1], 0x10
	s_load_b64 s[12:13], s[0:1], 0x20
	s_wait_xcnt 0x0
	s_bfe_u32 s0, ttmp6, 0x4000c
	s_and_b32 s1, ttmp6, 15
	s_add_co_i32 s0, s0, 1
	s_getreg_b32 s2, hwreg(HW_REG_IB_STS2, 6, 4)
	s_mul_i32 s0, ttmp9, s0
	s_delay_alu instid0(SALU_CYCLE_1) | instskip(SKIP_2) | instid1(SALU_CYCLE_1)
	s_add_co_i32 s1, s1, s0
	s_cmp_eq_u32 s2, 0
	s_cselect_b32 s0, ttmp9, s1
	s_lshl_b32 s2, s0, 10
	s_mov_b32 s0, -1
	s_wait_kmcnt 0x0
	s_sub_co_i32 s8, s8, s2
	s_delay_alu instid0(SALU_CYCLE_1)
	s_cmp_gt_i32 s8, 0x3ff
	s_cbranch_scc0 .LBB45_10
; %bb.1:
	s_ashr_i32 s3, s2, 31
	s_delay_alu instid0(SALU_CYCLE_1)
	s_lshl_b64 s[0:1], s[2:3], 2
	s_mov_b32 s3, exec_lo
	s_add_nc_u64 s[14:15], s[12:13], s[0:1]
	global_load_b128 v[6:9], v0, s[14:15] scale_offset
	s_wait_xcnt 0x0
	s_add_nc_u64 s[14:15], s[6:7], s[0:1]
	global_load_b128 v[2:5], v0, s[14:15] scale_offset
	s_wait_loadcnt 0x1
	v_mul_f32_e32 v1, s9, v6
	s_wait_xcnt 0x0
	s_delay_alu instid0(VALU_DEP_1)
	v_cmpx_nlt_f32_e32 s10, v1
	s_cbranch_execz .LBB45_3
; %bb.2:
	v_mul_f32_e32 v6, 0x3fb8aa3b, v1
	v_cmp_ngt_f32_e32 vcc_lo, 0xc2ce8ed0, v1
	s_delay_alu instid0(VALU_DEP_2) | instskip(SKIP_1) | instid1(VALU_DEP_1)
	v_rndne_f32_e32 v10, v6
	v_fma_f32 v11, 0x3fb8aa3b, v1, -v6
	v_dual_sub_f32 v6, v6, v10 :: v_dual_fmamk_f32 v11, v1, 0x32a5705f, v11
	v_cvt_i32_f32_e32 v10, v10
	s_delay_alu instid0(VALU_DEP_2) | instskip(NEXT) | instid1(VALU_DEP_1)
	v_add_f32_e32 v6, v6, v11
	v_exp_f32_e32 v6, v6
	v_nop
	s_delay_alu instid0(TRANS32_DEP_1) | instskip(NEXT) | instid1(VALU_DEP_1)
	v_ldexp_f32 v6, v6, v10
	v_cndmask_b32_e32 v6, 0, v6, vcc_lo
	v_cmp_nlt_f32_e32 vcc_lo, 0x42b17218, v1
	s_delay_alu instid0(VALU_DEP_2) | instskip(SKIP_1) | instid1(VALU_DEP_1)
	v_cndmask_b32_e32 v1, 0x7f800000, v6, vcc_lo
	s_wait_loadcnt 0x0
	v_dual_mul_f32 v2, v2, v1 :: v_dual_add_f32 v1, 1.0, v1
	s_delay_alu instid0(VALU_DEP_1) | instskip(NEXT) | instid1(VALU_DEP_1)
	v_div_scale_f32 v6, null, v1, v1, v2
	v_rcp_f32_e32 v10, v6
	v_nop
	s_delay_alu instid0(TRANS32_DEP_1) | instskip(NEXT) | instid1(VALU_DEP_1)
	v_fma_f32 v11, -v6, v10, 1.0
	v_fmac_f32_e32 v10, v11, v10
	v_div_scale_f32 v11, vcc_lo, v2, v1, v2
	s_delay_alu instid0(VALU_DEP_1) | instskip(NEXT) | instid1(VALU_DEP_1)
	v_mul_f32_e32 v12, v11, v10
	v_fma_f32 v13, -v6, v12, v11
	s_delay_alu instid0(VALU_DEP_1) | instskip(NEXT) | instid1(VALU_DEP_1)
	v_fmac_f32_e32 v12, v13, v10
	v_fma_f32 v6, -v6, v12, v11
	s_delay_alu instid0(VALU_DEP_1) | instskip(NEXT) | instid1(VALU_DEP_1)
	v_div_fmas_f32 v6, v6, v10, v12
	v_div_fixup_f32 v2, v6, v1, v2
.LBB45_3:
	s_or_b32 exec_lo, exec_lo, s3
	v_mul_f32_e32 v1, s9, v7
	s_mov_b32 s3, exec_lo
	s_delay_alu instid0(VALU_DEP_1)
	v_cmpx_nlt_f32_e32 s10, v1
	s_cbranch_execz .LBB45_5
; %bb.4:
	v_mul_f32_e32 v6, 0x3fb8aa3b, v1
	v_cmp_ngt_f32_e32 vcc_lo, 0xc2ce8ed0, v1
	s_delay_alu instid0(VALU_DEP_2) | instskip(SKIP_1) | instid1(VALU_DEP_2)
	v_rndne_f32_e32 v7, v6
	v_fma_f32 v10, 0x3fb8aa3b, v1, -v6
	v_sub_f32_e32 v6, v6, v7
	s_delay_alu instid0(VALU_DEP_2) | instskip(SKIP_1) | instid1(VALU_DEP_2)
	v_fmamk_f32 v10, v1, 0x32a5705f, v10
	v_cvt_i32_f32_e32 v7, v7
	v_add_f32_e32 v6, v6, v10
	s_delay_alu instid0(VALU_DEP_1) | instskip(SKIP_1) | instid1(TRANS32_DEP_1)
	v_exp_f32_e32 v6, v6
	v_nop
	v_ldexp_f32 v6, v6, v7
	s_delay_alu instid0(VALU_DEP_1) | instskip(SKIP_1) | instid1(VALU_DEP_2)
	v_cndmask_b32_e32 v6, 0, v6, vcc_lo
	v_cmp_nlt_f32_e32 vcc_lo, 0x42b17218, v1
	v_cndmask_b32_e32 v1, 0x7f800000, v6, vcc_lo
	s_wait_loadcnt 0x0
	s_delay_alu instid0(VALU_DEP_1) | instskip(NEXT) | instid1(VALU_DEP_1)
	v_dual_mul_f32 v3, v3, v1 :: v_dual_add_f32 v1, 1.0, v1
	v_div_scale_f32 v6, null, v1, v1, v3
	s_delay_alu instid0(VALU_DEP_1) | instskip(SKIP_1) | instid1(TRANS32_DEP_1)
	v_rcp_f32_e32 v7, v6
	v_nop
	v_fma_f32 v10, -v6, v7, 1.0
	s_delay_alu instid0(VALU_DEP_1) | instskip(SKIP_1) | instid1(VALU_DEP_1)
	v_fmac_f32_e32 v7, v10, v7
	v_div_scale_f32 v10, vcc_lo, v3, v1, v3
	v_mul_f32_e32 v11, v10, v7
	s_delay_alu instid0(VALU_DEP_1) | instskip(NEXT) | instid1(VALU_DEP_1)
	v_fma_f32 v12, -v6, v11, v10
	v_fmac_f32_e32 v11, v12, v7
	s_delay_alu instid0(VALU_DEP_1) | instskip(NEXT) | instid1(VALU_DEP_1)
	v_fma_f32 v6, -v6, v11, v10
	v_div_fmas_f32 v6, v6, v7, v11
	s_delay_alu instid0(VALU_DEP_1)
	v_div_fixup_f32 v3, v6, v1, v3
.LBB45_5:
	s_or_b32 exec_lo, exec_lo, s3
	v_mul_f32_e32 v1, s9, v8
	s_mov_b32 s3, exec_lo
	s_delay_alu instid0(VALU_DEP_1)
	v_cmpx_nlt_f32_e32 s10, v1
	s_cbranch_execz .LBB45_7
; %bb.6:
	v_mul_f32_e32 v6, 0x3fb8aa3b, v1
	v_cmp_ngt_f32_e32 vcc_lo, 0xc2ce8ed0, v1
	s_delay_alu instid0(VALU_DEP_2) | instskip(SKIP_1) | instid1(VALU_DEP_2)
	v_rndne_f32_e32 v7, v6
	v_fma_f32 v8, 0x3fb8aa3b, v1, -v6
	v_sub_f32_e32 v6, v6, v7
	s_delay_alu instid0(VALU_DEP_2) | instskip(SKIP_1) | instid1(VALU_DEP_2)
	v_fmamk_f32 v8, v1, 0x32a5705f, v8
	v_cvt_i32_f32_e32 v7, v7
	v_add_f32_e32 v6, v6, v8
	s_delay_alu instid0(VALU_DEP_1) | instskip(SKIP_1) | instid1(TRANS32_DEP_1)
	v_exp_f32_e32 v6, v6
	v_nop
	v_ldexp_f32 v6, v6, v7
	s_delay_alu instid0(VALU_DEP_1) | instskip(SKIP_1) | instid1(VALU_DEP_2)
	v_cndmask_b32_e32 v6, 0, v6, vcc_lo
	v_cmp_nlt_f32_e32 vcc_lo, 0x42b17218, v1
	v_cndmask_b32_e32 v1, 0x7f800000, v6, vcc_lo
	s_wait_loadcnt 0x0
	s_delay_alu instid0(VALU_DEP_1) | instskip(NEXT) | instid1(VALU_DEP_1)
	v_dual_mul_f32 v4, v4, v1 :: v_dual_add_f32 v1, 1.0, v1
	v_div_scale_f32 v6, null, v1, v1, v4
	s_delay_alu instid0(VALU_DEP_1) | instskip(SKIP_1) | instid1(TRANS32_DEP_1)
	v_rcp_f32_e32 v7, v6
	v_nop
	v_fma_f32 v8, -v6, v7, 1.0
	s_delay_alu instid0(VALU_DEP_1) | instskip(SKIP_1) | instid1(VALU_DEP_1)
	v_fmac_f32_e32 v7, v8, v7
	v_div_scale_f32 v8, vcc_lo, v4, v1, v4
	v_mul_f32_e32 v10, v8, v7
	s_delay_alu instid0(VALU_DEP_1) | instskip(NEXT) | instid1(VALU_DEP_1)
	v_fma_f32 v11, -v6, v10, v8
	v_fmac_f32_e32 v10, v11, v7
	s_delay_alu instid0(VALU_DEP_1) | instskip(NEXT) | instid1(VALU_DEP_1)
	v_fma_f32 v6, -v6, v10, v8
	v_div_fmas_f32 v6, v6, v7, v10
	s_delay_alu instid0(VALU_DEP_1)
	v_div_fixup_f32 v4, v6, v1, v4
.LBB45_7:
	;; [unrolled: 46-line block ×3, first 2 shown]
	s_or_b32 exec_lo, exec_lo, s3
	s_add_nc_u64 s[14:15], s[4:5], s[0:1]
	s_mov_b32 s0, 0
	s_wait_loadcnt 0x0
	global_store_b128 v0, v[2:5], s[14:15] scale_offset
.LBB45_10:
	s_and_b32 vcc_lo, exec_lo, s0
	s_cbranch_vccz .LBB45_37
; %bb.11:
	v_cmp_gt_i32_e64 s0, s8, v0
	v_dual_mov_b32 v14, 0 :: v_dual_bitop2_b32 v1, s2, v0 bitop3:0x54
	v_or_b32_e32 v10, 0x100, v0
	v_dual_mov_b32 v6, 0 :: v_dual_mov_b32 v7, 0
	s_wait_xcnt 0x0
	v_mov_b32_e32 v2, v0
	s_and_saveexec_b32 s1, s0
	s_cbranch_execz .LBB45_13
; %bb.12:
	s_clause 0x1
	global_load_b32 v6, v1, s[6:7] scale_offset
	global_load_b32 v7, v1, s[12:13] scale_offset
	v_or_b32_e32 v2, 0x100, v0
.LBB45_13:
	s_wait_xcnt 0x0
	s_or_b32 exec_lo, exec_lo, s1
	v_mov_b32_e32 v16, 0
	s_mov_b32 s1, exec_lo
	v_cmpx_gt_i32_e64 s8, v2
	s_cbranch_execz .LBB45_15
; %bb.14:
	v_add_nc_u32_e32 v3, s2, v2
	v_add_nc_u32_e32 v2, 0x100, v2
	s_clause 0x1
	global_load_b32 v14, v3, s[6:7] scale_offset
	global_load_b32 v16, v3, s[12:13] scale_offset
.LBB45_15:
	s_wait_xcnt 0x0
	s_or_b32 exec_lo, exec_lo, s1
	v_dual_mov_b32 v11, 0 :: v_dual_mov_b32 v13, 0
	v_mov_b32_e32 v15, 0
	s_mov_b32 s1, exec_lo
	v_cmpx_gt_i32_e64 s8, v2
	s_cbranch_execz .LBB45_17
; %bb.16:
	v_add_nc_u32_e32 v3, s2, v2
	v_add_nc_u32_e32 v2, 0x100, v2
	s_clause 0x1
	global_load_b32 v13, v3, s[6:7] scale_offset
	global_load_b32 v15, v3, s[12:13] scale_offset
.LBB45_17:
	s_wait_xcnt 0x0
	s_or_b32 exec_lo, exec_lo, s1
	v_mov_b32_e32 v12, 0
	s_mov_b32 s1, exec_lo
	v_cmpx_gt_i32_e64 s8, v2
	s_cbranch_execz .LBB45_19
; %bb.18:
	v_add_nc_u32_e32 v2, s2, v2
	s_clause 0x1
	global_load_b32 v11, v2, s[6:7] scale_offset
	global_load_b32 v12, v2, s[12:13] scale_offset
.LBB45_19:
	s_wait_xcnt 0x0
	s_or_b32 exec_lo, exec_lo, s1
	v_mov_b32_e32 v2, 0
	s_delay_alu instid0(VALU_DEP_1)
	v_dual_mov_b32 v3, v2 :: v_dual_mov_b32 v4, v2
	v_mov_b32_e32 v5, v2
	s_and_saveexec_b32 s1, s0
	s_cbranch_execz .LBB45_23
; %bb.20:
	s_wait_loadcnt 0x0
	v_mul_f32_e32 v2, s9, v7
	s_mov_b32 s3, exec_lo
	s_delay_alu instid0(VALU_DEP_1)
	v_cmpx_nlt_f32_e32 s10, v2
	s_cbranch_execz .LBB45_22
; %bb.21:
	v_mul_f32_e32 v3, 0x3fb8aa3b, v2
	v_cmp_ngt_f32_e32 vcc_lo, 0xc2ce8ed0, v2
	s_delay_alu instid0(VALU_DEP_2) | instskip(SKIP_1) | instid1(VALU_DEP_2)
	v_rndne_f32_e32 v4, v3
	v_fma_f32 v5, 0x3fb8aa3b, v2, -v3
	v_sub_f32_e32 v3, v3, v4
	s_delay_alu instid0(VALU_DEP_2) | instskip(SKIP_1) | instid1(VALU_DEP_2)
	v_fmamk_f32 v5, v2, 0x32a5705f, v5
	v_cvt_i32_f32_e32 v4, v4
	v_add_f32_e32 v3, v3, v5
	s_delay_alu instid0(VALU_DEP_1) | instskip(SKIP_1) | instid1(TRANS32_DEP_1)
	v_exp_f32_e32 v3, v3
	v_nop
	v_ldexp_f32 v3, v3, v4
	s_delay_alu instid0(VALU_DEP_1) | instskip(SKIP_1) | instid1(VALU_DEP_2)
	v_cndmask_b32_e32 v3, 0, v3, vcc_lo
	v_cmp_nlt_f32_e32 vcc_lo, 0x42b17218, v2
	v_cndmask_b32_e32 v2, 0x7f800000, v3, vcc_lo
	s_delay_alu instid0(VALU_DEP_1) | instskip(NEXT) | instid1(VALU_DEP_1)
	v_dual_mul_f32 v3, v6, v2 :: v_dual_add_f32 v2, 1.0, v2
	v_div_scale_f32 v4, null, v2, v2, v3
	s_delay_alu instid0(VALU_DEP_1) | instskip(SKIP_1) | instid1(TRANS32_DEP_1)
	v_rcp_f32_e32 v5, v4
	v_nop
	v_fma_f32 v6, -v4, v5, 1.0
	s_delay_alu instid0(VALU_DEP_1) | instskip(SKIP_1) | instid1(VALU_DEP_1)
	v_fmac_f32_e32 v5, v6, v5
	v_div_scale_f32 v6, vcc_lo, v3, v2, v3
	v_mul_f32_e32 v7, v6, v5
	s_delay_alu instid0(VALU_DEP_1) | instskip(NEXT) | instid1(VALU_DEP_1)
	v_fma_f32 v8, -v4, v7, v6
	v_fmac_f32_e32 v7, v8, v5
	s_delay_alu instid0(VALU_DEP_1) | instskip(NEXT) | instid1(VALU_DEP_1)
	v_fma_f32 v4, -v4, v7, v6
	v_div_fmas_f32 v4, v4, v5, v7
	s_delay_alu instid0(VALU_DEP_1)
	v_div_fixup_f32 v6, v4, v2, v3
.LBB45_22:
	s_or_b32 exec_lo, exec_lo, s3
	v_mov_b32_e32 v7, 0
	s_delay_alu instid0(VALU_DEP_1) | instskip(NEXT) | instid1(VALU_DEP_3)
	v_dual_mov_b32 v8, v7 :: v_dual_mov_b32 v9, v7
	v_mov_b64_e32 v[2:3], v[6:7]
	s_delay_alu instid0(VALU_DEP_2)
	v_mov_b64_e32 v[4:5], v[8:9]
.LBB45_23:
	s_or_b32 exec_lo, exec_lo, s1
	s_delay_alu instid0(SALU_CYCLE_1)
	s_mov_b32 s1, exec_lo
	v_cmpx_gt_i32_e64 s8, v10
	s_cbranch_execz .LBB45_27
; %bb.24:
	s_wait_loadcnt 0x0
	v_mul_f32_e32 v3, s9, v16
	s_mov_b32 s3, exec_lo
	s_delay_alu instid0(VALU_DEP_1)
	v_cmpx_nlt_f32_e32 s10, v3
	s_cbranch_execz .LBB45_26
; %bb.25:
	v_mul_f32_e32 v6, 0x3fb8aa3b, v3
	v_cmp_ngt_f32_e32 vcc_lo, 0xc2ce8ed0, v3
	s_delay_alu instid0(VALU_DEP_2) | instskip(SKIP_1) | instid1(VALU_DEP_2)
	v_rndne_f32_e32 v7, v6
	v_fma_f32 v8, 0x3fb8aa3b, v3, -v6
	v_sub_f32_e32 v6, v6, v7
	s_delay_alu instid0(VALU_DEP_2) | instskip(SKIP_1) | instid1(VALU_DEP_2)
	v_fmamk_f32 v8, v3, 0x32a5705f, v8
	v_cvt_i32_f32_e32 v7, v7
	v_add_f32_e32 v6, v6, v8
	s_delay_alu instid0(VALU_DEP_1) | instskip(SKIP_1) | instid1(TRANS32_DEP_1)
	v_exp_f32_e32 v6, v6
	v_nop
	v_ldexp_f32 v6, v6, v7
	s_delay_alu instid0(VALU_DEP_1) | instskip(SKIP_1) | instid1(VALU_DEP_2)
	v_cndmask_b32_e32 v6, 0, v6, vcc_lo
	v_cmp_nlt_f32_e32 vcc_lo, 0x42b17218, v3
	v_cndmask_b32_e32 v3, 0x7f800000, v6, vcc_lo
	s_delay_alu instid0(VALU_DEP_1) | instskip(NEXT) | instid1(VALU_DEP_1)
	v_dual_mul_f32 v6, v14, v3 :: v_dual_add_f32 v3, 1.0, v3
	v_div_scale_f32 v7, null, v3, v3, v6
	s_delay_alu instid0(VALU_DEP_1) | instskip(SKIP_1) | instid1(TRANS32_DEP_1)
	v_rcp_f32_e32 v8, v7
	v_nop
	v_fma_f32 v9, -v7, v8, 1.0
	s_delay_alu instid0(VALU_DEP_1) | instskip(SKIP_1) | instid1(VALU_DEP_1)
	v_fmac_f32_e32 v8, v9, v8
	v_div_scale_f32 v9, vcc_lo, v6, v3, v6
	v_mul_f32_e32 v14, v9, v8
	s_delay_alu instid0(VALU_DEP_1) | instskip(NEXT) | instid1(VALU_DEP_1)
	v_fma_f32 v16, -v7, v14, v9
	v_fmac_f32_e32 v14, v16, v8
	s_delay_alu instid0(VALU_DEP_1) | instskip(NEXT) | instid1(VALU_DEP_1)
	v_fma_f32 v7, -v7, v14, v9
	v_div_fmas_f32 v7, v7, v8, v14
	s_delay_alu instid0(VALU_DEP_1)
	v_div_fixup_f32 v14, v7, v3, v6
.LBB45_26:
	s_or_b32 exec_lo, exec_lo, s3
	s_delay_alu instid0(VALU_DEP_1)
	v_mov_b32_e32 v3, v14
.LBB45_27:
	s_or_b32 exec_lo, exec_lo, s1
	s_wait_loadcnt 0x1
	v_or_b32_e32 v6, 0x200, v0
	s_mov_b32 s1, exec_lo
	s_delay_alu instid0(VALU_DEP_1)
	v_cmpx_gt_i32_e64 s8, v6
	s_cbranch_execz .LBB45_31
; %bb.28:
	s_wait_loadcnt 0x0
	v_mul_f32_e32 v4, s9, v15
	s_mov_b32 s3, exec_lo
	s_delay_alu instid0(VALU_DEP_1)
	v_cmpx_nlt_f32_e32 s10, v4
	s_cbranch_execz .LBB45_30
; %bb.29:
	v_mul_f32_e32 v6, 0x3fb8aa3b, v4
	v_cmp_ngt_f32_e32 vcc_lo, 0xc2ce8ed0, v4
	s_delay_alu instid0(VALU_DEP_2) | instskip(SKIP_1) | instid1(VALU_DEP_2)
	v_rndne_f32_e32 v7, v6
	v_fma_f32 v8, 0x3fb8aa3b, v4, -v6
	v_sub_f32_e32 v6, v6, v7
	s_delay_alu instid0(VALU_DEP_2) | instskip(SKIP_1) | instid1(VALU_DEP_2)
	v_fmamk_f32 v8, v4, 0x32a5705f, v8
	v_cvt_i32_f32_e32 v7, v7
	v_add_f32_e32 v6, v6, v8
	s_delay_alu instid0(VALU_DEP_1) | instskip(SKIP_1) | instid1(TRANS32_DEP_1)
	v_exp_f32_e32 v6, v6
	v_nop
	v_ldexp_f32 v6, v6, v7
	s_delay_alu instid0(VALU_DEP_1) | instskip(SKIP_1) | instid1(VALU_DEP_2)
	v_cndmask_b32_e32 v6, 0, v6, vcc_lo
	v_cmp_nlt_f32_e32 vcc_lo, 0x42b17218, v4
	v_cndmask_b32_e32 v4, 0x7f800000, v6, vcc_lo
	s_delay_alu instid0(VALU_DEP_1) | instskip(NEXT) | instid1(VALU_DEP_1)
	v_dual_mul_f32 v6, v13, v4 :: v_dual_add_f32 v4, 1.0, v4
	v_div_scale_f32 v7, null, v4, v4, v6
	s_delay_alu instid0(VALU_DEP_1) | instskip(SKIP_1) | instid1(TRANS32_DEP_1)
	v_rcp_f32_e32 v8, v7
	v_nop
	v_fma_f32 v9, -v7, v8, 1.0
	s_delay_alu instid0(VALU_DEP_1) | instskip(SKIP_1) | instid1(VALU_DEP_1)
	v_fmac_f32_e32 v8, v9, v8
	v_div_scale_f32 v9, vcc_lo, v6, v4, v6
	v_mul_f32_e32 v13, v9, v8
	s_delay_alu instid0(VALU_DEP_1) | instskip(NEXT) | instid1(VALU_DEP_1)
	v_fma_f32 v14, -v7, v13, v9
	v_fmac_f32_e32 v13, v14, v8
	s_delay_alu instid0(VALU_DEP_1) | instskip(NEXT) | instid1(VALU_DEP_1)
	v_fma_f32 v7, -v7, v13, v9
	v_div_fmas_f32 v7, v7, v8, v13
	s_delay_alu instid0(VALU_DEP_1)
	v_div_fixup_f32 v13, v7, v4, v6
.LBB45_30:
	s_or_b32 exec_lo, exec_lo, s3
	s_delay_alu instid0(VALU_DEP_1)
	v_mov_b32_e32 v4, v13
.LBB45_31:
	s_or_b32 exec_lo, exec_lo, s1
	v_or_b32_e32 v6, 0x300, v0
	s_mov_b32 s1, exec_lo
	s_delay_alu instid0(VALU_DEP_1)
	v_cmpx_gt_i32_e64 s8, v6
	s_cbranch_execnz .LBB45_38
; %bb.32:
	s_or_b32 exec_lo, exec_lo, s1
	s_and_saveexec_b32 s1, s0
	s_delay_alu instid0(SALU_CYCLE_1)
	s_xor_b32 s0, exec_lo, s1
	s_cbranch_execnz .LBB45_41
.LBB45_33:
	s_or_b32 exec_lo, exec_lo, s0
	s_delay_alu instid0(SALU_CYCLE_1)
	s_mov_b32 s0, exec_lo
	v_cmpx_gt_i32_e64 s8, v0
	s_cbranch_execnz .LBB45_42
.LBB45_34:
	s_or_b32 exec_lo, exec_lo, s0
	s_delay_alu instid0(SALU_CYCLE_1)
	s_mov_b32 s0, exec_lo
	v_cmpx_gt_i32_e64 s8, v0
	s_cbranch_execnz .LBB45_43
.LBB45_35:
	s_or_b32 exec_lo, exec_lo, s0
	s_delay_alu instid0(SALU_CYCLE_1)
	s_mov_b32 s0, exec_lo
	v_cmpx_gt_i32_e64 s8, v0
	s_cbranch_execz .LBB45_37
.LBB45_36:
	v_add_nc_u32_e32 v0, s2, v0
	global_store_b32 v0, v5, s[4:5] scale_offset
.LBB45_37:
	s_endpgm
.LBB45_38:
	s_wait_loadcnt 0x0
	v_mul_f32_e32 v5, s9, v12
	s_mov_b32 s3, exec_lo
	s_delay_alu instid0(VALU_DEP_1)
	v_cmpx_nlt_f32_e32 s10, v5
	s_cbranch_execz .LBB45_40
; %bb.39:
	v_mul_f32_e32 v6, 0x3fb8aa3b, v5
	v_cmp_ngt_f32_e32 vcc_lo, 0xc2ce8ed0, v5
	s_delay_alu instid0(VALU_DEP_2) | instskip(SKIP_1) | instid1(VALU_DEP_2)
	v_rndne_f32_e32 v7, v6
	v_fma_f32 v8, 0x3fb8aa3b, v5, -v6
	v_sub_f32_e32 v6, v6, v7
	s_delay_alu instid0(VALU_DEP_2) | instskip(SKIP_1) | instid1(VALU_DEP_2)
	v_fmamk_f32 v8, v5, 0x32a5705f, v8
	v_cvt_i32_f32_e32 v7, v7
	v_add_f32_e32 v6, v6, v8
	s_delay_alu instid0(VALU_DEP_1) | instskip(SKIP_1) | instid1(TRANS32_DEP_1)
	v_exp_f32_e32 v6, v6
	v_nop
	v_ldexp_f32 v6, v6, v7
	s_delay_alu instid0(VALU_DEP_1) | instskip(SKIP_1) | instid1(VALU_DEP_2)
	v_cndmask_b32_e32 v6, 0, v6, vcc_lo
	v_cmp_nlt_f32_e32 vcc_lo, 0x42b17218, v5
	v_cndmask_b32_e32 v5, 0x7f800000, v6, vcc_lo
	s_delay_alu instid0(VALU_DEP_1) | instskip(NEXT) | instid1(VALU_DEP_1)
	v_dual_mul_f32 v6, v11, v5 :: v_dual_add_f32 v5, 1.0, v5
	v_div_scale_f32 v7, null, v5, v5, v6
	s_delay_alu instid0(VALU_DEP_1) | instskip(SKIP_1) | instid1(TRANS32_DEP_1)
	v_rcp_f32_e32 v8, v7
	v_nop
	v_fma_f32 v9, -v7, v8, 1.0
	s_delay_alu instid0(VALU_DEP_1) | instskip(SKIP_1) | instid1(VALU_DEP_1)
	v_fmac_f32_e32 v8, v9, v8
	v_div_scale_f32 v9, vcc_lo, v6, v5, v6
	v_mul_f32_e32 v11, v9, v8
	s_delay_alu instid0(VALU_DEP_1) | instskip(NEXT) | instid1(VALU_DEP_1)
	v_fma_f32 v12, -v7, v11, v9
	v_fmac_f32_e32 v11, v12, v8
	s_delay_alu instid0(VALU_DEP_1) | instskip(NEXT) | instid1(VALU_DEP_1)
	v_fma_f32 v7, -v7, v11, v9
	v_div_fmas_f32 v7, v7, v8, v11
	s_delay_alu instid0(VALU_DEP_1)
	v_div_fixup_f32 v11, v7, v5, v6
.LBB45_40:
	s_or_b32 exec_lo, exec_lo, s3
	s_delay_alu instid0(VALU_DEP_1) | instskip(SKIP_2) | instid1(SALU_CYCLE_1)
	v_mov_b32_e32 v5, v11
	s_or_b32 exec_lo, exec_lo, s1
	s_and_saveexec_b32 s1, s0
	s_xor_b32 s0, exec_lo, s1
	s_cbranch_execz .LBB45_33
.LBB45_41:
	v_mov_b32_e32 v0, v10
	global_store_b32 v1, v2, s[4:5] scale_offset
	s_wait_xcnt 0x0
	s_or_b32 exec_lo, exec_lo, s0
	s_delay_alu instid0(SALU_CYCLE_1)
	s_mov_b32 s0, exec_lo
	v_cmpx_gt_i32_e64 s8, v0
	s_cbranch_execz .LBB45_34
.LBB45_42:
	v_add_nc_u32_e32 v1, s2, v0
	v_add_nc_u32_e32 v0, 0x100, v0
	global_store_b32 v1, v3, s[4:5] scale_offset
	s_wait_xcnt 0x0
	s_or_b32 exec_lo, exec_lo, s0
	s_delay_alu instid0(SALU_CYCLE_1)
	s_mov_b32 s0, exec_lo
	v_cmpx_gt_i32_e64 s8, v0
	s_cbranch_execz .LBB45_35
.LBB45_43:
	v_add_nc_u32_e32 v1, s2, v0
	v_add_nc_u32_e32 v0, 0x100, v0
	global_store_b32 v1, v4, s[4:5] scale_offset
	s_wait_xcnt 0x0
	s_or_b32 exec_lo, exec_lo, s0
	s_delay_alu instid0(SALU_CYCLE_1)
	s_mov_b32 s0, exec_lo
	v_cmpx_gt_i32_e64 s8, v0
	s_cbranch_execnz .LBB45_36
	s_branch .LBB45_37
	.section	.rodata,"a",@progbits
	.p2align	6, 0x0
	.amdhsa_kernel _ZN2at6native29vectorized_elementwise_kernelILi8EZZZNS0_12_GLOBAL__N_124softplus_backward_kernelERNS_18TensorIteratorBaseERKN3c106ScalarES8_ENKUlvE_clEvENKUlvE0_clEvEUlffE_St5arrayIPcLm3EEEEviT0_T1_
		.amdhsa_group_segment_fixed_size 0
		.amdhsa_private_segment_fixed_size 0
		.amdhsa_kernarg_size 40
		.amdhsa_user_sgpr_count 2
		.amdhsa_user_sgpr_dispatch_ptr 0
		.amdhsa_user_sgpr_queue_ptr 0
		.amdhsa_user_sgpr_kernarg_segment_ptr 1
		.amdhsa_user_sgpr_dispatch_id 0
		.amdhsa_user_sgpr_kernarg_preload_length 0
		.amdhsa_user_sgpr_kernarg_preload_offset 0
		.amdhsa_user_sgpr_private_segment_size 0
		.amdhsa_wavefront_size32 1
		.amdhsa_uses_dynamic_stack 0
		.amdhsa_enable_private_segment 0
		.amdhsa_system_sgpr_workgroup_id_x 1
		.amdhsa_system_sgpr_workgroup_id_y 0
		.amdhsa_system_sgpr_workgroup_id_z 0
		.amdhsa_system_sgpr_workgroup_info 0
		.amdhsa_system_vgpr_workitem_id 0
		.amdhsa_next_free_vgpr 17
		.amdhsa_next_free_sgpr 16
		.amdhsa_named_barrier_count 0
		.amdhsa_reserve_vcc 1
		.amdhsa_float_round_mode_32 0
		.amdhsa_float_round_mode_16_64 0
		.amdhsa_float_denorm_mode_32 3
		.amdhsa_float_denorm_mode_16_64 3
		.amdhsa_fp16_overflow 0
		.amdhsa_memory_ordered 1
		.amdhsa_forward_progress 1
		.amdhsa_inst_pref_size 23
		.amdhsa_round_robin_scheduling 0
		.amdhsa_exception_fp_ieee_invalid_op 0
		.amdhsa_exception_fp_denorm_src 0
		.amdhsa_exception_fp_ieee_div_zero 0
		.amdhsa_exception_fp_ieee_overflow 0
		.amdhsa_exception_fp_ieee_underflow 0
		.amdhsa_exception_fp_ieee_inexact 0
		.amdhsa_exception_int_div_zero 0
	.end_amdhsa_kernel
	.section	.text._ZN2at6native29vectorized_elementwise_kernelILi8EZZZNS0_12_GLOBAL__N_124softplus_backward_kernelERNS_18TensorIteratorBaseERKN3c106ScalarES8_ENKUlvE_clEvENKUlvE0_clEvEUlffE_St5arrayIPcLm3EEEEviT0_T1_,"axG",@progbits,_ZN2at6native29vectorized_elementwise_kernelILi8EZZZNS0_12_GLOBAL__N_124softplus_backward_kernelERNS_18TensorIteratorBaseERKN3c106ScalarES8_ENKUlvE_clEvENKUlvE0_clEvEUlffE_St5arrayIPcLm3EEEEviT0_T1_,comdat
.Lfunc_end45:
	.size	_ZN2at6native29vectorized_elementwise_kernelILi8EZZZNS0_12_GLOBAL__N_124softplus_backward_kernelERNS_18TensorIteratorBaseERKN3c106ScalarES8_ENKUlvE_clEvENKUlvE0_clEvEUlffE_St5arrayIPcLm3EEEEviT0_T1_, .Lfunc_end45-_ZN2at6native29vectorized_elementwise_kernelILi8EZZZNS0_12_GLOBAL__N_124softplus_backward_kernelERNS_18TensorIteratorBaseERKN3c106ScalarES8_ENKUlvE_clEvENKUlvE0_clEvEUlffE_St5arrayIPcLm3EEEEviT0_T1_
                                        ; -- End function
	.set _ZN2at6native29vectorized_elementwise_kernelILi8EZZZNS0_12_GLOBAL__N_124softplus_backward_kernelERNS_18TensorIteratorBaseERKN3c106ScalarES8_ENKUlvE_clEvENKUlvE0_clEvEUlffE_St5arrayIPcLm3EEEEviT0_T1_.num_vgpr, 17
	.set _ZN2at6native29vectorized_elementwise_kernelILi8EZZZNS0_12_GLOBAL__N_124softplus_backward_kernelERNS_18TensorIteratorBaseERKN3c106ScalarES8_ENKUlvE_clEvENKUlvE0_clEvEUlffE_St5arrayIPcLm3EEEEviT0_T1_.num_agpr, 0
	.set _ZN2at6native29vectorized_elementwise_kernelILi8EZZZNS0_12_GLOBAL__N_124softplus_backward_kernelERNS_18TensorIteratorBaseERKN3c106ScalarES8_ENKUlvE_clEvENKUlvE0_clEvEUlffE_St5arrayIPcLm3EEEEviT0_T1_.numbered_sgpr, 16
	.set _ZN2at6native29vectorized_elementwise_kernelILi8EZZZNS0_12_GLOBAL__N_124softplus_backward_kernelERNS_18TensorIteratorBaseERKN3c106ScalarES8_ENKUlvE_clEvENKUlvE0_clEvEUlffE_St5arrayIPcLm3EEEEviT0_T1_.num_named_barrier, 0
	.set _ZN2at6native29vectorized_elementwise_kernelILi8EZZZNS0_12_GLOBAL__N_124softplus_backward_kernelERNS_18TensorIteratorBaseERKN3c106ScalarES8_ENKUlvE_clEvENKUlvE0_clEvEUlffE_St5arrayIPcLm3EEEEviT0_T1_.private_seg_size, 0
	.set _ZN2at6native29vectorized_elementwise_kernelILi8EZZZNS0_12_GLOBAL__N_124softplus_backward_kernelERNS_18TensorIteratorBaseERKN3c106ScalarES8_ENKUlvE_clEvENKUlvE0_clEvEUlffE_St5arrayIPcLm3EEEEviT0_T1_.uses_vcc, 1
	.set _ZN2at6native29vectorized_elementwise_kernelILi8EZZZNS0_12_GLOBAL__N_124softplus_backward_kernelERNS_18TensorIteratorBaseERKN3c106ScalarES8_ENKUlvE_clEvENKUlvE0_clEvEUlffE_St5arrayIPcLm3EEEEviT0_T1_.uses_flat_scratch, 0
	.set _ZN2at6native29vectorized_elementwise_kernelILi8EZZZNS0_12_GLOBAL__N_124softplus_backward_kernelERNS_18TensorIteratorBaseERKN3c106ScalarES8_ENKUlvE_clEvENKUlvE0_clEvEUlffE_St5arrayIPcLm3EEEEviT0_T1_.has_dyn_sized_stack, 0
	.set _ZN2at6native29vectorized_elementwise_kernelILi8EZZZNS0_12_GLOBAL__N_124softplus_backward_kernelERNS_18TensorIteratorBaseERKN3c106ScalarES8_ENKUlvE_clEvENKUlvE0_clEvEUlffE_St5arrayIPcLm3EEEEviT0_T1_.has_recursion, 0
	.set _ZN2at6native29vectorized_elementwise_kernelILi8EZZZNS0_12_GLOBAL__N_124softplus_backward_kernelERNS_18TensorIteratorBaseERKN3c106ScalarES8_ENKUlvE_clEvENKUlvE0_clEvEUlffE_St5arrayIPcLm3EEEEviT0_T1_.has_indirect_call, 0
	.section	.AMDGPU.csdata,"",@progbits
; Kernel info:
; codeLenInByte = 2876
; TotalNumSgprs: 18
; NumVgprs: 17
; ScratchSize: 0
; MemoryBound: 0
; FloatMode: 240
; IeeeMode: 1
; LDSByteSize: 0 bytes/workgroup (compile time only)
; SGPRBlocks: 0
; VGPRBlocks: 1
; NumSGPRsForWavesPerEU: 18
; NumVGPRsForWavesPerEU: 17
; NamedBarCnt: 0
; Occupancy: 16
; WaveLimiterHint : 0
; COMPUTE_PGM_RSRC2:SCRATCH_EN: 0
; COMPUTE_PGM_RSRC2:USER_SGPR: 2
; COMPUTE_PGM_RSRC2:TRAP_HANDLER: 0
; COMPUTE_PGM_RSRC2:TGID_X_EN: 1
; COMPUTE_PGM_RSRC2:TGID_Y_EN: 0
; COMPUTE_PGM_RSRC2:TGID_Z_EN: 0
; COMPUTE_PGM_RSRC2:TIDIG_COMP_CNT: 0
	.section	.text._ZN2at6native29vectorized_elementwise_kernelILi4EZZZNS0_12_GLOBAL__N_124softplus_backward_kernelERNS_18TensorIteratorBaseERKN3c106ScalarES8_ENKUlvE_clEvENKUlvE0_clEvEUlffE_St5arrayIPcLm3EEEEviT0_T1_,"axG",@progbits,_ZN2at6native29vectorized_elementwise_kernelILi4EZZZNS0_12_GLOBAL__N_124softplus_backward_kernelERNS_18TensorIteratorBaseERKN3c106ScalarES8_ENKUlvE_clEvENKUlvE0_clEvEUlffE_St5arrayIPcLm3EEEEviT0_T1_,comdat
	.globl	_ZN2at6native29vectorized_elementwise_kernelILi4EZZZNS0_12_GLOBAL__N_124softplus_backward_kernelERNS_18TensorIteratorBaseERKN3c106ScalarES8_ENKUlvE_clEvENKUlvE0_clEvEUlffE_St5arrayIPcLm3EEEEviT0_T1_ ; -- Begin function _ZN2at6native29vectorized_elementwise_kernelILi4EZZZNS0_12_GLOBAL__N_124softplus_backward_kernelERNS_18TensorIteratorBaseERKN3c106ScalarES8_ENKUlvE_clEvENKUlvE0_clEvEUlffE_St5arrayIPcLm3EEEEviT0_T1_
	.p2align	8
	.type	_ZN2at6native29vectorized_elementwise_kernelILi4EZZZNS0_12_GLOBAL__N_124softplus_backward_kernelERNS_18TensorIteratorBaseERKN3c106ScalarES8_ENKUlvE_clEvENKUlvE0_clEvEUlffE_St5arrayIPcLm3EEEEviT0_T1_,@function
_ZN2at6native29vectorized_elementwise_kernelILi4EZZZNS0_12_GLOBAL__N_124softplus_backward_kernelERNS_18TensorIteratorBaseERKN3c106ScalarES8_ENKUlvE_clEvENKUlvE0_clEvEUlffE_St5arrayIPcLm3EEEEviT0_T1_: ; @_ZN2at6native29vectorized_elementwise_kernelILi4EZZZNS0_12_GLOBAL__N_124softplus_backward_kernelERNS_18TensorIteratorBaseERKN3c106ScalarES8_ENKUlvE_clEvENKUlvE0_clEvEUlffE_St5arrayIPcLm3EEEEviT0_T1_
; %bb.0:
	s_clause 0x2
	s_load_b96 s[8:10], s[0:1], 0x0
	s_load_b128 s[4:7], s[0:1], 0x10
	s_load_b64 s[12:13], s[0:1], 0x20
	s_wait_xcnt 0x0
	s_bfe_u32 s0, ttmp6, 0x4000c
	s_and_b32 s1, ttmp6, 15
	s_add_co_i32 s0, s0, 1
	s_getreg_b32 s2, hwreg(HW_REG_IB_STS2, 6, 4)
	s_mul_i32 s0, ttmp9, s0
	s_delay_alu instid0(SALU_CYCLE_1) | instskip(SKIP_2) | instid1(SALU_CYCLE_1)
	s_add_co_i32 s1, s1, s0
	s_cmp_eq_u32 s2, 0
	s_cselect_b32 s0, ttmp9, s1
	s_lshl_b32 s2, s0, 10
	s_mov_b32 s0, -1
	s_wait_kmcnt 0x0
	s_sub_co_i32 s8, s8, s2
	s_delay_alu instid0(SALU_CYCLE_1)
	s_cmp_gt_i32 s8, 0x3ff
	s_cbranch_scc0 .LBB46_10
; %bb.1:
	s_ashr_i32 s3, s2, 31
	s_delay_alu instid0(SALU_CYCLE_1)
	s_lshl_b64 s[0:1], s[2:3], 2
	s_mov_b32 s3, exec_lo
	s_add_nc_u64 s[14:15], s[12:13], s[0:1]
	global_load_b128 v[6:9], v0, s[14:15] scale_offset
	s_wait_xcnt 0x0
	s_add_nc_u64 s[14:15], s[6:7], s[0:1]
	global_load_b128 v[2:5], v0, s[14:15] scale_offset
	s_wait_loadcnt 0x1
	v_mul_f32_e32 v1, s9, v6
	s_wait_xcnt 0x0
	s_delay_alu instid0(VALU_DEP_1)
	v_cmpx_nlt_f32_e32 s10, v1
	s_cbranch_execz .LBB46_3
; %bb.2:
	v_mul_f32_e32 v6, 0x3fb8aa3b, v1
	v_cmp_ngt_f32_e32 vcc_lo, 0xc2ce8ed0, v1
	s_delay_alu instid0(VALU_DEP_2) | instskip(SKIP_1) | instid1(VALU_DEP_1)
	v_rndne_f32_e32 v10, v6
	v_fma_f32 v11, 0x3fb8aa3b, v1, -v6
	v_dual_sub_f32 v6, v6, v10 :: v_dual_fmamk_f32 v11, v1, 0x32a5705f, v11
	v_cvt_i32_f32_e32 v10, v10
	s_delay_alu instid0(VALU_DEP_2) | instskip(NEXT) | instid1(VALU_DEP_1)
	v_add_f32_e32 v6, v6, v11
	v_exp_f32_e32 v6, v6
	v_nop
	s_delay_alu instid0(TRANS32_DEP_1) | instskip(NEXT) | instid1(VALU_DEP_1)
	v_ldexp_f32 v6, v6, v10
	v_cndmask_b32_e32 v6, 0, v6, vcc_lo
	v_cmp_nlt_f32_e32 vcc_lo, 0x42b17218, v1
	s_delay_alu instid0(VALU_DEP_2) | instskip(SKIP_1) | instid1(VALU_DEP_1)
	v_cndmask_b32_e32 v1, 0x7f800000, v6, vcc_lo
	s_wait_loadcnt 0x0
	v_dual_mul_f32 v2, v2, v1 :: v_dual_add_f32 v1, 1.0, v1
	s_delay_alu instid0(VALU_DEP_1) | instskip(NEXT) | instid1(VALU_DEP_1)
	v_div_scale_f32 v6, null, v1, v1, v2
	v_rcp_f32_e32 v10, v6
	v_nop
	s_delay_alu instid0(TRANS32_DEP_1) | instskip(NEXT) | instid1(VALU_DEP_1)
	v_fma_f32 v11, -v6, v10, 1.0
	v_fmac_f32_e32 v10, v11, v10
	v_div_scale_f32 v11, vcc_lo, v2, v1, v2
	s_delay_alu instid0(VALU_DEP_1) | instskip(NEXT) | instid1(VALU_DEP_1)
	v_mul_f32_e32 v12, v11, v10
	v_fma_f32 v13, -v6, v12, v11
	s_delay_alu instid0(VALU_DEP_1) | instskip(NEXT) | instid1(VALU_DEP_1)
	v_fmac_f32_e32 v12, v13, v10
	v_fma_f32 v6, -v6, v12, v11
	s_delay_alu instid0(VALU_DEP_1) | instskip(NEXT) | instid1(VALU_DEP_1)
	v_div_fmas_f32 v6, v6, v10, v12
	v_div_fixup_f32 v2, v6, v1, v2
.LBB46_3:
	s_or_b32 exec_lo, exec_lo, s3
	v_mul_f32_e32 v1, s9, v7
	s_mov_b32 s3, exec_lo
	s_delay_alu instid0(VALU_DEP_1)
	v_cmpx_nlt_f32_e32 s10, v1
	s_cbranch_execz .LBB46_5
; %bb.4:
	v_mul_f32_e32 v6, 0x3fb8aa3b, v1
	v_cmp_ngt_f32_e32 vcc_lo, 0xc2ce8ed0, v1
	s_delay_alu instid0(VALU_DEP_2) | instskip(SKIP_1) | instid1(VALU_DEP_2)
	v_rndne_f32_e32 v7, v6
	v_fma_f32 v10, 0x3fb8aa3b, v1, -v6
	v_sub_f32_e32 v6, v6, v7
	s_delay_alu instid0(VALU_DEP_2) | instskip(SKIP_1) | instid1(VALU_DEP_2)
	v_fmamk_f32 v10, v1, 0x32a5705f, v10
	v_cvt_i32_f32_e32 v7, v7
	v_add_f32_e32 v6, v6, v10
	s_delay_alu instid0(VALU_DEP_1) | instskip(SKIP_1) | instid1(TRANS32_DEP_1)
	v_exp_f32_e32 v6, v6
	v_nop
	v_ldexp_f32 v6, v6, v7
	s_delay_alu instid0(VALU_DEP_1) | instskip(SKIP_1) | instid1(VALU_DEP_2)
	v_cndmask_b32_e32 v6, 0, v6, vcc_lo
	v_cmp_nlt_f32_e32 vcc_lo, 0x42b17218, v1
	v_cndmask_b32_e32 v1, 0x7f800000, v6, vcc_lo
	s_wait_loadcnt 0x0
	s_delay_alu instid0(VALU_DEP_1) | instskip(NEXT) | instid1(VALU_DEP_1)
	v_dual_mul_f32 v3, v3, v1 :: v_dual_add_f32 v1, 1.0, v1
	v_div_scale_f32 v6, null, v1, v1, v3
	s_delay_alu instid0(VALU_DEP_1) | instskip(SKIP_1) | instid1(TRANS32_DEP_1)
	v_rcp_f32_e32 v7, v6
	v_nop
	v_fma_f32 v10, -v6, v7, 1.0
	s_delay_alu instid0(VALU_DEP_1) | instskip(SKIP_1) | instid1(VALU_DEP_1)
	v_fmac_f32_e32 v7, v10, v7
	v_div_scale_f32 v10, vcc_lo, v3, v1, v3
	v_mul_f32_e32 v11, v10, v7
	s_delay_alu instid0(VALU_DEP_1) | instskip(NEXT) | instid1(VALU_DEP_1)
	v_fma_f32 v12, -v6, v11, v10
	v_fmac_f32_e32 v11, v12, v7
	s_delay_alu instid0(VALU_DEP_1) | instskip(NEXT) | instid1(VALU_DEP_1)
	v_fma_f32 v6, -v6, v11, v10
	v_div_fmas_f32 v6, v6, v7, v11
	s_delay_alu instid0(VALU_DEP_1)
	v_div_fixup_f32 v3, v6, v1, v3
.LBB46_5:
	s_or_b32 exec_lo, exec_lo, s3
	v_mul_f32_e32 v1, s9, v8
	s_mov_b32 s3, exec_lo
	s_delay_alu instid0(VALU_DEP_1)
	v_cmpx_nlt_f32_e32 s10, v1
	s_cbranch_execz .LBB46_7
; %bb.6:
	v_mul_f32_e32 v6, 0x3fb8aa3b, v1
	v_cmp_ngt_f32_e32 vcc_lo, 0xc2ce8ed0, v1
	s_delay_alu instid0(VALU_DEP_2) | instskip(SKIP_1) | instid1(VALU_DEP_2)
	v_rndne_f32_e32 v7, v6
	v_fma_f32 v8, 0x3fb8aa3b, v1, -v6
	v_sub_f32_e32 v6, v6, v7
	s_delay_alu instid0(VALU_DEP_2) | instskip(SKIP_1) | instid1(VALU_DEP_2)
	v_fmamk_f32 v8, v1, 0x32a5705f, v8
	v_cvt_i32_f32_e32 v7, v7
	v_add_f32_e32 v6, v6, v8
	s_delay_alu instid0(VALU_DEP_1) | instskip(SKIP_1) | instid1(TRANS32_DEP_1)
	v_exp_f32_e32 v6, v6
	v_nop
	v_ldexp_f32 v6, v6, v7
	s_delay_alu instid0(VALU_DEP_1) | instskip(SKIP_1) | instid1(VALU_DEP_2)
	v_cndmask_b32_e32 v6, 0, v6, vcc_lo
	v_cmp_nlt_f32_e32 vcc_lo, 0x42b17218, v1
	v_cndmask_b32_e32 v1, 0x7f800000, v6, vcc_lo
	s_wait_loadcnt 0x0
	s_delay_alu instid0(VALU_DEP_1) | instskip(NEXT) | instid1(VALU_DEP_1)
	v_dual_mul_f32 v4, v4, v1 :: v_dual_add_f32 v1, 1.0, v1
	v_div_scale_f32 v6, null, v1, v1, v4
	s_delay_alu instid0(VALU_DEP_1) | instskip(SKIP_1) | instid1(TRANS32_DEP_1)
	v_rcp_f32_e32 v7, v6
	v_nop
	v_fma_f32 v8, -v6, v7, 1.0
	s_delay_alu instid0(VALU_DEP_1) | instskip(SKIP_1) | instid1(VALU_DEP_1)
	v_fmac_f32_e32 v7, v8, v7
	v_div_scale_f32 v8, vcc_lo, v4, v1, v4
	v_mul_f32_e32 v10, v8, v7
	s_delay_alu instid0(VALU_DEP_1) | instskip(NEXT) | instid1(VALU_DEP_1)
	v_fma_f32 v11, -v6, v10, v8
	v_fmac_f32_e32 v10, v11, v7
	s_delay_alu instid0(VALU_DEP_1) | instskip(NEXT) | instid1(VALU_DEP_1)
	v_fma_f32 v6, -v6, v10, v8
	v_div_fmas_f32 v6, v6, v7, v10
	s_delay_alu instid0(VALU_DEP_1)
	v_div_fixup_f32 v4, v6, v1, v4
.LBB46_7:
	;; [unrolled: 46-line block ×3, first 2 shown]
	s_or_b32 exec_lo, exec_lo, s3
	s_add_nc_u64 s[14:15], s[4:5], s[0:1]
	s_mov_b32 s0, 0
	s_wait_loadcnt 0x0
	global_store_b128 v0, v[2:5], s[14:15] scale_offset
.LBB46_10:
	s_and_b32 vcc_lo, exec_lo, s0
	s_cbranch_vccz .LBB46_37
; %bb.11:
	v_cmp_gt_i32_e64 s0, s8, v0
	v_dual_mov_b32 v14, 0 :: v_dual_bitop2_b32 v1, s2, v0 bitop3:0x54
	v_or_b32_e32 v10, 0x100, v0
	v_dual_mov_b32 v6, 0 :: v_dual_mov_b32 v7, 0
	s_wait_xcnt 0x0
	v_mov_b32_e32 v2, v0
	s_and_saveexec_b32 s1, s0
	s_cbranch_execz .LBB46_13
; %bb.12:
	s_clause 0x1
	global_load_b32 v6, v1, s[6:7] scale_offset
	global_load_b32 v7, v1, s[12:13] scale_offset
	v_or_b32_e32 v2, 0x100, v0
.LBB46_13:
	s_wait_xcnt 0x0
	s_or_b32 exec_lo, exec_lo, s1
	v_mov_b32_e32 v16, 0
	s_mov_b32 s1, exec_lo
	v_cmpx_gt_i32_e64 s8, v2
	s_cbranch_execz .LBB46_15
; %bb.14:
	v_add_nc_u32_e32 v3, s2, v2
	v_add_nc_u32_e32 v2, 0x100, v2
	s_clause 0x1
	global_load_b32 v14, v3, s[6:7] scale_offset
	global_load_b32 v16, v3, s[12:13] scale_offset
.LBB46_15:
	s_wait_xcnt 0x0
	s_or_b32 exec_lo, exec_lo, s1
	v_dual_mov_b32 v11, 0 :: v_dual_mov_b32 v13, 0
	v_mov_b32_e32 v15, 0
	s_mov_b32 s1, exec_lo
	v_cmpx_gt_i32_e64 s8, v2
	s_cbranch_execz .LBB46_17
; %bb.16:
	v_add_nc_u32_e32 v3, s2, v2
	v_add_nc_u32_e32 v2, 0x100, v2
	s_clause 0x1
	global_load_b32 v13, v3, s[6:7] scale_offset
	global_load_b32 v15, v3, s[12:13] scale_offset
.LBB46_17:
	s_wait_xcnt 0x0
	s_or_b32 exec_lo, exec_lo, s1
	v_mov_b32_e32 v12, 0
	s_mov_b32 s1, exec_lo
	v_cmpx_gt_i32_e64 s8, v2
	s_cbranch_execz .LBB46_19
; %bb.18:
	v_add_nc_u32_e32 v2, s2, v2
	s_clause 0x1
	global_load_b32 v11, v2, s[6:7] scale_offset
	global_load_b32 v12, v2, s[12:13] scale_offset
.LBB46_19:
	s_wait_xcnt 0x0
	s_or_b32 exec_lo, exec_lo, s1
	v_mov_b32_e32 v2, 0
	s_delay_alu instid0(VALU_DEP_1)
	v_dual_mov_b32 v3, v2 :: v_dual_mov_b32 v4, v2
	v_mov_b32_e32 v5, v2
	s_and_saveexec_b32 s1, s0
	s_cbranch_execz .LBB46_23
; %bb.20:
	s_wait_loadcnt 0x0
	v_mul_f32_e32 v2, s9, v7
	s_mov_b32 s3, exec_lo
	s_delay_alu instid0(VALU_DEP_1)
	v_cmpx_nlt_f32_e32 s10, v2
	s_cbranch_execz .LBB46_22
; %bb.21:
	v_mul_f32_e32 v3, 0x3fb8aa3b, v2
	v_cmp_ngt_f32_e32 vcc_lo, 0xc2ce8ed0, v2
	s_delay_alu instid0(VALU_DEP_2) | instskip(SKIP_1) | instid1(VALU_DEP_2)
	v_rndne_f32_e32 v4, v3
	v_fma_f32 v5, 0x3fb8aa3b, v2, -v3
	v_sub_f32_e32 v3, v3, v4
	s_delay_alu instid0(VALU_DEP_2) | instskip(SKIP_1) | instid1(VALU_DEP_2)
	v_fmamk_f32 v5, v2, 0x32a5705f, v5
	v_cvt_i32_f32_e32 v4, v4
	v_add_f32_e32 v3, v3, v5
	s_delay_alu instid0(VALU_DEP_1) | instskip(SKIP_1) | instid1(TRANS32_DEP_1)
	v_exp_f32_e32 v3, v3
	v_nop
	v_ldexp_f32 v3, v3, v4
	s_delay_alu instid0(VALU_DEP_1) | instskip(SKIP_1) | instid1(VALU_DEP_2)
	v_cndmask_b32_e32 v3, 0, v3, vcc_lo
	v_cmp_nlt_f32_e32 vcc_lo, 0x42b17218, v2
	v_cndmask_b32_e32 v2, 0x7f800000, v3, vcc_lo
	s_delay_alu instid0(VALU_DEP_1) | instskip(NEXT) | instid1(VALU_DEP_1)
	v_dual_mul_f32 v3, v6, v2 :: v_dual_add_f32 v2, 1.0, v2
	v_div_scale_f32 v4, null, v2, v2, v3
	s_delay_alu instid0(VALU_DEP_1) | instskip(SKIP_1) | instid1(TRANS32_DEP_1)
	v_rcp_f32_e32 v5, v4
	v_nop
	v_fma_f32 v6, -v4, v5, 1.0
	s_delay_alu instid0(VALU_DEP_1) | instskip(SKIP_1) | instid1(VALU_DEP_1)
	v_fmac_f32_e32 v5, v6, v5
	v_div_scale_f32 v6, vcc_lo, v3, v2, v3
	v_mul_f32_e32 v7, v6, v5
	s_delay_alu instid0(VALU_DEP_1) | instskip(NEXT) | instid1(VALU_DEP_1)
	v_fma_f32 v8, -v4, v7, v6
	v_fmac_f32_e32 v7, v8, v5
	s_delay_alu instid0(VALU_DEP_1) | instskip(NEXT) | instid1(VALU_DEP_1)
	v_fma_f32 v4, -v4, v7, v6
	v_div_fmas_f32 v4, v4, v5, v7
	s_delay_alu instid0(VALU_DEP_1)
	v_div_fixup_f32 v6, v4, v2, v3
.LBB46_22:
	s_or_b32 exec_lo, exec_lo, s3
	v_mov_b32_e32 v7, 0
	s_delay_alu instid0(VALU_DEP_1) | instskip(NEXT) | instid1(VALU_DEP_3)
	v_dual_mov_b32 v8, v7 :: v_dual_mov_b32 v9, v7
	v_mov_b64_e32 v[2:3], v[6:7]
	s_delay_alu instid0(VALU_DEP_2)
	v_mov_b64_e32 v[4:5], v[8:9]
.LBB46_23:
	s_or_b32 exec_lo, exec_lo, s1
	s_delay_alu instid0(SALU_CYCLE_1)
	s_mov_b32 s1, exec_lo
	v_cmpx_gt_i32_e64 s8, v10
	s_cbranch_execz .LBB46_27
; %bb.24:
	s_wait_loadcnt 0x0
	v_mul_f32_e32 v3, s9, v16
	s_mov_b32 s3, exec_lo
	s_delay_alu instid0(VALU_DEP_1)
	v_cmpx_nlt_f32_e32 s10, v3
	s_cbranch_execz .LBB46_26
; %bb.25:
	v_mul_f32_e32 v6, 0x3fb8aa3b, v3
	v_cmp_ngt_f32_e32 vcc_lo, 0xc2ce8ed0, v3
	s_delay_alu instid0(VALU_DEP_2) | instskip(SKIP_1) | instid1(VALU_DEP_2)
	v_rndne_f32_e32 v7, v6
	v_fma_f32 v8, 0x3fb8aa3b, v3, -v6
	v_sub_f32_e32 v6, v6, v7
	s_delay_alu instid0(VALU_DEP_2) | instskip(SKIP_1) | instid1(VALU_DEP_2)
	v_fmamk_f32 v8, v3, 0x32a5705f, v8
	v_cvt_i32_f32_e32 v7, v7
	v_add_f32_e32 v6, v6, v8
	s_delay_alu instid0(VALU_DEP_1) | instskip(SKIP_1) | instid1(TRANS32_DEP_1)
	v_exp_f32_e32 v6, v6
	v_nop
	v_ldexp_f32 v6, v6, v7
	s_delay_alu instid0(VALU_DEP_1) | instskip(SKIP_1) | instid1(VALU_DEP_2)
	v_cndmask_b32_e32 v6, 0, v6, vcc_lo
	v_cmp_nlt_f32_e32 vcc_lo, 0x42b17218, v3
	v_cndmask_b32_e32 v3, 0x7f800000, v6, vcc_lo
	s_delay_alu instid0(VALU_DEP_1) | instskip(NEXT) | instid1(VALU_DEP_1)
	v_dual_mul_f32 v6, v14, v3 :: v_dual_add_f32 v3, 1.0, v3
	v_div_scale_f32 v7, null, v3, v3, v6
	s_delay_alu instid0(VALU_DEP_1) | instskip(SKIP_1) | instid1(TRANS32_DEP_1)
	v_rcp_f32_e32 v8, v7
	v_nop
	v_fma_f32 v9, -v7, v8, 1.0
	s_delay_alu instid0(VALU_DEP_1) | instskip(SKIP_1) | instid1(VALU_DEP_1)
	v_fmac_f32_e32 v8, v9, v8
	v_div_scale_f32 v9, vcc_lo, v6, v3, v6
	v_mul_f32_e32 v14, v9, v8
	s_delay_alu instid0(VALU_DEP_1) | instskip(NEXT) | instid1(VALU_DEP_1)
	v_fma_f32 v16, -v7, v14, v9
	v_fmac_f32_e32 v14, v16, v8
	s_delay_alu instid0(VALU_DEP_1) | instskip(NEXT) | instid1(VALU_DEP_1)
	v_fma_f32 v7, -v7, v14, v9
	v_div_fmas_f32 v7, v7, v8, v14
	s_delay_alu instid0(VALU_DEP_1)
	v_div_fixup_f32 v14, v7, v3, v6
.LBB46_26:
	s_or_b32 exec_lo, exec_lo, s3
	s_delay_alu instid0(VALU_DEP_1)
	v_mov_b32_e32 v3, v14
.LBB46_27:
	s_or_b32 exec_lo, exec_lo, s1
	s_wait_loadcnt 0x1
	v_or_b32_e32 v6, 0x200, v0
	s_mov_b32 s1, exec_lo
	s_delay_alu instid0(VALU_DEP_1)
	v_cmpx_gt_i32_e64 s8, v6
	s_cbranch_execz .LBB46_31
; %bb.28:
	s_wait_loadcnt 0x0
	v_mul_f32_e32 v4, s9, v15
	s_mov_b32 s3, exec_lo
	s_delay_alu instid0(VALU_DEP_1)
	v_cmpx_nlt_f32_e32 s10, v4
	s_cbranch_execz .LBB46_30
; %bb.29:
	v_mul_f32_e32 v6, 0x3fb8aa3b, v4
	v_cmp_ngt_f32_e32 vcc_lo, 0xc2ce8ed0, v4
	s_delay_alu instid0(VALU_DEP_2) | instskip(SKIP_1) | instid1(VALU_DEP_2)
	v_rndne_f32_e32 v7, v6
	v_fma_f32 v8, 0x3fb8aa3b, v4, -v6
	v_sub_f32_e32 v6, v6, v7
	s_delay_alu instid0(VALU_DEP_2) | instskip(SKIP_1) | instid1(VALU_DEP_2)
	v_fmamk_f32 v8, v4, 0x32a5705f, v8
	v_cvt_i32_f32_e32 v7, v7
	v_add_f32_e32 v6, v6, v8
	s_delay_alu instid0(VALU_DEP_1) | instskip(SKIP_1) | instid1(TRANS32_DEP_1)
	v_exp_f32_e32 v6, v6
	v_nop
	v_ldexp_f32 v6, v6, v7
	s_delay_alu instid0(VALU_DEP_1) | instskip(SKIP_1) | instid1(VALU_DEP_2)
	v_cndmask_b32_e32 v6, 0, v6, vcc_lo
	v_cmp_nlt_f32_e32 vcc_lo, 0x42b17218, v4
	v_cndmask_b32_e32 v4, 0x7f800000, v6, vcc_lo
	s_delay_alu instid0(VALU_DEP_1) | instskip(NEXT) | instid1(VALU_DEP_1)
	v_dual_mul_f32 v6, v13, v4 :: v_dual_add_f32 v4, 1.0, v4
	v_div_scale_f32 v7, null, v4, v4, v6
	s_delay_alu instid0(VALU_DEP_1) | instskip(SKIP_1) | instid1(TRANS32_DEP_1)
	v_rcp_f32_e32 v8, v7
	v_nop
	v_fma_f32 v9, -v7, v8, 1.0
	s_delay_alu instid0(VALU_DEP_1) | instskip(SKIP_1) | instid1(VALU_DEP_1)
	v_fmac_f32_e32 v8, v9, v8
	v_div_scale_f32 v9, vcc_lo, v6, v4, v6
	v_mul_f32_e32 v13, v9, v8
	s_delay_alu instid0(VALU_DEP_1) | instskip(NEXT) | instid1(VALU_DEP_1)
	v_fma_f32 v14, -v7, v13, v9
	v_fmac_f32_e32 v13, v14, v8
	s_delay_alu instid0(VALU_DEP_1) | instskip(NEXT) | instid1(VALU_DEP_1)
	v_fma_f32 v7, -v7, v13, v9
	v_div_fmas_f32 v7, v7, v8, v13
	s_delay_alu instid0(VALU_DEP_1)
	v_div_fixup_f32 v13, v7, v4, v6
.LBB46_30:
	s_or_b32 exec_lo, exec_lo, s3
	s_delay_alu instid0(VALU_DEP_1)
	v_mov_b32_e32 v4, v13
.LBB46_31:
	s_or_b32 exec_lo, exec_lo, s1
	v_or_b32_e32 v6, 0x300, v0
	s_mov_b32 s1, exec_lo
	s_delay_alu instid0(VALU_DEP_1)
	v_cmpx_gt_i32_e64 s8, v6
	s_cbranch_execnz .LBB46_38
; %bb.32:
	s_or_b32 exec_lo, exec_lo, s1
	s_and_saveexec_b32 s1, s0
	s_delay_alu instid0(SALU_CYCLE_1)
	s_xor_b32 s0, exec_lo, s1
	s_cbranch_execnz .LBB46_41
.LBB46_33:
	s_or_b32 exec_lo, exec_lo, s0
	s_delay_alu instid0(SALU_CYCLE_1)
	s_mov_b32 s0, exec_lo
	v_cmpx_gt_i32_e64 s8, v0
	s_cbranch_execnz .LBB46_42
.LBB46_34:
	s_or_b32 exec_lo, exec_lo, s0
	s_delay_alu instid0(SALU_CYCLE_1)
	s_mov_b32 s0, exec_lo
	v_cmpx_gt_i32_e64 s8, v0
	s_cbranch_execnz .LBB46_43
.LBB46_35:
	s_or_b32 exec_lo, exec_lo, s0
	s_delay_alu instid0(SALU_CYCLE_1)
	s_mov_b32 s0, exec_lo
	v_cmpx_gt_i32_e64 s8, v0
	s_cbranch_execz .LBB46_37
.LBB46_36:
	v_add_nc_u32_e32 v0, s2, v0
	global_store_b32 v0, v5, s[4:5] scale_offset
.LBB46_37:
	s_endpgm
.LBB46_38:
	s_wait_loadcnt 0x0
	v_mul_f32_e32 v5, s9, v12
	s_mov_b32 s3, exec_lo
	s_delay_alu instid0(VALU_DEP_1)
	v_cmpx_nlt_f32_e32 s10, v5
	s_cbranch_execz .LBB46_40
; %bb.39:
	v_mul_f32_e32 v6, 0x3fb8aa3b, v5
	v_cmp_ngt_f32_e32 vcc_lo, 0xc2ce8ed0, v5
	s_delay_alu instid0(VALU_DEP_2) | instskip(SKIP_1) | instid1(VALU_DEP_2)
	v_rndne_f32_e32 v7, v6
	v_fma_f32 v8, 0x3fb8aa3b, v5, -v6
	v_sub_f32_e32 v6, v6, v7
	s_delay_alu instid0(VALU_DEP_2) | instskip(SKIP_1) | instid1(VALU_DEP_2)
	v_fmamk_f32 v8, v5, 0x32a5705f, v8
	v_cvt_i32_f32_e32 v7, v7
	v_add_f32_e32 v6, v6, v8
	s_delay_alu instid0(VALU_DEP_1) | instskip(SKIP_1) | instid1(TRANS32_DEP_1)
	v_exp_f32_e32 v6, v6
	v_nop
	v_ldexp_f32 v6, v6, v7
	s_delay_alu instid0(VALU_DEP_1) | instskip(SKIP_1) | instid1(VALU_DEP_2)
	v_cndmask_b32_e32 v6, 0, v6, vcc_lo
	v_cmp_nlt_f32_e32 vcc_lo, 0x42b17218, v5
	v_cndmask_b32_e32 v5, 0x7f800000, v6, vcc_lo
	s_delay_alu instid0(VALU_DEP_1) | instskip(NEXT) | instid1(VALU_DEP_1)
	v_dual_mul_f32 v6, v11, v5 :: v_dual_add_f32 v5, 1.0, v5
	v_div_scale_f32 v7, null, v5, v5, v6
	s_delay_alu instid0(VALU_DEP_1) | instskip(SKIP_1) | instid1(TRANS32_DEP_1)
	v_rcp_f32_e32 v8, v7
	v_nop
	v_fma_f32 v9, -v7, v8, 1.0
	s_delay_alu instid0(VALU_DEP_1) | instskip(SKIP_1) | instid1(VALU_DEP_1)
	v_fmac_f32_e32 v8, v9, v8
	v_div_scale_f32 v9, vcc_lo, v6, v5, v6
	v_mul_f32_e32 v11, v9, v8
	s_delay_alu instid0(VALU_DEP_1) | instskip(NEXT) | instid1(VALU_DEP_1)
	v_fma_f32 v12, -v7, v11, v9
	v_fmac_f32_e32 v11, v12, v8
	s_delay_alu instid0(VALU_DEP_1) | instskip(NEXT) | instid1(VALU_DEP_1)
	v_fma_f32 v7, -v7, v11, v9
	v_div_fmas_f32 v7, v7, v8, v11
	s_delay_alu instid0(VALU_DEP_1)
	v_div_fixup_f32 v11, v7, v5, v6
.LBB46_40:
	s_or_b32 exec_lo, exec_lo, s3
	s_delay_alu instid0(VALU_DEP_1) | instskip(SKIP_2) | instid1(SALU_CYCLE_1)
	v_mov_b32_e32 v5, v11
	s_or_b32 exec_lo, exec_lo, s1
	s_and_saveexec_b32 s1, s0
	s_xor_b32 s0, exec_lo, s1
	s_cbranch_execz .LBB46_33
.LBB46_41:
	v_mov_b32_e32 v0, v10
	global_store_b32 v1, v2, s[4:5] scale_offset
	s_wait_xcnt 0x0
	s_or_b32 exec_lo, exec_lo, s0
	s_delay_alu instid0(SALU_CYCLE_1)
	s_mov_b32 s0, exec_lo
	v_cmpx_gt_i32_e64 s8, v0
	s_cbranch_execz .LBB46_34
.LBB46_42:
	v_add_nc_u32_e32 v1, s2, v0
	v_add_nc_u32_e32 v0, 0x100, v0
	global_store_b32 v1, v3, s[4:5] scale_offset
	s_wait_xcnt 0x0
	s_or_b32 exec_lo, exec_lo, s0
	s_delay_alu instid0(SALU_CYCLE_1)
	s_mov_b32 s0, exec_lo
	v_cmpx_gt_i32_e64 s8, v0
	s_cbranch_execz .LBB46_35
.LBB46_43:
	v_add_nc_u32_e32 v1, s2, v0
	v_add_nc_u32_e32 v0, 0x100, v0
	global_store_b32 v1, v4, s[4:5] scale_offset
	s_wait_xcnt 0x0
	s_or_b32 exec_lo, exec_lo, s0
	s_delay_alu instid0(SALU_CYCLE_1)
	s_mov_b32 s0, exec_lo
	v_cmpx_gt_i32_e64 s8, v0
	s_cbranch_execnz .LBB46_36
	s_branch .LBB46_37
	.section	.rodata,"a",@progbits
	.p2align	6, 0x0
	.amdhsa_kernel _ZN2at6native29vectorized_elementwise_kernelILi4EZZZNS0_12_GLOBAL__N_124softplus_backward_kernelERNS_18TensorIteratorBaseERKN3c106ScalarES8_ENKUlvE_clEvENKUlvE0_clEvEUlffE_St5arrayIPcLm3EEEEviT0_T1_
		.amdhsa_group_segment_fixed_size 0
		.amdhsa_private_segment_fixed_size 0
		.amdhsa_kernarg_size 40
		.amdhsa_user_sgpr_count 2
		.amdhsa_user_sgpr_dispatch_ptr 0
		.amdhsa_user_sgpr_queue_ptr 0
		.amdhsa_user_sgpr_kernarg_segment_ptr 1
		.amdhsa_user_sgpr_dispatch_id 0
		.amdhsa_user_sgpr_kernarg_preload_length 0
		.amdhsa_user_sgpr_kernarg_preload_offset 0
		.amdhsa_user_sgpr_private_segment_size 0
		.amdhsa_wavefront_size32 1
		.amdhsa_uses_dynamic_stack 0
		.amdhsa_enable_private_segment 0
		.amdhsa_system_sgpr_workgroup_id_x 1
		.amdhsa_system_sgpr_workgroup_id_y 0
		.amdhsa_system_sgpr_workgroup_id_z 0
		.amdhsa_system_sgpr_workgroup_info 0
		.amdhsa_system_vgpr_workitem_id 0
		.amdhsa_next_free_vgpr 17
		.amdhsa_next_free_sgpr 16
		.amdhsa_named_barrier_count 0
		.amdhsa_reserve_vcc 1
		.amdhsa_float_round_mode_32 0
		.amdhsa_float_round_mode_16_64 0
		.amdhsa_float_denorm_mode_32 3
		.amdhsa_float_denorm_mode_16_64 3
		.amdhsa_fp16_overflow 0
		.amdhsa_memory_ordered 1
		.amdhsa_forward_progress 1
		.amdhsa_inst_pref_size 23
		.amdhsa_round_robin_scheduling 0
		.amdhsa_exception_fp_ieee_invalid_op 0
		.amdhsa_exception_fp_denorm_src 0
		.amdhsa_exception_fp_ieee_div_zero 0
		.amdhsa_exception_fp_ieee_overflow 0
		.amdhsa_exception_fp_ieee_underflow 0
		.amdhsa_exception_fp_ieee_inexact 0
		.amdhsa_exception_int_div_zero 0
	.end_amdhsa_kernel
	.section	.text._ZN2at6native29vectorized_elementwise_kernelILi4EZZZNS0_12_GLOBAL__N_124softplus_backward_kernelERNS_18TensorIteratorBaseERKN3c106ScalarES8_ENKUlvE_clEvENKUlvE0_clEvEUlffE_St5arrayIPcLm3EEEEviT0_T1_,"axG",@progbits,_ZN2at6native29vectorized_elementwise_kernelILi4EZZZNS0_12_GLOBAL__N_124softplus_backward_kernelERNS_18TensorIteratorBaseERKN3c106ScalarES8_ENKUlvE_clEvENKUlvE0_clEvEUlffE_St5arrayIPcLm3EEEEviT0_T1_,comdat
.Lfunc_end46:
	.size	_ZN2at6native29vectorized_elementwise_kernelILi4EZZZNS0_12_GLOBAL__N_124softplus_backward_kernelERNS_18TensorIteratorBaseERKN3c106ScalarES8_ENKUlvE_clEvENKUlvE0_clEvEUlffE_St5arrayIPcLm3EEEEviT0_T1_, .Lfunc_end46-_ZN2at6native29vectorized_elementwise_kernelILi4EZZZNS0_12_GLOBAL__N_124softplus_backward_kernelERNS_18TensorIteratorBaseERKN3c106ScalarES8_ENKUlvE_clEvENKUlvE0_clEvEUlffE_St5arrayIPcLm3EEEEviT0_T1_
                                        ; -- End function
	.set _ZN2at6native29vectorized_elementwise_kernelILi4EZZZNS0_12_GLOBAL__N_124softplus_backward_kernelERNS_18TensorIteratorBaseERKN3c106ScalarES8_ENKUlvE_clEvENKUlvE0_clEvEUlffE_St5arrayIPcLm3EEEEviT0_T1_.num_vgpr, 17
	.set _ZN2at6native29vectorized_elementwise_kernelILi4EZZZNS0_12_GLOBAL__N_124softplus_backward_kernelERNS_18TensorIteratorBaseERKN3c106ScalarES8_ENKUlvE_clEvENKUlvE0_clEvEUlffE_St5arrayIPcLm3EEEEviT0_T1_.num_agpr, 0
	.set _ZN2at6native29vectorized_elementwise_kernelILi4EZZZNS0_12_GLOBAL__N_124softplus_backward_kernelERNS_18TensorIteratorBaseERKN3c106ScalarES8_ENKUlvE_clEvENKUlvE0_clEvEUlffE_St5arrayIPcLm3EEEEviT0_T1_.numbered_sgpr, 16
	.set _ZN2at6native29vectorized_elementwise_kernelILi4EZZZNS0_12_GLOBAL__N_124softplus_backward_kernelERNS_18TensorIteratorBaseERKN3c106ScalarES8_ENKUlvE_clEvENKUlvE0_clEvEUlffE_St5arrayIPcLm3EEEEviT0_T1_.num_named_barrier, 0
	.set _ZN2at6native29vectorized_elementwise_kernelILi4EZZZNS0_12_GLOBAL__N_124softplus_backward_kernelERNS_18TensorIteratorBaseERKN3c106ScalarES8_ENKUlvE_clEvENKUlvE0_clEvEUlffE_St5arrayIPcLm3EEEEviT0_T1_.private_seg_size, 0
	.set _ZN2at6native29vectorized_elementwise_kernelILi4EZZZNS0_12_GLOBAL__N_124softplus_backward_kernelERNS_18TensorIteratorBaseERKN3c106ScalarES8_ENKUlvE_clEvENKUlvE0_clEvEUlffE_St5arrayIPcLm3EEEEviT0_T1_.uses_vcc, 1
	.set _ZN2at6native29vectorized_elementwise_kernelILi4EZZZNS0_12_GLOBAL__N_124softplus_backward_kernelERNS_18TensorIteratorBaseERKN3c106ScalarES8_ENKUlvE_clEvENKUlvE0_clEvEUlffE_St5arrayIPcLm3EEEEviT0_T1_.uses_flat_scratch, 0
	.set _ZN2at6native29vectorized_elementwise_kernelILi4EZZZNS0_12_GLOBAL__N_124softplus_backward_kernelERNS_18TensorIteratorBaseERKN3c106ScalarES8_ENKUlvE_clEvENKUlvE0_clEvEUlffE_St5arrayIPcLm3EEEEviT0_T1_.has_dyn_sized_stack, 0
	.set _ZN2at6native29vectorized_elementwise_kernelILi4EZZZNS0_12_GLOBAL__N_124softplus_backward_kernelERNS_18TensorIteratorBaseERKN3c106ScalarES8_ENKUlvE_clEvENKUlvE0_clEvEUlffE_St5arrayIPcLm3EEEEviT0_T1_.has_recursion, 0
	.set _ZN2at6native29vectorized_elementwise_kernelILi4EZZZNS0_12_GLOBAL__N_124softplus_backward_kernelERNS_18TensorIteratorBaseERKN3c106ScalarES8_ENKUlvE_clEvENKUlvE0_clEvEUlffE_St5arrayIPcLm3EEEEviT0_T1_.has_indirect_call, 0
	.section	.AMDGPU.csdata,"",@progbits
; Kernel info:
; codeLenInByte = 2876
; TotalNumSgprs: 18
; NumVgprs: 17
; ScratchSize: 0
; MemoryBound: 0
; FloatMode: 240
; IeeeMode: 1
; LDSByteSize: 0 bytes/workgroup (compile time only)
; SGPRBlocks: 0
; VGPRBlocks: 1
; NumSGPRsForWavesPerEU: 18
; NumVGPRsForWavesPerEU: 17
; NamedBarCnt: 0
; Occupancy: 16
; WaveLimiterHint : 0
; COMPUTE_PGM_RSRC2:SCRATCH_EN: 0
; COMPUTE_PGM_RSRC2:USER_SGPR: 2
; COMPUTE_PGM_RSRC2:TRAP_HANDLER: 0
; COMPUTE_PGM_RSRC2:TGID_X_EN: 1
; COMPUTE_PGM_RSRC2:TGID_Y_EN: 0
; COMPUTE_PGM_RSRC2:TGID_Z_EN: 0
; COMPUTE_PGM_RSRC2:TIDIG_COMP_CNT: 0
	.section	.text._ZN2at6native29vectorized_elementwise_kernelILi2EZZZNS0_12_GLOBAL__N_124softplus_backward_kernelERNS_18TensorIteratorBaseERKN3c106ScalarES8_ENKUlvE_clEvENKUlvE0_clEvEUlffE_St5arrayIPcLm3EEEEviT0_T1_,"axG",@progbits,_ZN2at6native29vectorized_elementwise_kernelILi2EZZZNS0_12_GLOBAL__N_124softplus_backward_kernelERNS_18TensorIteratorBaseERKN3c106ScalarES8_ENKUlvE_clEvENKUlvE0_clEvEUlffE_St5arrayIPcLm3EEEEviT0_T1_,comdat
	.globl	_ZN2at6native29vectorized_elementwise_kernelILi2EZZZNS0_12_GLOBAL__N_124softplus_backward_kernelERNS_18TensorIteratorBaseERKN3c106ScalarES8_ENKUlvE_clEvENKUlvE0_clEvEUlffE_St5arrayIPcLm3EEEEviT0_T1_ ; -- Begin function _ZN2at6native29vectorized_elementwise_kernelILi2EZZZNS0_12_GLOBAL__N_124softplus_backward_kernelERNS_18TensorIteratorBaseERKN3c106ScalarES8_ENKUlvE_clEvENKUlvE0_clEvEUlffE_St5arrayIPcLm3EEEEviT0_T1_
	.p2align	8
	.type	_ZN2at6native29vectorized_elementwise_kernelILi2EZZZNS0_12_GLOBAL__N_124softplus_backward_kernelERNS_18TensorIteratorBaseERKN3c106ScalarES8_ENKUlvE_clEvENKUlvE0_clEvEUlffE_St5arrayIPcLm3EEEEviT0_T1_,@function
_ZN2at6native29vectorized_elementwise_kernelILi2EZZZNS0_12_GLOBAL__N_124softplus_backward_kernelERNS_18TensorIteratorBaseERKN3c106ScalarES8_ENKUlvE_clEvENKUlvE0_clEvEUlffE_St5arrayIPcLm3EEEEviT0_T1_: ; @_ZN2at6native29vectorized_elementwise_kernelILi2EZZZNS0_12_GLOBAL__N_124softplus_backward_kernelERNS_18TensorIteratorBaseERKN3c106ScalarES8_ENKUlvE_clEvENKUlvE0_clEvEUlffE_St5arrayIPcLm3EEEEviT0_T1_
; %bb.0:
	s_clause 0x2
	s_load_b96 s[8:10], s[0:1], 0x0
	s_load_b128 s[4:7], s[0:1], 0x10
	s_load_b64 s[12:13], s[0:1], 0x20
	s_wait_xcnt 0x0
	s_bfe_u32 s0, ttmp6, 0x4000c
	s_and_b32 s1, ttmp6, 15
	s_add_co_i32 s0, s0, 1
	s_getreg_b32 s2, hwreg(HW_REG_IB_STS2, 6, 4)
	s_mul_i32 s0, ttmp9, s0
	s_delay_alu instid0(SALU_CYCLE_1) | instskip(SKIP_2) | instid1(SALU_CYCLE_1)
	s_add_co_i32 s1, s1, s0
	s_cmp_eq_u32 s2, 0
	s_cselect_b32 s0, ttmp9, s1
	s_lshl_b32 s2, s0, 10
	s_mov_b32 s0, -1
	s_wait_kmcnt 0x0
	s_sub_co_i32 s8, s8, s2
	s_delay_alu instid0(SALU_CYCLE_1)
	s_cmp_gt_i32 s8, 0x3ff
	s_cbranch_scc0 .LBB47_10
; %bb.1:
	s_ashr_i32 s3, s2, 31
	s_delay_alu instid0(SALU_CYCLE_1)
	s_lshl_b64 s[0:1], s[2:3], 2
	s_mov_b32 s3, exec_lo
	s_add_nc_u64 s[14:15], s[12:13], s[0:1]
	s_add_nc_u64 s[16:17], s[6:7], s[0:1]
	s_clause 0x3
	global_load_b64 v[8:9], v0, s[14:15] scale_offset
	global_load_b64 v[4:5], v0, s[16:17] scale_offset
	global_load_b64 v[2:3], v0, s[16:17] offset:2048 scale_offset
	global_load_b64 v[6:7], v0, s[14:15] offset:2048 scale_offset
	s_wait_loadcnt 0x3
	v_mul_f32_e32 v1, s9, v8
	s_wait_xcnt 0x0
	s_delay_alu instid0(VALU_DEP_1)
	v_cmpx_nlt_f32_e32 s10, v1
	s_cbranch_execz .LBB47_3
; %bb.2:
	v_mul_f32_e32 v8, 0x3fb8aa3b, v1
	v_cmp_ngt_f32_e32 vcc_lo, 0xc2ce8ed0, v1
	s_delay_alu instid0(VALU_DEP_2) | instskip(SKIP_1) | instid1(VALU_DEP_1)
	v_rndne_f32_e32 v10, v8
	v_fma_f32 v11, 0x3fb8aa3b, v1, -v8
	v_dual_sub_f32 v8, v8, v10 :: v_dual_fmamk_f32 v11, v1, 0x32a5705f, v11
	v_cvt_i32_f32_e32 v10, v10
	s_delay_alu instid0(VALU_DEP_2) | instskip(NEXT) | instid1(VALU_DEP_1)
	v_add_f32_e32 v8, v8, v11
	v_exp_f32_e32 v8, v8
	v_nop
	s_delay_alu instid0(TRANS32_DEP_1) | instskip(NEXT) | instid1(VALU_DEP_1)
	v_ldexp_f32 v8, v8, v10
	v_cndmask_b32_e32 v8, 0, v8, vcc_lo
	v_cmp_nlt_f32_e32 vcc_lo, 0x42b17218, v1
	s_delay_alu instid0(VALU_DEP_2) | instskip(SKIP_1) | instid1(VALU_DEP_1)
	v_cndmask_b32_e32 v1, 0x7f800000, v8, vcc_lo
	s_wait_loadcnt 0x2
	v_dual_mul_f32 v4, v4, v1 :: v_dual_add_f32 v1, 1.0, v1
	s_delay_alu instid0(VALU_DEP_1) | instskip(NEXT) | instid1(VALU_DEP_1)
	v_div_scale_f32 v8, null, v1, v1, v4
	v_rcp_f32_e32 v10, v8
	v_nop
	s_delay_alu instid0(TRANS32_DEP_1) | instskip(NEXT) | instid1(VALU_DEP_1)
	v_fma_f32 v11, -v8, v10, 1.0
	v_fmac_f32_e32 v10, v11, v10
	v_div_scale_f32 v11, vcc_lo, v4, v1, v4
	s_delay_alu instid0(VALU_DEP_1) | instskip(NEXT) | instid1(VALU_DEP_1)
	v_mul_f32_e32 v12, v11, v10
	v_fma_f32 v13, -v8, v12, v11
	s_delay_alu instid0(VALU_DEP_1) | instskip(NEXT) | instid1(VALU_DEP_1)
	v_fmac_f32_e32 v12, v13, v10
	v_fma_f32 v8, -v8, v12, v11
	s_delay_alu instid0(VALU_DEP_1) | instskip(NEXT) | instid1(VALU_DEP_1)
	v_div_fmas_f32 v8, v8, v10, v12
	v_div_fixup_f32 v4, v8, v1, v4
.LBB47_3:
	s_or_b32 exec_lo, exec_lo, s3
	v_mul_f32_e32 v1, s9, v9
	s_mov_b32 s3, exec_lo
	s_delay_alu instid0(VALU_DEP_1)
	v_cmpx_nlt_f32_e32 s10, v1
	s_cbranch_execz .LBB47_5
; %bb.4:
	v_mul_f32_e32 v8, 0x3fb8aa3b, v1
	v_cmp_ngt_f32_e32 vcc_lo, 0xc2ce8ed0, v1
	s_delay_alu instid0(VALU_DEP_2) | instskip(SKIP_1) | instid1(VALU_DEP_2)
	v_rndne_f32_e32 v9, v8
	v_fma_f32 v10, 0x3fb8aa3b, v1, -v8
	v_sub_f32_e32 v8, v8, v9
	s_delay_alu instid0(VALU_DEP_2) | instskip(SKIP_1) | instid1(VALU_DEP_2)
	v_fmamk_f32 v10, v1, 0x32a5705f, v10
	v_cvt_i32_f32_e32 v9, v9
	v_add_f32_e32 v8, v8, v10
	s_delay_alu instid0(VALU_DEP_1) | instskip(SKIP_1) | instid1(TRANS32_DEP_1)
	v_exp_f32_e32 v8, v8
	v_nop
	v_ldexp_f32 v8, v8, v9
	s_delay_alu instid0(VALU_DEP_1) | instskip(SKIP_1) | instid1(VALU_DEP_2)
	v_cndmask_b32_e32 v8, 0, v8, vcc_lo
	v_cmp_nlt_f32_e32 vcc_lo, 0x42b17218, v1
	v_cndmask_b32_e32 v1, 0x7f800000, v8, vcc_lo
	s_wait_loadcnt 0x2
	s_delay_alu instid0(VALU_DEP_1) | instskip(NEXT) | instid1(VALU_DEP_1)
	v_dual_mul_f32 v5, v5, v1 :: v_dual_add_f32 v1, 1.0, v1
	v_div_scale_f32 v8, null, v1, v1, v5
	s_delay_alu instid0(VALU_DEP_1) | instskip(SKIP_1) | instid1(TRANS32_DEP_1)
	v_rcp_f32_e32 v9, v8
	v_nop
	v_fma_f32 v10, -v8, v9, 1.0
	s_delay_alu instid0(VALU_DEP_1) | instskip(SKIP_1) | instid1(VALU_DEP_1)
	v_fmac_f32_e32 v9, v10, v9
	v_div_scale_f32 v10, vcc_lo, v5, v1, v5
	v_mul_f32_e32 v11, v10, v9
	s_delay_alu instid0(VALU_DEP_1) | instskip(NEXT) | instid1(VALU_DEP_1)
	v_fma_f32 v12, -v8, v11, v10
	v_fmac_f32_e32 v11, v12, v9
	s_delay_alu instid0(VALU_DEP_1) | instskip(NEXT) | instid1(VALU_DEP_1)
	v_fma_f32 v8, -v8, v11, v10
	v_div_fmas_f32 v8, v8, v9, v11
	s_delay_alu instid0(VALU_DEP_1)
	v_div_fixup_f32 v5, v8, v1, v5
.LBB47_5:
	s_or_b32 exec_lo, exec_lo, s3
	s_wait_loadcnt 0x0
	v_mul_f32_e32 v1, s9, v6
	s_mov_b32 s3, exec_lo
	s_delay_alu instid0(VALU_DEP_1)
	v_cmpx_nlt_f32_e32 s10, v1
	s_cbranch_execz .LBB47_7
; %bb.6:
	v_mul_f32_e32 v6, 0x3fb8aa3b, v1
	v_cmp_ngt_f32_e32 vcc_lo, 0xc2ce8ed0, v1
	s_delay_alu instid0(VALU_DEP_2) | instskip(SKIP_1) | instid1(VALU_DEP_1)
	v_rndne_f32_e32 v8, v6
	v_fma_f32 v9, 0x3fb8aa3b, v1, -v6
	v_dual_sub_f32 v6, v6, v8 :: v_dual_fmamk_f32 v9, v1, 0x32a5705f, v9
	v_cvt_i32_f32_e32 v8, v8
	s_delay_alu instid0(VALU_DEP_2) | instskip(NEXT) | instid1(VALU_DEP_1)
	v_add_f32_e32 v6, v6, v9
	v_exp_f32_e32 v6, v6
	v_nop
	s_delay_alu instid0(TRANS32_DEP_1) | instskip(NEXT) | instid1(VALU_DEP_1)
	v_ldexp_f32 v6, v6, v8
	v_cndmask_b32_e32 v6, 0, v6, vcc_lo
	v_cmp_nlt_f32_e32 vcc_lo, 0x42b17218, v1
	s_delay_alu instid0(VALU_DEP_2) | instskip(NEXT) | instid1(VALU_DEP_1)
	v_cndmask_b32_e32 v1, 0x7f800000, v6, vcc_lo
	v_dual_mul_f32 v2, v2, v1 :: v_dual_add_f32 v1, 1.0, v1
	s_delay_alu instid0(VALU_DEP_1) | instskip(NEXT) | instid1(VALU_DEP_1)
	v_div_scale_f32 v6, null, v1, v1, v2
	v_rcp_f32_e32 v8, v6
	v_nop
	s_delay_alu instid0(TRANS32_DEP_1) | instskip(NEXT) | instid1(VALU_DEP_1)
	v_fma_f32 v9, -v6, v8, 1.0
	v_fmac_f32_e32 v8, v9, v8
	v_div_scale_f32 v9, vcc_lo, v2, v1, v2
	s_delay_alu instid0(VALU_DEP_1) | instskip(NEXT) | instid1(VALU_DEP_1)
	v_mul_f32_e32 v10, v9, v8
	v_fma_f32 v11, -v6, v10, v9
	s_delay_alu instid0(VALU_DEP_1) | instskip(NEXT) | instid1(VALU_DEP_1)
	v_fmac_f32_e32 v10, v11, v8
	v_fma_f32 v6, -v6, v10, v9
	s_delay_alu instid0(VALU_DEP_1) | instskip(NEXT) | instid1(VALU_DEP_1)
	v_div_fmas_f32 v6, v6, v8, v10
	v_div_fixup_f32 v2, v6, v1, v2
.LBB47_7:
	s_or_b32 exec_lo, exec_lo, s3
	v_mul_f32_e32 v1, s9, v7
	s_mov_b32 s3, exec_lo
	s_delay_alu instid0(VALU_DEP_1)
	v_cmpx_nlt_f32_e32 s10, v1
	s_cbranch_execz .LBB47_9
; %bb.8:
	v_mul_f32_e32 v6, 0x3fb8aa3b, v1
	v_cmp_ngt_f32_e32 vcc_lo, 0xc2ce8ed0, v1
	s_delay_alu instid0(VALU_DEP_2) | instskip(SKIP_1) | instid1(VALU_DEP_2)
	v_rndne_f32_e32 v7, v6
	v_fma_f32 v8, 0x3fb8aa3b, v1, -v6
	v_sub_f32_e32 v6, v6, v7
	s_delay_alu instid0(VALU_DEP_2) | instskip(SKIP_1) | instid1(VALU_DEP_2)
	v_fmamk_f32 v8, v1, 0x32a5705f, v8
	v_cvt_i32_f32_e32 v7, v7
	v_add_f32_e32 v6, v6, v8
	s_delay_alu instid0(VALU_DEP_1) | instskip(SKIP_1) | instid1(TRANS32_DEP_1)
	v_exp_f32_e32 v6, v6
	v_nop
	v_ldexp_f32 v6, v6, v7
	s_delay_alu instid0(VALU_DEP_1) | instskip(SKIP_1) | instid1(VALU_DEP_2)
	v_cndmask_b32_e32 v6, 0, v6, vcc_lo
	v_cmp_nlt_f32_e32 vcc_lo, 0x42b17218, v1
	v_cndmask_b32_e32 v1, 0x7f800000, v6, vcc_lo
	s_delay_alu instid0(VALU_DEP_1) | instskip(NEXT) | instid1(VALU_DEP_1)
	v_dual_mul_f32 v3, v3, v1 :: v_dual_add_f32 v1, 1.0, v1
	v_div_scale_f32 v6, null, v1, v1, v3
	s_delay_alu instid0(VALU_DEP_1) | instskip(SKIP_1) | instid1(TRANS32_DEP_1)
	v_rcp_f32_e32 v7, v6
	v_nop
	v_fma_f32 v8, -v6, v7, 1.0
	s_delay_alu instid0(VALU_DEP_1) | instskip(SKIP_1) | instid1(VALU_DEP_1)
	v_fmac_f32_e32 v7, v8, v7
	v_div_scale_f32 v8, vcc_lo, v3, v1, v3
	v_mul_f32_e32 v9, v8, v7
	s_delay_alu instid0(VALU_DEP_1) | instskip(NEXT) | instid1(VALU_DEP_1)
	v_fma_f32 v10, -v6, v9, v8
	v_fmac_f32_e32 v9, v10, v7
	s_delay_alu instid0(VALU_DEP_1) | instskip(NEXT) | instid1(VALU_DEP_1)
	v_fma_f32 v6, -v6, v9, v8
	v_div_fmas_f32 v6, v6, v7, v9
	s_delay_alu instid0(VALU_DEP_1)
	v_div_fixup_f32 v3, v6, v1, v3
.LBB47_9:
	s_or_b32 exec_lo, exec_lo, s3
	s_add_nc_u64 s[14:15], s[4:5], s[0:1]
	s_mov_b32 s0, 0
	s_clause 0x1
	global_store_b64 v0, v[4:5], s[14:15] scale_offset
	global_store_b64 v0, v[2:3], s[14:15] offset:2048 scale_offset
.LBB47_10:
	s_and_b32 vcc_lo, exec_lo, s0
	s_cbranch_vccz .LBB47_37
; %bb.11:
	v_cmp_gt_i32_e64 s0, s8, v0
	v_dual_mov_b32 v14, 0 :: v_dual_bitop2_b32 v1, s2, v0 bitop3:0x54
	v_or_b32_e32 v10, 0x100, v0
	v_dual_mov_b32 v6, 0 :: v_dual_mov_b32 v7, 0
	s_wait_xcnt 0x0
	v_mov_b32_e32 v2, v0
	s_and_saveexec_b32 s1, s0
	s_cbranch_execz .LBB47_13
; %bb.12:
	s_clause 0x1
	global_load_b32 v6, v1, s[6:7] scale_offset
	global_load_b32 v7, v1, s[12:13] scale_offset
	v_or_b32_e32 v2, 0x100, v0
.LBB47_13:
	s_wait_xcnt 0x0
	s_or_b32 exec_lo, exec_lo, s1
	v_mov_b32_e32 v16, 0
	s_mov_b32 s1, exec_lo
	v_cmpx_gt_i32_e64 s8, v2
	s_cbranch_execz .LBB47_15
; %bb.14:
	v_add_nc_u32_e32 v3, s2, v2
	v_add_nc_u32_e32 v2, 0x100, v2
	s_clause 0x1
	global_load_b32 v14, v3, s[6:7] scale_offset
	global_load_b32 v16, v3, s[12:13] scale_offset
.LBB47_15:
	s_wait_xcnt 0x0
	s_or_b32 exec_lo, exec_lo, s1
	v_dual_mov_b32 v11, 0 :: v_dual_mov_b32 v13, 0
	v_mov_b32_e32 v15, 0
	s_mov_b32 s1, exec_lo
	v_cmpx_gt_i32_e64 s8, v2
	s_cbranch_execz .LBB47_17
; %bb.16:
	v_add_nc_u32_e32 v3, s2, v2
	v_add_nc_u32_e32 v2, 0x100, v2
	s_clause 0x1
	global_load_b32 v13, v3, s[6:7] scale_offset
	global_load_b32 v15, v3, s[12:13] scale_offset
.LBB47_17:
	s_wait_xcnt 0x0
	s_or_b32 exec_lo, exec_lo, s1
	v_mov_b32_e32 v12, 0
	s_mov_b32 s1, exec_lo
	v_cmpx_gt_i32_e64 s8, v2
	s_cbranch_execz .LBB47_19
; %bb.18:
	v_add_nc_u32_e32 v2, s2, v2
	s_clause 0x1
	global_load_b32 v11, v2, s[6:7] scale_offset
	global_load_b32 v12, v2, s[12:13] scale_offset
.LBB47_19:
	s_wait_xcnt 0x0
	s_or_b32 exec_lo, exec_lo, s1
	v_mov_b32_e32 v2, 0
	s_delay_alu instid0(VALU_DEP_1)
	v_dual_mov_b32 v3, v2 :: v_dual_mov_b32 v4, v2
	v_mov_b32_e32 v5, v2
	s_and_saveexec_b32 s1, s0
	s_cbranch_execz .LBB47_23
; %bb.20:
	s_wait_loadcnt 0x0
	v_mul_f32_e32 v2, s9, v7
	s_mov_b32 s3, exec_lo
	s_delay_alu instid0(VALU_DEP_1)
	v_cmpx_nlt_f32_e32 s10, v2
	s_cbranch_execz .LBB47_22
; %bb.21:
	v_mul_f32_e32 v3, 0x3fb8aa3b, v2
	v_cmp_ngt_f32_e32 vcc_lo, 0xc2ce8ed0, v2
	s_delay_alu instid0(VALU_DEP_2) | instskip(SKIP_1) | instid1(VALU_DEP_2)
	v_rndne_f32_e32 v4, v3
	v_fma_f32 v5, 0x3fb8aa3b, v2, -v3
	v_sub_f32_e32 v3, v3, v4
	s_delay_alu instid0(VALU_DEP_2) | instskip(SKIP_1) | instid1(VALU_DEP_2)
	v_fmamk_f32 v5, v2, 0x32a5705f, v5
	v_cvt_i32_f32_e32 v4, v4
	v_add_f32_e32 v3, v3, v5
	s_delay_alu instid0(VALU_DEP_1) | instskip(SKIP_1) | instid1(TRANS32_DEP_1)
	v_exp_f32_e32 v3, v3
	v_nop
	v_ldexp_f32 v3, v3, v4
	s_delay_alu instid0(VALU_DEP_1) | instskip(SKIP_1) | instid1(VALU_DEP_2)
	v_cndmask_b32_e32 v3, 0, v3, vcc_lo
	v_cmp_nlt_f32_e32 vcc_lo, 0x42b17218, v2
	v_cndmask_b32_e32 v2, 0x7f800000, v3, vcc_lo
	s_delay_alu instid0(VALU_DEP_1) | instskip(NEXT) | instid1(VALU_DEP_1)
	v_dual_mul_f32 v3, v6, v2 :: v_dual_add_f32 v2, 1.0, v2
	v_div_scale_f32 v4, null, v2, v2, v3
	s_delay_alu instid0(VALU_DEP_1) | instskip(SKIP_1) | instid1(TRANS32_DEP_1)
	v_rcp_f32_e32 v5, v4
	v_nop
	v_fma_f32 v6, -v4, v5, 1.0
	s_delay_alu instid0(VALU_DEP_1) | instskip(SKIP_1) | instid1(VALU_DEP_1)
	v_fmac_f32_e32 v5, v6, v5
	v_div_scale_f32 v6, vcc_lo, v3, v2, v3
	v_mul_f32_e32 v7, v6, v5
	s_delay_alu instid0(VALU_DEP_1) | instskip(NEXT) | instid1(VALU_DEP_1)
	v_fma_f32 v8, -v4, v7, v6
	v_fmac_f32_e32 v7, v8, v5
	s_delay_alu instid0(VALU_DEP_1) | instskip(NEXT) | instid1(VALU_DEP_1)
	v_fma_f32 v4, -v4, v7, v6
	v_div_fmas_f32 v4, v4, v5, v7
	s_delay_alu instid0(VALU_DEP_1)
	v_div_fixup_f32 v6, v4, v2, v3
.LBB47_22:
	s_or_b32 exec_lo, exec_lo, s3
	v_mov_b32_e32 v7, 0
	s_delay_alu instid0(VALU_DEP_1) | instskip(NEXT) | instid1(VALU_DEP_3)
	v_dual_mov_b32 v8, v7 :: v_dual_mov_b32 v9, v7
	v_mov_b64_e32 v[2:3], v[6:7]
	s_delay_alu instid0(VALU_DEP_2)
	v_mov_b64_e32 v[4:5], v[8:9]
.LBB47_23:
	s_or_b32 exec_lo, exec_lo, s1
	s_delay_alu instid0(SALU_CYCLE_1)
	s_mov_b32 s1, exec_lo
	v_cmpx_gt_i32_e64 s8, v10
	s_cbranch_execz .LBB47_27
; %bb.24:
	s_wait_loadcnt 0x0
	v_mul_f32_e32 v3, s9, v16
	s_mov_b32 s3, exec_lo
	s_delay_alu instid0(VALU_DEP_1)
	v_cmpx_nlt_f32_e32 s10, v3
	s_cbranch_execz .LBB47_26
; %bb.25:
	v_mul_f32_e32 v6, 0x3fb8aa3b, v3
	v_cmp_ngt_f32_e32 vcc_lo, 0xc2ce8ed0, v3
	s_delay_alu instid0(VALU_DEP_2) | instskip(SKIP_1) | instid1(VALU_DEP_2)
	v_rndne_f32_e32 v7, v6
	v_fma_f32 v8, 0x3fb8aa3b, v3, -v6
	v_sub_f32_e32 v6, v6, v7
	s_delay_alu instid0(VALU_DEP_2) | instskip(SKIP_1) | instid1(VALU_DEP_2)
	v_fmamk_f32 v8, v3, 0x32a5705f, v8
	v_cvt_i32_f32_e32 v7, v7
	v_add_f32_e32 v6, v6, v8
	s_delay_alu instid0(VALU_DEP_1) | instskip(SKIP_1) | instid1(TRANS32_DEP_1)
	v_exp_f32_e32 v6, v6
	v_nop
	v_ldexp_f32 v6, v6, v7
	s_delay_alu instid0(VALU_DEP_1) | instskip(SKIP_1) | instid1(VALU_DEP_2)
	v_cndmask_b32_e32 v6, 0, v6, vcc_lo
	v_cmp_nlt_f32_e32 vcc_lo, 0x42b17218, v3
	v_cndmask_b32_e32 v3, 0x7f800000, v6, vcc_lo
	s_delay_alu instid0(VALU_DEP_1) | instskip(NEXT) | instid1(VALU_DEP_1)
	v_dual_mul_f32 v6, v14, v3 :: v_dual_add_f32 v3, 1.0, v3
	v_div_scale_f32 v7, null, v3, v3, v6
	s_delay_alu instid0(VALU_DEP_1) | instskip(SKIP_1) | instid1(TRANS32_DEP_1)
	v_rcp_f32_e32 v8, v7
	v_nop
	v_fma_f32 v9, -v7, v8, 1.0
	s_delay_alu instid0(VALU_DEP_1) | instskip(SKIP_1) | instid1(VALU_DEP_1)
	v_fmac_f32_e32 v8, v9, v8
	v_div_scale_f32 v9, vcc_lo, v6, v3, v6
	v_mul_f32_e32 v14, v9, v8
	s_delay_alu instid0(VALU_DEP_1) | instskip(NEXT) | instid1(VALU_DEP_1)
	v_fma_f32 v16, -v7, v14, v9
	v_fmac_f32_e32 v14, v16, v8
	s_delay_alu instid0(VALU_DEP_1) | instskip(NEXT) | instid1(VALU_DEP_1)
	v_fma_f32 v7, -v7, v14, v9
	v_div_fmas_f32 v7, v7, v8, v14
	s_delay_alu instid0(VALU_DEP_1)
	v_div_fixup_f32 v14, v7, v3, v6
.LBB47_26:
	s_or_b32 exec_lo, exec_lo, s3
	s_delay_alu instid0(VALU_DEP_1)
	v_mov_b32_e32 v3, v14
.LBB47_27:
	s_or_b32 exec_lo, exec_lo, s1
	s_wait_loadcnt 0x1
	v_or_b32_e32 v6, 0x200, v0
	s_mov_b32 s1, exec_lo
	s_delay_alu instid0(VALU_DEP_1)
	v_cmpx_gt_i32_e64 s8, v6
	s_cbranch_execz .LBB47_31
; %bb.28:
	s_wait_loadcnt 0x0
	v_mul_f32_e32 v4, s9, v15
	s_mov_b32 s3, exec_lo
	s_delay_alu instid0(VALU_DEP_1)
	v_cmpx_nlt_f32_e32 s10, v4
	s_cbranch_execz .LBB47_30
; %bb.29:
	v_mul_f32_e32 v6, 0x3fb8aa3b, v4
	v_cmp_ngt_f32_e32 vcc_lo, 0xc2ce8ed0, v4
	s_delay_alu instid0(VALU_DEP_2) | instskip(SKIP_1) | instid1(VALU_DEP_2)
	v_rndne_f32_e32 v7, v6
	v_fma_f32 v8, 0x3fb8aa3b, v4, -v6
	v_sub_f32_e32 v6, v6, v7
	s_delay_alu instid0(VALU_DEP_2) | instskip(SKIP_1) | instid1(VALU_DEP_2)
	v_fmamk_f32 v8, v4, 0x32a5705f, v8
	v_cvt_i32_f32_e32 v7, v7
	v_add_f32_e32 v6, v6, v8
	s_delay_alu instid0(VALU_DEP_1) | instskip(SKIP_1) | instid1(TRANS32_DEP_1)
	v_exp_f32_e32 v6, v6
	v_nop
	v_ldexp_f32 v6, v6, v7
	s_delay_alu instid0(VALU_DEP_1) | instskip(SKIP_1) | instid1(VALU_DEP_2)
	v_cndmask_b32_e32 v6, 0, v6, vcc_lo
	v_cmp_nlt_f32_e32 vcc_lo, 0x42b17218, v4
	v_cndmask_b32_e32 v4, 0x7f800000, v6, vcc_lo
	s_delay_alu instid0(VALU_DEP_1) | instskip(NEXT) | instid1(VALU_DEP_1)
	v_dual_mul_f32 v6, v13, v4 :: v_dual_add_f32 v4, 1.0, v4
	v_div_scale_f32 v7, null, v4, v4, v6
	s_delay_alu instid0(VALU_DEP_1) | instskip(SKIP_1) | instid1(TRANS32_DEP_1)
	v_rcp_f32_e32 v8, v7
	v_nop
	v_fma_f32 v9, -v7, v8, 1.0
	s_delay_alu instid0(VALU_DEP_1) | instskip(SKIP_1) | instid1(VALU_DEP_1)
	v_fmac_f32_e32 v8, v9, v8
	v_div_scale_f32 v9, vcc_lo, v6, v4, v6
	v_mul_f32_e32 v13, v9, v8
	s_delay_alu instid0(VALU_DEP_1) | instskip(NEXT) | instid1(VALU_DEP_1)
	v_fma_f32 v14, -v7, v13, v9
	v_fmac_f32_e32 v13, v14, v8
	s_delay_alu instid0(VALU_DEP_1) | instskip(NEXT) | instid1(VALU_DEP_1)
	v_fma_f32 v7, -v7, v13, v9
	v_div_fmas_f32 v7, v7, v8, v13
	s_delay_alu instid0(VALU_DEP_1)
	v_div_fixup_f32 v13, v7, v4, v6
.LBB47_30:
	s_or_b32 exec_lo, exec_lo, s3
	s_delay_alu instid0(VALU_DEP_1)
	v_mov_b32_e32 v4, v13
.LBB47_31:
	s_or_b32 exec_lo, exec_lo, s1
	v_or_b32_e32 v6, 0x300, v0
	s_mov_b32 s1, exec_lo
	s_delay_alu instid0(VALU_DEP_1)
	v_cmpx_gt_i32_e64 s8, v6
	s_cbranch_execnz .LBB47_38
; %bb.32:
	s_or_b32 exec_lo, exec_lo, s1
	s_and_saveexec_b32 s1, s0
	s_delay_alu instid0(SALU_CYCLE_1)
	s_xor_b32 s0, exec_lo, s1
	s_cbranch_execnz .LBB47_41
.LBB47_33:
	s_or_b32 exec_lo, exec_lo, s0
	s_delay_alu instid0(SALU_CYCLE_1)
	s_mov_b32 s0, exec_lo
	v_cmpx_gt_i32_e64 s8, v0
	s_cbranch_execnz .LBB47_42
.LBB47_34:
	s_or_b32 exec_lo, exec_lo, s0
	s_delay_alu instid0(SALU_CYCLE_1)
	s_mov_b32 s0, exec_lo
	v_cmpx_gt_i32_e64 s8, v0
	s_cbranch_execnz .LBB47_43
.LBB47_35:
	s_or_b32 exec_lo, exec_lo, s0
	s_delay_alu instid0(SALU_CYCLE_1)
	s_mov_b32 s0, exec_lo
	v_cmpx_gt_i32_e64 s8, v0
	s_cbranch_execz .LBB47_37
.LBB47_36:
	v_add_nc_u32_e32 v0, s2, v0
	global_store_b32 v0, v5, s[4:5] scale_offset
.LBB47_37:
	s_endpgm
.LBB47_38:
	s_wait_loadcnt 0x0
	v_mul_f32_e32 v5, s9, v12
	s_mov_b32 s3, exec_lo
	s_delay_alu instid0(VALU_DEP_1)
	v_cmpx_nlt_f32_e32 s10, v5
	s_cbranch_execz .LBB47_40
; %bb.39:
	v_mul_f32_e32 v6, 0x3fb8aa3b, v5
	v_cmp_ngt_f32_e32 vcc_lo, 0xc2ce8ed0, v5
	s_delay_alu instid0(VALU_DEP_2) | instskip(SKIP_1) | instid1(VALU_DEP_2)
	v_rndne_f32_e32 v7, v6
	v_fma_f32 v8, 0x3fb8aa3b, v5, -v6
	v_sub_f32_e32 v6, v6, v7
	s_delay_alu instid0(VALU_DEP_2) | instskip(SKIP_1) | instid1(VALU_DEP_2)
	v_fmamk_f32 v8, v5, 0x32a5705f, v8
	v_cvt_i32_f32_e32 v7, v7
	v_add_f32_e32 v6, v6, v8
	s_delay_alu instid0(VALU_DEP_1) | instskip(SKIP_1) | instid1(TRANS32_DEP_1)
	v_exp_f32_e32 v6, v6
	v_nop
	v_ldexp_f32 v6, v6, v7
	s_delay_alu instid0(VALU_DEP_1) | instskip(SKIP_1) | instid1(VALU_DEP_2)
	v_cndmask_b32_e32 v6, 0, v6, vcc_lo
	v_cmp_nlt_f32_e32 vcc_lo, 0x42b17218, v5
	v_cndmask_b32_e32 v5, 0x7f800000, v6, vcc_lo
	s_delay_alu instid0(VALU_DEP_1) | instskip(NEXT) | instid1(VALU_DEP_1)
	v_dual_mul_f32 v6, v11, v5 :: v_dual_add_f32 v5, 1.0, v5
	v_div_scale_f32 v7, null, v5, v5, v6
	s_delay_alu instid0(VALU_DEP_1) | instskip(SKIP_1) | instid1(TRANS32_DEP_1)
	v_rcp_f32_e32 v8, v7
	v_nop
	v_fma_f32 v9, -v7, v8, 1.0
	s_delay_alu instid0(VALU_DEP_1) | instskip(SKIP_1) | instid1(VALU_DEP_1)
	v_fmac_f32_e32 v8, v9, v8
	v_div_scale_f32 v9, vcc_lo, v6, v5, v6
	v_mul_f32_e32 v11, v9, v8
	s_delay_alu instid0(VALU_DEP_1) | instskip(NEXT) | instid1(VALU_DEP_1)
	v_fma_f32 v12, -v7, v11, v9
	v_fmac_f32_e32 v11, v12, v8
	s_delay_alu instid0(VALU_DEP_1) | instskip(NEXT) | instid1(VALU_DEP_1)
	v_fma_f32 v7, -v7, v11, v9
	v_div_fmas_f32 v7, v7, v8, v11
	s_delay_alu instid0(VALU_DEP_1)
	v_div_fixup_f32 v11, v7, v5, v6
.LBB47_40:
	s_or_b32 exec_lo, exec_lo, s3
	s_delay_alu instid0(VALU_DEP_1) | instskip(SKIP_2) | instid1(SALU_CYCLE_1)
	v_mov_b32_e32 v5, v11
	s_or_b32 exec_lo, exec_lo, s1
	s_and_saveexec_b32 s1, s0
	s_xor_b32 s0, exec_lo, s1
	s_cbranch_execz .LBB47_33
.LBB47_41:
	v_mov_b32_e32 v0, v10
	global_store_b32 v1, v2, s[4:5] scale_offset
	s_wait_xcnt 0x0
	s_or_b32 exec_lo, exec_lo, s0
	s_delay_alu instid0(SALU_CYCLE_1)
	s_mov_b32 s0, exec_lo
	v_cmpx_gt_i32_e64 s8, v0
	s_cbranch_execz .LBB47_34
.LBB47_42:
	v_add_nc_u32_e32 v1, s2, v0
	v_add_nc_u32_e32 v0, 0x100, v0
	global_store_b32 v1, v3, s[4:5] scale_offset
	s_wait_xcnt 0x0
	s_or_b32 exec_lo, exec_lo, s0
	s_delay_alu instid0(SALU_CYCLE_1)
	s_mov_b32 s0, exec_lo
	v_cmpx_gt_i32_e64 s8, v0
	s_cbranch_execz .LBB47_35
.LBB47_43:
	v_add_nc_u32_e32 v1, s2, v0
	v_add_nc_u32_e32 v0, 0x100, v0
	global_store_b32 v1, v4, s[4:5] scale_offset
	s_wait_xcnt 0x0
	s_or_b32 exec_lo, exec_lo, s0
	s_delay_alu instid0(SALU_CYCLE_1)
	s_mov_b32 s0, exec_lo
	v_cmpx_gt_i32_e64 s8, v0
	s_cbranch_execnz .LBB47_36
	s_branch .LBB47_37
	.section	.rodata,"a",@progbits
	.p2align	6, 0x0
	.amdhsa_kernel _ZN2at6native29vectorized_elementwise_kernelILi2EZZZNS0_12_GLOBAL__N_124softplus_backward_kernelERNS_18TensorIteratorBaseERKN3c106ScalarES8_ENKUlvE_clEvENKUlvE0_clEvEUlffE_St5arrayIPcLm3EEEEviT0_T1_
		.amdhsa_group_segment_fixed_size 0
		.amdhsa_private_segment_fixed_size 0
		.amdhsa_kernarg_size 40
		.amdhsa_user_sgpr_count 2
		.amdhsa_user_sgpr_dispatch_ptr 0
		.amdhsa_user_sgpr_queue_ptr 0
		.amdhsa_user_sgpr_kernarg_segment_ptr 1
		.amdhsa_user_sgpr_dispatch_id 0
		.amdhsa_user_sgpr_kernarg_preload_length 0
		.amdhsa_user_sgpr_kernarg_preload_offset 0
		.amdhsa_user_sgpr_private_segment_size 0
		.amdhsa_wavefront_size32 1
		.amdhsa_uses_dynamic_stack 0
		.amdhsa_enable_private_segment 0
		.amdhsa_system_sgpr_workgroup_id_x 1
		.amdhsa_system_sgpr_workgroup_id_y 0
		.amdhsa_system_sgpr_workgroup_id_z 0
		.amdhsa_system_sgpr_workgroup_info 0
		.amdhsa_system_vgpr_workitem_id 0
		.amdhsa_next_free_vgpr 17
		.amdhsa_next_free_sgpr 18
		.amdhsa_named_barrier_count 0
		.amdhsa_reserve_vcc 1
		.amdhsa_float_round_mode_32 0
		.amdhsa_float_round_mode_16_64 0
		.amdhsa_float_denorm_mode_32 3
		.amdhsa_float_denorm_mode_16_64 3
		.amdhsa_fp16_overflow 0
		.amdhsa_memory_ordered 1
		.amdhsa_forward_progress 1
		.amdhsa_inst_pref_size 23
		.amdhsa_round_robin_scheduling 0
		.amdhsa_exception_fp_ieee_invalid_op 0
		.amdhsa_exception_fp_denorm_src 0
		.amdhsa_exception_fp_ieee_div_zero 0
		.amdhsa_exception_fp_ieee_overflow 0
		.amdhsa_exception_fp_ieee_underflow 0
		.amdhsa_exception_fp_ieee_inexact 0
		.amdhsa_exception_int_div_zero 0
	.end_amdhsa_kernel
	.section	.text._ZN2at6native29vectorized_elementwise_kernelILi2EZZZNS0_12_GLOBAL__N_124softplus_backward_kernelERNS_18TensorIteratorBaseERKN3c106ScalarES8_ENKUlvE_clEvENKUlvE0_clEvEUlffE_St5arrayIPcLm3EEEEviT0_T1_,"axG",@progbits,_ZN2at6native29vectorized_elementwise_kernelILi2EZZZNS0_12_GLOBAL__N_124softplus_backward_kernelERNS_18TensorIteratorBaseERKN3c106ScalarES8_ENKUlvE_clEvENKUlvE0_clEvEUlffE_St5arrayIPcLm3EEEEviT0_T1_,comdat
.Lfunc_end47:
	.size	_ZN2at6native29vectorized_elementwise_kernelILi2EZZZNS0_12_GLOBAL__N_124softplus_backward_kernelERNS_18TensorIteratorBaseERKN3c106ScalarES8_ENKUlvE_clEvENKUlvE0_clEvEUlffE_St5arrayIPcLm3EEEEviT0_T1_, .Lfunc_end47-_ZN2at6native29vectorized_elementwise_kernelILi2EZZZNS0_12_GLOBAL__N_124softplus_backward_kernelERNS_18TensorIteratorBaseERKN3c106ScalarES8_ENKUlvE_clEvENKUlvE0_clEvEUlffE_St5arrayIPcLm3EEEEviT0_T1_
                                        ; -- End function
	.set _ZN2at6native29vectorized_elementwise_kernelILi2EZZZNS0_12_GLOBAL__N_124softplus_backward_kernelERNS_18TensorIteratorBaseERKN3c106ScalarES8_ENKUlvE_clEvENKUlvE0_clEvEUlffE_St5arrayIPcLm3EEEEviT0_T1_.num_vgpr, 17
	.set _ZN2at6native29vectorized_elementwise_kernelILi2EZZZNS0_12_GLOBAL__N_124softplus_backward_kernelERNS_18TensorIteratorBaseERKN3c106ScalarES8_ENKUlvE_clEvENKUlvE0_clEvEUlffE_St5arrayIPcLm3EEEEviT0_T1_.num_agpr, 0
	.set _ZN2at6native29vectorized_elementwise_kernelILi2EZZZNS0_12_GLOBAL__N_124softplus_backward_kernelERNS_18TensorIteratorBaseERKN3c106ScalarES8_ENKUlvE_clEvENKUlvE0_clEvEUlffE_St5arrayIPcLm3EEEEviT0_T1_.numbered_sgpr, 18
	.set _ZN2at6native29vectorized_elementwise_kernelILi2EZZZNS0_12_GLOBAL__N_124softplus_backward_kernelERNS_18TensorIteratorBaseERKN3c106ScalarES8_ENKUlvE_clEvENKUlvE0_clEvEUlffE_St5arrayIPcLm3EEEEviT0_T1_.num_named_barrier, 0
	.set _ZN2at6native29vectorized_elementwise_kernelILi2EZZZNS0_12_GLOBAL__N_124softplus_backward_kernelERNS_18TensorIteratorBaseERKN3c106ScalarES8_ENKUlvE_clEvENKUlvE0_clEvEUlffE_St5arrayIPcLm3EEEEviT0_T1_.private_seg_size, 0
	.set _ZN2at6native29vectorized_elementwise_kernelILi2EZZZNS0_12_GLOBAL__N_124softplus_backward_kernelERNS_18TensorIteratorBaseERKN3c106ScalarES8_ENKUlvE_clEvENKUlvE0_clEvEUlffE_St5arrayIPcLm3EEEEviT0_T1_.uses_vcc, 1
	.set _ZN2at6native29vectorized_elementwise_kernelILi2EZZZNS0_12_GLOBAL__N_124softplus_backward_kernelERNS_18TensorIteratorBaseERKN3c106ScalarES8_ENKUlvE_clEvENKUlvE0_clEvEUlffE_St5arrayIPcLm3EEEEviT0_T1_.uses_flat_scratch, 0
	.set _ZN2at6native29vectorized_elementwise_kernelILi2EZZZNS0_12_GLOBAL__N_124softplus_backward_kernelERNS_18TensorIteratorBaseERKN3c106ScalarES8_ENKUlvE_clEvENKUlvE0_clEvEUlffE_St5arrayIPcLm3EEEEviT0_T1_.has_dyn_sized_stack, 0
	.set _ZN2at6native29vectorized_elementwise_kernelILi2EZZZNS0_12_GLOBAL__N_124softplus_backward_kernelERNS_18TensorIteratorBaseERKN3c106ScalarES8_ENKUlvE_clEvENKUlvE0_clEvEUlffE_St5arrayIPcLm3EEEEviT0_T1_.has_recursion, 0
	.set _ZN2at6native29vectorized_elementwise_kernelILi2EZZZNS0_12_GLOBAL__N_124softplus_backward_kernelERNS_18TensorIteratorBaseERKN3c106ScalarES8_ENKUlvE_clEvENKUlvE0_clEvEUlffE_St5arrayIPcLm3EEEEviT0_T1_.has_indirect_call, 0
	.section	.AMDGPU.csdata,"",@progbits
; Kernel info:
; codeLenInByte = 2904
; TotalNumSgprs: 20
; NumVgprs: 17
; ScratchSize: 0
; MemoryBound: 0
; FloatMode: 240
; IeeeMode: 1
; LDSByteSize: 0 bytes/workgroup (compile time only)
; SGPRBlocks: 0
; VGPRBlocks: 1
; NumSGPRsForWavesPerEU: 20
; NumVGPRsForWavesPerEU: 17
; NamedBarCnt: 0
; Occupancy: 16
; WaveLimiterHint : 1
; COMPUTE_PGM_RSRC2:SCRATCH_EN: 0
; COMPUTE_PGM_RSRC2:USER_SGPR: 2
; COMPUTE_PGM_RSRC2:TRAP_HANDLER: 0
; COMPUTE_PGM_RSRC2:TGID_X_EN: 1
; COMPUTE_PGM_RSRC2:TGID_Y_EN: 0
; COMPUTE_PGM_RSRC2:TGID_Z_EN: 0
; COMPUTE_PGM_RSRC2:TIDIG_COMP_CNT: 0
	.section	.text._ZN2at6native27unrolled_elementwise_kernelIZZZNS0_12_GLOBAL__N_124softplus_backward_kernelERNS_18TensorIteratorBaseERKN3c106ScalarES8_ENKUlvE_clEvENKUlvE0_clEvEUlffE_St5arrayIPcLm3EELi4E23TrivialOffsetCalculatorILi2EjESF_ILi1EjENS0_6memory15LoadWithoutCastENSI_16StoreWithoutCastEEEviT_T0_T2_T3_T4_T5_,"axG",@progbits,_ZN2at6native27unrolled_elementwise_kernelIZZZNS0_12_GLOBAL__N_124softplus_backward_kernelERNS_18TensorIteratorBaseERKN3c106ScalarES8_ENKUlvE_clEvENKUlvE0_clEvEUlffE_St5arrayIPcLm3EELi4E23TrivialOffsetCalculatorILi2EjESF_ILi1EjENS0_6memory15LoadWithoutCastENSI_16StoreWithoutCastEEEviT_T0_T2_T3_T4_T5_,comdat
	.globl	_ZN2at6native27unrolled_elementwise_kernelIZZZNS0_12_GLOBAL__N_124softplus_backward_kernelERNS_18TensorIteratorBaseERKN3c106ScalarES8_ENKUlvE_clEvENKUlvE0_clEvEUlffE_St5arrayIPcLm3EELi4E23TrivialOffsetCalculatorILi2EjESF_ILi1EjENS0_6memory15LoadWithoutCastENSI_16StoreWithoutCastEEEviT_T0_T2_T3_T4_T5_ ; -- Begin function _ZN2at6native27unrolled_elementwise_kernelIZZZNS0_12_GLOBAL__N_124softplus_backward_kernelERNS_18TensorIteratorBaseERKN3c106ScalarES8_ENKUlvE_clEvENKUlvE0_clEvEUlffE_St5arrayIPcLm3EELi4E23TrivialOffsetCalculatorILi2EjESF_ILi1EjENS0_6memory15LoadWithoutCastENSI_16StoreWithoutCastEEEviT_T0_T2_T3_T4_T5_
	.p2align	8
	.type	_ZN2at6native27unrolled_elementwise_kernelIZZZNS0_12_GLOBAL__N_124softplus_backward_kernelERNS_18TensorIteratorBaseERKN3c106ScalarES8_ENKUlvE_clEvENKUlvE0_clEvEUlffE_St5arrayIPcLm3EELi4E23TrivialOffsetCalculatorILi2EjESF_ILi1EjENS0_6memory15LoadWithoutCastENSI_16StoreWithoutCastEEEviT_T0_T2_T3_T4_T5_,@function
_ZN2at6native27unrolled_elementwise_kernelIZZZNS0_12_GLOBAL__N_124softplus_backward_kernelERNS_18TensorIteratorBaseERKN3c106ScalarES8_ENKUlvE_clEvENKUlvE0_clEvEUlffE_St5arrayIPcLm3EELi4E23TrivialOffsetCalculatorILi2EjESF_ILi1EjENS0_6memory15LoadWithoutCastENSI_16StoreWithoutCastEEEviT_T0_T2_T3_T4_T5_: ; @_ZN2at6native27unrolled_elementwise_kernelIZZZNS0_12_GLOBAL__N_124softplus_backward_kernelERNS_18TensorIteratorBaseERKN3c106ScalarES8_ENKUlvE_clEvENKUlvE0_clEvEUlffE_St5arrayIPcLm3EELi4E23TrivialOffsetCalculatorILi2EjESF_ILi1EjENS0_6memory15LoadWithoutCastENSI_16StoreWithoutCastEEEviT_T0_T2_T3_T4_T5_
; %bb.0:
	s_load_b96 s[8:10], s[0:1], 0x0
	s_bfe_u32 s12, ttmp6, 0x4000c
	s_clause 0x1
	s_load_b128 s[4:7], s[0:1], 0x10
	s_load_b64 s[2:3], s[0:1], 0x20
	s_add_co_i32 s12, s12, 1
	s_and_b32 s11, ttmp6, 15
	s_wait_xcnt 0x0
	s_mul_i32 s1, ttmp9, s12
	s_getreg_b32 s0, hwreg(HW_REG_IB_STS2, 6, 4)
	s_add_co_i32 s11, s11, s1
	s_cmp_eq_u32 s0, 0
	v_dual_mov_b32 v14, 0 :: v_dual_mov_b32 v6, 0
	s_cselect_b32 s0, ttmp9, s11
	v_or_b32_e32 v1, 0x100, v0
	s_lshl_b32 s1, s0, 10
	s_delay_alu instid0(SALU_CYCLE_1) | instskip(SKIP_3) | instid1(SALU_CYCLE_1)
	v_dual_mov_b32 v7, 0 :: v_dual_bitop2_b32 v10, s1, v0 bitop3:0x54
	v_mov_b32_e32 v2, v0
	s_wait_kmcnt 0x0
	s_sub_co_i32 s8, s8, s1
	v_cmp_gt_i32_e64 s0, s8, v0
	s_and_saveexec_b32 s11, s0
	s_cbranch_execz .LBB48_2
; %bb.1:
	s_clause 0x1
	global_load_b32 v6, v10, s[6:7] scale_offset
	global_load_b32 v7, v10, s[2:3] scale_offset
	v_or_b32_e32 v2, 0x100, v0
.LBB48_2:
	s_wait_xcnt 0x0
	s_or_b32 exec_lo, exec_lo, s11
	v_mov_b32_e32 v16, 0
	s_mov_b32 s11, exec_lo
	v_cmpx_gt_i32_e64 s8, v2
	s_cbranch_execz .LBB48_4
; %bb.3:
	v_add_nc_u32_e32 v3, s1, v2
	v_add_nc_u32_e32 v2, 0x100, v2
	s_clause 0x1
	global_load_b32 v14, v3, s[6:7] scale_offset
	global_load_b32 v16, v3, s[2:3] scale_offset
.LBB48_4:
	s_wait_xcnt 0x0
	s_or_b32 exec_lo, exec_lo, s11
	v_dual_mov_b32 v11, 0 :: v_dual_mov_b32 v13, 0
	v_mov_b32_e32 v15, 0
	s_mov_b32 s11, exec_lo
	v_cmpx_gt_i32_e64 s8, v2
	s_cbranch_execz .LBB48_6
; %bb.5:
	v_add_nc_u32_e32 v3, s1, v2
	v_add_nc_u32_e32 v2, 0x100, v2
	s_clause 0x1
	global_load_b32 v13, v3, s[6:7] scale_offset
	global_load_b32 v15, v3, s[2:3] scale_offset
.LBB48_6:
	s_wait_xcnt 0x0
	s_or_b32 exec_lo, exec_lo, s11
	v_mov_b32_e32 v12, 0
	s_mov_b32 s11, exec_lo
	v_cmpx_gt_i32_e64 s8, v2
	s_cbranch_execz .LBB48_8
; %bb.7:
	v_add_nc_u32_e32 v2, s1, v2
	s_clause 0x1
	global_load_b32 v11, v2, s[6:7] scale_offset
	global_load_b32 v12, v2, s[2:3] scale_offset
.LBB48_8:
	s_wait_xcnt 0x0
	s_or_b32 exec_lo, exec_lo, s11
	v_mov_b32_e32 v2, 0
	s_delay_alu instid0(VALU_DEP_1)
	v_dual_mov_b32 v3, v2 :: v_dual_mov_b32 v4, v2
	v_mov_b32_e32 v5, v2
	s_and_saveexec_b32 s2, s0
	s_cbranch_execz .LBB48_12
; %bb.9:
	s_wait_loadcnt 0x0
	v_mul_f32_e32 v2, s9, v7
	s_mov_b32 s3, exec_lo
	s_delay_alu instid0(VALU_DEP_1)
	v_cmpx_nlt_f32_e32 s10, v2
	s_cbranch_execz .LBB48_11
; %bb.10:
	v_mul_f32_e32 v3, 0x3fb8aa3b, v2
	v_cmp_ngt_f32_e32 vcc_lo, 0xc2ce8ed0, v2
	s_delay_alu instid0(VALU_DEP_2) | instskip(SKIP_1) | instid1(VALU_DEP_2)
	v_rndne_f32_e32 v4, v3
	v_fma_f32 v5, 0x3fb8aa3b, v2, -v3
	v_sub_f32_e32 v3, v3, v4
	s_delay_alu instid0(VALU_DEP_2) | instskip(SKIP_1) | instid1(VALU_DEP_2)
	v_fmamk_f32 v5, v2, 0x32a5705f, v5
	v_cvt_i32_f32_e32 v4, v4
	v_add_f32_e32 v3, v3, v5
	s_delay_alu instid0(VALU_DEP_1) | instskip(SKIP_1) | instid1(TRANS32_DEP_1)
	v_exp_f32_e32 v3, v3
	v_nop
	v_ldexp_f32 v3, v3, v4
	s_delay_alu instid0(VALU_DEP_1) | instskip(SKIP_1) | instid1(VALU_DEP_2)
	v_cndmask_b32_e32 v3, 0, v3, vcc_lo
	v_cmp_nlt_f32_e32 vcc_lo, 0x42b17218, v2
	v_cndmask_b32_e32 v2, 0x7f800000, v3, vcc_lo
	s_delay_alu instid0(VALU_DEP_1) | instskip(NEXT) | instid1(VALU_DEP_1)
	v_dual_mul_f32 v3, v6, v2 :: v_dual_add_f32 v2, 1.0, v2
	v_div_scale_f32 v4, null, v2, v2, v3
	s_delay_alu instid0(VALU_DEP_1) | instskip(SKIP_1) | instid1(TRANS32_DEP_1)
	v_rcp_f32_e32 v5, v4
	v_nop
	v_fma_f32 v6, -v4, v5, 1.0
	s_delay_alu instid0(VALU_DEP_1) | instskip(SKIP_1) | instid1(VALU_DEP_1)
	v_fmac_f32_e32 v5, v6, v5
	v_div_scale_f32 v6, vcc_lo, v3, v2, v3
	v_mul_f32_e32 v7, v6, v5
	s_delay_alu instid0(VALU_DEP_1) | instskip(NEXT) | instid1(VALU_DEP_1)
	v_fma_f32 v8, -v4, v7, v6
	v_fmac_f32_e32 v7, v8, v5
	s_delay_alu instid0(VALU_DEP_1) | instskip(NEXT) | instid1(VALU_DEP_1)
	v_fma_f32 v4, -v4, v7, v6
	v_div_fmas_f32 v4, v4, v5, v7
	s_delay_alu instid0(VALU_DEP_1)
	v_div_fixup_f32 v6, v4, v2, v3
.LBB48_11:
	s_or_b32 exec_lo, exec_lo, s3
	v_mov_b32_e32 v7, 0
	s_delay_alu instid0(VALU_DEP_1) | instskip(NEXT) | instid1(VALU_DEP_3)
	v_dual_mov_b32 v8, v7 :: v_dual_mov_b32 v9, v7
	v_mov_b64_e32 v[2:3], v[6:7]
	s_delay_alu instid0(VALU_DEP_2)
	v_mov_b64_e32 v[4:5], v[8:9]
.LBB48_12:
	s_or_b32 exec_lo, exec_lo, s2
	s_delay_alu instid0(SALU_CYCLE_1)
	s_mov_b32 s2, exec_lo
	v_cmpx_gt_i32_e64 s8, v1
	s_cbranch_execz .LBB48_16
; %bb.13:
	s_wait_loadcnt 0x0
	v_mul_f32_e32 v3, s9, v16
	s_mov_b32 s3, exec_lo
	s_delay_alu instid0(VALU_DEP_1)
	v_cmpx_nlt_f32_e32 s10, v3
	s_cbranch_execz .LBB48_15
; %bb.14:
	v_mul_f32_e32 v6, 0x3fb8aa3b, v3
	v_cmp_ngt_f32_e32 vcc_lo, 0xc2ce8ed0, v3
	s_delay_alu instid0(VALU_DEP_2) | instskip(SKIP_1) | instid1(VALU_DEP_2)
	v_rndne_f32_e32 v7, v6
	v_fma_f32 v8, 0x3fb8aa3b, v3, -v6
	v_sub_f32_e32 v6, v6, v7
	s_delay_alu instid0(VALU_DEP_2) | instskip(SKIP_1) | instid1(VALU_DEP_2)
	v_fmamk_f32 v8, v3, 0x32a5705f, v8
	v_cvt_i32_f32_e32 v7, v7
	v_add_f32_e32 v6, v6, v8
	s_delay_alu instid0(VALU_DEP_1) | instskip(SKIP_1) | instid1(TRANS32_DEP_1)
	v_exp_f32_e32 v6, v6
	v_nop
	v_ldexp_f32 v6, v6, v7
	s_delay_alu instid0(VALU_DEP_1) | instskip(SKIP_1) | instid1(VALU_DEP_2)
	v_cndmask_b32_e32 v6, 0, v6, vcc_lo
	v_cmp_nlt_f32_e32 vcc_lo, 0x42b17218, v3
	v_cndmask_b32_e32 v3, 0x7f800000, v6, vcc_lo
	s_delay_alu instid0(VALU_DEP_1) | instskip(NEXT) | instid1(VALU_DEP_1)
	v_dual_mul_f32 v6, v14, v3 :: v_dual_add_f32 v3, 1.0, v3
	v_div_scale_f32 v7, null, v3, v3, v6
	s_delay_alu instid0(VALU_DEP_1) | instskip(SKIP_1) | instid1(TRANS32_DEP_1)
	v_rcp_f32_e32 v8, v7
	v_nop
	v_fma_f32 v9, -v7, v8, 1.0
	s_delay_alu instid0(VALU_DEP_1) | instskip(SKIP_1) | instid1(VALU_DEP_1)
	v_fmac_f32_e32 v8, v9, v8
	v_div_scale_f32 v9, vcc_lo, v6, v3, v6
	v_mul_f32_e32 v14, v9, v8
	s_delay_alu instid0(VALU_DEP_1) | instskip(NEXT) | instid1(VALU_DEP_1)
	v_fma_f32 v16, -v7, v14, v9
	v_fmac_f32_e32 v14, v16, v8
	s_delay_alu instid0(VALU_DEP_1) | instskip(NEXT) | instid1(VALU_DEP_1)
	v_fma_f32 v7, -v7, v14, v9
	v_div_fmas_f32 v7, v7, v8, v14
	s_delay_alu instid0(VALU_DEP_1)
	v_div_fixup_f32 v14, v7, v3, v6
.LBB48_15:
	s_or_b32 exec_lo, exec_lo, s3
	s_delay_alu instid0(VALU_DEP_1)
	v_mov_b32_e32 v3, v14
.LBB48_16:
	s_or_b32 exec_lo, exec_lo, s2
	s_wait_loadcnt 0x1
	v_or_b32_e32 v6, 0x200, v0
	s_mov_b32 s2, exec_lo
	s_delay_alu instid0(VALU_DEP_1)
	v_cmpx_gt_i32_e64 s8, v6
	s_cbranch_execz .LBB48_20
; %bb.17:
	s_wait_loadcnt 0x0
	v_mul_f32_e32 v4, s9, v15
	s_mov_b32 s3, exec_lo
	s_delay_alu instid0(VALU_DEP_1)
	v_cmpx_nlt_f32_e32 s10, v4
	s_cbranch_execz .LBB48_19
; %bb.18:
	v_mul_f32_e32 v6, 0x3fb8aa3b, v4
	v_cmp_ngt_f32_e32 vcc_lo, 0xc2ce8ed0, v4
	s_delay_alu instid0(VALU_DEP_2) | instskip(SKIP_1) | instid1(VALU_DEP_2)
	v_rndne_f32_e32 v7, v6
	v_fma_f32 v8, 0x3fb8aa3b, v4, -v6
	v_sub_f32_e32 v6, v6, v7
	s_delay_alu instid0(VALU_DEP_2) | instskip(SKIP_1) | instid1(VALU_DEP_2)
	v_fmamk_f32 v8, v4, 0x32a5705f, v8
	v_cvt_i32_f32_e32 v7, v7
	v_add_f32_e32 v6, v6, v8
	s_delay_alu instid0(VALU_DEP_1) | instskip(SKIP_1) | instid1(TRANS32_DEP_1)
	v_exp_f32_e32 v6, v6
	v_nop
	v_ldexp_f32 v6, v6, v7
	s_delay_alu instid0(VALU_DEP_1) | instskip(SKIP_1) | instid1(VALU_DEP_2)
	v_cndmask_b32_e32 v6, 0, v6, vcc_lo
	v_cmp_nlt_f32_e32 vcc_lo, 0x42b17218, v4
	v_cndmask_b32_e32 v4, 0x7f800000, v6, vcc_lo
	s_delay_alu instid0(VALU_DEP_1) | instskip(NEXT) | instid1(VALU_DEP_1)
	v_dual_mul_f32 v6, v13, v4 :: v_dual_add_f32 v4, 1.0, v4
	v_div_scale_f32 v7, null, v4, v4, v6
	s_delay_alu instid0(VALU_DEP_1) | instskip(SKIP_1) | instid1(TRANS32_DEP_1)
	v_rcp_f32_e32 v8, v7
	v_nop
	v_fma_f32 v9, -v7, v8, 1.0
	s_delay_alu instid0(VALU_DEP_1) | instskip(SKIP_1) | instid1(VALU_DEP_1)
	v_fmac_f32_e32 v8, v9, v8
	v_div_scale_f32 v9, vcc_lo, v6, v4, v6
	v_mul_f32_e32 v13, v9, v8
	s_delay_alu instid0(VALU_DEP_1) | instskip(NEXT) | instid1(VALU_DEP_1)
	v_fma_f32 v14, -v7, v13, v9
	v_fmac_f32_e32 v13, v14, v8
	s_delay_alu instid0(VALU_DEP_1) | instskip(NEXT) | instid1(VALU_DEP_1)
	v_fma_f32 v7, -v7, v13, v9
	v_div_fmas_f32 v7, v7, v8, v13
	s_delay_alu instid0(VALU_DEP_1)
	v_div_fixup_f32 v13, v7, v4, v6
.LBB48_19:
	s_or_b32 exec_lo, exec_lo, s3
	s_delay_alu instid0(VALU_DEP_1)
	v_mov_b32_e32 v4, v13
.LBB48_20:
	s_or_b32 exec_lo, exec_lo, s2
	v_or_b32_e32 v6, 0x300, v0
	s_mov_b32 s2, exec_lo
	s_delay_alu instid0(VALU_DEP_1)
	v_cmpx_gt_i32_e64 s8, v6
	s_cbranch_execnz .LBB48_26
; %bb.21:
	s_or_b32 exec_lo, exec_lo, s2
	s_and_saveexec_b32 s2, s0
	s_delay_alu instid0(SALU_CYCLE_1)
	s_xor_b32 s0, exec_lo, s2
	s_cbranch_execnz .LBB48_29
.LBB48_22:
	s_or_b32 exec_lo, exec_lo, s0
	s_delay_alu instid0(SALU_CYCLE_1)
	s_mov_b32 s0, exec_lo
	v_cmpx_gt_i32_e64 s8, v0
	s_cbranch_execnz .LBB48_30
.LBB48_23:
	s_or_b32 exec_lo, exec_lo, s0
	s_delay_alu instid0(SALU_CYCLE_1)
	s_mov_b32 s0, exec_lo
	v_cmpx_gt_i32_e64 s8, v0
	s_cbranch_execnz .LBB48_31
.LBB48_24:
	s_or_b32 exec_lo, exec_lo, s0
	s_delay_alu instid0(SALU_CYCLE_1)
	s_mov_b32 s0, exec_lo
	v_cmpx_gt_i32_e64 s8, v0
	s_cbranch_execnz .LBB48_32
.LBB48_25:
	s_endpgm
.LBB48_26:
	s_wait_loadcnt 0x0
	v_mul_f32_e32 v5, s9, v12
	s_mov_b32 s3, exec_lo
	s_delay_alu instid0(VALU_DEP_1)
	v_cmpx_nlt_f32_e32 s10, v5
	s_cbranch_execz .LBB48_28
; %bb.27:
	v_mul_f32_e32 v6, 0x3fb8aa3b, v5
	v_cmp_ngt_f32_e32 vcc_lo, 0xc2ce8ed0, v5
	s_delay_alu instid0(VALU_DEP_2) | instskip(SKIP_1) | instid1(VALU_DEP_2)
	v_rndne_f32_e32 v7, v6
	v_fma_f32 v8, 0x3fb8aa3b, v5, -v6
	v_sub_f32_e32 v6, v6, v7
	s_delay_alu instid0(VALU_DEP_2) | instskip(SKIP_1) | instid1(VALU_DEP_2)
	v_fmamk_f32 v8, v5, 0x32a5705f, v8
	v_cvt_i32_f32_e32 v7, v7
	v_add_f32_e32 v6, v6, v8
	s_delay_alu instid0(VALU_DEP_1) | instskip(SKIP_1) | instid1(TRANS32_DEP_1)
	v_exp_f32_e32 v6, v6
	v_nop
	v_ldexp_f32 v6, v6, v7
	s_delay_alu instid0(VALU_DEP_1) | instskip(SKIP_1) | instid1(VALU_DEP_2)
	v_cndmask_b32_e32 v6, 0, v6, vcc_lo
	v_cmp_nlt_f32_e32 vcc_lo, 0x42b17218, v5
	v_cndmask_b32_e32 v5, 0x7f800000, v6, vcc_lo
	s_delay_alu instid0(VALU_DEP_1) | instskip(NEXT) | instid1(VALU_DEP_1)
	v_dual_mul_f32 v6, v11, v5 :: v_dual_add_f32 v5, 1.0, v5
	v_div_scale_f32 v7, null, v5, v5, v6
	s_delay_alu instid0(VALU_DEP_1) | instskip(SKIP_1) | instid1(TRANS32_DEP_1)
	v_rcp_f32_e32 v8, v7
	v_nop
	v_fma_f32 v9, -v7, v8, 1.0
	s_delay_alu instid0(VALU_DEP_1) | instskip(SKIP_1) | instid1(VALU_DEP_1)
	v_fmac_f32_e32 v8, v9, v8
	v_div_scale_f32 v9, vcc_lo, v6, v5, v6
	v_mul_f32_e32 v11, v9, v8
	s_delay_alu instid0(VALU_DEP_1) | instskip(NEXT) | instid1(VALU_DEP_1)
	v_fma_f32 v12, -v7, v11, v9
	v_fmac_f32_e32 v11, v12, v8
	s_delay_alu instid0(VALU_DEP_1) | instskip(NEXT) | instid1(VALU_DEP_1)
	v_fma_f32 v7, -v7, v11, v9
	v_div_fmas_f32 v7, v7, v8, v11
	s_delay_alu instid0(VALU_DEP_1)
	v_div_fixup_f32 v11, v7, v5, v6
.LBB48_28:
	s_or_b32 exec_lo, exec_lo, s3
	s_delay_alu instid0(VALU_DEP_1) | instskip(SKIP_2) | instid1(SALU_CYCLE_1)
	v_mov_b32_e32 v5, v11
	s_or_b32 exec_lo, exec_lo, s2
	s_and_saveexec_b32 s2, s0
	s_xor_b32 s0, exec_lo, s2
	s_cbranch_execz .LBB48_22
.LBB48_29:
	v_mov_b32_e32 v0, v1
	global_store_b32 v10, v2, s[4:5] scale_offset
	s_wait_xcnt 0x0
	s_or_b32 exec_lo, exec_lo, s0
	s_delay_alu instid0(SALU_CYCLE_1)
	s_mov_b32 s0, exec_lo
	v_cmpx_gt_i32_e64 s8, v0
	s_cbranch_execz .LBB48_23
.LBB48_30:
	v_add_nc_u32_e32 v1, 0x100, v0
	s_delay_alu instid0(VALU_DEP_1) | instskip(SKIP_3) | instid1(SALU_CYCLE_1)
	v_dual_add_nc_u32 v2, s1, v0 :: v_dual_mov_b32 v0, v1
	global_store_b32 v2, v3, s[4:5] scale_offset
	s_wait_xcnt 0x0
	s_or_b32 exec_lo, exec_lo, s0
	s_mov_b32 s0, exec_lo
	v_cmpx_gt_i32_e64 s8, v0
	s_cbranch_execz .LBB48_24
.LBB48_31:
	v_add_nc_u32_e32 v1, 0x100, v0
	s_delay_alu instid0(VALU_DEP_1) | instskip(SKIP_3) | instid1(SALU_CYCLE_1)
	v_dual_add_nc_u32 v2, s1, v0 :: v_dual_mov_b32 v0, v1
	global_store_b32 v2, v4, s[4:5] scale_offset
	s_wait_xcnt 0x0
	s_or_b32 exec_lo, exec_lo, s0
	s_mov_b32 s0, exec_lo
	v_cmpx_gt_i32_e64 s8, v0
	s_cbranch_execz .LBB48_25
.LBB48_32:
	v_add_nc_u32_e32 v0, s1, v0
	global_store_b32 v0, v5, s[4:5] scale_offset
	s_endpgm
	.section	.rodata,"a",@progbits
	.p2align	6, 0x0
	.amdhsa_kernel _ZN2at6native27unrolled_elementwise_kernelIZZZNS0_12_GLOBAL__N_124softplus_backward_kernelERNS_18TensorIteratorBaseERKN3c106ScalarES8_ENKUlvE_clEvENKUlvE0_clEvEUlffE_St5arrayIPcLm3EELi4E23TrivialOffsetCalculatorILi2EjESF_ILi1EjENS0_6memory15LoadWithoutCastENSI_16StoreWithoutCastEEEviT_T0_T2_T3_T4_T5_
		.amdhsa_group_segment_fixed_size 0
		.amdhsa_private_segment_fixed_size 0
		.amdhsa_kernarg_size 44
		.amdhsa_user_sgpr_count 2
		.amdhsa_user_sgpr_dispatch_ptr 0
		.amdhsa_user_sgpr_queue_ptr 0
		.amdhsa_user_sgpr_kernarg_segment_ptr 1
		.amdhsa_user_sgpr_dispatch_id 0
		.amdhsa_user_sgpr_kernarg_preload_length 0
		.amdhsa_user_sgpr_kernarg_preload_offset 0
		.amdhsa_user_sgpr_private_segment_size 0
		.amdhsa_wavefront_size32 1
		.amdhsa_uses_dynamic_stack 0
		.amdhsa_enable_private_segment 0
		.amdhsa_system_sgpr_workgroup_id_x 1
		.amdhsa_system_sgpr_workgroup_id_y 0
		.amdhsa_system_sgpr_workgroup_id_z 0
		.amdhsa_system_sgpr_workgroup_info 0
		.amdhsa_system_vgpr_workitem_id 0
		.amdhsa_next_free_vgpr 17
		.amdhsa_next_free_sgpr 13
		.amdhsa_named_barrier_count 0
		.amdhsa_reserve_vcc 1
		.amdhsa_float_round_mode_32 0
		.amdhsa_float_round_mode_16_64 0
		.amdhsa_float_denorm_mode_32 3
		.amdhsa_float_denorm_mode_16_64 3
		.amdhsa_fp16_overflow 0
		.amdhsa_memory_ordered 1
		.amdhsa_forward_progress 1
		.amdhsa_inst_pref_size 15
		.amdhsa_round_robin_scheduling 0
		.amdhsa_exception_fp_ieee_invalid_op 0
		.amdhsa_exception_fp_denorm_src 0
		.amdhsa_exception_fp_ieee_div_zero 0
		.amdhsa_exception_fp_ieee_overflow 0
		.amdhsa_exception_fp_ieee_underflow 0
		.amdhsa_exception_fp_ieee_inexact 0
		.amdhsa_exception_int_div_zero 0
	.end_amdhsa_kernel
	.section	.text._ZN2at6native27unrolled_elementwise_kernelIZZZNS0_12_GLOBAL__N_124softplus_backward_kernelERNS_18TensorIteratorBaseERKN3c106ScalarES8_ENKUlvE_clEvENKUlvE0_clEvEUlffE_St5arrayIPcLm3EELi4E23TrivialOffsetCalculatorILi2EjESF_ILi1EjENS0_6memory15LoadWithoutCastENSI_16StoreWithoutCastEEEviT_T0_T2_T3_T4_T5_,"axG",@progbits,_ZN2at6native27unrolled_elementwise_kernelIZZZNS0_12_GLOBAL__N_124softplus_backward_kernelERNS_18TensorIteratorBaseERKN3c106ScalarES8_ENKUlvE_clEvENKUlvE0_clEvEUlffE_St5arrayIPcLm3EELi4E23TrivialOffsetCalculatorILi2EjESF_ILi1EjENS0_6memory15LoadWithoutCastENSI_16StoreWithoutCastEEEviT_T0_T2_T3_T4_T5_,comdat
.Lfunc_end48:
	.size	_ZN2at6native27unrolled_elementwise_kernelIZZZNS0_12_GLOBAL__N_124softplus_backward_kernelERNS_18TensorIteratorBaseERKN3c106ScalarES8_ENKUlvE_clEvENKUlvE0_clEvEUlffE_St5arrayIPcLm3EELi4E23TrivialOffsetCalculatorILi2EjESF_ILi1EjENS0_6memory15LoadWithoutCastENSI_16StoreWithoutCastEEEviT_T0_T2_T3_T4_T5_, .Lfunc_end48-_ZN2at6native27unrolled_elementwise_kernelIZZZNS0_12_GLOBAL__N_124softplus_backward_kernelERNS_18TensorIteratorBaseERKN3c106ScalarES8_ENKUlvE_clEvENKUlvE0_clEvEUlffE_St5arrayIPcLm3EELi4E23TrivialOffsetCalculatorILi2EjESF_ILi1EjENS0_6memory15LoadWithoutCastENSI_16StoreWithoutCastEEEviT_T0_T2_T3_T4_T5_
                                        ; -- End function
	.set _ZN2at6native27unrolled_elementwise_kernelIZZZNS0_12_GLOBAL__N_124softplus_backward_kernelERNS_18TensorIteratorBaseERKN3c106ScalarES8_ENKUlvE_clEvENKUlvE0_clEvEUlffE_St5arrayIPcLm3EELi4E23TrivialOffsetCalculatorILi2EjESF_ILi1EjENS0_6memory15LoadWithoutCastENSI_16StoreWithoutCastEEEviT_T0_T2_T3_T4_T5_.num_vgpr, 17
	.set _ZN2at6native27unrolled_elementwise_kernelIZZZNS0_12_GLOBAL__N_124softplus_backward_kernelERNS_18TensorIteratorBaseERKN3c106ScalarES8_ENKUlvE_clEvENKUlvE0_clEvEUlffE_St5arrayIPcLm3EELi4E23TrivialOffsetCalculatorILi2EjESF_ILi1EjENS0_6memory15LoadWithoutCastENSI_16StoreWithoutCastEEEviT_T0_T2_T3_T4_T5_.num_agpr, 0
	.set _ZN2at6native27unrolled_elementwise_kernelIZZZNS0_12_GLOBAL__N_124softplus_backward_kernelERNS_18TensorIteratorBaseERKN3c106ScalarES8_ENKUlvE_clEvENKUlvE0_clEvEUlffE_St5arrayIPcLm3EELi4E23TrivialOffsetCalculatorILi2EjESF_ILi1EjENS0_6memory15LoadWithoutCastENSI_16StoreWithoutCastEEEviT_T0_T2_T3_T4_T5_.numbered_sgpr, 13
	.set _ZN2at6native27unrolled_elementwise_kernelIZZZNS0_12_GLOBAL__N_124softplus_backward_kernelERNS_18TensorIteratorBaseERKN3c106ScalarES8_ENKUlvE_clEvENKUlvE0_clEvEUlffE_St5arrayIPcLm3EELi4E23TrivialOffsetCalculatorILi2EjESF_ILi1EjENS0_6memory15LoadWithoutCastENSI_16StoreWithoutCastEEEviT_T0_T2_T3_T4_T5_.num_named_barrier, 0
	.set _ZN2at6native27unrolled_elementwise_kernelIZZZNS0_12_GLOBAL__N_124softplus_backward_kernelERNS_18TensorIteratorBaseERKN3c106ScalarES8_ENKUlvE_clEvENKUlvE0_clEvEUlffE_St5arrayIPcLm3EELi4E23TrivialOffsetCalculatorILi2EjESF_ILi1EjENS0_6memory15LoadWithoutCastENSI_16StoreWithoutCastEEEviT_T0_T2_T3_T4_T5_.private_seg_size, 0
	.set _ZN2at6native27unrolled_elementwise_kernelIZZZNS0_12_GLOBAL__N_124softplus_backward_kernelERNS_18TensorIteratorBaseERKN3c106ScalarES8_ENKUlvE_clEvENKUlvE0_clEvEUlffE_St5arrayIPcLm3EELi4E23TrivialOffsetCalculatorILi2EjESF_ILi1EjENS0_6memory15LoadWithoutCastENSI_16StoreWithoutCastEEEviT_T0_T2_T3_T4_T5_.uses_vcc, 1
	.set _ZN2at6native27unrolled_elementwise_kernelIZZZNS0_12_GLOBAL__N_124softplus_backward_kernelERNS_18TensorIteratorBaseERKN3c106ScalarES8_ENKUlvE_clEvENKUlvE0_clEvEUlffE_St5arrayIPcLm3EELi4E23TrivialOffsetCalculatorILi2EjESF_ILi1EjENS0_6memory15LoadWithoutCastENSI_16StoreWithoutCastEEEviT_T0_T2_T3_T4_T5_.uses_flat_scratch, 0
	.set _ZN2at6native27unrolled_elementwise_kernelIZZZNS0_12_GLOBAL__N_124softplus_backward_kernelERNS_18TensorIteratorBaseERKN3c106ScalarES8_ENKUlvE_clEvENKUlvE0_clEvEUlffE_St5arrayIPcLm3EELi4E23TrivialOffsetCalculatorILi2EjESF_ILi1EjENS0_6memory15LoadWithoutCastENSI_16StoreWithoutCastEEEviT_T0_T2_T3_T4_T5_.has_dyn_sized_stack, 0
	.set _ZN2at6native27unrolled_elementwise_kernelIZZZNS0_12_GLOBAL__N_124softplus_backward_kernelERNS_18TensorIteratorBaseERKN3c106ScalarES8_ENKUlvE_clEvENKUlvE0_clEvEUlffE_St5arrayIPcLm3EELi4E23TrivialOffsetCalculatorILi2EjESF_ILi1EjENS0_6memory15LoadWithoutCastENSI_16StoreWithoutCastEEEviT_T0_T2_T3_T4_T5_.has_recursion, 0
	.set _ZN2at6native27unrolled_elementwise_kernelIZZZNS0_12_GLOBAL__N_124softplus_backward_kernelERNS_18TensorIteratorBaseERKN3c106ScalarES8_ENKUlvE_clEvENKUlvE0_clEvEUlffE_St5arrayIPcLm3EELi4E23TrivialOffsetCalculatorILi2EjESF_ILi1EjENS0_6memory15LoadWithoutCastENSI_16StoreWithoutCastEEEviT_T0_T2_T3_T4_T5_.has_indirect_call, 0
	.section	.AMDGPU.csdata,"",@progbits
; Kernel info:
; codeLenInByte = 1820
; TotalNumSgprs: 15
; NumVgprs: 17
; ScratchSize: 0
; MemoryBound: 0
; FloatMode: 240
; IeeeMode: 1
; LDSByteSize: 0 bytes/workgroup (compile time only)
; SGPRBlocks: 0
; VGPRBlocks: 1
; NumSGPRsForWavesPerEU: 15
; NumVGPRsForWavesPerEU: 17
; NamedBarCnt: 0
; Occupancy: 16
; WaveLimiterHint : 0
; COMPUTE_PGM_RSRC2:SCRATCH_EN: 0
; COMPUTE_PGM_RSRC2:USER_SGPR: 2
; COMPUTE_PGM_RSRC2:TRAP_HANDLER: 0
; COMPUTE_PGM_RSRC2:TGID_X_EN: 1
; COMPUTE_PGM_RSRC2:TGID_Y_EN: 0
; COMPUTE_PGM_RSRC2:TGID_Z_EN: 0
; COMPUTE_PGM_RSRC2:TIDIG_COMP_CNT: 0
	.section	.text._ZN2at6native32elementwise_kernel_manual_unrollILi128ELi4EZNS0_22gpu_kernel_impl_nocastIZZZNS0_12_GLOBAL__N_124softplus_backward_kernelERNS_18TensorIteratorBaseERKN3c106ScalarES9_ENKUlvE_clEvENKUlvE0_clEvEUlffE_EEvS5_RKT_EUlibE_EEviT1_,"axG",@progbits,_ZN2at6native32elementwise_kernel_manual_unrollILi128ELi4EZNS0_22gpu_kernel_impl_nocastIZZZNS0_12_GLOBAL__N_124softplus_backward_kernelERNS_18TensorIteratorBaseERKN3c106ScalarES9_ENKUlvE_clEvENKUlvE0_clEvEUlffE_EEvS5_RKT_EUlibE_EEviT1_,comdat
	.globl	_ZN2at6native32elementwise_kernel_manual_unrollILi128ELi4EZNS0_22gpu_kernel_impl_nocastIZZZNS0_12_GLOBAL__N_124softplus_backward_kernelERNS_18TensorIteratorBaseERKN3c106ScalarES9_ENKUlvE_clEvENKUlvE0_clEvEUlffE_EEvS5_RKT_EUlibE_EEviT1_ ; -- Begin function _ZN2at6native32elementwise_kernel_manual_unrollILi128ELi4EZNS0_22gpu_kernel_impl_nocastIZZZNS0_12_GLOBAL__N_124softplus_backward_kernelERNS_18TensorIteratorBaseERKN3c106ScalarES9_ENKUlvE_clEvENKUlvE0_clEvEUlffE_EEvS5_RKT_EUlibE_EEviT1_
	.p2align	8
	.type	_ZN2at6native32elementwise_kernel_manual_unrollILi128ELi4EZNS0_22gpu_kernel_impl_nocastIZZZNS0_12_GLOBAL__N_124softplus_backward_kernelERNS_18TensorIteratorBaseERKN3c106ScalarES9_ENKUlvE_clEvENKUlvE0_clEvEUlffE_EEvS5_RKT_EUlibE_EEviT1_,@function
_ZN2at6native32elementwise_kernel_manual_unrollILi128ELi4EZNS0_22gpu_kernel_impl_nocastIZZZNS0_12_GLOBAL__N_124softplus_backward_kernelERNS_18TensorIteratorBaseERKN3c106ScalarES9_ENKUlvE_clEvENKUlvE0_clEvEUlffE_EEvS5_RKT_EUlibE_EEviT1_: ; @_ZN2at6native32elementwise_kernel_manual_unrollILi128ELi4EZNS0_22gpu_kernel_impl_nocastIZZZNS0_12_GLOBAL__N_124softplus_backward_kernelERNS_18TensorIteratorBaseERKN3c106ScalarES9_ENKUlvE_clEvENKUlvE0_clEvEUlffE_EEvS5_RKT_EUlibE_EEviT1_
; %bb.0:
	s_clause 0x1
	s_load_b32 s28, s[0:1], 0x8
	s_load_b32 s35, s[0:1], 0x0
	s_bfe_u32 s2, ttmp6, 0x4000c
	s_and_b32 s3, ttmp6, 15
	s_add_co_i32 s2, s2, 1
	s_getreg_b32 s4, hwreg(HW_REG_IB_STS2, 6, 4)
	s_mul_i32 s2, ttmp9, s2
	s_add_nc_u64 s[16:17], s[0:1], 8
	s_add_co_i32 s3, s3, s2
	s_cmp_eq_u32 s4, 0
	s_mov_b32 s23, 0
	s_cselect_b32 s2, ttmp9, s3
	s_wait_xcnt 0x0
	s_mov_b32 s0, exec_lo
	v_lshl_or_b32 v0, s2, 9, v0
	s_delay_alu instid0(VALU_DEP_1) | instskip(SKIP_2) | instid1(SALU_CYCLE_1)
	v_or_b32_e32 v2, 0x180, v0
	s_wait_kmcnt 0x0
	s_add_co_i32 s29, s28, -1
	s_cmp_gt_u32 s29, 1
	s_cselect_b32 s30, -1, 0
	v_cmpx_le_i32_e64 s35, v2
	s_xor_b32 s31, exec_lo, s0
	s_cbranch_execz .LBB49_62
; %bb.1:
	s_clause 0x4
	s_load_b128 s[8:11], s[16:17], 0x4
	s_load_b64 s[18:19], s[16:17], 0x14
	s_load_b128 s[12:15], s[16:17], 0xc4
	s_load_b64 s[20:21], s[16:17], 0xd4
	s_load_b256 s[0:7], s[16:17], 0x188
	s_cmp_lg_u32 s28, 0
	s_mov_b32 s25, s23
	s_cselect_b32 s36, -1, 0
	s_min_u32 s34, s29, 15
	s_cmp_gt_u32 s28, 1
	s_cselect_b32 s33, -1, 0
	s_wait_kmcnt 0x0
	s_mov_b32 s22, s9
	s_mov_b32 s24, s18
	s_mov_b32 s9, exec_lo
	v_cmpx_gt_i32_e64 s35, v0
	s_cbranch_execnz .LBB49_5
; %bb.2:
	s_or_b32 exec_lo, exec_lo, s9
	s_delay_alu instid0(SALU_CYCLE_1)
	s_mov_b32 s9, exec_lo
	v_cmpx_gt_i32_e64 s35, v0
	s_cbranch_execnz .LBB49_19
.LBB49_3:
	s_or_b32 exec_lo, exec_lo, s9
	s_delay_alu instid0(SALU_CYCLE_1)
	s_mov_b32 s9, exec_lo
	v_cmpx_gt_i32_e64 s35, v0
	s_cbranch_execnz .LBB49_33
.LBB49_4:
	s_or_b32 exec_lo, exec_lo, s9
	s_delay_alu instid0(SALU_CYCLE_1)
	s_mov_b32 s9, exec_lo
	v_cmpx_gt_i32_e64 s35, v0
	s_cbranch_execnz .LBB49_47
	s_branch .LBB49_61
.LBB49_5:
	s_and_not1_b32 vcc_lo, exec_lo, s30
	s_cbranch_vccnz .LBB49_11
; %bb.6:
	s_and_not1_b32 vcc_lo, exec_lo, s36
	s_cbranch_vccnz .LBB49_12
; %bb.7:
	v_dual_mov_b32 v4, 0 :: v_dual_mov_b32 v1, v0
	v_dual_mov_b32 v6, 0 :: v_dual_mov_b32 v5, 0
	s_add_co_i32 s18, s34, 1
	s_mov_b64 s[26:27], 0xffffffffffffffe8
	s_and_b32 s18, s18, 30
	s_add_nc_u64 s[26:27], s[16:17], s[26:27]
.LBB49_8:                               ; =>This Inner Loop Header: Depth=1
	s_clause 0x1
	s_load_b128 s[40:43], s[26:27], 0x1c
	s_load_b64 s[38:39], s[26:27], 0x2c
	s_add_co_i32 s18, s18, -2
	s_delay_alu instid0(SALU_CYCLE_1) | instskip(SKIP_2) | instid1(VALU_DEP_1)
	s_cmp_lg_u32 s18, 0
	s_wait_kmcnt 0x0
	v_mul_hi_u32 v2, s41, v1
	v_add_nc_u32_e32 v2, v1, v2
	s_delay_alu instid0(VALU_DEP_1) | instskip(NEXT) | instid1(VALU_DEP_1)
	v_lshrrev_b32_e32 v2, s42, v2
	v_mul_hi_u32 v3, s38, v2
	v_mul_lo_u32 v7, v2, s40
	s_clause 0x1
	s_load_b128 s[44:47], s[26:27], 0xdc
	s_load_b64 s[40:41], s[26:27], 0xec
	s_wait_xcnt 0x0
	s_add_nc_u64 s[26:27], s[26:27], 24
	s_delay_alu instid0(VALU_DEP_2) | instskip(NEXT) | instid1(VALU_DEP_2)
	v_add_nc_u32_e32 v3, v2, v3
	v_sub_nc_u32_e32 v7, v1, v7
	s_delay_alu instid0(VALU_DEP_2) | instskip(SKIP_1) | instid1(VALU_DEP_2)
	v_lshrrev_b32_e32 v1, s39, v3
	s_wait_kmcnt 0x0
	v_mad_u32 v4, v7, s44, v4
	s_delay_alu instid0(VALU_DEP_2) | instskip(SKIP_2) | instid1(VALU_DEP_3)
	v_mul_lo_u32 v3, v1, s43
	v_mad_u32 v5, v7, s46, v5
	v_mad_u32 v6, v7, s45, v6
	v_sub_nc_u32_e32 v2, v2, v3
	s_delay_alu instid0(VALU_DEP_1) | instskip(NEXT) | instid1(VALU_DEP_4)
	v_mad_u32 v4, v2, s47, v4
	v_mad_u32 v5, v2, s41, v5
	s_delay_alu instid0(VALU_DEP_4)
	v_mad_u32 v6, v2, s40, v6
	s_cbranch_scc1 .LBB49_8
; %bb.9:
	s_bitcmp1_b32 s34, 0
	s_cselect_b32 s18, -1, 0
	s_delay_alu instid0(SALU_CYCLE_1)
	s_and_b32 vcc_lo, exec_lo, s18
	s_cbranch_vccnz .LBB49_13
; %bb.10:
	s_clause 0x1
	s_load_b96 s[40:42], s[26:27], 0x1c
	s_load_b96 s[44:46], s[26:27], 0xdc
	s_wait_kmcnt 0x0
	v_mul_hi_u32 v2, s41, v1
	s_delay_alu instid0(VALU_DEP_1) | instskip(NEXT) | instid1(VALU_DEP_1)
	v_add_nc_u32_e32 v2, v1, v2
	v_lshrrev_b32_e32 v2, s42, v2
	s_delay_alu instid0(VALU_DEP_1) | instskip(NEXT) | instid1(VALU_DEP_1)
	v_mul_lo_u32 v2, v2, s40
	v_sub_nc_u32_e32 v1, v1, v2
	s_delay_alu instid0(VALU_DEP_1)
	v_mad_u32 v4, v1, s44, v4
	v_mad_u32 v6, v1, s45, v6
	;; [unrolled: 1-line block ×3, first 2 shown]
	s_cbranch_execz .LBB49_14
	s_branch .LBB49_16
.LBB49_11:
                                        ; implicit-def: $vgpr5
                                        ; implicit-def: $vgpr6
                                        ; implicit-def: $vgpr4
	s_branch .LBB49_14
.LBB49_12:
	v_dual_mov_b32 v5, 0 :: v_dual_mov_b32 v6, 0
	v_mov_b32_e32 v4, 0
.LBB49_13:
	s_cbranch_execnz .LBB49_16
.LBB49_14:
	v_mov_b32_e32 v1, 0
	s_and_not1_b32 vcc_lo, exec_lo, s33
	s_delay_alu instid0(VALU_DEP_1) | instskip(NEXT) | instid1(VALU_DEP_1)
	v_mul_u64_e32 v[2:3], s[22:23], v[0:1]
	v_add_nc_u32_e32 v2, v0, v3
	s_delay_alu instid0(VALU_DEP_1) | instskip(NEXT) | instid1(VALU_DEP_1)
	v_lshrrev_b32_e32 v2, s10, v2
	v_mul_lo_u32 v3, v2, s8
	s_delay_alu instid0(VALU_DEP_1) | instskip(NEXT) | instid1(VALU_DEP_1)
	v_sub_nc_u32_e32 v3, v0, v3
	v_mul_lo_u32 v4, v3, s12
	v_mul_lo_u32 v5, v3, s14
	;; [unrolled: 1-line block ×3, first 2 shown]
	s_cbranch_vccnz .LBB49_16
; %bb.15:
	v_mov_b32_e32 v3, v1
	s_delay_alu instid0(VALU_DEP_1) | instskip(NEXT) | instid1(VALU_DEP_1)
	v_mul_u64_e32 v[8:9], s[24:25], v[2:3]
	v_add_nc_u32_e32 v1, v2, v9
	s_delay_alu instid0(VALU_DEP_1) | instskip(NEXT) | instid1(VALU_DEP_1)
	v_lshrrev_b32_e32 v1, s19, v1
	v_mul_lo_u32 v1, v1, s11
	s_delay_alu instid0(VALU_DEP_1) | instskip(NEXT) | instid1(VALU_DEP_1)
	v_sub_nc_u32_e32 v1, v2, v1
	v_mad_u32 v4, v1, s15, v4
	v_mad_u32 v6, v1, s20, v6
	;; [unrolled: 1-line block ×3, first 2 shown]
.LBB49_16:
	global_load_b32 v2, v5, s[4:5]
	global_load_b32 v1, v6, s[2:3]
	s_mov_b32 s18, exec_lo
	s_wait_loadcnt 0x1
	v_mul_f32_e32 v2, s6, v2
	s_wait_xcnt 0x0
	s_delay_alu instid0(VALU_DEP_1)
	v_cmpx_nlt_f32_e32 s7, v2
	s_cbranch_execz .LBB49_18
; %bb.17:
	v_mul_f32_e32 v3, 0x3fb8aa3b, v2
	v_cmp_ngt_f32_e32 vcc_lo, 0xc2ce8ed0, v2
	s_delay_alu instid0(VALU_DEP_2) | instskip(SKIP_1) | instid1(VALU_DEP_1)
	v_rndne_f32_e32 v5, v3
	v_fma_f32 v6, 0x3fb8aa3b, v2, -v3
	v_dual_sub_f32 v3, v3, v5 :: v_dual_fmamk_f32 v6, v2, 0x32a5705f, v6
	v_cvt_i32_f32_e32 v5, v5
	s_delay_alu instid0(VALU_DEP_2) | instskip(NEXT) | instid1(VALU_DEP_1)
	v_add_f32_e32 v3, v3, v6
	v_exp_f32_e32 v3, v3
	v_nop
	s_delay_alu instid0(TRANS32_DEP_1) | instskip(NEXT) | instid1(VALU_DEP_1)
	v_ldexp_f32 v3, v3, v5
	v_cndmask_b32_e32 v3, 0, v3, vcc_lo
	v_cmp_nlt_f32_e32 vcc_lo, 0x42b17218, v2
	s_delay_alu instid0(VALU_DEP_2) | instskip(SKIP_1) | instid1(VALU_DEP_1)
	v_cndmask_b32_e32 v2, 0x7f800000, v3, vcc_lo
	s_wait_loadcnt 0x0
	v_dual_mul_f32 v1, v1, v2 :: v_dual_add_f32 v2, 1.0, v2
	s_delay_alu instid0(VALU_DEP_1) | instskip(NEXT) | instid1(VALU_DEP_1)
	v_div_scale_f32 v3, null, v2, v2, v1
	v_rcp_f32_e32 v5, v3
	v_nop
	s_delay_alu instid0(TRANS32_DEP_1) | instskip(NEXT) | instid1(VALU_DEP_1)
	v_fma_f32 v6, -v3, v5, 1.0
	v_fmac_f32_e32 v5, v6, v5
	v_div_scale_f32 v6, vcc_lo, v1, v2, v1
	s_delay_alu instid0(VALU_DEP_1) | instskip(NEXT) | instid1(VALU_DEP_1)
	v_mul_f32_e32 v7, v6, v5
	v_fma_f32 v8, -v3, v7, v6
	s_delay_alu instid0(VALU_DEP_1) | instskip(NEXT) | instid1(VALU_DEP_1)
	v_fmac_f32_e32 v7, v8, v5
	v_fma_f32 v3, -v3, v7, v6
	s_delay_alu instid0(VALU_DEP_1) | instskip(NEXT) | instid1(VALU_DEP_1)
	v_div_fmas_f32 v3, v3, v5, v7
	v_div_fixup_f32 v1, v3, v2, v1
.LBB49_18:
	s_or_b32 exec_lo, exec_lo, s18
	v_add_nc_u32_e32 v0, 0x80, v0
	s_wait_loadcnt 0x0
	global_store_b32 v4, v1, s[0:1]
	s_wait_xcnt 0x0
	s_or_b32 exec_lo, exec_lo, s9
	s_delay_alu instid0(SALU_CYCLE_1)
	s_mov_b32 s9, exec_lo
	v_cmpx_gt_i32_e64 s35, v0
	s_cbranch_execz .LBB49_3
.LBB49_19:
	s_and_not1_b32 vcc_lo, exec_lo, s30
	s_cbranch_vccnz .LBB49_25
; %bb.20:
	s_and_not1_b32 vcc_lo, exec_lo, s36
	s_cbranch_vccnz .LBB49_26
; %bb.21:
	v_dual_mov_b32 v4, 0 :: v_dual_mov_b32 v1, v0
	v_dual_mov_b32 v6, 0 :: v_dual_mov_b32 v5, 0
	s_add_co_i32 s18, s34, 1
	s_mov_b64 s[26:27], 0xffffffffffffffe8
	s_and_b32 s18, s18, 30
	s_add_nc_u64 s[26:27], s[16:17], s[26:27]
.LBB49_22:                              ; =>This Inner Loop Header: Depth=1
	s_clause 0x1
	s_load_b128 s[40:43], s[26:27], 0x1c
	s_load_b64 s[38:39], s[26:27], 0x2c
	s_add_co_i32 s18, s18, -2
	s_delay_alu instid0(SALU_CYCLE_1) | instskip(SKIP_2) | instid1(VALU_DEP_1)
	s_cmp_eq_u32 s18, 0
	s_wait_kmcnt 0x0
	v_mul_hi_u32 v2, s41, v1
	v_add_nc_u32_e32 v2, v1, v2
	s_delay_alu instid0(VALU_DEP_1) | instskip(NEXT) | instid1(VALU_DEP_1)
	v_lshrrev_b32_e32 v2, s42, v2
	v_mul_hi_u32 v3, s38, v2
	v_mul_lo_u32 v7, v2, s40
	s_clause 0x1
	s_load_b128 s[44:47], s[26:27], 0xdc
	s_load_b64 s[40:41], s[26:27], 0xec
	s_wait_xcnt 0x0
	s_add_nc_u64 s[26:27], s[26:27], 24
	s_delay_alu instid0(VALU_DEP_2) | instskip(NEXT) | instid1(VALU_DEP_2)
	v_add_nc_u32_e32 v3, v2, v3
	v_sub_nc_u32_e32 v7, v1, v7
	s_delay_alu instid0(VALU_DEP_2) | instskip(SKIP_1) | instid1(VALU_DEP_2)
	v_lshrrev_b32_e32 v1, s39, v3
	s_wait_kmcnt 0x0
	v_mad_u32 v4, v7, s44, v4
	s_delay_alu instid0(VALU_DEP_2) | instskip(SKIP_2) | instid1(VALU_DEP_3)
	v_mul_lo_u32 v3, v1, s43
	v_mad_u32 v5, v7, s46, v5
	v_mad_u32 v6, v7, s45, v6
	v_sub_nc_u32_e32 v2, v2, v3
	s_delay_alu instid0(VALU_DEP_1) | instskip(NEXT) | instid1(VALU_DEP_4)
	v_mad_u32 v4, v2, s47, v4
	v_mad_u32 v5, v2, s41, v5
	s_delay_alu instid0(VALU_DEP_4)
	v_mad_u32 v6, v2, s40, v6
	s_cbranch_scc0 .LBB49_22
; %bb.23:
	s_bitcmp1_b32 s34, 0
	s_cselect_b32 s18, -1, 0
	s_delay_alu instid0(SALU_CYCLE_1)
	s_and_b32 vcc_lo, exec_lo, s18
	s_cbranch_vccnz .LBB49_27
; %bb.24:
	s_clause 0x1
	s_load_b96 s[40:42], s[26:27], 0x1c
	s_load_b96 s[44:46], s[26:27], 0xdc
	s_wait_kmcnt 0x0
	v_mul_hi_u32 v2, s41, v1
	s_delay_alu instid0(VALU_DEP_1) | instskip(NEXT) | instid1(VALU_DEP_1)
	v_add_nc_u32_e32 v2, v1, v2
	v_lshrrev_b32_e32 v2, s42, v2
	s_delay_alu instid0(VALU_DEP_1) | instskip(NEXT) | instid1(VALU_DEP_1)
	v_mul_lo_u32 v2, v2, s40
	v_sub_nc_u32_e32 v1, v1, v2
	s_delay_alu instid0(VALU_DEP_1)
	v_mad_u32 v4, v1, s44, v4
	v_mad_u32 v6, v1, s45, v6
	;; [unrolled: 1-line block ×3, first 2 shown]
	s_branch .LBB49_27
.LBB49_25:
                                        ; implicit-def: $vgpr5
                                        ; implicit-def: $vgpr6
                                        ; implicit-def: $vgpr4
	s_branch .LBB49_28
.LBB49_26:
	v_dual_mov_b32 v5, 0 :: v_dual_mov_b32 v6, 0
	v_mov_b32_e32 v4, 0
.LBB49_27:
	s_cbranch_execnz .LBB49_30
.LBB49_28:
	v_mov_b32_e32 v1, 0
	s_and_not1_b32 vcc_lo, exec_lo, s33
	s_delay_alu instid0(VALU_DEP_1) | instskip(NEXT) | instid1(VALU_DEP_1)
	v_mul_u64_e32 v[2:3], s[22:23], v[0:1]
	v_add_nc_u32_e32 v2, v0, v3
	s_delay_alu instid0(VALU_DEP_1) | instskip(NEXT) | instid1(VALU_DEP_1)
	v_lshrrev_b32_e32 v2, s10, v2
	v_mul_lo_u32 v3, v2, s8
	s_delay_alu instid0(VALU_DEP_1) | instskip(NEXT) | instid1(VALU_DEP_1)
	v_sub_nc_u32_e32 v3, v0, v3
	v_mul_lo_u32 v4, v3, s12
	v_mul_lo_u32 v5, v3, s14
	;; [unrolled: 1-line block ×3, first 2 shown]
	s_cbranch_vccnz .LBB49_30
; %bb.29:
	v_mov_b32_e32 v3, v1
	s_delay_alu instid0(VALU_DEP_1) | instskip(NEXT) | instid1(VALU_DEP_1)
	v_mul_u64_e32 v[8:9], s[24:25], v[2:3]
	v_add_nc_u32_e32 v1, v2, v9
	s_delay_alu instid0(VALU_DEP_1) | instskip(NEXT) | instid1(VALU_DEP_1)
	v_lshrrev_b32_e32 v1, s19, v1
	v_mul_lo_u32 v1, v1, s11
	s_delay_alu instid0(VALU_DEP_1) | instskip(NEXT) | instid1(VALU_DEP_1)
	v_sub_nc_u32_e32 v1, v2, v1
	v_mad_u32 v4, v1, s15, v4
	v_mad_u32 v6, v1, s20, v6
	v_mad_u32 v5, v1, s21, v5
.LBB49_30:
	global_load_b32 v2, v5, s[4:5]
	global_load_b32 v1, v6, s[2:3]
	s_mov_b32 s18, exec_lo
	s_wait_loadcnt 0x1
	v_mul_f32_e32 v2, s6, v2
	s_wait_xcnt 0x0
	s_delay_alu instid0(VALU_DEP_1)
	v_cmpx_nlt_f32_e32 s7, v2
	s_cbranch_execz .LBB49_32
; %bb.31:
	v_mul_f32_e32 v3, 0x3fb8aa3b, v2
	v_cmp_ngt_f32_e32 vcc_lo, 0xc2ce8ed0, v2
	s_delay_alu instid0(VALU_DEP_2) | instskip(SKIP_1) | instid1(VALU_DEP_1)
	v_rndne_f32_e32 v5, v3
	v_fma_f32 v6, 0x3fb8aa3b, v2, -v3
	v_dual_sub_f32 v3, v3, v5 :: v_dual_fmamk_f32 v6, v2, 0x32a5705f, v6
	v_cvt_i32_f32_e32 v5, v5
	s_delay_alu instid0(VALU_DEP_2) | instskip(NEXT) | instid1(VALU_DEP_1)
	v_add_f32_e32 v3, v3, v6
	v_exp_f32_e32 v3, v3
	v_nop
	s_delay_alu instid0(TRANS32_DEP_1) | instskip(NEXT) | instid1(VALU_DEP_1)
	v_ldexp_f32 v3, v3, v5
	v_cndmask_b32_e32 v3, 0, v3, vcc_lo
	v_cmp_nlt_f32_e32 vcc_lo, 0x42b17218, v2
	s_delay_alu instid0(VALU_DEP_2) | instskip(SKIP_1) | instid1(VALU_DEP_1)
	v_cndmask_b32_e32 v2, 0x7f800000, v3, vcc_lo
	s_wait_loadcnt 0x0
	v_dual_mul_f32 v1, v1, v2 :: v_dual_add_f32 v2, 1.0, v2
	s_delay_alu instid0(VALU_DEP_1) | instskip(NEXT) | instid1(VALU_DEP_1)
	v_div_scale_f32 v3, null, v2, v2, v1
	v_rcp_f32_e32 v5, v3
	v_nop
	s_delay_alu instid0(TRANS32_DEP_1) | instskip(NEXT) | instid1(VALU_DEP_1)
	v_fma_f32 v6, -v3, v5, 1.0
	v_fmac_f32_e32 v5, v6, v5
	v_div_scale_f32 v6, vcc_lo, v1, v2, v1
	s_delay_alu instid0(VALU_DEP_1) | instskip(NEXT) | instid1(VALU_DEP_1)
	v_mul_f32_e32 v7, v6, v5
	v_fma_f32 v8, -v3, v7, v6
	s_delay_alu instid0(VALU_DEP_1) | instskip(NEXT) | instid1(VALU_DEP_1)
	v_fmac_f32_e32 v7, v8, v5
	v_fma_f32 v3, -v3, v7, v6
	s_delay_alu instid0(VALU_DEP_1) | instskip(NEXT) | instid1(VALU_DEP_1)
	v_div_fmas_f32 v3, v3, v5, v7
	v_div_fixup_f32 v1, v3, v2, v1
.LBB49_32:
	s_or_b32 exec_lo, exec_lo, s18
	v_add_nc_u32_e32 v0, 0x80, v0
	s_wait_loadcnt 0x0
	global_store_b32 v4, v1, s[0:1]
	s_wait_xcnt 0x0
	s_or_b32 exec_lo, exec_lo, s9
	s_delay_alu instid0(SALU_CYCLE_1)
	s_mov_b32 s9, exec_lo
	v_cmpx_gt_i32_e64 s35, v0
	s_cbranch_execz .LBB49_4
.LBB49_33:
	s_and_not1_b32 vcc_lo, exec_lo, s30
	s_cbranch_vccnz .LBB49_39
; %bb.34:
	s_and_not1_b32 vcc_lo, exec_lo, s36
	s_cbranch_vccnz .LBB49_40
; %bb.35:
	v_dual_mov_b32 v4, 0 :: v_dual_mov_b32 v1, v0
	v_dual_mov_b32 v6, 0 :: v_dual_mov_b32 v5, 0
	s_add_co_i32 s18, s34, 1
	s_mov_b64 s[26:27], 0xffffffffffffffe8
	s_and_b32 s18, s18, 30
	s_add_nc_u64 s[26:27], s[16:17], s[26:27]
.LBB49_36:                              ; =>This Inner Loop Header: Depth=1
	s_clause 0x1
	s_load_b128 s[40:43], s[26:27], 0x1c
	s_load_b64 s[38:39], s[26:27], 0x2c
	s_add_co_i32 s18, s18, -2
	s_delay_alu instid0(SALU_CYCLE_1) | instskip(SKIP_2) | instid1(VALU_DEP_1)
	s_cmp_eq_u32 s18, 0
	s_wait_kmcnt 0x0
	v_mul_hi_u32 v2, s41, v1
	v_add_nc_u32_e32 v2, v1, v2
	s_delay_alu instid0(VALU_DEP_1) | instskip(NEXT) | instid1(VALU_DEP_1)
	v_lshrrev_b32_e32 v2, s42, v2
	v_mul_hi_u32 v3, s38, v2
	v_mul_lo_u32 v7, v2, s40
	s_clause 0x1
	s_load_b128 s[44:47], s[26:27], 0xdc
	s_load_b64 s[40:41], s[26:27], 0xec
	s_wait_xcnt 0x0
	s_add_nc_u64 s[26:27], s[26:27], 24
	s_delay_alu instid0(VALU_DEP_2) | instskip(NEXT) | instid1(VALU_DEP_2)
	v_add_nc_u32_e32 v3, v2, v3
	v_sub_nc_u32_e32 v7, v1, v7
	s_delay_alu instid0(VALU_DEP_2) | instskip(SKIP_1) | instid1(VALU_DEP_2)
	v_lshrrev_b32_e32 v1, s39, v3
	s_wait_kmcnt 0x0
	v_mad_u32 v4, v7, s44, v4
	s_delay_alu instid0(VALU_DEP_2) | instskip(SKIP_2) | instid1(VALU_DEP_3)
	v_mul_lo_u32 v3, v1, s43
	v_mad_u32 v5, v7, s46, v5
	v_mad_u32 v6, v7, s45, v6
	v_sub_nc_u32_e32 v2, v2, v3
	s_delay_alu instid0(VALU_DEP_1) | instskip(NEXT) | instid1(VALU_DEP_4)
	v_mad_u32 v4, v2, s47, v4
	v_mad_u32 v5, v2, s41, v5
	s_delay_alu instid0(VALU_DEP_4)
	v_mad_u32 v6, v2, s40, v6
	s_cbranch_scc0 .LBB49_36
; %bb.37:
	s_bitcmp1_b32 s34, 0
	s_cselect_b32 s18, -1, 0
	s_delay_alu instid0(SALU_CYCLE_1)
	s_and_b32 vcc_lo, exec_lo, s18
	s_cbranch_vccnz .LBB49_41
; %bb.38:
	s_clause 0x1
	s_load_b96 s[40:42], s[26:27], 0x1c
	s_load_b96 s[44:46], s[26:27], 0xdc
	s_wait_kmcnt 0x0
	v_mul_hi_u32 v2, s41, v1
	s_delay_alu instid0(VALU_DEP_1) | instskip(NEXT) | instid1(VALU_DEP_1)
	v_add_nc_u32_e32 v2, v1, v2
	v_lshrrev_b32_e32 v2, s42, v2
	s_delay_alu instid0(VALU_DEP_1) | instskip(NEXT) | instid1(VALU_DEP_1)
	v_mul_lo_u32 v2, v2, s40
	v_sub_nc_u32_e32 v1, v1, v2
	s_delay_alu instid0(VALU_DEP_1)
	v_mad_u32 v4, v1, s44, v4
	v_mad_u32 v6, v1, s45, v6
	;; [unrolled: 1-line block ×3, first 2 shown]
	s_branch .LBB49_41
.LBB49_39:
                                        ; implicit-def: $vgpr5
                                        ; implicit-def: $vgpr6
                                        ; implicit-def: $vgpr4
	s_branch .LBB49_42
.LBB49_40:
	v_dual_mov_b32 v5, 0 :: v_dual_mov_b32 v6, 0
	v_mov_b32_e32 v4, 0
.LBB49_41:
	s_cbranch_execnz .LBB49_44
.LBB49_42:
	v_mov_b32_e32 v1, 0
	s_and_not1_b32 vcc_lo, exec_lo, s33
	s_delay_alu instid0(VALU_DEP_1) | instskip(NEXT) | instid1(VALU_DEP_1)
	v_mul_u64_e32 v[2:3], s[22:23], v[0:1]
	v_add_nc_u32_e32 v2, v0, v3
	s_delay_alu instid0(VALU_DEP_1) | instskip(NEXT) | instid1(VALU_DEP_1)
	v_lshrrev_b32_e32 v2, s10, v2
	v_mul_lo_u32 v3, v2, s8
	s_delay_alu instid0(VALU_DEP_1) | instskip(NEXT) | instid1(VALU_DEP_1)
	v_sub_nc_u32_e32 v3, v0, v3
	v_mul_lo_u32 v4, v3, s12
	v_mul_lo_u32 v5, v3, s14
	;; [unrolled: 1-line block ×3, first 2 shown]
	s_cbranch_vccnz .LBB49_44
; %bb.43:
	v_mov_b32_e32 v3, v1
	s_delay_alu instid0(VALU_DEP_1) | instskip(NEXT) | instid1(VALU_DEP_1)
	v_mul_u64_e32 v[8:9], s[24:25], v[2:3]
	v_add_nc_u32_e32 v1, v2, v9
	s_delay_alu instid0(VALU_DEP_1) | instskip(NEXT) | instid1(VALU_DEP_1)
	v_lshrrev_b32_e32 v1, s19, v1
	v_mul_lo_u32 v1, v1, s11
	s_delay_alu instid0(VALU_DEP_1) | instskip(NEXT) | instid1(VALU_DEP_1)
	v_sub_nc_u32_e32 v1, v2, v1
	v_mad_u32 v4, v1, s15, v4
	v_mad_u32 v6, v1, s20, v6
	;; [unrolled: 1-line block ×3, first 2 shown]
.LBB49_44:
	global_load_b32 v2, v5, s[4:5]
	global_load_b32 v1, v6, s[2:3]
	s_mov_b32 s18, exec_lo
	s_wait_loadcnt 0x1
	v_mul_f32_e32 v2, s6, v2
	s_wait_xcnt 0x0
	s_delay_alu instid0(VALU_DEP_1)
	v_cmpx_nlt_f32_e32 s7, v2
	s_cbranch_execz .LBB49_46
; %bb.45:
	v_mul_f32_e32 v3, 0x3fb8aa3b, v2
	v_cmp_ngt_f32_e32 vcc_lo, 0xc2ce8ed0, v2
	s_delay_alu instid0(VALU_DEP_2) | instskip(SKIP_1) | instid1(VALU_DEP_1)
	v_rndne_f32_e32 v5, v3
	v_fma_f32 v6, 0x3fb8aa3b, v2, -v3
	v_dual_sub_f32 v3, v3, v5 :: v_dual_fmamk_f32 v6, v2, 0x32a5705f, v6
	v_cvt_i32_f32_e32 v5, v5
	s_delay_alu instid0(VALU_DEP_2) | instskip(NEXT) | instid1(VALU_DEP_1)
	v_add_f32_e32 v3, v3, v6
	v_exp_f32_e32 v3, v3
	v_nop
	s_delay_alu instid0(TRANS32_DEP_1) | instskip(NEXT) | instid1(VALU_DEP_1)
	v_ldexp_f32 v3, v3, v5
	v_cndmask_b32_e32 v3, 0, v3, vcc_lo
	v_cmp_nlt_f32_e32 vcc_lo, 0x42b17218, v2
	s_delay_alu instid0(VALU_DEP_2) | instskip(SKIP_1) | instid1(VALU_DEP_1)
	v_cndmask_b32_e32 v2, 0x7f800000, v3, vcc_lo
	s_wait_loadcnt 0x0
	v_dual_mul_f32 v1, v1, v2 :: v_dual_add_f32 v2, 1.0, v2
	s_delay_alu instid0(VALU_DEP_1) | instskip(NEXT) | instid1(VALU_DEP_1)
	v_div_scale_f32 v3, null, v2, v2, v1
	v_rcp_f32_e32 v5, v3
	v_nop
	s_delay_alu instid0(TRANS32_DEP_1) | instskip(NEXT) | instid1(VALU_DEP_1)
	v_fma_f32 v6, -v3, v5, 1.0
	v_fmac_f32_e32 v5, v6, v5
	v_div_scale_f32 v6, vcc_lo, v1, v2, v1
	s_delay_alu instid0(VALU_DEP_1) | instskip(NEXT) | instid1(VALU_DEP_1)
	v_mul_f32_e32 v7, v6, v5
	v_fma_f32 v8, -v3, v7, v6
	s_delay_alu instid0(VALU_DEP_1) | instskip(NEXT) | instid1(VALU_DEP_1)
	v_fmac_f32_e32 v7, v8, v5
	v_fma_f32 v3, -v3, v7, v6
	s_delay_alu instid0(VALU_DEP_1) | instskip(NEXT) | instid1(VALU_DEP_1)
	v_div_fmas_f32 v3, v3, v5, v7
	v_div_fixup_f32 v1, v3, v2, v1
.LBB49_46:
	s_or_b32 exec_lo, exec_lo, s18
	v_add_nc_u32_e32 v0, 0x80, v0
	s_wait_loadcnt 0x0
	global_store_b32 v4, v1, s[0:1]
	s_wait_xcnt 0x0
	s_or_b32 exec_lo, exec_lo, s9
	s_delay_alu instid0(SALU_CYCLE_1)
	s_mov_b32 s9, exec_lo
	v_cmpx_gt_i32_e64 s35, v0
	s_cbranch_execz .LBB49_61
.LBB49_47:
	s_and_not1_b32 vcc_lo, exec_lo, s30
	s_cbranch_vccnz .LBB49_53
; %bb.48:
	s_and_not1_b32 vcc_lo, exec_lo, s36
	s_cbranch_vccnz .LBB49_54
; %bb.49:
	v_dual_mov_b32 v4, 0 :: v_dual_mov_b32 v1, v0
	v_dual_mov_b32 v6, 0 :: v_dual_mov_b32 v5, 0
	s_add_co_i32 s18, s34, 1
	s_mov_b64 s[26:27], 0xffffffffffffffe8
	s_and_b32 s18, s18, 30
	s_add_nc_u64 s[26:27], s[16:17], s[26:27]
.LBB49_50:                              ; =>This Inner Loop Header: Depth=1
	s_clause 0x1
	s_load_b128 s[36:39], s[26:27], 0x1c
	s_load_b64 s[44:45], s[26:27], 0x2c
	s_add_co_i32 s18, s18, -2
	s_delay_alu instid0(SALU_CYCLE_1) | instskip(SKIP_2) | instid1(VALU_DEP_1)
	s_cmp_eq_u32 s18, 0
	s_wait_kmcnt 0x0
	v_mul_hi_u32 v2, s37, v1
	v_add_nc_u32_e32 v2, v1, v2
	s_delay_alu instid0(VALU_DEP_1) | instskip(NEXT) | instid1(VALU_DEP_1)
	v_lshrrev_b32_e32 v2, s38, v2
	v_mul_hi_u32 v3, s44, v2
	v_mul_lo_u32 v7, v2, s36
	s_clause 0x1
	s_load_b128 s[40:43], s[26:27], 0xdc
	s_load_b64 s[36:37], s[26:27], 0xec
	s_wait_xcnt 0x0
	s_add_nc_u64 s[26:27], s[26:27], 24
	s_delay_alu instid0(VALU_DEP_2) | instskip(NEXT) | instid1(VALU_DEP_2)
	v_add_nc_u32_e32 v3, v2, v3
	v_sub_nc_u32_e32 v7, v1, v7
	s_delay_alu instid0(VALU_DEP_2) | instskip(SKIP_1) | instid1(VALU_DEP_2)
	v_lshrrev_b32_e32 v1, s45, v3
	s_wait_kmcnt 0x0
	v_mad_u32 v4, v7, s40, v4
	s_delay_alu instid0(VALU_DEP_2) | instskip(SKIP_2) | instid1(VALU_DEP_3)
	v_mul_lo_u32 v3, v1, s39
	v_mad_u32 v5, v7, s42, v5
	v_mad_u32 v6, v7, s41, v6
	v_sub_nc_u32_e32 v2, v2, v3
	s_delay_alu instid0(VALU_DEP_1) | instskip(NEXT) | instid1(VALU_DEP_4)
	v_mad_u32 v4, v2, s43, v4
	v_mad_u32 v5, v2, s37, v5
	s_delay_alu instid0(VALU_DEP_4)
	v_mad_u32 v6, v2, s36, v6
	s_cbranch_scc0 .LBB49_50
; %bb.51:
	s_bitcmp1_b32 s34, 0
	s_cselect_b32 s18, -1, 0
	s_delay_alu instid0(SALU_CYCLE_1)
	s_and_b32 vcc_lo, exec_lo, s18
	s_cbranch_vccnz .LBB49_55
; %bb.52:
	s_clause 0x1
	s_load_b96 s[36:38], s[26:27], 0x1c
	s_load_b96 s[40:42], s[26:27], 0xdc
	s_wait_kmcnt 0x0
	v_mul_hi_u32 v2, s37, v1
	s_delay_alu instid0(VALU_DEP_1) | instskip(NEXT) | instid1(VALU_DEP_1)
	v_add_nc_u32_e32 v2, v1, v2
	v_lshrrev_b32_e32 v2, s38, v2
	s_delay_alu instid0(VALU_DEP_1) | instskip(NEXT) | instid1(VALU_DEP_1)
	v_mul_lo_u32 v2, v2, s36
	v_sub_nc_u32_e32 v1, v1, v2
	s_delay_alu instid0(VALU_DEP_1)
	v_mad_u32 v4, v1, s40, v4
	v_mad_u32 v6, v1, s41, v6
	;; [unrolled: 1-line block ×3, first 2 shown]
	s_branch .LBB49_55
.LBB49_53:
                                        ; implicit-def: $vgpr5
                                        ; implicit-def: $vgpr6
                                        ; implicit-def: $vgpr4
	s_branch .LBB49_56
.LBB49_54:
	v_dual_mov_b32 v5, 0 :: v_dual_mov_b32 v6, 0
	v_mov_b32_e32 v4, 0
.LBB49_55:
	s_cbranch_execnz .LBB49_58
.LBB49_56:
	v_mov_b32_e32 v1, 0
	s_and_not1_b32 vcc_lo, exec_lo, s33
	s_delay_alu instid0(VALU_DEP_1) | instskip(NEXT) | instid1(VALU_DEP_1)
	v_mul_u64_e32 v[2:3], s[22:23], v[0:1]
	v_add_nc_u32_e32 v2, v0, v3
	s_delay_alu instid0(VALU_DEP_1) | instskip(NEXT) | instid1(VALU_DEP_1)
	v_lshrrev_b32_e32 v2, s10, v2
	v_mul_lo_u32 v3, v2, s8
	s_delay_alu instid0(VALU_DEP_1) | instskip(NEXT) | instid1(VALU_DEP_1)
	v_sub_nc_u32_e32 v0, v0, v3
	v_mul_lo_u32 v4, v0, s12
	v_mul_lo_u32 v5, v0, s14
	;; [unrolled: 1-line block ×3, first 2 shown]
	s_cbranch_vccnz .LBB49_58
; %bb.57:
	v_mov_b32_e32 v3, v1
	s_delay_alu instid0(VALU_DEP_1) | instskip(NEXT) | instid1(VALU_DEP_1)
	v_mul_u64_e32 v[0:1], s[24:25], v[2:3]
	v_add_nc_u32_e32 v0, v2, v1
	s_delay_alu instid0(VALU_DEP_1) | instskip(NEXT) | instid1(VALU_DEP_1)
	v_lshrrev_b32_e32 v0, s19, v0
	v_mul_lo_u32 v0, v0, s11
	s_delay_alu instid0(VALU_DEP_1) | instskip(NEXT) | instid1(VALU_DEP_1)
	v_sub_nc_u32_e32 v0, v2, v0
	v_mad_u32 v4, v0, s15, v4
	v_mad_u32 v6, v0, s20, v6
	;; [unrolled: 1-line block ×3, first 2 shown]
.LBB49_58:
	global_load_b32 v1, v5, s[4:5]
	global_load_b32 v0, v6, s[2:3]
	s_wait_xcnt 0x0
	s_mov_b32 s2, exec_lo
	s_wait_loadcnt 0x1
	v_mul_f32_e32 v1, s6, v1
	s_delay_alu instid0(VALU_DEP_1)
	v_cmpx_nlt_f32_e32 s7, v1
	s_cbranch_execz .LBB49_60
; %bb.59:
	v_mul_f32_e32 v2, 0x3fb8aa3b, v1
	v_cmp_ngt_f32_e32 vcc_lo, 0xc2ce8ed0, v1
	s_delay_alu instid0(VALU_DEP_2) | instskip(SKIP_1) | instid1(VALU_DEP_1)
	v_rndne_f32_e32 v3, v2
	v_fma_f32 v5, 0x3fb8aa3b, v1, -v2
	v_dual_sub_f32 v2, v2, v3 :: v_dual_fmamk_f32 v5, v1, 0x32a5705f, v5
	v_cvt_i32_f32_e32 v3, v3
	s_delay_alu instid0(VALU_DEP_2) | instskip(NEXT) | instid1(VALU_DEP_1)
	v_add_f32_e32 v2, v2, v5
	v_exp_f32_e32 v2, v2
	v_nop
	s_delay_alu instid0(TRANS32_DEP_1) | instskip(NEXT) | instid1(VALU_DEP_1)
	v_ldexp_f32 v2, v2, v3
	v_cndmask_b32_e32 v2, 0, v2, vcc_lo
	v_cmp_nlt_f32_e32 vcc_lo, 0x42b17218, v1
	s_delay_alu instid0(VALU_DEP_2) | instskip(SKIP_1) | instid1(VALU_DEP_1)
	v_cndmask_b32_e32 v1, 0x7f800000, v2, vcc_lo
	s_wait_loadcnt 0x0
	v_dual_mul_f32 v0, v0, v1 :: v_dual_add_f32 v1, 1.0, v1
	s_delay_alu instid0(VALU_DEP_1) | instskip(NEXT) | instid1(VALU_DEP_1)
	v_div_scale_f32 v2, null, v1, v1, v0
	v_rcp_f32_e32 v3, v2
	v_nop
	s_delay_alu instid0(TRANS32_DEP_1) | instskip(NEXT) | instid1(VALU_DEP_1)
	v_fma_f32 v5, -v2, v3, 1.0
	v_fmac_f32_e32 v3, v5, v3
	v_div_scale_f32 v5, vcc_lo, v0, v1, v0
	s_delay_alu instid0(VALU_DEP_1) | instskip(NEXT) | instid1(VALU_DEP_1)
	v_mul_f32_e32 v6, v5, v3
	v_fma_f32 v7, -v2, v6, v5
	s_delay_alu instid0(VALU_DEP_1) | instskip(NEXT) | instid1(VALU_DEP_1)
	v_fmac_f32_e32 v6, v7, v3
	v_fma_f32 v2, -v2, v6, v5
	s_delay_alu instid0(VALU_DEP_1) | instskip(NEXT) | instid1(VALU_DEP_1)
	v_div_fmas_f32 v2, v2, v3, v6
	v_div_fixup_f32 v0, v2, v1, v0
.LBB49_60:
	s_or_b32 exec_lo, exec_lo, s2
	s_wait_loadcnt 0x0
	global_store_b32 v4, v0, s[0:1]
.LBB49_61:
	s_wait_xcnt 0x0
	s_or_b32 exec_lo, exec_lo, s9
                                        ; implicit-def: $vgpr2
                                        ; implicit-def: $vgpr0
.LBB49_62:
	s_and_not1_saveexec_b32 s0, s31
	s_cbranch_execz .LBB49_69
; %bb.63:
	v_cndmask_b32_e64 v8, 0, 1, s30
	s_and_not1_b32 vcc_lo, exec_lo, s30
	s_cbranch_vccnz .LBB49_70
; %bb.64:
	s_cmp_lg_u32 s28, 0
	s_mov_b32 s2, 0
	s_cbranch_scc0 .LBB49_74
; %bb.65:
	s_min_u32 s3, s29, 15
	v_dual_mov_b32 v1, 0 :: v_dual_mov_b32 v5, v0
	v_dual_mov_b32 v4, 0 :: v_dual_mov_b32 v3, 0
	s_add_co_i32 s4, s3, 1
	s_mov_b64 s[0:1], 0xffffffffffffffe8
	s_and_b32 s4, s4, 30
	s_add_nc_u64 s[0:1], s[16:17], s[0:1]
.LBB49_66:                              ; =>This Inner Loop Header: Depth=1
	s_clause 0x1
	s_load_b128 s[8:11], s[0:1], 0x1c
	s_load_b64 s[6:7], s[0:1], 0x2c
	s_add_co_i32 s4, s4, -2
	s_delay_alu instid0(SALU_CYCLE_1) | instskip(SKIP_2) | instid1(VALU_DEP_1)
	s_cmp_lg_u32 s4, 0
	s_wait_kmcnt 0x0
	v_mul_hi_u32 v6, s9, v5
	v_add_nc_u32_e32 v6, v5, v6
	s_delay_alu instid0(VALU_DEP_1) | instskip(NEXT) | instid1(VALU_DEP_1)
	v_lshrrev_b32_e32 v6, s10, v6
	v_mul_hi_u32 v7, s6, v6
	v_mul_lo_u32 v9, v6, s8
	s_clause 0x1
	s_load_b128 s[12:15], s[0:1], 0xdc
	s_load_b64 s[8:9], s[0:1], 0xec
	s_wait_xcnt 0x0
	s_add_nc_u64 s[0:1], s[0:1], 24
	s_delay_alu instid0(VALU_DEP_1) | instskip(NEXT) | instid1(VALU_DEP_1)
	v_dual_add_nc_u32 v7, v6, v7 :: v_dual_sub_nc_u32 v9, v5, v9
	v_lshrrev_b32_e32 v5, s7, v7
	s_wait_kmcnt 0x0
	s_delay_alu instid0(VALU_DEP_2) | instskip(NEXT) | instid1(VALU_DEP_2)
	v_mad_u32 v1, v9, s12, v1
	v_mul_lo_u32 v7, v5, s11
	v_mad_u32 v3, v9, s14, v3
	v_mad_u32 v4, v9, s13, v4
	s_delay_alu instid0(VALU_DEP_3) | instskip(NEXT) | instid1(VALU_DEP_1)
	v_sub_nc_u32_e32 v6, v6, v7
	v_mad_u32 v1, v6, s15, v1
	s_delay_alu instid0(VALU_DEP_4) | instskip(NEXT) | instid1(VALU_DEP_4)
	v_mad_u32 v3, v6, s9, v3
	v_mad_u32 v4, v6, s8, v4
	s_cbranch_scc1 .LBB49_66
; %bb.67:
	s_bitcmp1_b32 s3, 0
	s_cselect_b32 s3, -1, 0
	s_delay_alu instid0(SALU_CYCLE_1)
	s_and_b32 vcc_lo, exec_lo, s3
	s_cbranch_vccnz .LBB49_71
; %bb.68:
	s_clause 0x1
	s_load_b96 s[4:6], s[0:1], 0x1c
	s_load_b96 s[8:10], s[0:1], 0xdc
	s_wait_kmcnt 0x0
	v_mul_hi_u32 v6, s5, v5
	s_delay_alu instid0(VALU_DEP_1) | instskip(NEXT) | instid1(VALU_DEP_1)
	v_add_nc_u32_e32 v6, v5, v6
	v_lshrrev_b32_e32 v6, s6, v6
	s_delay_alu instid0(VALU_DEP_1) | instskip(NEXT) | instid1(VALU_DEP_1)
	v_mul_lo_u32 v6, v6, s4
	v_sub_nc_u32_e32 v5, v5, v6
	s_delay_alu instid0(VALU_DEP_1)
	v_mad_u32 v1, v5, s8, v1
	v_mad_u32 v4, v5, s9, v4
	v_mad_u32 v3, v5, s10, v3
	s_and_not1_b32 vcc_lo, exec_lo, s2
	s_cbranch_vccz .LBB49_72
	s_branch .LBB49_75
.LBB49_69:
	s_endpgm
.LBB49_70:
	s_mov_b32 s2, -1
                                        ; implicit-def: $vgpr3
                                        ; implicit-def: $vgpr4
                                        ; implicit-def: $vgpr1
.LBB49_71:
	s_delay_alu instid0(SALU_CYCLE_1)
	s_and_not1_b32 vcc_lo, exec_lo, s2
	s_cbranch_vccnz .LBB49_75
.LBB49_72:
	s_clause 0x1
	s_load_b96 s[0:2], s[16:17], 0x4
	s_load_b96 s[4:6], s[16:17], 0xc4
	s_cmp_lt_u32 s28, 2
	s_wait_kmcnt 0x0
	v_mul_hi_u32 v1, s1, v0
	s_delay_alu instid0(VALU_DEP_1) | instskip(NEXT) | instid1(VALU_DEP_1)
	v_add_nc_u32_e32 v1, v0, v1
	v_lshrrev_b32_e32 v5, s2, v1
	s_delay_alu instid0(VALU_DEP_1) | instskip(NEXT) | instid1(VALU_DEP_1)
	v_mul_lo_u32 v1, v5, s0
	v_sub_nc_u32_e32 v4, v0, v1
	s_delay_alu instid0(VALU_DEP_1)
	v_mul_lo_u32 v1, v4, s4
	v_mul_lo_u32 v3, v4, s6
	;; [unrolled: 1-line block ×3, first 2 shown]
	s_cbranch_scc1 .LBB49_75
; %bb.73:
	s_clause 0x1
	s_load_b96 s[0:2], s[16:17], 0x10
	s_load_b96 s[4:6], s[16:17], 0xd0
	s_wait_kmcnt 0x0
	v_mul_hi_u32 v6, s1, v5
	s_delay_alu instid0(VALU_DEP_1) | instskip(NEXT) | instid1(VALU_DEP_1)
	v_add_nc_u32_e32 v6, v5, v6
	v_lshrrev_b32_e32 v6, s2, v6
	s_delay_alu instid0(VALU_DEP_1) | instskip(NEXT) | instid1(VALU_DEP_1)
	v_mul_lo_u32 v6, v6, s0
	v_sub_nc_u32_e32 v5, v5, v6
	s_delay_alu instid0(VALU_DEP_1)
	v_mad_u32 v1, v5, s4, v1
	v_mad_u32 v4, v5, s5, v4
	;; [unrolled: 1-line block ×3, first 2 shown]
	s_branch .LBB49_75
.LBB49_74:
	v_dual_mov_b32 v3, 0 :: v_dual_mov_b32 v4, 0
	v_mov_b32_e32 v1, 0
	s_and_not1_b32 vcc_lo, exec_lo, s2
	s_cbranch_vccz .LBB49_72
.LBB49_75:
	v_cmp_ne_u32_e32 vcc_lo, 1, v8
	v_add_nc_u32_e32 v9, 0x80, v0
	s_cbranch_vccnz .LBB49_81
; %bb.76:
	s_cmp_lg_u32 s28, 0
	s_mov_b32 s2, 0
	s_cbranch_scc0 .LBB49_85
; %bb.77:
	s_min_u32 s3, s29, 15
	v_dual_mov_b32 v5, 0 :: v_dual_mov_b32 v10, v9
	v_dual_mov_b32 v7, 0 :: v_dual_mov_b32 v6, 0
	s_add_co_i32 s4, s3, 1
	s_mov_b64 s[0:1], 0xffffffffffffffe8
	s_and_b32 s4, s4, 30
	s_add_nc_u64 s[0:1], s[16:17], s[0:1]
.LBB49_78:                              ; =>This Inner Loop Header: Depth=1
	s_clause 0x1
	s_load_b128 s[8:11], s[0:1], 0x1c
	s_load_b64 s[6:7], s[0:1], 0x2c
	s_add_co_i32 s4, s4, -2
	s_delay_alu instid0(SALU_CYCLE_1) | instskip(SKIP_2) | instid1(VALU_DEP_1)
	s_cmp_lg_u32 s4, 0
	s_wait_kmcnt 0x0
	v_mul_hi_u32 v11, s9, v10
	v_add_nc_u32_e32 v11, v10, v11
	s_delay_alu instid0(VALU_DEP_1) | instskip(NEXT) | instid1(VALU_DEP_1)
	v_lshrrev_b32_e32 v11, s10, v11
	v_mul_hi_u32 v12, s6, v11
	v_mul_lo_u32 v13, v11, s8
	s_clause 0x1
	s_load_b128 s[12:15], s[0:1], 0xdc
	s_load_b64 s[8:9], s[0:1], 0xec
	s_wait_xcnt 0x0
	s_add_nc_u64 s[0:1], s[0:1], 24
	s_delay_alu instid0(VALU_DEP_1) | instskip(NEXT) | instid1(VALU_DEP_1)
	v_dual_add_nc_u32 v12, v11, v12 :: v_dual_sub_nc_u32 v13, v10, v13
	v_lshrrev_b32_e32 v10, s7, v12
	s_wait_kmcnt 0x0
	s_delay_alu instid0(VALU_DEP_2) | instskip(NEXT) | instid1(VALU_DEP_2)
	v_mad_u32 v5, v13, s12, v5
	v_mul_lo_u32 v12, v10, s11
	v_mad_u32 v6, v13, s14, v6
	v_mad_u32 v7, v13, s13, v7
	s_delay_alu instid0(VALU_DEP_3) | instskip(NEXT) | instid1(VALU_DEP_1)
	v_sub_nc_u32_e32 v11, v11, v12
	v_mad_u32 v5, v11, s15, v5
	s_delay_alu instid0(VALU_DEP_4) | instskip(NEXT) | instid1(VALU_DEP_4)
	v_mad_u32 v6, v11, s9, v6
	v_mad_u32 v7, v11, s8, v7
	s_cbranch_scc1 .LBB49_78
; %bb.79:
	s_bitcmp1_b32 s3, 0
	s_cselect_b32 s3, -1, 0
	s_delay_alu instid0(SALU_CYCLE_1)
	s_and_b32 vcc_lo, exec_lo, s3
	s_cbranch_vccnz .LBB49_82
; %bb.80:
	s_clause 0x1
	s_load_b96 s[4:6], s[0:1], 0x1c
	s_load_b96 s[8:10], s[0:1], 0xdc
	s_wait_kmcnt 0x0
	v_mul_hi_u32 v11, s5, v10
	s_delay_alu instid0(VALU_DEP_1) | instskip(NEXT) | instid1(VALU_DEP_1)
	v_add_nc_u32_e32 v11, v10, v11
	v_lshrrev_b32_e32 v11, s6, v11
	s_delay_alu instid0(VALU_DEP_1) | instskip(NEXT) | instid1(VALU_DEP_1)
	v_mul_lo_u32 v11, v11, s4
	v_sub_nc_u32_e32 v10, v10, v11
	s_delay_alu instid0(VALU_DEP_1)
	v_mad_u32 v5, v10, s8, v5
	v_mad_u32 v7, v10, s9, v7
	;; [unrolled: 1-line block ×3, first 2 shown]
	s_and_not1_b32 vcc_lo, exec_lo, s2
	s_cbranch_vccz .LBB49_83
	s_branch .LBB49_86
.LBB49_81:
	s_mov_b32 s2, -1
                                        ; implicit-def: $vgpr6
                                        ; implicit-def: $vgpr7
                                        ; implicit-def: $vgpr5
.LBB49_82:
	s_delay_alu instid0(SALU_CYCLE_1)
	s_and_not1_b32 vcc_lo, exec_lo, s2
	s_cbranch_vccnz .LBB49_86
.LBB49_83:
	s_clause 0x1
	s_load_b96 s[0:2], s[16:17], 0x4
	s_load_b96 s[4:6], s[16:17], 0xc4
	s_cmp_lt_u32 s28, 2
	s_wait_kmcnt 0x0
	v_mul_hi_u32 v5, s1, v9
	s_delay_alu instid0(VALU_DEP_1) | instskip(NEXT) | instid1(VALU_DEP_1)
	v_add_nc_u32_e32 v5, v9, v5
	v_lshrrev_b32_e32 v10, s2, v5
	s_delay_alu instid0(VALU_DEP_1) | instskip(NEXT) | instid1(VALU_DEP_1)
	v_mul_lo_u32 v5, v10, s0
	v_sub_nc_u32_e32 v7, v9, v5
	s_delay_alu instid0(VALU_DEP_1)
	v_mul_lo_u32 v5, v7, s4
	v_mul_lo_u32 v6, v7, s6
	;; [unrolled: 1-line block ×3, first 2 shown]
	s_cbranch_scc1 .LBB49_86
; %bb.84:
	s_clause 0x1
	s_load_b96 s[0:2], s[16:17], 0x10
	s_load_b96 s[4:6], s[16:17], 0xd0
	s_wait_kmcnt 0x0
	v_mul_hi_u32 v9, s1, v10
	s_delay_alu instid0(VALU_DEP_1) | instskip(NEXT) | instid1(VALU_DEP_1)
	v_add_nc_u32_e32 v9, v10, v9
	v_lshrrev_b32_e32 v9, s2, v9
	s_delay_alu instid0(VALU_DEP_1) | instskip(NEXT) | instid1(VALU_DEP_1)
	v_mul_lo_u32 v9, v9, s0
	v_sub_nc_u32_e32 v9, v10, v9
	s_delay_alu instid0(VALU_DEP_1)
	v_mad_u32 v5, v9, s4, v5
	v_mad_u32 v7, v9, s5, v7
	;; [unrolled: 1-line block ×3, first 2 shown]
	s_branch .LBB49_86
.LBB49_85:
	v_dual_mov_b32 v6, 0 :: v_dual_mov_b32 v7, 0
	v_mov_b32_e32 v5, 0
	s_and_not1_b32 vcc_lo, exec_lo, s2
	s_cbranch_vccz .LBB49_83
.LBB49_86:
	v_cmp_ne_u32_e32 vcc_lo, 1, v8
	v_add_nc_u32_e32 v11, 0x100, v0
	s_cbranch_vccnz .LBB49_92
; %bb.87:
	s_cmp_lg_u32 s28, 0
	s_mov_b32 s2, 0
	s_cbranch_scc0 .LBB49_96
; %bb.88:
	s_min_u32 s3, s29, 15
	v_dual_mov_b32 v0, 0 :: v_dual_mov_b32 v12, v11
	v_dual_mov_b32 v10, 0 :: v_dual_mov_b32 v9, 0
	s_add_co_i32 s4, s3, 1
	s_mov_b64 s[0:1], 0xffffffffffffffe8
	s_and_b32 s4, s4, 30
	s_add_nc_u64 s[0:1], s[16:17], s[0:1]
.LBB49_89:                              ; =>This Inner Loop Header: Depth=1
	s_clause 0x1
	s_load_b128 s[8:11], s[0:1], 0x1c
	s_load_b64 s[6:7], s[0:1], 0x2c
	s_add_co_i32 s4, s4, -2
	s_delay_alu instid0(SALU_CYCLE_1) | instskip(SKIP_2) | instid1(VALU_DEP_1)
	s_cmp_lg_u32 s4, 0
	s_wait_kmcnt 0x0
	v_mul_hi_u32 v13, s9, v12
	v_add_nc_u32_e32 v13, v12, v13
	s_delay_alu instid0(VALU_DEP_1) | instskip(NEXT) | instid1(VALU_DEP_1)
	v_lshrrev_b32_e32 v13, s10, v13
	v_mul_hi_u32 v14, s6, v13
	v_mul_lo_u32 v15, v13, s8
	s_clause 0x1
	s_load_b128 s[12:15], s[0:1], 0xdc
	s_load_b64 s[8:9], s[0:1], 0xec
	s_wait_xcnt 0x0
	s_add_nc_u64 s[0:1], s[0:1], 24
	s_delay_alu instid0(VALU_DEP_1) | instskip(NEXT) | instid1(VALU_DEP_1)
	v_dual_add_nc_u32 v14, v13, v14 :: v_dual_sub_nc_u32 v15, v12, v15
	v_lshrrev_b32_e32 v12, s7, v14
	s_wait_kmcnt 0x0
	s_delay_alu instid0(VALU_DEP_2) | instskip(NEXT) | instid1(VALU_DEP_2)
	v_mad_u32 v0, v15, s12, v0
	v_mul_lo_u32 v14, v12, s11
	v_mad_u32 v9, v15, s14, v9
	v_mad_u32 v10, v15, s13, v10
	s_delay_alu instid0(VALU_DEP_3) | instskip(NEXT) | instid1(VALU_DEP_1)
	v_sub_nc_u32_e32 v13, v13, v14
	v_mad_u32 v0, v13, s15, v0
	s_delay_alu instid0(VALU_DEP_4) | instskip(NEXT) | instid1(VALU_DEP_4)
	v_mad_u32 v9, v13, s9, v9
	v_mad_u32 v10, v13, s8, v10
	s_cbranch_scc1 .LBB49_89
; %bb.90:
	s_bitcmp1_b32 s3, 0
	s_cselect_b32 s3, -1, 0
	s_delay_alu instid0(SALU_CYCLE_1)
	s_and_b32 vcc_lo, exec_lo, s3
	s_cbranch_vccnz .LBB49_93
; %bb.91:
	s_clause 0x1
	s_load_b96 s[4:6], s[0:1], 0x1c
	s_load_b96 s[8:10], s[0:1], 0xdc
	s_wait_kmcnt 0x0
	v_mul_hi_u32 v13, s5, v12
	s_delay_alu instid0(VALU_DEP_1) | instskip(NEXT) | instid1(VALU_DEP_1)
	v_add_nc_u32_e32 v13, v12, v13
	v_lshrrev_b32_e32 v13, s6, v13
	s_delay_alu instid0(VALU_DEP_1) | instskip(NEXT) | instid1(VALU_DEP_1)
	v_mul_lo_u32 v13, v13, s4
	v_sub_nc_u32_e32 v12, v12, v13
	s_delay_alu instid0(VALU_DEP_1)
	v_mad_u32 v0, v12, s8, v0
	v_mad_u32 v10, v12, s9, v10
	;; [unrolled: 1-line block ×3, first 2 shown]
	s_and_not1_b32 vcc_lo, exec_lo, s2
	s_cbranch_vccz .LBB49_94
	s_branch .LBB49_97
.LBB49_92:
	s_mov_b32 s2, -1
                                        ; implicit-def: $vgpr9
                                        ; implicit-def: $vgpr10
                                        ; implicit-def: $vgpr0
.LBB49_93:
	s_delay_alu instid0(SALU_CYCLE_1)
	s_and_not1_b32 vcc_lo, exec_lo, s2
	s_cbranch_vccnz .LBB49_97
.LBB49_94:
	s_clause 0x1
	s_load_b96 s[0:2], s[16:17], 0x4
	s_load_b96 s[4:6], s[16:17], 0xc4
	s_cmp_lt_u32 s28, 2
	s_wait_kmcnt 0x0
	v_mul_hi_u32 v0, s1, v11
	s_delay_alu instid0(VALU_DEP_1) | instskip(NEXT) | instid1(VALU_DEP_1)
	v_add_nc_u32_e32 v0, v11, v0
	v_lshrrev_b32_e32 v12, s2, v0
	s_delay_alu instid0(VALU_DEP_1) | instskip(NEXT) | instid1(VALU_DEP_1)
	v_mul_lo_u32 v0, v12, s0
	v_sub_nc_u32_e32 v10, v11, v0
	s_delay_alu instid0(VALU_DEP_1)
	v_mul_lo_u32 v0, v10, s4
	v_mul_lo_u32 v9, v10, s6
	;; [unrolled: 1-line block ×3, first 2 shown]
	s_cbranch_scc1 .LBB49_97
; %bb.95:
	s_clause 0x1
	s_load_b96 s[0:2], s[16:17], 0x10
	s_load_b96 s[4:6], s[16:17], 0xd0
	s_wait_kmcnt 0x0
	v_mul_hi_u32 v11, s1, v12
	s_delay_alu instid0(VALU_DEP_1) | instskip(NEXT) | instid1(VALU_DEP_1)
	v_add_nc_u32_e32 v11, v12, v11
	v_lshrrev_b32_e32 v11, s2, v11
	s_delay_alu instid0(VALU_DEP_1) | instskip(NEXT) | instid1(VALU_DEP_1)
	v_mul_lo_u32 v11, v11, s0
	v_sub_nc_u32_e32 v11, v12, v11
	s_delay_alu instid0(VALU_DEP_1)
	v_mad_u32 v0, v11, s4, v0
	v_mad_u32 v10, v11, s5, v10
	;; [unrolled: 1-line block ×3, first 2 shown]
	s_branch .LBB49_97
.LBB49_96:
	v_dual_mov_b32 v9, 0 :: v_dual_mov_b32 v10, 0
	v_mov_b32_e32 v0, 0
	s_and_not1_b32 vcc_lo, exec_lo, s2
	s_cbranch_vccz .LBB49_94
.LBB49_97:
	v_cmp_ne_u32_e32 vcc_lo, 1, v8
	s_cbranch_vccnz .LBB49_103
; %bb.98:
	s_cmp_lg_u32 s28, 0
	s_mov_b32 s2, 0
	s_cbranch_scc0 .LBB49_107
; %bb.99:
	s_min_u32 s3, s29, 15
	v_dual_mov_b32 v8, 0 :: v_dual_mov_b32 v13, v2
	v_dual_mov_b32 v12, 0 :: v_dual_mov_b32 v11, 0
	s_add_co_i32 s4, s3, 1
	s_mov_b64 s[0:1], 0xffffffffffffffe8
	s_and_b32 s4, s4, 30
	s_add_nc_u64 s[0:1], s[16:17], s[0:1]
.LBB49_100:                             ; =>This Inner Loop Header: Depth=1
	s_clause 0x1
	s_load_b128 s[8:11], s[0:1], 0x1c
	s_load_b64 s[6:7], s[0:1], 0x2c
	s_add_co_i32 s4, s4, -2
	s_delay_alu instid0(SALU_CYCLE_1) | instskip(SKIP_2) | instid1(VALU_DEP_1)
	s_cmp_lg_u32 s4, 0
	s_wait_kmcnt 0x0
	v_mul_hi_u32 v14, s9, v13
	v_add_nc_u32_e32 v14, v13, v14
	s_delay_alu instid0(VALU_DEP_1) | instskip(NEXT) | instid1(VALU_DEP_1)
	v_lshrrev_b32_e32 v14, s10, v14
	v_mul_hi_u32 v15, s6, v14
	v_mul_lo_u32 v16, v14, s8
	s_clause 0x1
	s_load_b128 s[12:15], s[0:1], 0xdc
	s_load_b64 s[8:9], s[0:1], 0xec
	s_wait_xcnt 0x0
	s_add_nc_u64 s[0:1], s[0:1], 24
	s_delay_alu instid0(VALU_DEP_1) | instskip(NEXT) | instid1(VALU_DEP_1)
	v_dual_add_nc_u32 v15, v14, v15 :: v_dual_sub_nc_u32 v16, v13, v16
	v_lshrrev_b32_e32 v13, s7, v15
	s_wait_kmcnt 0x0
	s_delay_alu instid0(VALU_DEP_2) | instskip(NEXT) | instid1(VALU_DEP_2)
	v_mad_u32 v8, v16, s12, v8
	v_mul_lo_u32 v15, v13, s11
	v_mad_u32 v11, v16, s14, v11
	v_mad_u32 v12, v16, s13, v12
	s_delay_alu instid0(VALU_DEP_3) | instskip(NEXT) | instid1(VALU_DEP_1)
	v_sub_nc_u32_e32 v14, v14, v15
	v_mad_u32 v8, v14, s15, v8
	s_delay_alu instid0(VALU_DEP_4) | instskip(NEXT) | instid1(VALU_DEP_4)
	v_mad_u32 v11, v14, s9, v11
	v_mad_u32 v12, v14, s8, v12
	s_cbranch_scc1 .LBB49_100
; %bb.101:
	s_bitcmp1_b32 s3, 0
	s_cselect_b32 s3, -1, 0
	s_delay_alu instid0(SALU_CYCLE_1)
	s_and_b32 vcc_lo, exec_lo, s3
	s_cbranch_vccnz .LBB49_104
; %bb.102:
	s_clause 0x1
	s_load_b96 s[4:6], s[0:1], 0x1c
	s_load_b96 s[8:10], s[0:1], 0xdc
	s_wait_kmcnt 0x0
	v_mul_hi_u32 v14, s5, v13
	s_delay_alu instid0(VALU_DEP_1) | instskip(NEXT) | instid1(VALU_DEP_1)
	v_add_nc_u32_e32 v14, v13, v14
	v_lshrrev_b32_e32 v14, s6, v14
	s_delay_alu instid0(VALU_DEP_1) | instskip(NEXT) | instid1(VALU_DEP_1)
	v_mul_lo_u32 v14, v14, s4
	v_sub_nc_u32_e32 v13, v13, v14
	s_delay_alu instid0(VALU_DEP_1)
	v_mad_u32 v8, v13, s8, v8
	v_mad_u32 v12, v13, s9, v12
	;; [unrolled: 1-line block ×3, first 2 shown]
	s_and_not1_b32 vcc_lo, exec_lo, s2
	s_cbranch_vccz .LBB49_105
	s_branch .LBB49_108
.LBB49_103:
	s_mov_b32 s2, -1
                                        ; implicit-def: $vgpr11
                                        ; implicit-def: $vgpr12
                                        ; implicit-def: $vgpr8
.LBB49_104:
	s_delay_alu instid0(SALU_CYCLE_1)
	s_and_not1_b32 vcc_lo, exec_lo, s2
	s_cbranch_vccnz .LBB49_108
.LBB49_105:
	s_clause 0x1
	s_load_b96 s[0:2], s[16:17], 0x4
	s_load_b96 s[4:6], s[16:17], 0xc4
	s_cmp_lt_u32 s28, 2
	s_wait_kmcnt 0x0
	v_mul_hi_u32 v8, s1, v2
	s_delay_alu instid0(VALU_DEP_1) | instskip(NEXT) | instid1(VALU_DEP_1)
	v_add_nc_u32_e32 v8, v2, v8
	v_lshrrev_b32_e32 v13, s2, v8
	s_delay_alu instid0(VALU_DEP_1) | instskip(NEXT) | instid1(VALU_DEP_1)
	v_mul_lo_u32 v8, v13, s0
	v_sub_nc_u32_e32 v2, v2, v8
	s_delay_alu instid0(VALU_DEP_1)
	v_mul_lo_u32 v8, v2, s4
	v_mul_lo_u32 v11, v2, s6
	;; [unrolled: 1-line block ×3, first 2 shown]
	s_cbranch_scc1 .LBB49_108
; %bb.106:
	s_clause 0x1
	s_load_b96 s[0:2], s[16:17], 0x10
	s_load_b96 s[4:6], s[16:17], 0xd0
	s_wait_kmcnt 0x0
	v_mul_hi_u32 v2, s1, v13
	s_delay_alu instid0(VALU_DEP_1) | instskip(NEXT) | instid1(VALU_DEP_1)
	v_add_nc_u32_e32 v2, v13, v2
	v_lshrrev_b32_e32 v2, s2, v2
	s_delay_alu instid0(VALU_DEP_1) | instskip(NEXT) | instid1(VALU_DEP_1)
	v_mul_lo_u32 v2, v2, s0
	v_sub_nc_u32_e32 v2, v13, v2
	s_delay_alu instid0(VALU_DEP_1)
	v_mad_u32 v8, v2, s4, v8
	v_mad_u32 v12, v2, s5, v12
	;; [unrolled: 1-line block ×3, first 2 shown]
	s_branch .LBB49_108
.LBB49_107:
	v_dual_mov_b32 v11, 0 :: v_dual_mov_b32 v12, 0
	v_mov_b32_e32 v8, 0
	s_and_not1_b32 vcc_lo, exec_lo, s2
	s_cbranch_vccz .LBB49_105
.LBB49_108:
	s_load_b256 s[0:7], s[16:17], 0x188
	s_mov_b32 s8, exec_lo
	s_wait_kmcnt 0x0
	global_load_b32 v13, v3, s[4:5]
	global_load_b32 v2, v4, s[2:3]
	s_wait_loadcnt 0x1
	s_wait_xcnt 0x1
	v_mul_f32_e32 v3, s6, v13
	s_wait_xcnt 0x0
	s_delay_alu instid0(VALU_DEP_1)
	v_cmpx_nlt_f32_e32 s7, v3
	s_cbranch_execz .LBB49_110
; %bb.109:
	v_mul_f32_e32 v4, 0x3fb8aa3b, v3
	v_cmp_ngt_f32_e32 vcc_lo, 0xc2ce8ed0, v3
	s_delay_alu instid0(VALU_DEP_2) | instskip(SKIP_1) | instid1(VALU_DEP_2)
	v_rndne_f32_e32 v13, v4
	v_fma_f32 v14, 0x3fb8aa3b, v3, -v4
	v_sub_f32_e32 v4, v4, v13
	s_delay_alu instid0(VALU_DEP_2) | instskip(SKIP_1) | instid1(VALU_DEP_2)
	v_fmamk_f32 v14, v3, 0x32a5705f, v14
	v_cvt_i32_f32_e32 v13, v13
	v_add_f32_e32 v4, v4, v14
	s_delay_alu instid0(VALU_DEP_1) | instskip(SKIP_1) | instid1(TRANS32_DEP_1)
	v_exp_f32_e32 v4, v4
	v_nop
	v_ldexp_f32 v4, v4, v13
	s_delay_alu instid0(VALU_DEP_1) | instskip(SKIP_1) | instid1(VALU_DEP_2)
	v_cndmask_b32_e32 v4, 0, v4, vcc_lo
	v_cmp_nlt_f32_e32 vcc_lo, 0x42b17218, v3
	v_cndmask_b32_e32 v3, 0x7f800000, v4, vcc_lo
	s_wait_loadcnt 0x0
	s_delay_alu instid0(VALU_DEP_1) | instskip(NEXT) | instid1(VALU_DEP_1)
	v_dual_mul_f32 v2, v2, v3 :: v_dual_add_f32 v3, 1.0, v3
	v_div_scale_f32 v4, null, v3, v3, v2
	s_delay_alu instid0(VALU_DEP_1) | instskip(SKIP_1) | instid1(TRANS32_DEP_1)
	v_rcp_f32_e32 v13, v4
	v_nop
	v_fma_f32 v14, -v4, v13, 1.0
	s_delay_alu instid0(VALU_DEP_1) | instskip(SKIP_1) | instid1(VALU_DEP_1)
	v_fmac_f32_e32 v13, v14, v13
	v_div_scale_f32 v14, vcc_lo, v2, v3, v2
	v_mul_f32_e32 v15, v14, v13
	s_delay_alu instid0(VALU_DEP_1) | instskip(NEXT) | instid1(VALU_DEP_1)
	v_fma_f32 v16, -v4, v15, v14
	v_fmac_f32_e32 v15, v16, v13
	s_delay_alu instid0(VALU_DEP_1) | instskip(NEXT) | instid1(VALU_DEP_1)
	v_fma_f32 v4, -v4, v15, v14
	v_div_fmas_f32 v4, v4, v13, v15
	s_delay_alu instid0(VALU_DEP_1)
	v_div_fixup_f32 v2, v4, v3, v2
.LBB49_110:
	s_or_b32 exec_lo, exec_lo, s8
	global_load_b32 v4, v6, s[4:5]
	global_load_b32 v3, v7, s[2:3]
	s_mov_b32 s8, exec_lo
	s_wait_loadcnt 0x1
	v_mul_f32_e32 v4, s6, v4
	s_wait_xcnt 0x0
	s_delay_alu instid0(VALU_DEP_1)
	v_cmpx_nlt_f32_e32 s7, v4
	s_cbranch_execz .LBB49_112
; %bb.111:
	v_mul_f32_e32 v6, 0x3fb8aa3b, v4
	v_cmp_ngt_f32_e32 vcc_lo, 0xc2ce8ed0, v4
	s_delay_alu instid0(VALU_DEP_2) | instskip(SKIP_1) | instid1(VALU_DEP_1)
	v_rndne_f32_e32 v7, v6
	v_fma_f32 v13, 0x3fb8aa3b, v4, -v6
	v_dual_sub_f32 v6, v6, v7 :: v_dual_fmamk_f32 v13, v4, 0x32a5705f, v13
	v_cvt_i32_f32_e32 v7, v7
	s_delay_alu instid0(VALU_DEP_2) | instskip(NEXT) | instid1(VALU_DEP_1)
	v_add_f32_e32 v6, v6, v13
	v_exp_f32_e32 v6, v6
	v_nop
	s_delay_alu instid0(TRANS32_DEP_1) | instskip(NEXT) | instid1(VALU_DEP_1)
	v_ldexp_f32 v6, v6, v7
	v_cndmask_b32_e32 v6, 0, v6, vcc_lo
	v_cmp_nlt_f32_e32 vcc_lo, 0x42b17218, v4
	s_delay_alu instid0(VALU_DEP_2) | instskip(SKIP_1) | instid1(VALU_DEP_1)
	v_cndmask_b32_e32 v4, 0x7f800000, v6, vcc_lo
	s_wait_loadcnt 0x0
	v_dual_mul_f32 v3, v3, v4 :: v_dual_add_f32 v4, 1.0, v4
	s_delay_alu instid0(VALU_DEP_1) | instskip(NEXT) | instid1(VALU_DEP_1)
	v_div_scale_f32 v6, null, v4, v4, v3
	v_rcp_f32_e32 v7, v6
	v_nop
	s_delay_alu instid0(TRANS32_DEP_1) | instskip(NEXT) | instid1(VALU_DEP_1)
	v_fma_f32 v13, -v6, v7, 1.0
	v_fmac_f32_e32 v7, v13, v7
	v_div_scale_f32 v13, vcc_lo, v3, v4, v3
	s_delay_alu instid0(VALU_DEP_1) | instskip(NEXT) | instid1(VALU_DEP_1)
	v_mul_f32_e32 v14, v13, v7
	v_fma_f32 v15, -v6, v14, v13
	s_delay_alu instid0(VALU_DEP_1) | instskip(NEXT) | instid1(VALU_DEP_1)
	v_fmac_f32_e32 v14, v15, v7
	v_fma_f32 v6, -v6, v14, v13
	s_delay_alu instid0(VALU_DEP_1) | instskip(NEXT) | instid1(VALU_DEP_1)
	v_div_fmas_f32 v6, v6, v7, v14
	v_div_fixup_f32 v3, v6, v4, v3
.LBB49_112:
	s_or_b32 exec_lo, exec_lo, s8
	global_load_b32 v6, v9, s[4:5]
	global_load_b32 v4, v10, s[2:3]
	s_mov_b32 s8, exec_lo
	s_wait_loadcnt 0x1
	v_mul_f32_e32 v6, s6, v6
	s_wait_xcnt 0x0
	s_delay_alu instid0(VALU_DEP_1)
	v_cmpx_nlt_f32_e32 s7, v6
	s_cbranch_execz .LBB49_114
; %bb.113:
	v_mul_f32_e32 v7, 0x3fb8aa3b, v6
	v_cmp_ngt_f32_e32 vcc_lo, 0xc2ce8ed0, v6
	s_delay_alu instid0(VALU_DEP_2) | instskip(SKIP_1) | instid1(VALU_DEP_1)
	v_rndne_f32_e32 v9, v7
	v_fma_f32 v10, 0x3fb8aa3b, v6, -v7
	v_dual_sub_f32 v7, v7, v9 :: v_dual_fmamk_f32 v10, v6, 0x32a5705f, v10
	v_cvt_i32_f32_e32 v9, v9
	s_delay_alu instid0(VALU_DEP_2) | instskip(NEXT) | instid1(VALU_DEP_1)
	v_add_f32_e32 v7, v7, v10
	v_exp_f32_e32 v7, v7
	v_nop
	s_delay_alu instid0(TRANS32_DEP_1) | instskip(NEXT) | instid1(VALU_DEP_1)
	v_ldexp_f32 v7, v7, v9
	v_cndmask_b32_e32 v7, 0, v7, vcc_lo
	v_cmp_nlt_f32_e32 vcc_lo, 0x42b17218, v6
	s_delay_alu instid0(VALU_DEP_2) | instskip(SKIP_1) | instid1(VALU_DEP_1)
	v_cndmask_b32_e32 v6, 0x7f800000, v7, vcc_lo
	s_wait_loadcnt 0x0
	v_dual_mul_f32 v4, v4, v6 :: v_dual_add_f32 v6, 1.0, v6
	s_delay_alu instid0(VALU_DEP_1) | instskip(NEXT) | instid1(VALU_DEP_1)
	v_div_scale_f32 v7, null, v6, v6, v4
	v_rcp_f32_e32 v9, v7
	v_nop
	s_delay_alu instid0(TRANS32_DEP_1) | instskip(NEXT) | instid1(VALU_DEP_1)
	v_fma_f32 v10, -v7, v9, 1.0
	v_fmac_f32_e32 v9, v10, v9
	v_div_scale_f32 v10, vcc_lo, v4, v6, v4
	s_delay_alu instid0(VALU_DEP_1) | instskip(NEXT) | instid1(VALU_DEP_1)
	v_mul_f32_e32 v13, v10, v9
	v_fma_f32 v14, -v7, v13, v10
	s_delay_alu instid0(VALU_DEP_1) | instskip(NEXT) | instid1(VALU_DEP_1)
	v_fmac_f32_e32 v13, v14, v9
	v_fma_f32 v7, -v7, v13, v10
	s_delay_alu instid0(VALU_DEP_1) | instskip(NEXT) | instid1(VALU_DEP_1)
	v_div_fmas_f32 v7, v7, v9, v13
	v_div_fixup_f32 v4, v7, v6, v4
.LBB49_114:
	s_or_b32 exec_lo, exec_lo, s8
	global_load_b32 v7, v11, s[4:5]
	global_load_b32 v6, v12, s[2:3]
	s_wait_xcnt 0x0
	s_mov_b32 s2, exec_lo
	s_wait_loadcnt 0x1
	v_mul_f32_e32 v7, s6, v7
	s_delay_alu instid0(VALU_DEP_1)
	v_cmpx_nlt_f32_e32 s7, v7
	s_cbranch_execz .LBB49_116
; %bb.115:
	v_mul_f32_e32 v9, 0x3fb8aa3b, v7
	v_cmp_ngt_f32_e32 vcc_lo, 0xc2ce8ed0, v7
	s_delay_alu instid0(VALU_DEP_2) | instskip(SKIP_1) | instid1(VALU_DEP_2)
	v_rndne_f32_e32 v10, v9
	v_fma_f32 v11, 0x3fb8aa3b, v7, -v9
	v_sub_f32_e32 v9, v9, v10
	s_delay_alu instid0(VALU_DEP_2) | instskip(SKIP_1) | instid1(VALU_DEP_2)
	v_fmamk_f32 v11, v7, 0x32a5705f, v11
	v_cvt_i32_f32_e32 v10, v10
	v_add_f32_e32 v9, v9, v11
	s_delay_alu instid0(VALU_DEP_1) | instskip(SKIP_1) | instid1(TRANS32_DEP_1)
	v_exp_f32_e32 v9, v9
	v_nop
	v_ldexp_f32 v9, v9, v10
	s_delay_alu instid0(VALU_DEP_1) | instskip(SKIP_1) | instid1(VALU_DEP_2)
	v_cndmask_b32_e32 v9, 0, v9, vcc_lo
	v_cmp_nlt_f32_e32 vcc_lo, 0x42b17218, v7
	v_cndmask_b32_e32 v7, 0x7f800000, v9, vcc_lo
	s_wait_loadcnt 0x0
	s_delay_alu instid0(VALU_DEP_1) | instskip(NEXT) | instid1(VALU_DEP_1)
	v_dual_mul_f32 v6, v6, v7 :: v_dual_add_f32 v7, 1.0, v7
	v_div_scale_f32 v9, null, v7, v7, v6
	s_delay_alu instid0(VALU_DEP_1) | instskip(SKIP_1) | instid1(TRANS32_DEP_1)
	v_rcp_f32_e32 v10, v9
	v_nop
	v_fma_f32 v11, -v9, v10, 1.0
	s_delay_alu instid0(VALU_DEP_1) | instskip(SKIP_1) | instid1(VALU_DEP_1)
	v_fmac_f32_e32 v10, v11, v10
	v_div_scale_f32 v11, vcc_lo, v6, v7, v6
	v_mul_f32_e32 v12, v11, v10
	s_delay_alu instid0(VALU_DEP_1) | instskip(NEXT) | instid1(VALU_DEP_1)
	v_fma_f32 v13, -v9, v12, v11
	v_fmac_f32_e32 v12, v13, v10
	s_delay_alu instid0(VALU_DEP_1) | instskip(NEXT) | instid1(VALU_DEP_1)
	v_fma_f32 v9, -v9, v12, v11
	v_div_fmas_f32 v9, v9, v10, v12
	s_delay_alu instid0(VALU_DEP_1)
	v_div_fixup_f32 v6, v9, v7, v6
.LBB49_116:
	s_or_b32 exec_lo, exec_lo, s2
	s_clause 0x2
	global_store_b32 v1, v2, s[0:1]
	global_store_b32 v5, v3, s[0:1]
	;; [unrolled: 1-line block ×3, first 2 shown]
	s_wait_loadcnt 0x0
	global_store_b32 v8, v6, s[0:1]
	s_endpgm
	.section	.rodata,"a",@progbits
	.p2align	6, 0x0
	.amdhsa_kernel _ZN2at6native32elementwise_kernel_manual_unrollILi128ELi4EZNS0_22gpu_kernel_impl_nocastIZZZNS0_12_GLOBAL__N_124softplus_backward_kernelERNS_18TensorIteratorBaseERKN3c106ScalarES9_ENKUlvE_clEvENKUlvE0_clEvEUlffE_EEvS5_RKT_EUlibE_EEviT1_
		.amdhsa_group_segment_fixed_size 0
		.amdhsa_private_segment_fixed_size 0
		.amdhsa_kernarg_size 432
		.amdhsa_user_sgpr_count 2
		.amdhsa_user_sgpr_dispatch_ptr 0
		.amdhsa_user_sgpr_queue_ptr 0
		.amdhsa_user_sgpr_kernarg_segment_ptr 1
		.amdhsa_user_sgpr_dispatch_id 0
		.amdhsa_user_sgpr_kernarg_preload_length 0
		.amdhsa_user_sgpr_kernarg_preload_offset 0
		.amdhsa_user_sgpr_private_segment_size 0
		.amdhsa_wavefront_size32 1
		.amdhsa_uses_dynamic_stack 0
		.amdhsa_enable_private_segment 0
		.amdhsa_system_sgpr_workgroup_id_x 1
		.amdhsa_system_sgpr_workgroup_id_y 0
		.amdhsa_system_sgpr_workgroup_id_z 0
		.amdhsa_system_sgpr_workgroup_info 0
		.amdhsa_system_vgpr_workitem_id 0
		.amdhsa_next_free_vgpr 17
		.amdhsa_next_free_sgpr 48
		.amdhsa_named_barrier_count 0
		.amdhsa_reserve_vcc 1
		.amdhsa_float_round_mode_32 0
		.amdhsa_float_round_mode_16_64 0
		.amdhsa_float_denorm_mode_32 3
		.amdhsa_float_denorm_mode_16_64 3
		.amdhsa_fp16_overflow 0
		.amdhsa_memory_ordered 1
		.amdhsa_forward_progress 1
		.amdhsa_inst_pref_size 57
		.amdhsa_round_robin_scheduling 0
		.amdhsa_exception_fp_ieee_invalid_op 0
		.amdhsa_exception_fp_denorm_src 0
		.amdhsa_exception_fp_ieee_div_zero 0
		.amdhsa_exception_fp_ieee_overflow 0
		.amdhsa_exception_fp_ieee_underflow 0
		.amdhsa_exception_fp_ieee_inexact 0
		.amdhsa_exception_int_div_zero 0
	.end_amdhsa_kernel
	.section	.text._ZN2at6native32elementwise_kernel_manual_unrollILi128ELi4EZNS0_22gpu_kernel_impl_nocastIZZZNS0_12_GLOBAL__N_124softplus_backward_kernelERNS_18TensorIteratorBaseERKN3c106ScalarES9_ENKUlvE_clEvENKUlvE0_clEvEUlffE_EEvS5_RKT_EUlibE_EEviT1_,"axG",@progbits,_ZN2at6native32elementwise_kernel_manual_unrollILi128ELi4EZNS0_22gpu_kernel_impl_nocastIZZZNS0_12_GLOBAL__N_124softplus_backward_kernelERNS_18TensorIteratorBaseERKN3c106ScalarES9_ENKUlvE_clEvENKUlvE0_clEvEUlffE_EEvS5_RKT_EUlibE_EEviT1_,comdat
.Lfunc_end49:
	.size	_ZN2at6native32elementwise_kernel_manual_unrollILi128ELi4EZNS0_22gpu_kernel_impl_nocastIZZZNS0_12_GLOBAL__N_124softplus_backward_kernelERNS_18TensorIteratorBaseERKN3c106ScalarES9_ENKUlvE_clEvENKUlvE0_clEvEUlffE_EEvS5_RKT_EUlibE_EEviT1_, .Lfunc_end49-_ZN2at6native32elementwise_kernel_manual_unrollILi128ELi4EZNS0_22gpu_kernel_impl_nocastIZZZNS0_12_GLOBAL__N_124softplus_backward_kernelERNS_18TensorIteratorBaseERKN3c106ScalarES9_ENKUlvE_clEvENKUlvE0_clEvEUlffE_EEvS5_RKT_EUlibE_EEviT1_
                                        ; -- End function
	.set _ZN2at6native32elementwise_kernel_manual_unrollILi128ELi4EZNS0_22gpu_kernel_impl_nocastIZZZNS0_12_GLOBAL__N_124softplus_backward_kernelERNS_18TensorIteratorBaseERKN3c106ScalarES9_ENKUlvE_clEvENKUlvE0_clEvEUlffE_EEvS5_RKT_EUlibE_EEviT1_.num_vgpr, 17
	.set _ZN2at6native32elementwise_kernel_manual_unrollILi128ELi4EZNS0_22gpu_kernel_impl_nocastIZZZNS0_12_GLOBAL__N_124softplus_backward_kernelERNS_18TensorIteratorBaseERKN3c106ScalarES9_ENKUlvE_clEvENKUlvE0_clEvEUlffE_EEvS5_RKT_EUlibE_EEviT1_.num_agpr, 0
	.set _ZN2at6native32elementwise_kernel_manual_unrollILi128ELi4EZNS0_22gpu_kernel_impl_nocastIZZZNS0_12_GLOBAL__N_124softplus_backward_kernelERNS_18TensorIteratorBaseERKN3c106ScalarES9_ENKUlvE_clEvENKUlvE0_clEvEUlffE_EEvS5_RKT_EUlibE_EEviT1_.numbered_sgpr, 48
	.set _ZN2at6native32elementwise_kernel_manual_unrollILi128ELi4EZNS0_22gpu_kernel_impl_nocastIZZZNS0_12_GLOBAL__N_124softplus_backward_kernelERNS_18TensorIteratorBaseERKN3c106ScalarES9_ENKUlvE_clEvENKUlvE0_clEvEUlffE_EEvS5_RKT_EUlibE_EEviT1_.num_named_barrier, 0
	.set _ZN2at6native32elementwise_kernel_manual_unrollILi128ELi4EZNS0_22gpu_kernel_impl_nocastIZZZNS0_12_GLOBAL__N_124softplus_backward_kernelERNS_18TensorIteratorBaseERKN3c106ScalarES9_ENKUlvE_clEvENKUlvE0_clEvEUlffE_EEvS5_RKT_EUlibE_EEviT1_.private_seg_size, 0
	.set _ZN2at6native32elementwise_kernel_manual_unrollILi128ELi4EZNS0_22gpu_kernel_impl_nocastIZZZNS0_12_GLOBAL__N_124softplus_backward_kernelERNS_18TensorIteratorBaseERKN3c106ScalarES9_ENKUlvE_clEvENKUlvE0_clEvEUlffE_EEvS5_RKT_EUlibE_EEviT1_.uses_vcc, 1
	.set _ZN2at6native32elementwise_kernel_manual_unrollILi128ELi4EZNS0_22gpu_kernel_impl_nocastIZZZNS0_12_GLOBAL__N_124softplus_backward_kernelERNS_18TensorIteratorBaseERKN3c106ScalarES9_ENKUlvE_clEvENKUlvE0_clEvEUlffE_EEvS5_RKT_EUlibE_EEviT1_.uses_flat_scratch, 0
	.set _ZN2at6native32elementwise_kernel_manual_unrollILi128ELi4EZNS0_22gpu_kernel_impl_nocastIZZZNS0_12_GLOBAL__N_124softplus_backward_kernelERNS_18TensorIteratorBaseERKN3c106ScalarES9_ENKUlvE_clEvENKUlvE0_clEvEUlffE_EEvS5_RKT_EUlibE_EEviT1_.has_dyn_sized_stack, 0
	.set _ZN2at6native32elementwise_kernel_manual_unrollILi128ELi4EZNS0_22gpu_kernel_impl_nocastIZZZNS0_12_GLOBAL__N_124softplus_backward_kernelERNS_18TensorIteratorBaseERKN3c106ScalarES9_ENKUlvE_clEvENKUlvE0_clEvEUlffE_EEvS5_RKT_EUlibE_EEviT1_.has_recursion, 0
	.set _ZN2at6native32elementwise_kernel_manual_unrollILi128ELi4EZNS0_22gpu_kernel_impl_nocastIZZZNS0_12_GLOBAL__N_124softplus_backward_kernelERNS_18TensorIteratorBaseERKN3c106ScalarES9_ENKUlvE_clEvENKUlvE0_clEvEUlffE_EEvS5_RKT_EUlibE_EEviT1_.has_indirect_call, 0
	.section	.AMDGPU.csdata,"",@progbits
; Kernel info:
; codeLenInByte = 7252
; TotalNumSgprs: 50
; NumVgprs: 17
; ScratchSize: 0
; MemoryBound: 0
; FloatMode: 240
; IeeeMode: 1
; LDSByteSize: 0 bytes/workgroup (compile time only)
; SGPRBlocks: 0
; VGPRBlocks: 1
; NumSGPRsForWavesPerEU: 50
; NumVGPRsForWavesPerEU: 17
; NamedBarCnt: 0
; Occupancy: 16
; WaveLimiterHint : 1
; COMPUTE_PGM_RSRC2:SCRATCH_EN: 0
; COMPUTE_PGM_RSRC2:USER_SGPR: 2
; COMPUTE_PGM_RSRC2:TRAP_HANDLER: 0
; COMPUTE_PGM_RSRC2:TGID_X_EN: 1
; COMPUTE_PGM_RSRC2:TGID_Y_EN: 0
; COMPUTE_PGM_RSRC2:TGID_Z_EN: 0
; COMPUTE_PGM_RSRC2:TIDIG_COMP_CNT: 0
	.text
	.p2align	2                               ; -- Begin function _ZN3c104guts5applyIRZZZN2at6native12_GLOBAL__N_124softplus_backward_kernelERNS2_18TensorIteratorBaseERKNS_6ScalarES9_ENKUlvE_clEvENKUlvE0_clEvEUlffE_RSt5tupleIJffEEEEDaOT_OT0_
	.type	_ZN3c104guts5applyIRZZZN2at6native12_GLOBAL__N_124softplus_backward_kernelERNS2_18TensorIteratorBaseERKNS_6ScalarES9_ENKUlvE_clEvENKUlvE0_clEvEUlffE_RSt5tupleIJffEEEEDaOT_OT0_,@function
_ZN3c104guts5applyIRZZZN2at6native12_GLOBAL__N_124softplus_backward_kernelERNS2_18TensorIteratorBaseERKNS_6ScalarES9_ENKUlvE_clEvENKUlvE0_clEvEUlffE_RSt5tupleIJffEEEEDaOT_OT0_: ; @_ZN3c104guts5applyIRZZZN2at6native12_GLOBAL__N_124softplus_backward_kernelERNS2_18TensorIteratorBaseERKNS_6ScalarES9_ENKUlvE_clEvENKUlvE0_clEvEUlffE_RSt5tupleIJffEEEEDaOT_OT0_
; %bb.0:
	s_wait_loadcnt_dscnt 0x0
	s_wait_kmcnt 0x0
	v_mul_f32_e32 v0, v0, v2
	s_mov_b32 s0, exec_lo
	s_delay_alu instid0(VALU_DEP_1)
	v_cmpx_ngt_f32_e32 v0, v1
	s_cbranch_execz .LBB50_2
; %bb.1:
	v_mul_f32_e32 v1, 0x3fb8aa3b, v0
	v_cmp_ngt_f32_e32 vcc_lo, 0xc2ce8ed0, v0
	s_delay_alu instid0(VALU_DEP_2) | instskip(SKIP_1) | instid1(VALU_DEP_1)
	v_rndne_f32_e32 v2, v1
	v_fma_f32 v4, 0x3fb8aa3b, v0, -v1
	v_dual_sub_f32 v1, v1, v2 :: v_dual_fmamk_f32 v4, v0, 0x32a5705f, v4
	v_cvt_i32_f32_e32 v2, v2
	s_delay_alu instid0(VALU_DEP_2) | instskip(NEXT) | instid1(VALU_DEP_1)
	v_add_f32_e32 v1, v1, v4
	v_exp_f32_e32 v1, v1
	v_nop
	s_delay_alu instid0(TRANS32_DEP_1) | instskip(NEXT) | instid1(VALU_DEP_1)
	v_ldexp_f32 v1, v1, v2
	v_cndmask_b32_e32 v1, 0, v1, vcc_lo
	v_cmp_nlt_f32_e32 vcc_lo, 0x42b17218, v0
	s_delay_alu instid0(VALU_DEP_2) | instskip(NEXT) | instid1(VALU_DEP_1)
	v_cndmask_b32_e32 v0, 0x7f800000, v1, vcc_lo
	v_dual_mul_f32 v1, v3, v0 :: v_dual_add_f32 v0, 1.0, v0
	s_delay_alu instid0(VALU_DEP_1) | instskip(NEXT) | instid1(VALU_DEP_1)
	v_div_scale_f32 v2, null, v0, v0, v1
	v_rcp_f32_e32 v3, v2
	v_nop
	s_delay_alu instid0(TRANS32_DEP_1) | instskip(NEXT) | instid1(VALU_DEP_1)
	v_fma_f32 v4, -v2, v3, 1.0
	v_fmac_f32_e32 v3, v4, v3
	v_div_scale_f32 v4, vcc_lo, v1, v0, v1
	s_delay_alu instid0(VALU_DEP_1) | instskip(NEXT) | instid1(VALU_DEP_1)
	v_mul_f32_e32 v5, v4, v3
	v_fma_f32 v6, -v2, v5, v4
	s_delay_alu instid0(VALU_DEP_1) | instskip(NEXT) | instid1(VALU_DEP_1)
	v_fmac_f32_e32 v5, v6, v3
	v_fma_f32 v2, -v2, v5, v4
	s_delay_alu instid0(VALU_DEP_1) | instskip(NEXT) | instid1(VALU_DEP_1)
	v_div_fmas_f32 v2, v2, v3, v5
	v_div_fixup_f32 v3, v2, v0, v1
.LBB50_2:
	s_or_b32 exec_lo, exec_lo, s0
	s_delay_alu instid0(VALU_DEP_1)
	v_mov_b32_e32 v0, v3
	s_set_pc_i64 s[30:31]
.Lfunc_end50:
	.size	_ZN3c104guts5applyIRZZZN2at6native12_GLOBAL__N_124softplus_backward_kernelERNS2_18TensorIteratorBaseERKNS_6ScalarES9_ENKUlvE_clEvENKUlvE0_clEvEUlffE_RSt5tupleIJffEEEEDaOT_OT0_, .Lfunc_end50-_ZN3c104guts5applyIRZZZN2at6native12_GLOBAL__N_124softplus_backward_kernelERNS2_18TensorIteratorBaseERKNS_6ScalarES9_ENKUlvE_clEvENKUlvE0_clEvEUlffE_RSt5tupleIJffEEEEDaOT_OT0_
                                        ; -- End function
	.set .L_ZN3c104guts5applyIRZZZN2at6native12_GLOBAL__N_124softplus_backward_kernelERNS2_18TensorIteratorBaseERKNS_6ScalarES9_ENKUlvE_clEvENKUlvE0_clEvEUlffE_RSt5tupleIJffEEEEDaOT_OT0_.num_vgpr, 7
	.set .L_ZN3c104guts5applyIRZZZN2at6native12_GLOBAL__N_124softplus_backward_kernelERNS2_18TensorIteratorBaseERKNS_6ScalarES9_ENKUlvE_clEvENKUlvE0_clEvEUlffE_RSt5tupleIJffEEEEDaOT_OT0_.num_agpr, 0
	.set .L_ZN3c104guts5applyIRZZZN2at6native12_GLOBAL__N_124softplus_backward_kernelERNS2_18TensorIteratorBaseERKNS_6ScalarES9_ENKUlvE_clEvENKUlvE0_clEvEUlffE_RSt5tupleIJffEEEEDaOT_OT0_.numbered_sgpr, 32
	.set .L_ZN3c104guts5applyIRZZZN2at6native12_GLOBAL__N_124softplus_backward_kernelERNS2_18TensorIteratorBaseERKNS_6ScalarES9_ENKUlvE_clEvENKUlvE0_clEvEUlffE_RSt5tupleIJffEEEEDaOT_OT0_.num_named_barrier, 0
	.set .L_ZN3c104guts5applyIRZZZN2at6native12_GLOBAL__N_124softplus_backward_kernelERNS2_18TensorIteratorBaseERKNS_6ScalarES9_ENKUlvE_clEvENKUlvE0_clEvEUlffE_RSt5tupleIJffEEEEDaOT_OT0_.private_seg_size, 0
	.set .L_ZN3c104guts5applyIRZZZN2at6native12_GLOBAL__N_124softplus_backward_kernelERNS2_18TensorIteratorBaseERKNS_6ScalarES9_ENKUlvE_clEvENKUlvE0_clEvEUlffE_RSt5tupleIJffEEEEDaOT_OT0_.uses_vcc, 1
	.set .L_ZN3c104guts5applyIRZZZN2at6native12_GLOBAL__N_124softplus_backward_kernelERNS2_18TensorIteratorBaseERKNS_6ScalarES9_ENKUlvE_clEvENKUlvE0_clEvEUlffE_RSt5tupleIJffEEEEDaOT_OT0_.uses_flat_scratch, 0
	.set .L_ZN3c104guts5applyIRZZZN2at6native12_GLOBAL__N_124softplus_backward_kernelERNS2_18TensorIteratorBaseERKNS_6ScalarES9_ENKUlvE_clEvENKUlvE0_clEvEUlffE_RSt5tupleIJffEEEEDaOT_OT0_.has_dyn_sized_stack, 0
	.set .L_ZN3c104guts5applyIRZZZN2at6native12_GLOBAL__N_124softplus_backward_kernelERNS2_18TensorIteratorBaseERKNS_6ScalarES9_ENKUlvE_clEvENKUlvE0_clEvEUlffE_RSt5tupleIJffEEEEDaOT_OT0_.has_recursion, 0
	.set .L_ZN3c104guts5applyIRZZZN2at6native12_GLOBAL__N_124softplus_backward_kernelERNS2_18TensorIteratorBaseERKNS_6ScalarES9_ENKUlvE_clEvENKUlvE0_clEvEUlffE_RSt5tupleIJffEEEEDaOT_OT0_.has_indirect_call, 0
	.section	.AMDGPU.csdata,"",@progbits
; Function info:
; codeLenInByte = 252
; TotalNumSgprs: 34
; NumVgprs: 7
; ScratchSize: 0
; MemoryBound: 0
	.text
	.p2align	2                               ; -- Begin function _ZN2at6native25elementwise_kernel_helperILb1EZZZNS0_12_GLOBAL__N_124softplus_backward_kernelERNS_18TensorIteratorBaseERKN3c106ScalarES8_ENKUlvE_clEvENKUlvE0_clEvEUlffE_NS0_6memory8policies11unroll_baseILi512ESt5arrayIPcLm3EE23TrivialOffsetCalculatorILi2EjESI_ILi1EjENSC_12LoadWithCastILi2EEENSC_13StoreWithCastILi1EEELi32ELi1EEEEEvT0_T1_
	.type	_ZN2at6native25elementwise_kernel_helperILb1EZZZNS0_12_GLOBAL__N_124softplus_backward_kernelERNS_18TensorIteratorBaseERKN3c106ScalarES8_ENKUlvE_clEvENKUlvE0_clEvEUlffE_NS0_6memory8policies11unroll_baseILi512ESt5arrayIPcLm3EE23TrivialOffsetCalculatorILi2EjESI_ILi1EjENSC_12LoadWithCastILi2EEENSC_13StoreWithCastILi1EEELi32ELi1EEEEEvT0_T1_,@function
_ZN2at6native25elementwise_kernel_helperILb1EZZZNS0_12_GLOBAL__N_124softplus_backward_kernelERNS_18TensorIteratorBaseERKN3c106ScalarES8_ENKUlvE_clEvENKUlvE0_clEvEUlffE_NS0_6memory8policies11unroll_baseILi512ESt5arrayIPcLm3EE23TrivialOffsetCalculatorILi2EjESI_ILi1EjENSC_12LoadWithCastILi2EEENSC_13StoreWithCastILi1EEELi32ELi1EEEEEvT0_T1_: ; @_ZN2at6native25elementwise_kernel_helperILb1EZZZNS0_12_GLOBAL__N_124softplus_backward_kernelERNS_18TensorIteratorBaseERKN3c106ScalarES8_ENKUlvE_clEvENKUlvE0_clEvEUlffE_NS0_6memory8policies11unroll_baseILi512ESt5arrayIPcLm3EE23TrivialOffsetCalculatorILi2EjESI_ILi1EjENSC_12LoadWithCastILi2EEENSC_13StoreWithCastILi1EEELi32ELi1EEEEEvT0_T1_
; %bb.0:
	s_wait_loadcnt_dscnt 0x0
	s_wait_kmcnt 0x0
	s_mov_b32 s0, s33
	s_mov_b32 s33, s32
	s_or_saveexec_b32 s1, -1
	scratch_store_b32 off, v40, s33 offset:256 ; 4-byte Folded Spill
	s_wait_xcnt 0x0
	s_mov_b32 exec_lo, s1
	v_writelane_b32 v40, s0, 14
	s_addk_co_i32 s32, 0x110
	v_writelane_b32 v40, s34, 0
	v_writelane_b32 v40, s35, 1
	;; [unrolled: 1-line block ×14, first 2 shown]
	s_load_u16 s2, s[8:9], 0x12
	s_mov_b32 s0, 0
	s_getreg_b32 s4, hwreg(HW_REG_IB_STS2, 6, 4)
	s_mov_b32 s3, s0
	s_mov_b32 s1, s0
	v_and_b32_e32 v103, 0x3ff, v31
	v_dual_mov_b32 v115, v3 :: v_dual_mov_b32 v114, v2
	v_dual_mov_b32 v17, v1 :: v_dual_mov_b32 v15, v0
	s_delay_alu instid0(VALU_DEP_3)
	v_dual_mov_b32 v1, 0 :: v_dual_mov_b32 v16, v103
	v_and_b32_e32 v9, 0xff, v9
	s_wait_kmcnt 0x0
	s_cmp_lg_u32 s2, 0
	s_mov_b32 s2, s0
	s_cselect_b32 s5, -1, 0
	v_mov_b64_e32 v[20:21], s[2:3]
	v_mov_b64_e32 v[18:19], s[0:1]
	s_load_b32 s1, s[8:9], 0x0
	s_bfe_u32 s6, ttmp6, 0x4000c
	s_and_b32 s7, ttmp6, 15
	s_add_co_i32 s6, s6, 1
	s_clause 0xb
	scratch_store_b128 off, v[18:21], s33
	scratch_store_b128 off, v[18:21], s33 offset:16
	scratch_store_b128 off, v[18:21], s33 offset:32
	;; [unrolled: 1-line block ×11, first 2 shown]
	s_mul_i32 s6, ttmp9, s6
	s_clause 0x1
	scratch_store_b128 off, v[18:21], s33 offset:192
	scratch_store_b128 off, v[18:21], s33 offset:208
	s_add_co_i32 s7, s7, s6
	s_cmp_eq_u32 s4, 0
	s_clause 0x1
	scratch_store_b128 off, v[18:21], s33 offset:224
	scratch_store_b128 off, v[18:21], s33 offset:240
	s_cselect_b32 s2, ttmp9, s7
                                        ; implicit-def: $sgpr4
                                        ; implicit-def: $sgpr6
	s_delay_alu instid0(SALU_CYCLE_1) | instskip(SKIP_3) | instid1(SALU_CYCLE_1)
	s_not_b32 s2, s2
	s_cmp_lg_u32 s5, 0
                                        ; implicit-def: $sgpr5
	s_wait_kmcnt 0x0
	s_add_co_ci_u32 s1, s1, s2
                                        ; implicit-def: $sgpr2
	s_lshl_b32 s3, s1, 14
	s_mov_b32 s1, s0
	s_branch .LBB51_17
.LBB51_1:                               ;   in Loop: Header=BB51_17 Depth=1
	s_or_b32 exec_lo, exec_lo, s77
	s_delay_alu instid0(SALU_CYCLE_1)
	s_and_not1_b32 s74, s74, exec_lo
	s_and_b32 s77, s89, exec_lo
	s_and_not1_b32 s73, s73, exec_lo
	s_and_b32 s78, s88, exec_lo
	s_or_b32 s74, s74, s77
	s_or_b32 s73, s73, s78
	s_or_not1_b32 s76, s76, exec_lo
.LBB51_2:                               ;   in Loop: Header=BB51_17 Depth=1
	s_or_b32 exec_lo, exec_lo, s75
	s_delay_alu instid0(SALU_CYCLE_1)
	s_and_not1_b32 s63, s63, exec_lo
	s_and_b32 s74, s74, exec_lo
	s_and_not1_b32 s62, s62, exec_lo
	s_and_b32 s73, s73, exec_lo
	s_or_b32 s63, s63, s74
	s_or_b32 s62, s62, s73
	s_or_not1_b32 s73, s76, exec_lo
.LBB51_3:                               ;   in Loop: Header=BB51_17 Depth=1
	s_or_b32 exec_lo, exec_lo, s72
	s_delay_alu instid0(SALU_CYCLE_1)
	s_and_not1_b32 s60, s60, exec_lo
	s_and_b32 s63, s63, exec_lo
	s_and_not1_b32 s59, s59, exec_lo
	s_and_b32 s62, s62, exec_lo
	s_or_b32 s60, s60, s63
	s_or_b32 s59, s59, s62
	s_or_not1_b32 s62, s73, exec_lo
.LBB51_4:                               ;   in Loop: Header=BB51_17 Depth=1
	s_or_b32 exec_lo, exec_lo, s61
	s_delay_alu instid0(SALU_CYCLE_1)
	s_and_not1_b32 s57, s57, exec_lo
	s_and_b32 s60, s60, exec_lo
	s_and_not1_b32 s56, s56, exec_lo
	s_and_b32 s59, s59, exec_lo
	s_or_b32 s57, s57, s60
	s_or_b32 s56, s56, s59
	s_or_not1_b32 s59, s62, exec_lo
.LBB51_5:                               ;   in Loop: Header=BB51_17 Depth=1
	s_or_b32 exec_lo, exec_lo, s58
	s_delay_alu instid0(SALU_CYCLE_1)
	s_and_not1_b32 s46, s46, exec_lo
	s_and_b32 s57, s57, exec_lo
	s_and_not1_b32 s45, s45, exec_lo
	s_and_b32 s56, s56, exec_lo
	s_or_b32 s46, s46, s57
	s_or_b32 s45, s45, s56
	s_or_not1_b32 s56, s59, exec_lo
.LBB51_6:                               ;   in Loop: Header=BB51_17 Depth=1
	s_or_b32 exec_lo, exec_lo, s47
	s_delay_alu instid0(SALU_CYCLE_1)
	s_and_not1_b32 s43, s43, exec_lo
	s_and_b32 s46, s46, exec_lo
	s_and_not1_b32 s42, s42, exec_lo
	s_and_b32 s45, s45, exec_lo
	s_or_b32 s43, s43, s46
	s_or_b32 s42, s42, s45
	s_or_not1_b32 s45, s56, exec_lo
.LBB51_7:                               ;   in Loop: Header=BB51_17 Depth=1
	s_or_b32 exec_lo, exec_lo, s44
	s_delay_alu instid0(SALU_CYCLE_1)
	s_and_not1_b32 s40, s40, exec_lo
	s_and_b32 s43, s43, exec_lo
	s_and_not1_b32 s29, s29, exec_lo
	s_and_b32 s42, s42, exec_lo
	s_or_b32 s40, s40, s43
	s_or_b32 s29, s29, s42
	s_or_not1_b32 s42, s45, exec_lo
.LBB51_8:                               ;   in Loop: Header=BB51_17 Depth=1
	s_or_b32 exec_lo, exec_lo, s41
	s_delay_alu instid0(SALU_CYCLE_1)
	s_and_not1_b32 s27, s27, exec_lo
	s_and_b32 s40, s40, exec_lo
	s_and_not1_b32 s26, s26, exec_lo
	s_and_b32 s29, s29, exec_lo
	s_or_b32 s27, s27, s40
	s_or_b32 s26, s26, s29
	s_or_not1_b32 s29, s42, exec_lo
.LBB51_9:                               ;   in Loop: Header=BB51_17 Depth=1
	s_or_b32 exec_lo, exec_lo, s28
	s_delay_alu instid0(SALU_CYCLE_1)
	s_and_not1_b32 s24, s24, exec_lo
	s_and_b32 s27, s27, exec_lo
	s_and_not1_b32 s23, s23, exec_lo
	s_and_b32 s26, s26, exec_lo
	s_or_b32 s24, s24, s27
	s_or_b32 s23, s23, s26
	s_or_not1_b32 s26, s29, exec_lo
.LBB51_10:                              ;   in Loop: Header=BB51_17 Depth=1
	s_or_b32 exec_lo, exec_lo, s25
	s_delay_alu instid0(SALU_CYCLE_1)
	s_and_not1_b32 s21, s21, exec_lo
	s_and_b32 s24, s24, exec_lo
	s_and_not1_b32 s20, s20, exec_lo
	s_and_b32 s23, s23, exec_lo
	s_or_b32 s21, s21, s24
	s_or_b32 s20, s20, s23
	s_or_not1_b32 s23, s26, exec_lo
.LBB51_11:                              ;   in Loop: Header=BB51_17 Depth=1
	s_or_b32 exec_lo, exec_lo, s22
	s_delay_alu instid0(SALU_CYCLE_1)
	s_and_not1_b32 s18, s18, exec_lo
	s_and_b32 s21, s21, exec_lo
	s_and_not1_b32 s17, s17, exec_lo
	s_and_b32 s20, s20, exec_lo
	s_or_b32 s18, s18, s21
	s_or_b32 s17, s17, s20
	s_or_not1_b32 s20, s23, exec_lo
.LBB51_12:                              ;   in Loop: Header=BB51_17 Depth=1
	s_or_b32 exec_lo, exec_lo, s19
	s_delay_alu instid0(SALU_CYCLE_1)
	s_and_not1_b32 s15, s15, exec_lo
	s_and_b32 s18, s18, exec_lo
	s_and_not1_b32 s14, s14, exec_lo
	s_and_b32 s17, s17, exec_lo
	s_or_b32 s15, s15, s18
	s_or_b32 s14, s14, s17
	s_or_not1_b32 s17, s20, exec_lo
.LBB51_13:                              ;   in Loop: Header=BB51_17 Depth=1
	s_or_b32 exec_lo, exec_lo, s16
	s_delay_alu instid0(SALU_CYCLE_1)
	s_and_not1_b32 s12, s12, exec_lo
	s_and_b32 s15, s15, exec_lo
	s_and_not1_b32 s11, s11, exec_lo
	s_and_b32 s14, s14, exec_lo
	s_or_b32 s12, s12, s15
	s_or_b32 s11, s11, s14
	s_or_not1_b32 s14, s17, exec_lo
.LBB51_14:                              ;   in Loop: Header=BB51_17 Depth=1
	s_or_b32 exec_lo, exec_lo, s13
	s_delay_alu instid0(SALU_CYCLE_1)
	s_and_not1_b32 s9, s9, exec_lo
	s_and_b32 s12, s12, exec_lo
	s_and_not1_b32 s8, s8, exec_lo
	s_and_b32 s11, s11, exec_lo
	s_or_b32 s9, s9, s12
	s_or_b32 s8, s8, s11
	s_or_not1_b32 s11, s14, exec_lo
.LBB51_15:                              ;   in Loop: Header=BB51_17 Depth=1
	s_or_b32 exec_lo, exec_lo, s10
	s_delay_alu instid0(SALU_CYCLE_1)
	s_and_not1_b32 s6, s6, exec_lo
	s_and_b32 s9, s9, exec_lo
	s_and_not1_b32 s5, s5, exec_lo
	s_and_b32 s8, s8, exec_lo
	s_or_b32 s6, s6, s9
	s_or_b32 s5, s5, s8
	s_or_not1_b32 s9, s11, exec_lo
.LBB51_16:                              ;   in Loop: Header=BB51_17 Depth=1
	s_or_b32 exec_lo, exec_lo, s7
	s_delay_alu instid0(SALU_CYCLE_1) | instskip(NEXT) | instid1(SALU_CYCLE_1)
	s_and_b32 s7, exec_lo, s9
	s_or_b32 s0, s7, s0
	s_and_not1_b32 s4, s4, exec_lo
	s_and_b32 s7, s6, exec_lo
	s_and_not1_b32 s2, s2, exec_lo
	s_and_b32 s8, s5, exec_lo
	s_or_b32 s4, s4, s7
	s_or_b32 s2, s2, s8
	s_and_not1_b32 exec_lo, exec_lo, s0
	s_cbranch_execz .LBB51_3650
.LBB51_17:                              ; =>This Inner Loop Header: Depth=1
	s_mov_b32 s8, -1
	s_mov_b32 s7, exec_lo
                                        ; implicit-def: $sgpr10
                                        ; implicit-def: $sgpr11
	s_wait_xcnt 0x0
	v_cmpx_lt_i32_e64 v16, v8
	s_cbranch_execz .LBB51_127
; %bb.18:                               ;   in Loop: Header=BB51_17 Depth=1
	v_add_nc_u32_e32 v18, s3, v16
	s_mov_b32 s9, 0
	s_mov_b32 s8, exec_lo
	s_wait_loadcnt_dscnt 0x0
	s_delay_alu instid0(VALU_DEP_1) | instskip(NEXT) | instid1(VALU_DEP_1)
	v_mul_lo_u32 v0, v18, v11
	v_add_nc_u64_e32 v[2:3], v[4:5], v[0:1]
                                        ; implicit-def: $vgpr0
	v_cmpx_lt_i16_e32 10, v9
	s_xor_b32 s8, exec_lo, s8
	s_cbranch_execz .LBB51_78
; %bb.19:                               ;   in Loop: Header=BB51_17 Depth=1
	s_mov_b32 s10, 0
	s_mov_b32 s9, exec_lo
                                        ; implicit-def: $vgpr0
	v_cmpx_lt_i16_e32 25, v9
	s_xor_b32 s9, exec_lo, s9
	s_cbranch_execz .LBB51_51
; %bb.20:                               ;   in Loop: Header=BB51_17 Depth=1
	s_mov_b32 s11, exec_lo
                                        ; implicit-def: $vgpr0
	v_cmpx_lt_i16_e32 28, v9
	s_xor_b32 s11, exec_lo, s11
	s_cbranch_execz .LBB51_36
; %bb.21:                               ;   in Loop: Header=BB51_17 Depth=1
	s_mov_b32 s12, 0
	s_mov_b32 s10, exec_lo
                                        ; implicit-def: $vgpr0
	v_cmpx_lt_i16_e32 43, v9
	s_xor_b32 s10, exec_lo, s10
	s_cbranch_execz .LBB51_31
; %bb.22:                               ;   in Loop: Header=BB51_17 Depth=1
	s_mov_b32 s13, exec_lo
                                        ; implicit-def: $vgpr0
	v_cmpx_lt_i16_e32 45, v9
	s_xor_b32 s13, exec_lo, s13
	s_cbranch_execz .LBB51_26
; %bb.23:                               ;   in Loop: Header=BB51_17 Depth=1
	s_mov_b32 s14, exec_lo
                                        ; implicit-def: $vgpr0
	v_cmpx_eq_u16_e32 46, v9
	s_cbranch_execz .LBB51_25
; %bb.24:                               ;   in Loop: Header=BB51_17 Depth=1
	flat_load_b32 v0, v[2:3]
	s_mov_b32 s12, exec_lo
	s_wait_loadcnt_dscnt 0x0
	v_lshlrev_b32_e32 v0, 16, v0
.LBB51_25:                              ;   in Loop: Header=BB51_17 Depth=1
	s_wait_xcnt 0x0
	s_or_b32 exec_lo, exec_lo, s14
	s_delay_alu instid0(SALU_CYCLE_1)
	s_and_b32 s12, s12, exec_lo
                                        ; implicit-def: $vgpr2_vgpr3
.LBB51_26:                              ;   in Loop: Header=BB51_17 Depth=1
	s_and_not1_saveexec_b32 s13, s13
	s_cbranch_execz .LBB51_30
; %bb.27:                               ;   in Loop: Header=BB51_17 Depth=1
	s_mov_b32 s15, s12
	s_mov_b32 s14, exec_lo
                                        ; implicit-def: $vgpr0
	v_cmpx_eq_u16_e32 44, v9
	s_cbranch_execz .LBB51_29
; %bb.28:                               ;   in Loop: Header=BB51_17 Depth=1
	flat_load_u8 v0, v[2:3]
	s_or_b32 s15, s12, exec_lo
	s_wait_loadcnt_dscnt 0x0
	v_lshlrev_b32_e32 v2, 23, v0
	v_cmp_ne_u32_e32 vcc_lo, 0xff, v0
	s_delay_alu instid0(VALU_DEP_2) | instskip(SKIP_1) | instid1(VALU_DEP_2)
	v_cndmask_b32_e32 v2, 0x7f800001, v2, vcc_lo
	v_cmp_ne_u32_e32 vcc_lo, 0, v0
	v_cndmask_b32_e32 v0, 0x400000, v2, vcc_lo
.LBB51_29:                              ;   in Loop: Header=BB51_17 Depth=1
	s_or_b32 exec_lo, exec_lo, s14
	s_delay_alu instid0(SALU_CYCLE_1) | instskip(SKIP_1) | instid1(SALU_CYCLE_1)
	s_and_not1_b32 s12, s12, exec_lo
	s_and_b32 s14, s15, exec_lo
	s_or_b32 s12, s12, s14
.LBB51_30:                              ;   in Loop: Header=BB51_17 Depth=1
	s_or_b32 exec_lo, exec_lo, s13
	s_delay_alu instid0(SALU_CYCLE_1)
	s_and_b32 s12, s12, exec_lo
                                        ; implicit-def: $vgpr2_vgpr3
.LBB51_31:                              ;   in Loop: Header=BB51_17 Depth=1
	s_and_not1_saveexec_b32 s10, s10
	s_cbranch_execz .LBB51_35
; %bb.32:                               ;   in Loop: Header=BB51_17 Depth=1
	s_mov_b32 s14, s12
	s_mov_b32 s13, exec_lo
                                        ; implicit-def: $vgpr0
	v_cmpx_eq_u16_e32 29, v9
	s_cbranch_execz .LBB51_34
; %bb.33:                               ;   in Loop: Header=BB51_17 Depth=1
	flat_load_b64 v[2:3], v[2:3]
	s_or_b32 s14, s12, exec_lo
	s_wait_loadcnt_dscnt 0x0
	v_clz_i32_u32_e32 v0, v3
	s_delay_alu instid0(VALU_DEP_1) | instskip(SKIP_1) | instid1(VALU_DEP_1)
	v_min_u32_e32 v0, 32, v0
	s_wait_xcnt 0x0
	v_lshlrev_b64_e32 v[2:3], v0, v[2:3]
	v_sub_nc_u32_e32 v0, 32, v0
	s_delay_alu instid0(VALU_DEP_2) | instskip(NEXT) | instid1(VALU_DEP_1)
	v_min_u32_e32 v2, 1, v2
	v_or_b32_e32 v2, v3, v2
	s_delay_alu instid0(VALU_DEP_1) | instskip(NEXT) | instid1(VALU_DEP_1)
	v_cvt_f32_u32_e32 v2, v2
	v_ldexp_f32 v0, v2, v0
.LBB51_34:                              ;   in Loop: Header=BB51_17 Depth=1
	s_or_b32 exec_lo, exec_lo, s13
	s_delay_alu instid0(SALU_CYCLE_1) | instskip(SKIP_1) | instid1(SALU_CYCLE_1)
	s_and_not1_b32 s12, s12, exec_lo
	s_and_b32 s13, s14, exec_lo
	s_or_b32 s12, s12, s13
.LBB51_35:                              ;   in Loop: Header=BB51_17 Depth=1
	s_or_b32 exec_lo, exec_lo, s10
	s_delay_alu instid0(SALU_CYCLE_1)
	s_and_b32 s10, s12, exec_lo
                                        ; implicit-def: $vgpr2_vgpr3
.LBB51_36:                              ;   in Loop: Header=BB51_17 Depth=1
	s_and_not1_saveexec_b32 s11, s11
	s_cbranch_execz .LBB51_50
; %bb.37:                               ;   in Loop: Header=BB51_17 Depth=1
	s_mov_b32 s12, exec_lo
                                        ; implicit-def: $vgpr0
	v_cmpx_lt_i16_e32 26, v9
	s_xor_b32 s12, exec_lo, s12
	s_cbranch_execz .LBB51_43
; %bb.38:                               ;   in Loop: Header=BB51_17 Depth=1
	s_mov_b32 s13, exec_lo
                                        ; implicit-def: $vgpr0
	v_cmpx_lt_i16_e32 27, v9
	s_xor_b32 s13, exec_lo, s13
	s_cbranch_execz .LBB51_40
; %bb.39:                               ;   in Loop: Header=BB51_17 Depth=1
	flat_load_b32 v0, v[2:3]
                                        ; implicit-def: $vgpr2_vgpr3
	s_wait_loadcnt_dscnt 0x0
	v_cvt_f32_u32_e32 v0, v0
.LBB51_40:                              ;   in Loop: Header=BB51_17 Depth=1
	s_wait_xcnt 0x0
	s_and_not1_saveexec_b32 s13, s13
	s_cbranch_execz .LBB51_42
; %bb.41:                               ;   in Loop: Header=BB51_17 Depth=1
	flat_load_u16 v0, v[2:3]
	s_wait_loadcnt_dscnt 0x0
	v_cvt_f32_u32_e32 v0, v0
.LBB51_42:                              ;   in Loop: Header=BB51_17 Depth=1
	s_wait_xcnt 0x0
	s_or_b32 exec_lo, exec_lo, s13
                                        ; implicit-def: $vgpr2_vgpr3
.LBB51_43:                              ;   in Loop: Header=BB51_17 Depth=1
	s_and_not1_saveexec_b32 s12, s12
	s_cbranch_execz .LBB51_49
; %bb.44:                               ;   in Loop: Header=BB51_17 Depth=1
	flat_load_u8 v2, v[2:3]
	s_mov_b32 s13, 0
	s_mov_b32 s14, exec_lo
	s_wait_loadcnt_dscnt 0x0
	v_cmpx_lt_i16_e32 0x7f, v2
	s_xor_b32 s14, exec_lo, s14
	s_cbranch_execnz .LBB51_2094
; %bb.45:                               ;   in Loop: Header=BB51_17 Depth=1
	s_or_saveexec_b32 s14, s14
	v_mov_b32_e32 v0, 0x7f800001
	s_xor_b32 exec_lo, exec_lo, s14
	s_cbranch_execnz .LBB51_2097
.LBB51_46:                              ;   in Loop: Header=BB51_17 Depth=1
	s_or_b32 exec_lo, exec_lo, s14
	s_and_saveexec_b32 s14, s13
	s_cbranch_execz .LBB51_48
.LBB51_47:                              ;   in Loop: Header=BB51_17 Depth=1
	v_and_b32_e32 v0, 0xffff, v2
	s_delay_alu instid0(VALU_DEP_1) | instskip(SKIP_1) | instid1(VALU_DEP_2)
	v_and_b32_e32 v3, 7, v0
	v_bfe_u32 v21, v0, 3, 4
	v_clz_i32_u32_e32 v19, v3
	s_delay_alu instid0(VALU_DEP_2) | instskip(NEXT) | instid1(VALU_DEP_2)
	v_cmp_eq_u32_e32 vcc_lo, 0, v21
	v_min_u32_e32 v19, 32, v19
	s_delay_alu instid0(VALU_DEP_1) | instskip(NEXT) | instid1(VALU_DEP_1)
	v_subrev_nc_u32_e32 v20, 28, v19
	v_dual_lshlrev_b32 v0, v20, v0 :: v_dual_sub_nc_u32 v19, 29, v19
	s_delay_alu instid0(VALU_DEP_1) | instskip(NEXT) | instid1(VALU_DEP_1)
	v_dual_lshlrev_b32 v2, 24, v2 :: v_dual_bitop2_b32 v0, 7, v0 bitop3:0x40
	v_dual_cndmask_b32 v19, v21, v19 :: v_dual_cndmask_b32 v0, v3, v0
	s_delay_alu instid0(VALU_DEP_2) | instskip(NEXT) | instid1(VALU_DEP_2)
	v_and_b32_e32 v2, 0x80000000, v2
	v_lshl_add_u32 v3, v19, 23, 0x3b800000
	s_delay_alu instid0(VALU_DEP_3) | instskip(NEXT) | instid1(VALU_DEP_1)
	v_lshlrev_b32_e32 v0, 20, v0
	v_or3_b32 v0, v2, v3, v0
.LBB51_48:                              ;   in Loop: Header=BB51_17 Depth=1
	s_or_b32 exec_lo, exec_lo, s14
.LBB51_49:                              ;   in Loop: Header=BB51_17 Depth=1
	s_delay_alu instid0(SALU_CYCLE_1) | instskip(NEXT) | instid1(SALU_CYCLE_1)
	s_or_b32 exec_lo, exec_lo, s12
	s_or_b32 s10, s10, exec_lo
.LBB51_50:                              ;   in Loop: Header=BB51_17 Depth=1
	s_or_b32 exec_lo, exec_lo, s11
	s_delay_alu instid0(SALU_CYCLE_1)
	s_and_b32 s10, s10, exec_lo
                                        ; implicit-def: $vgpr2_vgpr3
.LBB51_51:                              ;   in Loop: Header=BB51_17 Depth=1
	s_and_not1_saveexec_b32 s9, s9
	s_cbranch_execz .LBB51_77
; %bb.52:                               ;   in Loop: Header=BB51_17 Depth=1
	s_mov_b32 s12, s10
	s_mov_b32 s11, exec_lo
                                        ; implicit-def: $vgpr0
	v_cmpx_lt_i16_e32 22, v9
	s_xor_b32 s11, exec_lo, s11
	s_cbranch_execz .LBB51_66
; %bb.53:                               ;   in Loop: Header=BB51_17 Depth=1
	s_mov_b32 s12, exec_lo
                                        ; implicit-def: $vgpr0
	v_cmpx_lt_i16_e32 23, v9
	s_xor_b32 s12, exec_lo, s12
	s_cbranch_execz .LBB51_63
; %bb.54:                               ;   in Loop: Header=BB51_17 Depth=1
	;; [unrolled: 6-line block ×3, first 2 shown]
	flat_load_u8 v2, v[2:3]
	s_mov_b32 s14, 0
	s_mov_b32 s15, exec_lo
	s_wait_loadcnt_dscnt 0x0
	v_cmpx_lt_i16_e32 0x7f, v2
	s_xor_b32 s15, exec_lo, s15
	s_cbranch_execnz .LBB51_2198
; %bb.56:                               ;   in Loop: Header=BB51_17 Depth=1
	s_or_saveexec_b32 s15, s15
	v_mov_b32_e32 v0, 0x7f800001
	s_xor_b32 exec_lo, exec_lo, s15
	s_cbranch_execnz .LBB51_2201
.LBB51_57:                              ;   in Loop: Header=BB51_17 Depth=1
	s_or_b32 exec_lo, exec_lo, s15
	s_and_saveexec_b32 s15, s14
	s_cbranch_execz .LBB51_59
.LBB51_58:                              ;   in Loop: Header=BB51_17 Depth=1
	v_and_b32_e32 v0, 0xffff, v2
	s_delay_alu instid0(VALU_DEP_1) | instskip(SKIP_1) | instid1(VALU_DEP_2)
	v_and_b32_e32 v3, 3, v0
	v_bfe_u32 v21, v0, 2, 5
	v_clz_i32_u32_e32 v19, v3
	s_delay_alu instid0(VALU_DEP_2) | instskip(NEXT) | instid1(VALU_DEP_2)
	v_cmp_eq_u32_e32 vcc_lo, 0, v21
	v_min_u32_e32 v19, 32, v19
	s_delay_alu instid0(VALU_DEP_1) | instskip(NEXT) | instid1(VALU_DEP_1)
	v_subrev_nc_u32_e32 v20, 29, v19
	v_dual_lshlrev_b32 v0, v20, v0 :: v_dual_sub_nc_u32 v19, 30, v19
	s_delay_alu instid0(VALU_DEP_1) | instskip(NEXT) | instid1(VALU_DEP_1)
	v_dual_lshlrev_b32 v2, 24, v2 :: v_dual_bitop2_b32 v0, 3, v0 bitop3:0x40
	v_dual_cndmask_b32 v19, v21, v19 :: v_dual_cndmask_b32 v0, v3, v0
	s_delay_alu instid0(VALU_DEP_2) | instskip(NEXT) | instid1(VALU_DEP_2)
	v_and_b32_e32 v2, 0x80000000, v2
	v_lshl_add_u32 v3, v19, 23, 0x37800000
	s_delay_alu instid0(VALU_DEP_3) | instskip(NEXT) | instid1(VALU_DEP_1)
	v_lshlrev_b32_e32 v0, 21, v0
	v_or3_b32 v0, v2, v3, v0
.LBB51_59:                              ;   in Loop: Header=BB51_17 Depth=1
	s_or_b32 exec_lo, exec_lo, s15
                                        ; implicit-def: $vgpr2_vgpr3
.LBB51_60:                              ;   in Loop: Header=BB51_17 Depth=1
	s_and_not1_saveexec_b32 s13, s13
	s_cbranch_execz .LBB51_62
; %bb.61:                               ;   in Loop: Header=BB51_17 Depth=1
	flat_load_u8 v0, v[2:3]
	s_wait_loadcnt_dscnt 0x0
	v_lshlrev_b32_e32 v0, 24, v0
	s_wait_xcnt 0x0
	s_delay_alu instid0(VALU_DEP_1) | instskip(NEXT) | instid1(VALU_DEP_1)
	v_and_b32_e32 v2, 0x7f000000, v0
	v_clz_i32_u32_e32 v3, v2
	v_add_nc_u32_e32 v20, 0x1000000, v2
	v_cmp_ne_u32_e32 vcc_lo, 0, v2
	s_delay_alu instid0(VALU_DEP_3) | instskip(NEXT) | instid1(VALU_DEP_1)
	v_min_u32_e32 v3, 32, v3
	v_sub_nc_u32_e64 v3, v3, 4 clamp
	s_delay_alu instid0(VALU_DEP_1) | instskip(NEXT) | instid1(VALU_DEP_1)
	v_dual_lshlrev_b32 v19, v3, v2 :: v_dual_lshlrev_b32 v3, 23, v3
	v_lshrrev_b32_e32 v19, 4, v19
	s_delay_alu instid0(VALU_DEP_1) | instskip(NEXT) | instid1(VALU_DEP_1)
	v_dual_sub_nc_u32 v3, v19, v3 :: v_dual_ashrrev_i32 v19, 8, v20
	v_add_nc_u32_e32 v3, 0x3c000000, v3
	s_delay_alu instid0(VALU_DEP_1) | instskip(NEXT) | instid1(VALU_DEP_1)
	v_and_or_b32 v3, 0x7f800000, v19, v3
	v_cndmask_b32_e32 v2, 0, v3, vcc_lo
	s_delay_alu instid0(VALU_DEP_1)
	v_and_or_b32 v0, 0x80000000, v0, v2
.LBB51_62:                              ;   in Loop: Header=BB51_17 Depth=1
	s_or_b32 exec_lo, exec_lo, s13
                                        ; implicit-def: $vgpr2_vgpr3
.LBB51_63:                              ;   in Loop: Header=BB51_17 Depth=1
	s_and_not1_saveexec_b32 s12, s12
	s_cbranch_execz .LBB51_65
; %bb.64:                               ;   in Loop: Header=BB51_17 Depth=1
	flat_load_u8 v0, v[2:3]
	s_wait_loadcnt_dscnt 0x0
	v_lshlrev_b32_e32 v2, 25, v0
	v_lshlrev_b16 v0, 8, v0
	s_delay_alu instid0(VALU_DEP_1) | instskip(SKIP_1) | instid1(VALU_DEP_2)
	v_and_or_b32 v19, 0x7f00, v0, 0.5
	v_bfe_i32 v0, v0, 0, 16
	v_dual_add_f32 v19, -0.5, v19 :: v_dual_lshrrev_b32 v3, 4, v2
	v_cmp_gt_u32_e32 vcc_lo, 0x8000000, v2
	s_delay_alu instid0(VALU_DEP_2) | instskip(NEXT) | instid1(VALU_DEP_1)
	v_or_b32_e32 v3, 0x70000000, v3
	v_mul_f32_e32 v3, 0x7800000, v3
	s_delay_alu instid0(VALU_DEP_1) | instskip(NEXT) | instid1(VALU_DEP_1)
	v_cndmask_b32_e32 v2, v3, v19, vcc_lo
	v_and_or_b32 v0, 0x80000000, v0, v2
.LBB51_65:                              ;   in Loop: Header=BB51_17 Depth=1
	s_or_b32 exec_lo, exec_lo, s12
	s_delay_alu instid0(SALU_CYCLE_1)
	s_or_b32 s12, s10, exec_lo
                                        ; implicit-def: $vgpr2_vgpr3
.LBB51_66:                              ;   in Loop: Header=BB51_17 Depth=1
	s_and_not1_saveexec_b32 s11, s11
	s_cbranch_execz .LBB51_76
; %bb.67:                               ;   in Loop: Header=BB51_17 Depth=1
	s_mov_b32 s13, s12
	s_mov_b32 s14, exec_lo
                                        ; implicit-def: $vgpr0
	v_cmpx_lt_i16_e32 14, v9
	s_xor_b32 s14, exec_lo, s14
	s_cbranch_execz .LBB51_71
; %bb.68:                               ;   in Loop: Header=BB51_17 Depth=1
	s_mov_b32 s13, s12
	s_mov_b32 s15, exec_lo
                                        ; implicit-def: $vgpr0
	v_cmpx_eq_u16_e32 15, v9
	s_cbranch_execz .LBB51_70
; %bb.69:                               ;   in Loop: Header=BB51_17 Depth=1
	flat_load_u16 v0, v[2:3]
	s_or_b32 s13, s12, exec_lo
	s_wait_loadcnt_dscnt 0x0
	v_lshlrev_b32_e32 v0, 16, v0
.LBB51_70:                              ;   in Loop: Header=BB51_17 Depth=1
	s_wait_xcnt 0x0
	s_or_b32 exec_lo, exec_lo, s15
	s_delay_alu instid0(SALU_CYCLE_1) | instskip(SKIP_1) | instid1(SALU_CYCLE_1)
	s_and_not1_b32 s15, s12, exec_lo
	s_and_b32 s13, s13, exec_lo
                                        ; implicit-def: $vgpr2_vgpr3
	s_or_b32 s13, s15, s13
.LBB51_71:                              ;   in Loop: Header=BB51_17 Depth=1
	s_and_not1_saveexec_b32 s14, s14
	s_cbranch_execz .LBB51_75
; %bb.72:                               ;   in Loop: Header=BB51_17 Depth=1
	s_mov_b32 s15, s13
	s_mov_b32 s16, exec_lo
                                        ; implicit-def: $vgpr0
	v_cmpx_eq_u16_e32 11, v9
	s_cbranch_execz .LBB51_74
; %bb.73:                               ;   in Loop: Header=BB51_17 Depth=1
	flat_load_u8 v0, v[2:3]
	s_or_b32 s15, s13, exec_lo
	s_wait_loadcnt_dscnt 0x0
	v_cmp_ne_u16_e32 vcc_lo, 0, v0
	v_cndmask_b32_e64 v0, 0, 1.0, vcc_lo
.LBB51_74:                              ;   in Loop: Header=BB51_17 Depth=1
	s_wait_xcnt 0x0
	s_or_b32 exec_lo, exec_lo, s16
	s_delay_alu instid0(SALU_CYCLE_1) | instskip(SKIP_1) | instid1(SALU_CYCLE_1)
	s_and_not1_b32 s13, s13, exec_lo
	s_and_b32 s15, s15, exec_lo
	s_or_b32 s13, s13, s15
.LBB51_75:                              ;   in Loop: Header=BB51_17 Depth=1
	s_or_b32 exec_lo, exec_lo, s14
	s_delay_alu instid0(SALU_CYCLE_1) | instskip(SKIP_1) | instid1(SALU_CYCLE_1)
	s_and_not1_b32 s12, s12, exec_lo
	s_and_b32 s13, s13, exec_lo
	s_or_b32 s12, s12, s13
.LBB51_76:                              ;   in Loop: Header=BB51_17 Depth=1
	s_or_b32 exec_lo, exec_lo, s11
	s_delay_alu instid0(SALU_CYCLE_1) | instskip(SKIP_1) | instid1(SALU_CYCLE_1)
	s_and_not1_b32 s10, s10, exec_lo
	s_and_b32 s11, s12, exec_lo
	s_or_b32 s10, s10, s11
.LBB51_77:                              ;   in Loop: Header=BB51_17 Depth=1
	s_or_b32 exec_lo, exec_lo, s9
	s_delay_alu instid0(SALU_CYCLE_1)
	s_and_b32 s9, s10, exec_lo
                                        ; implicit-def: $vgpr2_vgpr3
.LBB51_78:                              ;   in Loop: Header=BB51_17 Depth=1
	s_and_not1_saveexec_b32 s8, s8
	s_cbranch_execz .LBB51_120
; %bb.79:                               ;   in Loop: Header=BB51_17 Depth=1
	s_mov_b32 s10, exec_lo
                                        ; implicit-def: $vgpr0
	v_cmpx_lt_i16_e32 4, v9
	s_xor_b32 s10, exec_lo, s10
	s_cbranch_execz .LBB51_101
; %bb.80:                               ;   in Loop: Header=BB51_17 Depth=1
	s_mov_b32 s11, exec_lo
                                        ; implicit-def: $vgpr0
	v_cmpx_lt_i16_e32 7, v9
	s_xor_b32 s11, exec_lo, s11
	;; [unrolled: 6-line block ×4, first 2 shown]
	s_cbranch_execz .LBB51_84
; %bb.83:                               ;   in Loop: Header=BB51_17 Depth=1
	flat_load_b64 v[2:3], v[2:3]
	s_wait_loadcnt_dscnt 0x0
	v_cvt_f32_f64_e32 v0, v[2:3]
                                        ; implicit-def: $vgpr2_vgpr3
.LBB51_84:                              ;   in Loop: Header=BB51_17 Depth=1
	s_wait_xcnt 0x0
	s_and_not1_saveexec_b32 s13, s13
	s_cbranch_execz .LBB51_86
; %bb.85:                               ;   in Loop: Header=BB51_17 Depth=1
	flat_load_b32 v0, v[2:3]
.LBB51_86:                              ;   in Loop: Header=BB51_17 Depth=1
	s_wait_xcnt 0x0
	s_or_b32 exec_lo, exec_lo, s13
                                        ; implicit-def: $vgpr2_vgpr3
.LBB51_87:                              ;   in Loop: Header=BB51_17 Depth=1
	s_and_not1_saveexec_b32 s12, s12
	s_cbranch_execz .LBB51_89
; %bb.88:                               ;   in Loop: Header=BB51_17 Depth=1
	s_wait_loadcnt_dscnt 0x0
	flat_load_b32 v0, v[2:3]
	s_wait_loadcnt_dscnt 0x0
	v_cvt_f32_f16_e32 v0, v0
.LBB51_89:                              ;   in Loop: Header=BB51_17 Depth=1
	s_wait_xcnt 0x0
	s_or_b32 exec_lo, exec_lo, s12
                                        ; implicit-def: $vgpr2_vgpr3
.LBB51_90:                              ;   in Loop: Header=BB51_17 Depth=1
	s_and_not1_saveexec_b32 s11, s11
	s_cbranch_execz .LBB51_100
; %bb.91:                               ;   in Loop: Header=BB51_17 Depth=1
	s_mov_b32 s12, exec_lo
                                        ; implicit-def: $vgpr0
	v_cmpx_lt_i16_e32 5, v9
	s_xor_b32 s12, exec_lo, s12
	s_cbranch_execz .LBB51_97
; %bb.92:                               ;   in Loop: Header=BB51_17 Depth=1
	s_mov_b32 s13, exec_lo
                                        ; implicit-def: $vgpr0
	v_cmpx_lt_i16_e32 6, v9
	s_xor_b32 s13, exec_lo, s13
	s_cbranch_execz .LBB51_94
; %bb.93:                               ;   in Loop: Header=BB51_17 Depth=1
	flat_load_b64 v[2:3], v[2:3]
	s_wait_loadcnt_dscnt 0x0
	v_cvt_f32_f64_e32 v0, v[2:3]
                                        ; implicit-def: $vgpr2_vgpr3
.LBB51_94:                              ;   in Loop: Header=BB51_17 Depth=1
	s_wait_xcnt 0x0
	s_and_not1_saveexec_b32 s13, s13
	s_cbranch_execz .LBB51_96
; %bb.95:                               ;   in Loop: Header=BB51_17 Depth=1
	s_wait_loadcnt_dscnt 0x0
	flat_load_b32 v0, v[2:3]
.LBB51_96:                              ;   in Loop: Header=BB51_17 Depth=1
	s_wait_xcnt 0x0
	s_or_b32 exec_lo, exec_lo, s13
                                        ; implicit-def: $vgpr2_vgpr3
.LBB51_97:                              ;   in Loop: Header=BB51_17 Depth=1
	s_and_not1_saveexec_b32 s12, s12
	s_cbranch_execz .LBB51_99
; %bb.98:                               ;   in Loop: Header=BB51_17 Depth=1
	s_wait_loadcnt_dscnt 0x0
	flat_load_u16 v0, v[2:3]
	s_wait_loadcnt_dscnt 0x0
	v_cvt_f32_f16_e32 v0, v0
.LBB51_99:                              ;   in Loop: Header=BB51_17 Depth=1
	s_wait_xcnt 0x0
	s_or_b32 exec_lo, exec_lo, s12
.LBB51_100:                             ;   in Loop: Header=BB51_17 Depth=1
	s_delay_alu instid0(SALU_CYCLE_1)
	s_or_b32 exec_lo, exec_lo, s11
                                        ; implicit-def: $vgpr2_vgpr3
.LBB51_101:                             ;   in Loop: Header=BB51_17 Depth=1
	s_and_not1_saveexec_b32 s10, s10
	s_cbranch_execz .LBB51_119
; %bb.102:                              ;   in Loop: Header=BB51_17 Depth=1
	s_mov_b32 s11, exec_lo
                                        ; implicit-def: $vgpr0
	v_cmpx_lt_i16_e32 1, v9
	s_xor_b32 s11, exec_lo, s11
	s_cbranch_execz .LBB51_112
; %bb.103:                              ;   in Loop: Header=BB51_17 Depth=1
	s_mov_b32 s12, exec_lo
                                        ; implicit-def: $vgpr0
	v_cmpx_lt_i16_e32 2, v9
	s_xor_b32 s12, exec_lo, s12
	;; [unrolled: 6-line block ×3, first 2 shown]
	s_cbranch_execz .LBB51_106
; %bb.105:                              ;   in Loop: Header=BB51_17 Depth=1
	flat_load_b64 v[2:3], v[2:3]
	s_wait_loadcnt_dscnt 0x0
	v_xor_b32_e32 v0, v2, v3
	v_cls_i32_e32 v19, v3
	s_delay_alu instid0(VALU_DEP_2) | instskip(NEXT) | instid1(VALU_DEP_1)
	v_ashrrev_i32_e32 v0, 31, v0
	v_add_nc_u32_e32 v0, 32, v0
	s_delay_alu instid0(VALU_DEP_1) | instskip(SKIP_1) | instid1(VALU_DEP_1)
	v_add_min_u32_e64 v0, v19, -1, v0
	s_wait_xcnt 0x0
	v_lshlrev_b64_e32 v[2:3], v0, v[2:3]
	v_sub_nc_u32_e32 v0, 32, v0
	s_delay_alu instid0(VALU_DEP_2) | instskip(NEXT) | instid1(VALU_DEP_1)
	v_min_u32_e32 v2, 1, v2
	v_or_b32_e32 v2, v3, v2
	s_delay_alu instid0(VALU_DEP_1) | instskip(NEXT) | instid1(VALU_DEP_1)
	v_cvt_f32_i32_e32 v2, v2
	v_ldexp_f32 v0, v2, v0
                                        ; implicit-def: $vgpr2_vgpr3
.LBB51_106:                             ;   in Loop: Header=BB51_17 Depth=1
	s_and_not1_saveexec_b32 s13, s13
	s_cbranch_execz .LBB51_108
; %bb.107:                              ;   in Loop: Header=BB51_17 Depth=1
	s_wait_loadcnt_dscnt 0x0
	flat_load_b32 v0, v[2:3]
	s_wait_loadcnt_dscnt 0x0
	v_cvt_f32_i32_e32 v0, v0
.LBB51_108:                             ;   in Loop: Header=BB51_17 Depth=1
	s_wait_xcnt 0x0
	s_or_b32 exec_lo, exec_lo, s13
                                        ; implicit-def: $vgpr2_vgpr3
.LBB51_109:                             ;   in Loop: Header=BB51_17 Depth=1
	s_and_not1_saveexec_b32 s12, s12
	s_cbranch_execz .LBB51_111
; %bb.110:                              ;   in Loop: Header=BB51_17 Depth=1
	s_wait_loadcnt_dscnt 0x0
	flat_load_i16 v0, v[2:3]
	s_wait_loadcnt_dscnt 0x0
	v_cvt_f32_i32_e32 v0, v0
.LBB51_111:                             ;   in Loop: Header=BB51_17 Depth=1
	s_wait_xcnt 0x0
	s_or_b32 exec_lo, exec_lo, s12
                                        ; implicit-def: $vgpr2_vgpr3
.LBB51_112:                             ;   in Loop: Header=BB51_17 Depth=1
	s_and_not1_saveexec_b32 s11, s11
	s_cbranch_execz .LBB51_118
; %bb.113:                              ;   in Loop: Header=BB51_17 Depth=1
	s_mov_b32 s12, exec_lo
                                        ; implicit-def: $vgpr0
	v_cmpx_lt_i16_e32 0, v9
	s_xor_b32 s12, exec_lo, s12
	s_cbranch_execz .LBB51_115
; %bb.114:                              ;   in Loop: Header=BB51_17 Depth=1
	s_wait_loadcnt_dscnt 0x0
	flat_load_i8 v0, v[2:3]
                                        ; implicit-def: $vgpr2_vgpr3
	s_wait_loadcnt_dscnt 0x0
	v_cvt_f32_i32_e32 v0, v0
.LBB51_115:                             ;   in Loop: Header=BB51_17 Depth=1
	s_wait_xcnt 0x0
	s_and_not1_saveexec_b32 s12, s12
	s_cbranch_execz .LBB51_117
; %bb.116:                              ;   in Loop: Header=BB51_17 Depth=1
	s_wait_loadcnt_dscnt 0x0
	flat_load_u8 v0, v[2:3]
	s_wait_loadcnt_dscnt 0x0
	v_cvt_f32_ubyte0_e32 v0, v0
.LBB51_117:                             ;   in Loop: Header=BB51_17 Depth=1
	s_wait_xcnt 0x0
	s_or_b32 exec_lo, exec_lo, s12
.LBB51_118:                             ;   in Loop: Header=BB51_17 Depth=1
	s_delay_alu instid0(SALU_CYCLE_1)
	s_or_b32 exec_lo, exec_lo, s11
.LBB51_119:                             ;   in Loop: Header=BB51_17 Depth=1
	s_delay_alu instid0(SALU_CYCLE_1) | instskip(NEXT) | instid1(SALU_CYCLE_1)
	s_or_b32 exec_lo, exec_lo, s10
	s_or_b32 s9, s9, exec_lo
.LBB51_120:                             ;   in Loop: Header=BB51_17 Depth=1
	s_or_b32 exec_lo, exec_lo, s8
	s_mov_b32 s10, -1
	s_mov_b32 s12, 0
	s_mov_b32 s11, 0
	s_and_saveexec_b32 s8, s9
	s_cbranch_execz .LBB51_126
; %bb.121:                              ;   in Loop: Header=BB51_17 Depth=1
	s_add_co_i32 s9, s33, s1
	s_mov_b32 s10, exec_lo
	s_wait_loadcnt_dscnt 0x0
	scratch_store_b32 off, v0, s9 offset:4
	s_wait_xcnt 0x0
	v_mul_lo_u32 v0, v18, v12
	v_and_b32_e32 v18, 0xff, v10
	s_delay_alu instid0(VALU_DEP_2) | instskip(NEXT) | instid1(VALU_DEP_2)
	v_add_nc_u64_e32 v[2:3], v[6:7], v[0:1]
                                        ; implicit-def: $vgpr0
	v_cmpx_lt_i16_e32 10, v18
	s_xor_b32 s10, exec_lo, s10
	s_cbranch_execnz .LBB51_1794
; %bb.122:                              ;   in Loop: Header=BB51_17 Depth=1
	s_and_not1_saveexec_b32 s10, s10
	s_cbranch_execnz .LBB51_1853
.LBB51_123:                             ;   in Loop: Header=BB51_17 Depth=1
	s_or_b32 exec_lo, exec_lo, s10
	s_mov_b32 s12, 0
	s_and_saveexec_b32 s10, s11
	s_cbranch_execz .LBB51_125
.LBB51_124:                             ;   in Loop: Header=BB51_17 Depth=1
	v_add_nc_u32_e32 v16, 0x200, v16
	s_mov_b32 s12, exec_lo
	s_wait_loadcnt_dscnt 0x0
	scratch_store_b32 off, v0, s9
.LBB51_125:                             ;   in Loop: Header=BB51_17 Depth=1
	s_wait_xcnt 0x0
	s_or_b32 exec_lo, exec_lo, s10
	s_delay_alu instid0(SALU_CYCLE_1)
	s_mov_b32 s11, exec_lo
	s_xor_b32 s10, exec_lo, -1
	s_and_b32 s12, s12, exec_lo
.LBB51_126:                             ;   in Loop: Header=BB51_17 Depth=1
	s_or_b32 exec_lo, exec_lo, s8
	s_delay_alu instid0(SALU_CYCLE_1)
	s_or_not1_b32 s8, s12, exec_lo
.LBB51_127:                             ;   in Loop: Header=BB51_17 Depth=1
	s_or_b32 exec_lo, exec_lo, s7
	s_delay_alu instid0(SALU_CYCLE_1)
	s_and_not1_b32 s6, s6, exec_lo
	s_and_b32 s7, s11, exec_lo
	s_and_not1_b32 s5, s5, exec_lo
	s_and_b32 s10, s10, exec_lo
	s_mov_b32 s9, -1
	s_or_b32 s6, s6, s7
	s_or_b32 s5, s5, s10
	s_and_saveexec_b32 s7, s8
	s_cbranch_execz .LBB51_16
; %bb.128:                              ;   in Loop: Header=BB51_17 Depth=1
	s_mov_b32 s11, -1
	s_mov_b32 s12, -1
	s_mov_b32 s10, exec_lo
                                        ; implicit-def: $sgpr8
                                        ; implicit-def: $sgpr9
	v_cmpx_lt_i32_e64 v16, v8
	s_cbranch_execz .LBB51_238
; %bb.129:                              ;   in Loop: Header=BB51_17 Depth=1
	v_add_nc_u32_e32 v18, s3, v16
	s_mov_b32 s13, 0
	s_mov_b32 s8, exec_lo
	s_wait_loadcnt_dscnt 0x0
	s_delay_alu instid0(VALU_DEP_1) | instskip(NEXT) | instid1(VALU_DEP_1)
	v_mul_lo_u32 v0, v18, v11
	v_add_nc_u64_e32 v[2:3], v[4:5], v[0:1]
                                        ; implicit-def: $vgpr0
	v_cmpx_lt_i16_e32 10, v9
	s_xor_b32 s8, exec_lo, s8
	s_cbranch_execz .LBB51_189
; %bb.130:                              ;   in Loop: Header=BB51_17 Depth=1
	s_mov_b32 s12, 0
	s_mov_b32 s9, exec_lo
                                        ; implicit-def: $vgpr0
	v_cmpx_lt_i16_e32 25, v9
	s_xor_b32 s9, exec_lo, s9
	s_cbranch_execz .LBB51_162
; %bb.131:                              ;   in Loop: Header=BB51_17 Depth=1
	s_mov_b32 s13, exec_lo
                                        ; implicit-def: $vgpr0
	v_cmpx_lt_i16_e32 28, v9
	s_xor_b32 s13, exec_lo, s13
	s_cbranch_execz .LBB51_147
; %bb.132:                              ;   in Loop: Header=BB51_17 Depth=1
	s_mov_b32 s14, 0
	s_mov_b32 s12, exec_lo
                                        ; implicit-def: $vgpr0
	v_cmpx_lt_i16_e32 43, v9
	s_xor_b32 s12, exec_lo, s12
	s_cbranch_execz .LBB51_142
; %bb.133:                              ;   in Loop: Header=BB51_17 Depth=1
	s_mov_b32 s15, exec_lo
                                        ; implicit-def: $vgpr0
	v_cmpx_lt_i16_e32 45, v9
	s_xor_b32 s15, exec_lo, s15
	s_cbranch_execz .LBB51_137
; %bb.134:                              ;   in Loop: Header=BB51_17 Depth=1
	s_mov_b32 s16, exec_lo
                                        ; implicit-def: $vgpr0
	v_cmpx_eq_u16_e32 46, v9
	s_cbranch_execz .LBB51_136
; %bb.135:                              ;   in Loop: Header=BB51_17 Depth=1
	flat_load_b32 v0, v[2:3]
	s_mov_b32 s14, exec_lo
	s_wait_loadcnt_dscnt 0x0
	v_lshlrev_b32_e32 v0, 16, v0
.LBB51_136:                             ;   in Loop: Header=BB51_17 Depth=1
	s_wait_xcnt 0x0
	s_or_b32 exec_lo, exec_lo, s16
	s_delay_alu instid0(SALU_CYCLE_1)
	s_and_b32 s14, s14, exec_lo
                                        ; implicit-def: $vgpr2_vgpr3
.LBB51_137:                             ;   in Loop: Header=BB51_17 Depth=1
	s_and_not1_saveexec_b32 s15, s15
	s_cbranch_execz .LBB51_141
; %bb.138:                              ;   in Loop: Header=BB51_17 Depth=1
	s_mov_b32 s17, s14
	s_mov_b32 s16, exec_lo
                                        ; implicit-def: $vgpr0
	v_cmpx_eq_u16_e32 44, v9
	s_cbranch_execz .LBB51_140
; %bb.139:                              ;   in Loop: Header=BB51_17 Depth=1
	flat_load_u8 v0, v[2:3]
	s_or_b32 s17, s14, exec_lo
	s_wait_loadcnt_dscnt 0x0
	v_lshlrev_b32_e32 v2, 23, v0
	v_cmp_ne_u32_e32 vcc_lo, 0xff, v0
	s_delay_alu instid0(VALU_DEP_2) | instskip(SKIP_1) | instid1(VALU_DEP_2)
	v_cndmask_b32_e32 v2, 0x7f800001, v2, vcc_lo
	v_cmp_ne_u32_e32 vcc_lo, 0, v0
	v_cndmask_b32_e32 v0, 0x400000, v2, vcc_lo
.LBB51_140:                             ;   in Loop: Header=BB51_17 Depth=1
	s_or_b32 exec_lo, exec_lo, s16
	s_delay_alu instid0(SALU_CYCLE_1) | instskip(SKIP_1) | instid1(SALU_CYCLE_1)
	s_and_not1_b32 s14, s14, exec_lo
	s_and_b32 s16, s17, exec_lo
	s_or_b32 s14, s14, s16
.LBB51_141:                             ;   in Loop: Header=BB51_17 Depth=1
	s_or_b32 exec_lo, exec_lo, s15
	s_delay_alu instid0(SALU_CYCLE_1)
	s_and_b32 s14, s14, exec_lo
                                        ; implicit-def: $vgpr2_vgpr3
.LBB51_142:                             ;   in Loop: Header=BB51_17 Depth=1
	s_and_not1_saveexec_b32 s12, s12
	s_cbranch_execz .LBB51_146
; %bb.143:                              ;   in Loop: Header=BB51_17 Depth=1
	s_mov_b32 s16, s14
	s_mov_b32 s15, exec_lo
                                        ; implicit-def: $vgpr0
	v_cmpx_eq_u16_e32 29, v9
	s_cbranch_execz .LBB51_145
; %bb.144:                              ;   in Loop: Header=BB51_17 Depth=1
	flat_load_b64 v[2:3], v[2:3]
	s_or_b32 s16, s14, exec_lo
	s_wait_loadcnt_dscnt 0x0
	v_clz_i32_u32_e32 v0, v3
	s_delay_alu instid0(VALU_DEP_1) | instskip(SKIP_1) | instid1(VALU_DEP_1)
	v_min_u32_e32 v0, 32, v0
	s_wait_xcnt 0x0
	v_lshlrev_b64_e32 v[2:3], v0, v[2:3]
	v_sub_nc_u32_e32 v0, 32, v0
	s_delay_alu instid0(VALU_DEP_2) | instskip(NEXT) | instid1(VALU_DEP_1)
	v_min_u32_e32 v2, 1, v2
	v_or_b32_e32 v2, v3, v2
	s_delay_alu instid0(VALU_DEP_1) | instskip(NEXT) | instid1(VALU_DEP_1)
	v_cvt_f32_u32_e32 v2, v2
	v_ldexp_f32 v0, v2, v0
.LBB51_145:                             ;   in Loop: Header=BB51_17 Depth=1
	s_or_b32 exec_lo, exec_lo, s15
	s_delay_alu instid0(SALU_CYCLE_1) | instskip(SKIP_1) | instid1(SALU_CYCLE_1)
	s_and_not1_b32 s14, s14, exec_lo
	s_and_b32 s15, s16, exec_lo
	s_or_b32 s14, s14, s15
.LBB51_146:                             ;   in Loop: Header=BB51_17 Depth=1
	s_or_b32 exec_lo, exec_lo, s12
	s_delay_alu instid0(SALU_CYCLE_1)
	s_and_b32 s12, s14, exec_lo
                                        ; implicit-def: $vgpr2_vgpr3
.LBB51_147:                             ;   in Loop: Header=BB51_17 Depth=1
	s_and_not1_saveexec_b32 s13, s13
	s_cbranch_execz .LBB51_161
; %bb.148:                              ;   in Loop: Header=BB51_17 Depth=1
	s_mov_b32 s14, exec_lo
                                        ; implicit-def: $vgpr0
	v_cmpx_lt_i16_e32 26, v9
	s_xor_b32 s14, exec_lo, s14
	s_cbranch_execz .LBB51_154
; %bb.149:                              ;   in Loop: Header=BB51_17 Depth=1
	s_mov_b32 s15, exec_lo
                                        ; implicit-def: $vgpr0
	v_cmpx_lt_i16_e32 27, v9
	s_xor_b32 s15, exec_lo, s15
	s_cbranch_execz .LBB51_151
; %bb.150:                              ;   in Loop: Header=BB51_17 Depth=1
	flat_load_b32 v0, v[2:3]
                                        ; implicit-def: $vgpr2_vgpr3
	s_wait_loadcnt_dscnt 0x0
	v_cvt_f32_u32_e32 v0, v0
.LBB51_151:                             ;   in Loop: Header=BB51_17 Depth=1
	s_wait_xcnt 0x0
	s_and_not1_saveexec_b32 s15, s15
	s_cbranch_execz .LBB51_153
; %bb.152:                              ;   in Loop: Header=BB51_17 Depth=1
	flat_load_u16 v0, v[2:3]
	s_wait_loadcnt_dscnt 0x0
	v_cvt_f32_u32_e32 v0, v0
.LBB51_153:                             ;   in Loop: Header=BB51_17 Depth=1
	s_wait_xcnt 0x0
	s_or_b32 exec_lo, exec_lo, s15
                                        ; implicit-def: $vgpr2_vgpr3
.LBB51_154:                             ;   in Loop: Header=BB51_17 Depth=1
	s_and_not1_saveexec_b32 s14, s14
	s_cbranch_execz .LBB51_160
; %bb.155:                              ;   in Loop: Header=BB51_17 Depth=1
	flat_load_u8 v2, v[2:3]
	s_mov_b32 s15, 0
	s_mov_b32 s16, exec_lo
	s_wait_loadcnt_dscnt 0x0
	v_cmpx_lt_i16_e32 0x7f, v2
	s_xor_b32 s16, exec_lo, s16
	s_cbranch_execnz .LBB51_2202
; %bb.156:                              ;   in Loop: Header=BB51_17 Depth=1
	s_or_saveexec_b32 s16, s16
	v_mov_b32_e32 v0, 0x7f800001
	s_xor_b32 exec_lo, exec_lo, s16
	s_cbranch_execnz .LBB51_2205
.LBB51_157:                             ;   in Loop: Header=BB51_17 Depth=1
	s_or_b32 exec_lo, exec_lo, s16
	s_and_saveexec_b32 s16, s15
	s_cbranch_execz .LBB51_159
.LBB51_158:                             ;   in Loop: Header=BB51_17 Depth=1
	v_and_b32_e32 v0, 0xffff, v2
	s_delay_alu instid0(VALU_DEP_1) | instskip(SKIP_1) | instid1(VALU_DEP_2)
	v_and_b32_e32 v3, 7, v0
	v_bfe_u32 v21, v0, 3, 4
	v_clz_i32_u32_e32 v19, v3
	s_delay_alu instid0(VALU_DEP_2) | instskip(NEXT) | instid1(VALU_DEP_2)
	v_cmp_eq_u32_e32 vcc_lo, 0, v21
	v_min_u32_e32 v19, 32, v19
	s_delay_alu instid0(VALU_DEP_1) | instskip(NEXT) | instid1(VALU_DEP_1)
	v_subrev_nc_u32_e32 v20, 28, v19
	v_dual_lshlrev_b32 v0, v20, v0 :: v_dual_sub_nc_u32 v19, 29, v19
	s_delay_alu instid0(VALU_DEP_1) | instskip(NEXT) | instid1(VALU_DEP_1)
	v_dual_lshlrev_b32 v2, 24, v2 :: v_dual_bitop2_b32 v0, 7, v0 bitop3:0x40
	v_dual_cndmask_b32 v19, v21, v19 :: v_dual_cndmask_b32 v0, v3, v0
	s_delay_alu instid0(VALU_DEP_2) | instskip(NEXT) | instid1(VALU_DEP_2)
	v_and_b32_e32 v2, 0x80000000, v2
	v_lshl_add_u32 v3, v19, 23, 0x3b800000
	s_delay_alu instid0(VALU_DEP_3) | instskip(NEXT) | instid1(VALU_DEP_1)
	v_lshlrev_b32_e32 v0, 20, v0
	v_or3_b32 v0, v2, v3, v0
.LBB51_159:                             ;   in Loop: Header=BB51_17 Depth=1
	s_or_b32 exec_lo, exec_lo, s16
.LBB51_160:                             ;   in Loop: Header=BB51_17 Depth=1
	s_delay_alu instid0(SALU_CYCLE_1) | instskip(NEXT) | instid1(SALU_CYCLE_1)
	s_or_b32 exec_lo, exec_lo, s14
	s_or_b32 s12, s12, exec_lo
.LBB51_161:                             ;   in Loop: Header=BB51_17 Depth=1
	s_or_b32 exec_lo, exec_lo, s13
	s_delay_alu instid0(SALU_CYCLE_1)
	s_and_b32 s12, s12, exec_lo
                                        ; implicit-def: $vgpr2_vgpr3
.LBB51_162:                             ;   in Loop: Header=BB51_17 Depth=1
	s_and_not1_saveexec_b32 s9, s9
	s_cbranch_execz .LBB51_188
; %bb.163:                              ;   in Loop: Header=BB51_17 Depth=1
	s_mov_b32 s14, s12
	s_mov_b32 s13, exec_lo
                                        ; implicit-def: $vgpr0
	v_cmpx_lt_i16_e32 22, v9
	s_xor_b32 s13, exec_lo, s13
	s_cbranch_execz .LBB51_177
; %bb.164:                              ;   in Loop: Header=BB51_17 Depth=1
	s_mov_b32 s14, exec_lo
                                        ; implicit-def: $vgpr0
	v_cmpx_lt_i16_e32 23, v9
	s_xor_b32 s14, exec_lo, s14
	s_cbranch_execz .LBB51_174
; %bb.165:                              ;   in Loop: Header=BB51_17 Depth=1
	;; [unrolled: 6-line block ×3, first 2 shown]
	flat_load_u8 v2, v[2:3]
	s_mov_b32 s16, 0
	s_mov_b32 s17, exec_lo
	s_wait_loadcnt_dscnt 0x0
	v_cmpx_lt_i16_e32 0x7f, v2
	s_xor_b32 s17, exec_lo, s17
	s_cbranch_execnz .LBB51_2310
; %bb.167:                              ;   in Loop: Header=BB51_17 Depth=1
	s_or_saveexec_b32 s17, s17
	v_mov_b32_e32 v0, 0x7f800001
	s_xor_b32 exec_lo, exec_lo, s17
	s_cbranch_execnz .LBB51_2313
.LBB51_168:                             ;   in Loop: Header=BB51_17 Depth=1
	s_or_b32 exec_lo, exec_lo, s17
	s_and_saveexec_b32 s17, s16
	s_cbranch_execz .LBB51_170
.LBB51_169:                             ;   in Loop: Header=BB51_17 Depth=1
	v_and_b32_e32 v0, 0xffff, v2
	s_delay_alu instid0(VALU_DEP_1) | instskip(SKIP_1) | instid1(VALU_DEP_2)
	v_and_b32_e32 v3, 3, v0
	v_bfe_u32 v21, v0, 2, 5
	v_clz_i32_u32_e32 v19, v3
	s_delay_alu instid0(VALU_DEP_2) | instskip(NEXT) | instid1(VALU_DEP_2)
	v_cmp_eq_u32_e32 vcc_lo, 0, v21
	v_min_u32_e32 v19, 32, v19
	s_delay_alu instid0(VALU_DEP_1) | instskip(NEXT) | instid1(VALU_DEP_1)
	v_subrev_nc_u32_e32 v20, 29, v19
	v_dual_lshlrev_b32 v0, v20, v0 :: v_dual_sub_nc_u32 v19, 30, v19
	s_delay_alu instid0(VALU_DEP_1) | instskip(NEXT) | instid1(VALU_DEP_1)
	v_dual_lshlrev_b32 v2, 24, v2 :: v_dual_bitop2_b32 v0, 3, v0 bitop3:0x40
	v_dual_cndmask_b32 v19, v21, v19 :: v_dual_cndmask_b32 v0, v3, v0
	s_delay_alu instid0(VALU_DEP_2) | instskip(NEXT) | instid1(VALU_DEP_2)
	v_and_b32_e32 v2, 0x80000000, v2
	v_lshl_add_u32 v3, v19, 23, 0x37800000
	s_delay_alu instid0(VALU_DEP_3) | instskip(NEXT) | instid1(VALU_DEP_1)
	v_lshlrev_b32_e32 v0, 21, v0
	v_or3_b32 v0, v2, v3, v0
.LBB51_170:                             ;   in Loop: Header=BB51_17 Depth=1
	s_or_b32 exec_lo, exec_lo, s17
                                        ; implicit-def: $vgpr2_vgpr3
.LBB51_171:                             ;   in Loop: Header=BB51_17 Depth=1
	s_and_not1_saveexec_b32 s15, s15
	s_cbranch_execz .LBB51_173
; %bb.172:                              ;   in Loop: Header=BB51_17 Depth=1
	flat_load_u8 v0, v[2:3]
	s_wait_loadcnt_dscnt 0x0
	v_lshlrev_b32_e32 v0, 24, v0
	s_wait_xcnt 0x0
	s_delay_alu instid0(VALU_DEP_1) | instskip(NEXT) | instid1(VALU_DEP_1)
	v_and_b32_e32 v2, 0x7f000000, v0
	v_clz_i32_u32_e32 v3, v2
	v_add_nc_u32_e32 v20, 0x1000000, v2
	v_cmp_ne_u32_e32 vcc_lo, 0, v2
	s_delay_alu instid0(VALU_DEP_3) | instskip(NEXT) | instid1(VALU_DEP_1)
	v_min_u32_e32 v3, 32, v3
	v_sub_nc_u32_e64 v3, v3, 4 clamp
	s_delay_alu instid0(VALU_DEP_1) | instskip(NEXT) | instid1(VALU_DEP_1)
	v_dual_lshlrev_b32 v19, v3, v2 :: v_dual_lshlrev_b32 v3, 23, v3
	v_lshrrev_b32_e32 v19, 4, v19
	s_delay_alu instid0(VALU_DEP_1) | instskip(NEXT) | instid1(VALU_DEP_1)
	v_dual_sub_nc_u32 v3, v19, v3 :: v_dual_ashrrev_i32 v19, 8, v20
	v_add_nc_u32_e32 v3, 0x3c000000, v3
	s_delay_alu instid0(VALU_DEP_1) | instskip(NEXT) | instid1(VALU_DEP_1)
	v_and_or_b32 v3, 0x7f800000, v19, v3
	v_cndmask_b32_e32 v2, 0, v3, vcc_lo
	s_delay_alu instid0(VALU_DEP_1)
	v_and_or_b32 v0, 0x80000000, v0, v2
.LBB51_173:                             ;   in Loop: Header=BB51_17 Depth=1
	s_or_b32 exec_lo, exec_lo, s15
                                        ; implicit-def: $vgpr2_vgpr3
.LBB51_174:                             ;   in Loop: Header=BB51_17 Depth=1
	s_and_not1_saveexec_b32 s14, s14
	s_cbranch_execz .LBB51_176
; %bb.175:                              ;   in Loop: Header=BB51_17 Depth=1
	flat_load_u8 v0, v[2:3]
	s_wait_loadcnt_dscnt 0x0
	v_lshlrev_b32_e32 v2, 25, v0
	v_lshlrev_b16 v0, 8, v0
	s_delay_alu instid0(VALU_DEP_1) | instskip(SKIP_1) | instid1(VALU_DEP_2)
	v_and_or_b32 v19, 0x7f00, v0, 0.5
	v_bfe_i32 v0, v0, 0, 16
	v_dual_add_f32 v19, -0.5, v19 :: v_dual_lshrrev_b32 v3, 4, v2
	v_cmp_gt_u32_e32 vcc_lo, 0x8000000, v2
	s_delay_alu instid0(VALU_DEP_2) | instskip(NEXT) | instid1(VALU_DEP_1)
	v_or_b32_e32 v3, 0x70000000, v3
	v_mul_f32_e32 v3, 0x7800000, v3
	s_delay_alu instid0(VALU_DEP_1) | instskip(NEXT) | instid1(VALU_DEP_1)
	v_cndmask_b32_e32 v2, v3, v19, vcc_lo
	v_and_or_b32 v0, 0x80000000, v0, v2
.LBB51_176:                             ;   in Loop: Header=BB51_17 Depth=1
	s_or_b32 exec_lo, exec_lo, s14
	s_delay_alu instid0(SALU_CYCLE_1)
	s_or_b32 s14, s12, exec_lo
                                        ; implicit-def: $vgpr2_vgpr3
.LBB51_177:                             ;   in Loop: Header=BB51_17 Depth=1
	s_and_not1_saveexec_b32 s13, s13
	s_cbranch_execz .LBB51_187
; %bb.178:                              ;   in Loop: Header=BB51_17 Depth=1
	s_mov_b32 s15, s14
	s_mov_b32 s16, exec_lo
                                        ; implicit-def: $vgpr0
	v_cmpx_lt_i16_e32 14, v9
	s_xor_b32 s16, exec_lo, s16
	s_cbranch_execz .LBB51_182
; %bb.179:                              ;   in Loop: Header=BB51_17 Depth=1
	s_mov_b32 s15, s14
	s_mov_b32 s17, exec_lo
                                        ; implicit-def: $vgpr0
	v_cmpx_eq_u16_e32 15, v9
	s_cbranch_execz .LBB51_181
; %bb.180:                              ;   in Loop: Header=BB51_17 Depth=1
	flat_load_u16 v0, v[2:3]
	s_or_b32 s15, s14, exec_lo
	s_wait_loadcnt_dscnt 0x0
	v_lshlrev_b32_e32 v0, 16, v0
.LBB51_181:                             ;   in Loop: Header=BB51_17 Depth=1
	s_wait_xcnt 0x0
	s_or_b32 exec_lo, exec_lo, s17
	s_delay_alu instid0(SALU_CYCLE_1) | instskip(SKIP_1) | instid1(SALU_CYCLE_1)
	s_and_not1_b32 s17, s14, exec_lo
	s_and_b32 s15, s15, exec_lo
                                        ; implicit-def: $vgpr2_vgpr3
	s_or_b32 s15, s17, s15
.LBB51_182:                             ;   in Loop: Header=BB51_17 Depth=1
	s_and_not1_saveexec_b32 s16, s16
	s_cbranch_execz .LBB51_186
; %bb.183:                              ;   in Loop: Header=BB51_17 Depth=1
	s_mov_b32 s17, s15
	s_mov_b32 s18, exec_lo
                                        ; implicit-def: $vgpr0
	v_cmpx_eq_u16_e32 11, v9
	s_cbranch_execz .LBB51_185
; %bb.184:                              ;   in Loop: Header=BB51_17 Depth=1
	flat_load_u8 v0, v[2:3]
	s_or_b32 s17, s15, exec_lo
	s_wait_loadcnt_dscnt 0x0
	v_cmp_ne_u16_e32 vcc_lo, 0, v0
	v_cndmask_b32_e64 v0, 0, 1.0, vcc_lo
.LBB51_185:                             ;   in Loop: Header=BB51_17 Depth=1
	s_wait_xcnt 0x0
	s_or_b32 exec_lo, exec_lo, s18
	s_delay_alu instid0(SALU_CYCLE_1) | instskip(SKIP_1) | instid1(SALU_CYCLE_1)
	s_and_not1_b32 s15, s15, exec_lo
	s_and_b32 s17, s17, exec_lo
	s_or_b32 s15, s15, s17
.LBB51_186:                             ;   in Loop: Header=BB51_17 Depth=1
	s_or_b32 exec_lo, exec_lo, s16
	s_delay_alu instid0(SALU_CYCLE_1) | instskip(SKIP_1) | instid1(SALU_CYCLE_1)
	s_and_not1_b32 s14, s14, exec_lo
	s_and_b32 s15, s15, exec_lo
	s_or_b32 s14, s14, s15
.LBB51_187:                             ;   in Loop: Header=BB51_17 Depth=1
	s_or_b32 exec_lo, exec_lo, s13
	s_delay_alu instid0(SALU_CYCLE_1) | instskip(SKIP_1) | instid1(SALU_CYCLE_1)
	s_and_not1_b32 s12, s12, exec_lo
	s_and_b32 s13, s14, exec_lo
	s_or_b32 s12, s12, s13
.LBB51_188:                             ;   in Loop: Header=BB51_17 Depth=1
	s_or_b32 exec_lo, exec_lo, s9
	s_delay_alu instid0(SALU_CYCLE_1)
	s_and_b32 s13, s12, exec_lo
                                        ; implicit-def: $vgpr2_vgpr3
.LBB51_189:                             ;   in Loop: Header=BB51_17 Depth=1
	s_and_not1_saveexec_b32 s8, s8
	s_cbranch_execz .LBB51_231
; %bb.190:                              ;   in Loop: Header=BB51_17 Depth=1
	s_mov_b32 s9, exec_lo
                                        ; implicit-def: $vgpr0
	v_cmpx_lt_i16_e32 4, v9
	s_xor_b32 s9, exec_lo, s9
	s_cbranch_execz .LBB51_212
; %bb.191:                              ;   in Loop: Header=BB51_17 Depth=1
	s_mov_b32 s12, exec_lo
                                        ; implicit-def: $vgpr0
	v_cmpx_lt_i16_e32 7, v9
	s_xor_b32 s12, exec_lo, s12
	;; [unrolled: 6-line block ×4, first 2 shown]
	s_cbranch_execz .LBB51_195
; %bb.194:                              ;   in Loop: Header=BB51_17 Depth=1
	flat_load_b64 v[2:3], v[2:3]
	s_wait_loadcnt_dscnt 0x0
	v_cvt_f32_f64_e32 v0, v[2:3]
                                        ; implicit-def: $vgpr2_vgpr3
.LBB51_195:                             ;   in Loop: Header=BB51_17 Depth=1
	s_wait_xcnt 0x0
	s_and_not1_saveexec_b32 s15, s15
	s_cbranch_execz .LBB51_197
; %bb.196:                              ;   in Loop: Header=BB51_17 Depth=1
	flat_load_b32 v0, v[2:3]
.LBB51_197:                             ;   in Loop: Header=BB51_17 Depth=1
	s_wait_xcnt 0x0
	s_or_b32 exec_lo, exec_lo, s15
                                        ; implicit-def: $vgpr2_vgpr3
.LBB51_198:                             ;   in Loop: Header=BB51_17 Depth=1
	s_and_not1_saveexec_b32 s14, s14
	s_cbranch_execz .LBB51_200
; %bb.199:                              ;   in Loop: Header=BB51_17 Depth=1
	s_wait_loadcnt_dscnt 0x0
	flat_load_b32 v0, v[2:3]
	s_wait_loadcnt_dscnt 0x0
	v_cvt_f32_f16_e32 v0, v0
.LBB51_200:                             ;   in Loop: Header=BB51_17 Depth=1
	s_wait_xcnt 0x0
	s_or_b32 exec_lo, exec_lo, s14
                                        ; implicit-def: $vgpr2_vgpr3
.LBB51_201:                             ;   in Loop: Header=BB51_17 Depth=1
	s_and_not1_saveexec_b32 s12, s12
	s_cbranch_execz .LBB51_211
; %bb.202:                              ;   in Loop: Header=BB51_17 Depth=1
	s_mov_b32 s14, exec_lo
                                        ; implicit-def: $vgpr0
	v_cmpx_lt_i16_e32 5, v9
	s_xor_b32 s14, exec_lo, s14
	s_cbranch_execz .LBB51_208
; %bb.203:                              ;   in Loop: Header=BB51_17 Depth=1
	s_mov_b32 s15, exec_lo
                                        ; implicit-def: $vgpr0
	v_cmpx_lt_i16_e32 6, v9
	s_xor_b32 s15, exec_lo, s15
	s_cbranch_execz .LBB51_205
; %bb.204:                              ;   in Loop: Header=BB51_17 Depth=1
	flat_load_b64 v[2:3], v[2:3]
	s_wait_loadcnt_dscnt 0x0
	v_cvt_f32_f64_e32 v0, v[2:3]
                                        ; implicit-def: $vgpr2_vgpr3
.LBB51_205:                             ;   in Loop: Header=BB51_17 Depth=1
	s_wait_xcnt 0x0
	s_and_not1_saveexec_b32 s15, s15
	s_cbranch_execz .LBB51_207
; %bb.206:                              ;   in Loop: Header=BB51_17 Depth=1
	s_wait_loadcnt_dscnt 0x0
	flat_load_b32 v0, v[2:3]
.LBB51_207:                             ;   in Loop: Header=BB51_17 Depth=1
	s_wait_xcnt 0x0
	s_or_b32 exec_lo, exec_lo, s15
                                        ; implicit-def: $vgpr2_vgpr3
.LBB51_208:                             ;   in Loop: Header=BB51_17 Depth=1
	s_and_not1_saveexec_b32 s14, s14
	s_cbranch_execz .LBB51_210
; %bb.209:                              ;   in Loop: Header=BB51_17 Depth=1
	s_wait_loadcnt_dscnt 0x0
	flat_load_u16 v0, v[2:3]
	s_wait_loadcnt_dscnt 0x0
	v_cvt_f32_f16_e32 v0, v0
.LBB51_210:                             ;   in Loop: Header=BB51_17 Depth=1
	s_wait_xcnt 0x0
	s_or_b32 exec_lo, exec_lo, s14
.LBB51_211:                             ;   in Loop: Header=BB51_17 Depth=1
	s_delay_alu instid0(SALU_CYCLE_1)
	s_or_b32 exec_lo, exec_lo, s12
                                        ; implicit-def: $vgpr2_vgpr3
.LBB51_212:                             ;   in Loop: Header=BB51_17 Depth=1
	s_and_not1_saveexec_b32 s9, s9
	s_cbranch_execz .LBB51_230
; %bb.213:                              ;   in Loop: Header=BB51_17 Depth=1
	s_mov_b32 s12, exec_lo
                                        ; implicit-def: $vgpr0
	v_cmpx_lt_i16_e32 1, v9
	s_xor_b32 s12, exec_lo, s12
	s_cbranch_execz .LBB51_223
; %bb.214:                              ;   in Loop: Header=BB51_17 Depth=1
	s_mov_b32 s14, exec_lo
                                        ; implicit-def: $vgpr0
	v_cmpx_lt_i16_e32 2, v9
	s_xor_b32 s14, exec_lo, s14
	;; [unrolled: 6-line block ×3, first 2 shown]
	s_cbranch_execz .LBB51_217
; %bb.216:                              ;   in Loop: Header=BB51_17 Depth=1
	flat_load_b64 v[2:3], v[2:3]
	s_wait_loadcnt_dscnt 0x0
	v_xor_b32_e32 v0, v2, v3
	v_cls_i32_e32 v19, v3
	s_delay_alu instid0(VALU_DEP_2) | instskip(NEXT) | instid1(VALU_DEP_1)
	v_ashrrev_i32_e32 v0, 31, v0
	v_add_nc_u32_e32 v0, 32, v0
	s_delay_alu instid0(VALU_DEP_1) | instskip(SKIP_1) | instid1(VALU_DEP_1)
	v_add_min_u32_e64 v0, v19, -1, v0
	s_wait_xcnt 0x0
	v_lshlrev_b64_e32 v[2:3], v0, v[2:3]
	v_sub_nc_u32_e32 v0, 32, v0
	s_delay_alu instid0(VALU_DEP_2) | instskip(NEXT) | instid1(VALU_DEP_1)
	v_min_u32_e32 v2, 1, v2
	v_or_b32_e32 v2, v3, v2
	s_delay_alu instid0(VALU_DEP_1) | instskip(NEXT) | instid1(VALU_DEP_1)
	v_cvt_f32_i32_e32 v2, v2
	v_ldexp_f32 v0, v2, v0
                                        ; implicit-def: $vgpr2_vgpr3
.LBB51_217:                             ;   in Loop: Header=BB51_17 Depth=1
	s_and_not1_saveexec_b32 s15, s15
	s_cbranch_execz .LBB51_219
; %bb.218:                              ;   in Loop: Header=BB51_17 Depth=1
	s_wait_loadcnt_dscnt 0x0
	flat_load_b32 v0, v[2:3]
	s_wait_loadcnt_dscnt 0x0
	v_cvt_f32_i32_e32 v0, v0
.LBB51_219:                             ;   in Loop: Header=BB51_17 Depth=1
	s_wait_xcnt 0x0
	s_or_b32 exec_lo, exec_lo, s15
                                        ; implicit-def: $vgpr2_vgpr3
.LBB51_220:                             ;   in Loop: Header=BB51_17 Depth=1
	s_and_not1_saveexec_b32 s14, s14
	s_cbranch_execz .LBB51_222
; %bb.221:                              ;   in Loop: Header=BB51_17 Depth=1
	s_wait_loadcnt_dscnt 0x0
	flat_load_i16 v0, v[2:3]
	s_wait_loadcnt_dscnt 0x0
	v_cvt_f32_i32_e32 v0, v0
.LBB51_222:                             ;   in Loop: Header=BB51_17 Depth=1
	s_wait_xcnt 0x0
	s_or_b32 exec_lo, exec_lo, s14
                                        ; implicit-def: $vgpr2_vgpr3
.LBB51_223:                             ;   in Loop: Header=BB51_17 Depth=1
	s_and_not1_saveexec_b32 s12, s12
	s_cbranch_execz .LBB51_229
; %bb.224:                              ;   in Loop: Header=BB51_17 Depth=1
	s_mov_b32 s14, exec_lo
                                        ; implicit-def: $vgpr0
	v_cmpx_lt_i16_e32 0, v9
	s_xor_b32 s14, exec_lo, s14
	s_cbranch_execz .LBB51_226
; %bb.225:                              ;   in Loop: Header=BB51_17 Depth=1
	s_wait_loadcnt_dscnt 0x0
	flat_load_i8 v0, v[2:3]
                                        ; implicit-def: $vgpr2_vgpr3
	s_wait_loadcnt_dscnt 0x0
	v_cvt_f32_i32_e32 v0, v0
.LBB51_226:                             ;   in Loop: Header=BB51_17 Depth=1
	s_wait_xcnt 0x0
	s_and_not1_saveexec_b32 s14, s14
	s_cbranch_execz .LBB51_228
; %bb.227:                              ;   in Loop: Header=BB51_17 Depth=1
	s_wait_loadcnt_dscnt 0x0
	flat_load_u8 v0, v[2:3]
	s_wait_loadcnt_dscnt 0x0
	v_cvt_f32_ubyte0_e32 v0, v0
.LBB51_228:                             ;   in Loop: Header=BB51_17 Depth=1
	s_wait_xcnt 0x0
	s_or_b32 exec_lo, exec_lo, s14
.LBB51_229:                             ;   in Loop: Header=BB51_17 Depth=1
	s_delay_alu instid0(SALU_CYCLE_1)
	s_or_b32 exec_lo, exec_lo, s12
.LBB51_230:                             ;   in Loop: Header=BB51_17 Depth=1
	s_delay_alu instid0(SALU_CYCLE_1) | instskip(NEXT) | instid1(SALU_CYCLE_1)
	s_or_b32 exec_lo, exec_lo, s9
	s_or_b32 s13, s13, exec_lo
.LBB51_231:                             ;   in Loop: Header=BB51_17 Depth=1
	s_or_b32 exec_lo, exec_lo, s8
	s_mov_b32 s8, -1
	s_mov_b32 s14, 0
	s_mov_b32 s9, 0
	s_and_saveexec_b32 s12, s13
	s_cbranch_execz .LBB51_237
; %bb.232:                              ;   in Loop: Header=BB51_17 Depth=1
	s_add_co_i32 s8, s33, s1
	s_mov_b32 s13, 0
	s_wait_loadcnt_dscnt 0x0
	scratch_store_b32 off, v0, s8 offset:12
	s_wait_xcnt 0x0
	v_mul_lo_u32 v0, v18, v12
	v_and_b32_e32 v18, 0xff, v10
	s_mov_b32 s9, exec_lo
	s_delay_alu instid0(VALU_DEP_2) | instskip(NEXT) | instid1(VALU_DEP_2)
	v_add_nc_u64_e32 v[2:3], v[6:7], v[0:1]
                                        ; implicit-def: $vgpr0
	v_cmpx_lt_i16_e32 10, v18
	s_xor_b32 s9, exec_lo, s9
	s_cbranch_execnz .LBB51_1894
; %bb.233:                              ;   in Loop: Header=BB51_17 Depth=1
	s_and_not1_saveexec_b32 s9, s9
	s_cbranch_execnz .LBB51_1953
.LBB51_234:                             ;   in Loop: Header=BB51_17 Depth=1
	s_or_b32 exec_lo, exec_lo, s9
	s_mov_b32 s14, 0
	s_and_saveexec_b32 s9, s13
	s_cbranch_execz .LBB51_236
.LBB51_235:                             ;   in Loop: Header=BB51_17 Depth=1
	v_add_nc_u32_e32 v16, 0x200, v16
	s_mov_b32 s14, exec_lo
	s_wait_loadcnt_dscnt 0x0
	scratch_store_b32 off, v0, s8 offset:8
.LBB51_236:                             ;   in Loop: Header=BB51_17 Depth=1
	s_wait_xcnt 0x0
	s_or_b32 exec_lo, exec_lo, s9
	s_delay_alu instid0(SALU_CYCLE_1)
	s_mov_b32 s9, exec_lo
	s_xor_b32 s8, exec_lo, -1
	s_and_b32 s14, s14, exec_lo
.LBB51_237:                             ;   in Loop: Header=BB51_17 Depth=1
	s_or_b32 exec_lo, exec_lo, s12
	s_delay_alu instid0(SALU_CYCLE_1)
	s_or_not1_b32 s12, s14, exec_lo
.LBB51_238:                             ;   in Loop: Header=BB51_17 Depth=1
	s_or_b32 exec_lo, exec_lo, s10
	s_and_saveexec_b32 s10, s12
	s_cbranch_execz .LBB51_15
; %bb.239:                              ;   in Loop: Header=BB51_17 Depth=1
	s_mov_b32 s14, -1
	s_mov_b32 s15, -1
	s_mov_b32 s13, exec_lo
                                        ; implicit-def: $sgpr11
                                        ; implicit-def: $sgpr12
	v_cmpx_lt_i32_e64 v16, v8
	s_cbranch_execz .LBB51_349
; %bb.240:                              ;   in Loop: Header=BB51_17 Depth=1
	v_add_nc_u32_e32 v18, s3, v16
	s_mov_b32 s16, 0
	s_mov_b32 s11, exec_lo
	s_wait_loadcnt_dscnt 0x0
	s_delay_alu instid0(VALU_DEP_1) | instskip(NEXT) | instid1(VALU_DEP_1)
	v_mul_lo_u32 v0, v18, v11
	v_add_nc_u64_e32 v[2:3], v[4:5], v[0:1]
                                        ; implicit-def: $vgpr0
	v_cmpx_lt_i16_e32 10, v9
	s_xor_b32 s11, exec_lo, s11
	s_cbranch_execz .LBB51_300
; %bb.241:                              ;   in Loop: Header=BB51_17 Depth=1
	s_mov_b32 s15, 0
	s_mov_b32 s12, exec_lo
                                        ; implicit-def: $vgpr0
	v_cmpx_lt_i16_e32 25, v9
	s_xor_b32 s12, exec_lo, s12
	s_cbranch_execz .LBB51_273
; %bb.242:                              ;   in Loop: Header=BB51_17 Depth=1
	s_mov_b32 s16, exec_lo
                                        ; implicit-def: $vgpr0
	v_cmpx_lt_i16_e32 28, v9
	s_xor_b32 s16, exec_lo, s16
	s_cbranch_execz .LBB51_258
; %bb.243:                              ;   in Loop: Header=BB51_17 Depth=1
	s_mov_b32 s17, 0
	s_mov_b32 s15, exec_lo
                                        ; implicit-def: $vgpr0
	v_cmpx_lt_i16_e32 43, v9
	s_xor_b32 s15, exec_lo, s15
	s_cbranch_execz .LBB51_253
; %bb.244:                              ;   in Loop: Header=BB51_17 Depth=1
	s_mov_b32 s18, exec_lo
                                        ; implicit-def: $vgpr0
	v_cmpx_lt_i16_e32 45, v9
	s_xor_b32 s18, exec_lo, s18
	s_cbranch_execz .LBB51_248
; %bb.245:                              ;   in Loop: Header=BB51_17 Depth=1
	s_mov_b32 s19, exec_lo
                                        ; implicit-def: $vgpr0
	v_cmpx_eq_u16_e32 46, v9
	s_cbranch_execz .LBB51_247
; %bb.246:                              ;   in Loop: Header=BB51_17 Depth=1
	flat_load_b32 v0, v[2:3]
	s_mov_b32 s17, exec_lo
	s_wait_loadcnt_dscnt 0x0
	v_lshlrev_b32_e32 v0, 16, v0
.LBB51_247:                             ;   in Loop: Header=BB51_17 Depth=1
	s_wait_xcnt 0x0
	s_or_b32 exec_lo, exec_lo, s19
	s_delay_alu instid0(SALU_CYCLE_1)
	s_and_b32 s17, s17, exec_lo
                                        ; implicit-def: $vgpr2_vgpr3
.LBB51_248:                             ;   in Loop: Header=BB51_17 Depth=1
	s_and_not1_saveexec_b32 s18, s18
	s_cbranch_execz .LBB51_252
; %bb.249:                              ;   in Loop: Header=BB51_17 Depth=1
	s_mov_b32 s20, s17
	s_mov_b32 s19, exec_lo
                                        ; implicit-def: $vgpr0
	v_cmpx_eq_u16_e32 44, v9
	s_cbranch_execz .LBB51_251
; %bb.250:                              ;   in Loop: Header=BB51_17 Depth=1
	flat_load_u8 v0, v[2:3]
	s_or_b32 s20, s17, exec_lo
	s_wait_loadcnt_dscnt 0x0
	v_lshlrev_b32_e32 v2, 23, v0
	v_cmp_ne_u32_e32 vcc_lo, 0xff, v0
	s_delay_alu instid0(VALU_DEP_2) | instskip(SKIP_1) | instid1(VALU_DEP_2)
	v_cndmask_b32_e32 v2, 0x7f800001, v2, vcc_lo
	v_cmp_ne_u32_e32 vcc_lo, 0, v0
	v_cndmask_b32_e32 v0, 0x400000, v2, vcc_lo
.LBB51_251:                             ;   in Loop: Header=BB51_17 Depth=1
	s_or_b32 exec_lo, exec_lo, s19
	s_delay_alu instid0(SALU_CYCLE_1) | instskip(SKIP_1) | instid1(SALU_CYCLE_1)
	s_and_not1_b32 s17, s17, exec_lo
	s_and_b32 s19, s20, exec_lo
	s_or_b32 s17, s17, s19
.LBB51_252:                             ;   in Loop: Header=BB51_17 Depth=1
	s_or_b32 exec_lo, exec_lo, s18
	s_delay_alu instid0(SALU_CYCLE_1)
	s_and_b32 s17, s17, exec_lo
                                        ; implicit-def: $vgpr2_vgpr3
.LBB51_253:                             ;   in Loop: Header=BB51_17 Depth=1
	s_and_not1_saveexec_b32 s15, s15
	s_cbranch_execz .LBB51_257
; %bb.254:                              ;   in Loop: Header=BB51_17 Depth=1
	s_mov_b32 s19, s17
	s_mov_b32 s18, exec_lo
                                        ; implicit-def: $vgpr0
	v_cmpx_eq_u16_e32 29, v9
	s_cbranch_execz .LBB51_256
; %bb.255:                              ;   in Loop: Header=BB51_17 Depth=1
	flat_load_b64 v[2:3], v[2:3]
	s_or_b32 s19, s17, exec_lo
	s_wait_loadcnt_dscnt 0x0
	v_clz_i32_u32_e32 v0, v3
	s_delay_alu instid0(VALU_DEP_1) | instskip(SKIP_1) | instid1(VALU_DEP_1)
	v_min_u32_e32 v0, 32, v0
	s_wait_xcnt 0x0
	v_lshlrev_b64_e32 v[2:3], v0, v[2:3]
	v_sub_nc_u32_e32 v0, 32, v0
	s_delay_alu instid0(VALU_DEP_2) | instskip(NEXT) | instid1(VALU_DEP_1)
	v_min_u32_e32 v2, 1, v2
	v_or_b32_e32 v2, v3, v2
	s_delay_alu instid0(VALU_DEP_1) | instskip(NEXT) | instid1(VALU_DEP_1)
	v_cvt_f32_u32_e32 v2, v2
	v_ldexp_f32 v0, v2, v0
.LBB51_256:                             ;   in Loop: Header=BB51_17 Depth=1
	s_or_b32 exec_lo, exec_lo, s18
	s_delay_alu instid0(SALU_CYCLE_1) | instskip(SKIP_1) | instid1(SALU_CYCLE_1)
	s_and_not1_b32 s17, s17, exec_lo
	s_and_b32 s18, s19, exec_lo
	s_or_b32 s17, s17, s18
.LBB51_257:                             ;   in Loop: Header=BB51_17 Depth=1
	s_or_b32 exec_lo, exec_lo, s15
	s_delay_alu instid0(SALU_CYCLE_1)
	s_and_b32 s15, s17, exec_lo
                                        ; implicit-def: $vgpr2_vgpr3
.LBB51_258:                             ;   in Loop: Header=BB51_17 Depth=1
	s_and_not1_saveexec_b32 s16, s16
	s_cbranch_execz .LBB51_272
; %bb.259:                              ;   in Loop: Header=BB51_17 Depth=1
	s_mov_b32 s17, exec_lo
                                        ; implicit-def: $vgpr0
	v_cmpx_lt_i16_e32 26, v9
	s_xor_b32 s17, exec_lo, s17
	s_cbranch_execz .LBB51_265
; %bb.260:                              ;   in Loop: Header=BB51_17 Depth=1
	s_mov_b32 s18, exec_lo
                                        ; implicit-def: $vgpr0
	v_cmpx_lt_i16_e32 27, v9
	s_xor_b32 s18, exec_lo, s18
	s_cbranch_execz .LBB51_262
; %bb.261:                              ;   in Loop: Header=BB51_17 Depth=1
	flat_load_b32 v0, v[2:3]
                                        ; implicit-def: $vgpr2_vgpr3
	s_wait_loadcnt_dscnt 0x0
	v_cvt_f32_u32_e32 v0, v0
.LBB51_262:                             ;   in Loop: Header=BB51_17 Depth=1
	s_wait_xcnt 0x0
	s_and_not1_saveexec_b32 s18, s18
	s_cbranch_execz .LBB51_264
; %bb.263:                              ;   in Loop: Header=BB51_17 Depth=1
	flat_load_u16 v0, v[2:3]
	s_wait_loadcnt_dscnt 0x0
	v_cvt_f32_u32_e32 v0, v0
.LBB51_264:                             ;   in Loop: Header=BB51_17 Depth=1
	s_wait_xcnt 0x0
	s_or_b32 exec_lo, exec_lo, s18
                                        ; implicit-def: $vgpr2_vgpr3
.LBB51_265:                             ;   in Loop: Header=BB51_17 Depth=1
	s_and_not1_saveexec_b32 s17, s17
	s_cbranch_execz .LBB51_271
; %bb.266:                              ;   in Loop: Header=BB51_17 Depth=1
	flat_load_u8 v2, v[2:3]
	s_mov_b32 s18, 0
	s_mov_b32 s19, exec_lo
	s_wait_loadcnt_dscnt 0x0
	v_cmpx_lt_i16_e32 0x7f, v2
	s_xor_b32 s19, exec_lo, s19
	s_cbranch_execnz .LBB51_2314
; %bb.267:                              ;   in Loop: Header=BB51_17 Depth=1
	s_or_saveexec_b32 s19, s19
	v_mov_b32_e32 v0, 0x7f800001
	s_xor_b32 exec_lo, exec_lo, s19
	s_cbranch_execnz .LBB51_2317
.LBB51_268:                             ;   in Loop: Header=BB51_17 Depth=1
	s_or_b32 exec_lo, exec_lo, s19
	s_and_saveexec_b32 s19, s18
	s_cbranch_execz .LBB51_270
.LBB51_269:                             ;   in Loop: Header=BB51_17 Depth=1
	v_and_b32_e32 v0, 0xffff, v2
	s_delay_alu instid0(VALU_DEP_1) | instskip(SKIP_1) | instid1(VALU_DEP_2)
	v_and_b32_e32 v3, 7, v0
	v_bfe_u32 v21, v0, 3, 4
	v_clz_i32_u32_e32 v19, v3
	s_delay_alu instid0(VALU_DEP_2) | instskip(NEXT) | instid1(VALU_DEP_2)
	v_cmp_eq_u32_e32 vcc_lo, 0, v21
	v_min_u32_e32 v19, 32, v19
	s_delay_alu instid0(VALU_DEP_1) | instskip(NEXT) | instid1(VALU_DEP_1)
	v_subrev_nc_u32_e32 v20, 28, v19
	v_dual_lshlrev_b32 v0, v20, v0 :: v_dual_sub_nc_u32 v19, 29, v19
	s_delay_alu instid0(VALU_DEP_1) | instskip(NEXT) | instid1(VALU_DEP_1)
	v_dual_lshlrev_b32 v2, 24, v2 :: v_dual_bitop2_b32 v0, 7, v0 bitop3:0x40
	v_dual_cndmask_b32 v19, v21, v19 :: v_dual_cndmask_b32 v0, v3, v0
	s_delay_alu instid0(VALU_DEP_2) | instskip(NEXT) | instid1(VALU_DEP_2)
	v_and_b32_e32 v2, 0x80000000, v2
	v_lshl_add_u32 v3, v19, 23, 0x3b800000
	s_delay_alu instid0(VALU_DEP_3) | instskip(NEXT) | instid1(VALU_DEP_1)
	v_lshlrev_b32_e32 v0, 20, v0
	v_or3_b32 v0, v2, v3, v0
.LBB51_270:                             ;   in Loop: Header=BB51_17 Depth=1
	s_or_b32 exec_lo, exec_lo, s19
.LBB51_271:                             ;   in Loop: Header=BB51_17 Depth=1
	s_delay_alu instid0(SALU_CYCLE_1) | instskip(NEXT) | instid1(SALU_CYCLE_1)
	s_or_b32 exec_lo, exec_lo, s17
	s_or_b32 s15, s15, exec_lo
.LBB51_272:                             ;   in Loop: Header=BB51_17 Depth=1
	s_or_b32 exec_lo, exec_lo, s16
	s_delay_alu instid0(SALU_CYCLE_1)
	s_and_b32 s15, s15, exec_lo
                                        ; implicit-def: $vgpr2_vgpr3
.LBB51_273:                             ;   in Loop: Header=BB51_17 Depth=1
	s_and_not1_saveexec_b32 s12, s12
	s_cbranch_execz .LBB51_299
; %bb.274:                              ;   in Loop: Header=BB51_17 Depth=1
	s_mov_b32 s17, s15
	s_mov_b32 s16, exec_lo
                                        ; implicit-def: $vgpr0
	v_cmpx_lt_i16_e32 22, v9
	s_xor_b32 s16, exec_lo, s16
	s_cbranch_execz .LBB51_288
; %bb.275:                              ;   in Loop: Header=BB51_17 Depth=1
	s_mov_b32 s17, exec_lo
                                        ; implicit-def: $vgpr0
	v_cmpx_lt_i16_e32 23, v9
	s_xor_b32 s17, exec_lo, s17
	s_cbranch_execz .LBB51_285
; %bb.276:                              ;   in Loop: Header=BB51_17 Depth=1
	;; [unrolled: 6-line block ×3, first 2 shown]
	flat_load_u8 v2, v[2:3]
	s_mov_b32 s19, 0
	s_mov_b32 s20, exec_lo
	s_wait_loadcnt_dscnt 0x0
	v_cmpx_lt_i16_e32 0x7f, v2
	s_xor_b32 s20, exec_lo, s20
	s_cbranch_execnz .LBB51_2426
; %bb.278:                              ;   in Loop: Header=BB51_17 Depth=1
	s_or_saveexec_b32 s20, s20
	v_mov_b32_e32 v0, 0x7f800001
	s_xor_b32 exec_lo, exec_lo, s20
	s_cbranch_execnz .LBB51_2429
.LBB51_279:                             ;   in Loop: Header=BB51_17 Depth=1
	s_or_b32 exec_lo, exec_lo, s20
	s_and_saveexec_b32 s20, s19
	s_cbranch_execz .LBB51_281
.LBB51_280:                             ;   in Loop: Header=BB51_17 Depth=1
	v_and_b32_e32 v0, 0xffff, v2
	s_delay_alu instid0(VALU_DEP_1) | instskip(SKIP_1) | instid1(VALU_DEP_2)
	v_and_b32_e32 v3, 3, v0
	v_bfe_u32 v21, v0, 2, 5
	v_clz_i32_u32_e32 v19, v3
	s_delay_alu instid0(VALU_DEP_2) | instskip(NEXT) | instid1(VALU_DEP_2)
	v_cmp_eq_u32_e32 vcc_lo, 0, v21
	v_min_u32_e32 v19, 32, v19
	s_delay_alu instid0(VALU_DEP_1) | instskip(NEXT) | instid1(VALU_DEP_1)
	v_subrev_nc_u32_e32 v20, 29, v19
	v_dual_lshlrev_b32 v0, v20, v0 :: v_dual_sub_nc_u32 v19, 30, v19
	s_delay_alu instid0(VALU_DEP_1) | instskip(NEXT) | instid1(VALU_DEP_1)
	v_dual_lshlrev_b32 v2, 24, v2 :: v_dual_bitop2_b32 v0, 3, v0 bitop3:0x40
	v_dual_cndmask_b32 v19, v21, v19 :: v_dual_cndmask_b32 v0, v3, v0
	s_delay_alu instid0(VALU_DEP_2) | instskip(NEXT) | instid1(VALU_DEP_2)
	v_and_b32_e32 v2, 0x80000000, v2
	v_lshl_add_u32 v3, v19, 23, 0x37800000
	s_delay_alu instid0(VALU_DEP_3) | instskip(NEXT) | instid1(VALU_DEP_1)
	v_lshlrev_b32_e32 v0, 21, v0
	v_or3_b32 v0, v2, v3, v0
.LBB51_281:                             ;   in Loop: Header=BB51_17 Depth=1
	s_or_b32 exec_lo, exec_lo, s20
                                        ; implicit-def: $vgpr2_vgpr3
.LBB51_282:                             ;   in Loop: Header=BB51_17 Depth=1
	s_and_not1_saveexec_b32 s18, s18
	s_cbranch_execz .LBB51_284
; %bb.283:                              ;   in Loop: Header=BB51_17 Depth=1
	flat_load_u8 v0, v[2:3]
	s_wait_loadcnt_dscnt 0x0
	v_lshlrev_b32_e32 v0, 24, v0
	s_wait_xcnt 0x0
	s_delay_alu instid0(VALU_DEP_1) | instskip(NEXT) | instid1(VALU_DEP_1)
	v_and_b32_e32 v2, 0x7f000000, v0
	v_clz_i32_u32_e32 v3, v2
	v_add_nc_u32_e32 v20, 0x1000000, v2
	v_cmp_ne_u32_e32 vcc_lo, 0, v2
	s_delay_alu instid0(VALU_DEP_3) | instskip(NEXT) | instid1(VALU_DEP_1)
	v_min_u32_e32 v3, 32, v3
	v_sub_nc_u32_e64 v3, v3, 4 clamp
	s_delay_alu instid0(VALU_DEP_1) | instskip(NEXT) | instid1(VALU_DEP_1)
	v_dual_lshlrev_b32 v19, v3, v2 :: v_dual_lshlrev_b32 v3, 23, v3
	v_lshrrev_b32_e32 v19, 4, v19
	s_delay_alu instid0(VALU_DEP_1) | instskip(NEXT) | instid1(VALU_DEP_1)
	v_dual_sub_nc_u32 v3, v19, v3 :: v_dual_ashrrev_i32 v19, 8, v20
	v_add_nc_u32_e32 v3, 0x3c000000, v3
	s_delay_alu instid0(VALU_DEP_1) | instskip(NEXT) | instid1(VALU_DEP_1)
	v_and_or_b32 v3, 0x7f800000, v19, v3
	v_cndmask_b32_e32 v2, 0, v3, vcc_lo
	s_delay_alu instid0(VALU_DEP_1)
	v_and_or_b32 v0, 0x80000000, v0, v2
.LBB51_284:                             ;   in Loop: Header=BB51_17 Depth=1
	s_or_b32 exec_lo, exec_lo, s18
                                        ; implicit-def: $vgpr2_vgpr3
.LBB51_285:                             ;   in Loop: Header=BB51_17 Depth=1
	s_and_not1_saveexec_b32 s17, s17
	s_cbranch_execz .LBB51_287
; %bb.286:                              ;   in Loop: Header=BB51_17 Depth=1
	flat_load_u8 v0, v[2:3]
	s_wait_loadcnt_dscnt 0x0
	v_lshlrev_b32_e32 v2, 25, v0
	v_lshlrev_b16 v0, 8, v0
	s_delay_alu instid0(VALU_DEP_1) | instskip(SKIP_1) | instid1(VALU_DEP_2)
	v_and_or_b32 v19, 0x7f00, v0, 0.5
	v_bfe_i32 v0, v0, 0, 16
	v_dual_add_f32 v19, -0.5, v19 :: v_dual_lshrrev_b32 v3, 4, v2
	v_cmp_gt_u32_e32 vcc_lo, 0x8000000, v2
	s_delay_alu instid0(VALU_DEP_2) | instskip(NEXT) | instid1(VALU_DEP_1)
	v_or_b32_e32 v3, 0x70000000, v3
	v_mul_f32_e32 v3, 0x7800000, v3
	s_delay_alu instid0(VALU_DEP_1) | instskip(NEXT) | instid1(VALU_DEP_1)
	v_cndmask_b32_e32 v2, v3, v19, vcc_lo
	v_and_or_b32 v0, 0x80000000, v0, v2
.LBB51_287:                             ;   in Loop: Header=BB51_17 Depth=1
	s_or_b32 exec_lo, exec_lo, s17
	s_delay_alu instid0(SALU_CYCLE_1)
	s_or_b32 s17, s15, exec_lo
                                        ; implicit-def: $vgpr2_vgpr3
.LBB51_288:                             ;   in Loop: Header=BB51_17 Depth=1
	s_and_not1_saveexec_b32 s16, s16
	s_cbranch_execz .LBB51_298
; %bb.289:                              ;   in Loop: Header=BB51_17 Depth=1
	s_mov_b32 s18, s17
	s_mov_b32 s19, exec_lo
                                        ; implicit-def: $vgpr0
	v_cmpx_lt_i16_e32 14, v9
	s_xor_b32 s19, exec_lo, s19
	s_cbranch_execz .LBB51_293
; %bb.290:                              ;   in Loop: Header=BB51_17 Depth=1
	s_mov_b32 s18, s17
	s_mov_b32 s20, exec_lo
                                        ; implicit-def: $vgpr0
	v_cmpx_eq_u16_e32 15, v9
	s_cbranch_execz .LBB51_292
; %bb.291:                              ;   in Loop: Header=BB51_17 Depth=1
	flat_load_u16 v0, v[2:3]
	s_or_b32 s18, s17, exec_lo
	s_wait_loadcnt_dscnt 0x0
	v_lshlrev_b32_e32 v0, 16, v0
.LBB51_292:                             ;   in Loop: Header=BB51_17 Depth=1
	s_wait_xcnt 0x0
	s_or_b32 exec_lo, exec_lo, s20
	s_delay_alu instid0(SALU_CYCLE_1) | instskip(SKIP_1) | instid1(SALU_CYCLE_1)
	s_and_not1_b32 s20, s17, exec_lo
	s_and_b32 s18, s18, exec_lo
                                        ; implicit-def: $vgpr2_vgpr3
	s_or_b32 s18, s20, s18
.LBB51_293:                             ;   in Loop: Header=BB51_17 Depth=1
	s_and_not1_saveexec_b32 s19, s19
	s_cbranch_execz .LBB51_297
; %bb.294:                              ;   in Loop: Header=BB51_17 Depth=1
	s_mov_b32 s20, s18
	s_mov_b32 s21, exec_lo
                                        ; implicit-def: $vgpr0
	v_cmpx_eq_u16_e32 11, v9
	s_cbranch_execz .LBB51_296
; %bb.295:                              ;   in Loop: Header=BB51_17 Depth=1
	flat_load_u8 v0, v[2:3]
	s_or_b32 s20, s18, exec_lo
	s_wait_loadcnt_dscnt 0x0
	v_cmp_ne_u16_e32 vcc_lo, 0, v0
	v_cndmask_b32_e64 v0, 0, 1.0, vcc_lo
.LBB51_296:                             ;   in Loop: Header=BB51_17 Depth=1
	s_wait_xcnt 0x0
	s_or_b32 exec_lo, exec_lo, s21
	s_delay_alu instid0(SALU_CYCLE_1) | instskip(SKIP_1) | instid1(SALU_CYCLE_1)
	s_and_not1_b32 s18, s18, exec_lo
	s_and_b32 s20, s20, exec_lo
	s_or_b32 s18, s18, s20
.LBB51_297:                             ;   in Loop: Header=BB51_17 Depth=1
	s_or_b32 exec_lo, exec_lo, s19
	s_delay_alu instid0(SALU_CYCLE_1) | instskip(SKIP_1) | instid1(SALU_CYCLE_1)
	s_and_not1_b32 s17, s17, exec_lo
	s_and_b32 s18, s18, exec_lo
	s_or_b32 s17, s17, s18
.LBB51_298:                             ;   in Loop: Header=BB51_17 Depth=1
	s_or_b32 exec_lo, exec_lo, s16
	s_delay_alu instid0(SALU_CYCLE_1) | instskip(SKIP_1) | instid1(SALU_CYCLE_1)
	s_and_not1_b32 s15, s15, exec_lo
	s_and_b32 s16, s17, exec_lo
	s_or_b32 s15, s15, s16
.LBB51_299:                             ;   in Loop: Header=BB51_17 Depth=1
	s_or_b32 exec_lo, exec_lo, s12
	s_delay_alu instid0(SALU_CYCLE_1)
	s_and_b32 s16, s15, exec_lo
                                        ; implicit-def: $vgpr2_vgpr3
.LBB51_300:                             ;   in Loop: Header=BB51_17 Depth=1
	s_and_not1_saveexec_b32 s11, s11
	s_cbranch_execz .LBB51_342
; %bb.301:                              ;   in Loop: Header=BB51_17 Depth=1
	s_mov_b32 s12, exec_lo
                                        ; implicit-def: $vgpr0
	v_cmpx_lt_i16_e32 4, v9
	s_xor_b32 s12, exec_lo, s12
	s_cbranch_execz .LBB51_323
; %bb.302:                              ;   in Loop: Header=BB51_17 Depth=1
	s_mov_b32 s15, exec_lo
                                        ; implicit-def: $vgpr0
	v_cmpx_lt_i16_e32 7, v9
	s_xor_b32 s15, exec_lo, s15
	;; [unrolled: 6-line block ×4, first 2 shown]
	s_cbranch_execz .LBB51_306
; %bb.305:                              ;   in Loop: Header=BB51_17 Depth=1
	flat_load_b64 v[2:3], v[2:3]
	s_wait_loadcnt_dscnt 0x0
	v_cvt_f32_f64_e32 v0, v[2:3]
                                        ; implicit-def: $vgpr2_vgpr3
.LBB51_306:                             ;   in Loop: Header=BB51_17 Depth=1
	s_wait_xcnt 0x0
	s_and_not1_saveexec_b32 s18, s18
	s_cbranch_execz .LBB51_308
; %bb.307:                              ;   in Loop: Header=BB51_17 Depth=1
	flat_load_b32 v0, v[2:3]
.LBB51_308:                             ;   in Loop: Header=BB51_17 Depth=1
	s_wait_xcnt 0x0
	s_or_b32 exec_lo, exec_lo, s18
                                        ; implicit-def: $vgpr2_vgpr3
.LBB51_309:                             ;   in Loop: Header=BB51_17 Depth=1
	s_and_not1_saveexec_b32 s17, s17
	s_cbranch_execz .LBB51_311
; %bb.310:                              ;   in Loop: Header=BB51_17 Depth=1
	s_wait_loadcnt_dscnt 0x0
	flat_load_b32 v0, v[2:3]
	s_wait_loadcnt_dscnt 0x0
	v_cvt_f32_f16_e32 v0, v0
.LBB51_311:                             ;   in Loop: Header=BB51_17 Depth=1
	s_wait_xcnt 0x0
	s_or_b32 exec_lo, exec_lo, s17
                                        ; implicit-def: $vgpr2_vgpr3
.LBB51_312:                             ;   in Loop: Header=BB51_17 Depth=1
	s_and_not1_saveexec_b32 s15, s15
	s_cbranch_execz .LBB51_322
; %bb.313:                              ;   in Loop: Header=BB51_17 Depth=1
	s_mov_b32 s17, exec_lo
                                        ; implicit-def: $vgpr0
	v_cmpx_lt_i16_e32 5, v9
	s_xor_b32 s17, exec_lo, s17
	s_cbranch_execz .LBB51_319
; %bb.314:                              ;   in Loop: Header=BB51_17 Depth=1
	s_mov_b32 s18, exec_lo
                                        ; implicit-def: $vgpr0
	v_cmpx_lt_i16_e32 6, v9
	s_xor_b32 s18, exec_lo, s18
	s_cbranch_execz .LBB51_316
; %bb.315:                              ;   in Loop: Header=BB51_17 Depth=1
	flat_load_b64 v[2:3], v[2:3]
	s_wait_loadcnt_dscnt 0x0
	v_cvt_f32_f64_e32 v0, v[2:3]
                                        ; implicit-def: $vgpr2_vgpr3
.LBB51_316:                             ;   in Loop: Header=BB51_17 Depth=1
	s_wait_xcnt 0x0
	s_and_not1_saveexec_b32 s18, s18
	s_cbranch_execz .LBB51_318
; %bb.317:                              ;   in Loop: Header=BB51_17 Depth=1
	s_wait_loadcnt_dscnt 0x0
	flat_load_b32 v0, v[2:3]
.LBB51_318:                             ;   in Loop: Header=BB51_17 Depth=1
	s_wait_xcnt 0x0
	s_or_b32 exec_lo, exec_lo, s18
                                        ; implicit-def: $vgpr2_vgpr3
.LBB51_319:                             ;   in Loop: Header=BB51_17 Depth=1
	s_and_not1_saveexec_b32 s17, s17
	s_cbranch_execz .LBB51_321
; %bb.320:                              ;   in Loop: Header=BB51_17 Depth=1
	s_wait_loadcnt_dscnt 0x0
	flat_load_u16 v0, v[2:3]
	s_wait_loadcnt_dscnt 0x0
	v_cvt_f32_f16_e32 v0, v0
.LBB51_321:                             ;   in Loop: Header=BB51_17 Depth=1
	s_wait_xcnt 0x0
	s_or_b32 exec_lo, exec_lo, s17
.LBB51_322:                             ;   in Loop: Header=BB51_17 Depth=1
	s_delay_alu instid0(SALU_CYCLE_1)
	s_or_b32 exec_lo, exec_lo, s15
                                        ; implicit-def: $vgpr2_vgpr3
.LBB51_323:                             ;   in Loop: Header=BB51_17 Depth=1
	s_and_not1_saveexec_b32 s12, s12
	s_cbranch_execz .LBB51_341
; %bb.324:                              ;   in Loop: Header=BB51_17 Depth=1
	s_mov_b32 s15, exec_lo
                                        ; implicit-def: $vgpr0
	v_cmpx_lt_i16_e32 1, v9
	s_xor_b32 s15, exec_lo, s15
	s_cbranch_execz .LBB51_334
; %bb.325:                              ;   in Loop: Header=BB51_17 Depth=1
	s_mov_b32 s17, exec_lo
                                        ; implicit-def: $vgpr0
	v_cmpx_lt_i16_e32 2, v9
	s_xor_b32 s17, exec_lo, s17
	;; [unrolled: 6-line block ×3, first 2 shown]
	s_cbranch_execz .LBB51_328
; %bb.327:                              ;   in Loop: Header=BB51_17 Depth=1
	flat_load_b64 v[2:3], v[2:3]
	s_wait_loadcnt_dscnt 0x0
	v_xor_b32_e32 v0, v2, v3
	v_cls_i32_e32 v19, v3
	s_delay_alu instid0(VALU_DEP_2) | instskip(NEXT) | instid1(VALU_DEP_1)
	v_ashrrev_i32_e32 v0, 31, v0
	v_add_nc_u32_e32 v0, 32, v0
	s_delay_alu instid0(VALU_DEP_1) | instskip(SKIP_1) | instid1(VALU_DEP_1)
	v_add_min_u32_e64 v0, v19, -1, v0
	s_wait_xcnt 0x0
	v_lshlrev_b64_e32 v[2:3], v0, v[2:3]
	v_sub_nc_u32_e32 v0, 32, v0
	s_delay_alu instid0(VALU_DEP_2) | instskip(NEXT) | instid1(VALU_DEP_1)
	v_min_u32_e32 v2, 1, v2
	v_or_b32_e32 v2, v3, v2
	s_delay_alu instid0(VALU_DEP_1) | instskip(NEXT) | instid1(VALU_DEP_1)
	v_cvt_f32_i32_e32 v2, v2
	v_ldexp_f32 v0, v2, v0
                                        ; implicit-def: $vgpr2_vgpr3
.LBB51_328:                             ;   in Loop: Header=BB51_17 Depth=1
	s_and_not1_saveexec_b32 s18, s18
	s_cbranch_execz .LBB51_330
; %bb.329:                              ;   in Loop: Header=BB51_17 Depth=1
	s_wait_loadcnt_dscnt 0x0
	flat_load_b32 v0, v[2:3]
	s_wait_loadcnt_dscnt 0x0
	v_cvt_f32_i32_e32 v0, v0
.LBB51_330:                             ;   in Loop: Header=BB51_17 Depth=1
	s_wait_xcnt 0x0
	s_or_b32 exec_lo, exec_lo, s18
                                        ; implicit-def: $vgpr2_vgpr3
.LBB51_331:                             ;   in Loop: Header=BB51_17 Depth=1
	s_and_not1_saveexec_b32 s17, s17
	s_cbranch_execz .LBB51_333
; %bb.332:                              ;   in Loop: Header=BB51_17 Depth=1
	s_wait_loadcnt_dscnt 0x0
	flat_load_i16 v0, v[2:3]
	s_wait_loadcnt_dscnt 0x0
	v_cvt_f32_i32_e32 v0, v0
.LBB51_333:                             ;   in Loop: Header=BB51_17 Depth=1
	s_wait_xcnt 0x0
	s_or_b32 exec_lo, exec_lo, s17
                                        ; implicit-def: $vgpr2_vgpr3
.LBB51_334:                             ;   in Loop: Header=BB51_17 Depth=1
	s_and_not1_saveexec_b32 s15, s15
	s_cbranch_execz .LBB51_340
; %bb.335:                              ;   in Loop: Header=BB51_17 Depth=1
	s_mov_b32 s17, exec_lo
                                        ; implicit-def: $vgpr0
	v_cmpx_lt_i16_e32 0, v9
	s_xor_b32 s17, exec_lo, s17
	s_cbranch_execz .LBB51_337
; %bb.336:                              ;   in Loop: Header=BB51_17 Depth=1
	s_wait_loadcnt_dscnt 0x0
	flat_load_i8 v0, v[2:3]
                                        ; implicit-def: $vgpr2_vgpr3
	s_wait_loadcnt_dscnt 0x0
	v_cvt_f32_i32_e32 v0, v0
.LBB51_337:                             ;   in Loop: Header=BB51_17 Depth=1
	s_wait_xcnt 0x0
	s_and_not1_saveexec_b32 s17, s17
	s_cbranch_execz .LBB51_339
; %bb.338:                              ;   in Loop: Header=BB51_17 Depth=1
	s_wait_loadcnt_dscnt 0x0
	flat_load_u8 v0, v[2:3]
	s_wait_loadcnt_dscnt 0x0
	v_cvt_f32_ubyte0_e32 v0, v0
.LBB51_339:                             ;   in Loop: Header=BB51_17 Depth=1
	s_wait_xcnt 0x0
	s_or_b32 exec_lo, exec_lo, s17
.LBB51_340:                             ;   in Loop: Header=BB51_17 Depth=1
	s_delay_alu instid0(SALU_CYCLE_1)
	s_or_b32 exec_lo, exec_lo, s15
.LBB51_341:                             ;   in Loop: Header=BB51_17 Depth=1
	s_delay_alu instid0(SALU_CYCLE_1) | instskip(NEXT) | instid1(SALU_CYCLE_1)
	s_or_b32 exec_lo, exec_lo, s12
	s_or_b32 s16, s16, exec_lo
.LBB51_342:                             ;   in Loop: Header=BB51_17 Depth=1
	s_or_b32 exec_lo, exec_lo, s11
	s_mov_b32 s11, -1
	s_mov_b32 s17, 0
	s_mov_b32 s12, 0
	s_and_saveexec_b32 s15, s16
	s_cbranch_execz .LBB51_348
; %bb.343:                              ;   in Loop: Header=BB51_17 Depth=1
	s_add_co_i32 s11, s33, s1
	s_mov_b32 s16, 0
	s_wait_loadcnt_dscnt 0x0
	scratch_store_b32 off, v0, s11 offset:20
	s_wait_xcnt 0x0
	v_mul_lo_u32 v0, v18, v12
	v_and_b32_e32 v18, 0xff, v10
	s_mov_b32 s12, exec_lo
	s_delay_alu instid0(VALU_DEP_2) | instskip(NEXT) | instid1(VALU_DEP_2)
	v_add_nc_u64_e32 v[2:3], v[6:7], v[0:1]
                                        ; implicit-def: $vgpr0
	v_cmpx_lt_i16_e32 10, v18
	s_xor_b32 s12, exec_lo, s12
	s_cbranch_execnz .LBB51_1994
; %bb.344:                              ;   in Loop: Header=BB51_17 Depth=1
	s_and_not1_saveexec_b32 s12, s12
	s_cbranch_execnz .LBB51_2053
.LBB51_345:                             ;   in Loop: Header=BB51_17 Depth=1
	s_or_b32 exec_lo, exec_lo, s12
	s_mov_b32 s17, 0
	s_and_saveexec_b32 s12, s16
	s_cbranch_execz .LBB51_347
.LBB51_346:                             ;   in Loop: Header=BB51_17 Depth=1
	v_add_nc_u32_e32 v16, 0x200, v16
	s_mov_b32 s17, exec_lo
	s_wait_loadcnt_dscnt 0x0
	scratch_store_b32 off, v0, s11 offset:16
.LBB51_347:                             ;   in Loop: Header=BB51_17 Depth=1
	s_wait_xcnt 0x0
	s_or_b32 exec_lo, exec_lo, s12
	s_delay_alu instid0(SALU_CYCLE_1)
	s_mov_b32 s12, exec_lo
	s_xor_b32 s11, exec_lo, -1
	s_and_b32 s17, s17, exec_lo
.LBB51_348:                             ;   in Loop: Header=BB51_17 Depth=1
	s_or_b32 exec_lo, exec_lo, s15
	s_delay_alu instid0(SALU_CYCLE_1)
	s_or_not1_b32 s15, s17, exec_lo
.LBB51_349:                             ;   in Loop: Header=BB51_17 Depth=1
	s_or_b32 exec_lo, exec_lo, s13
	s_and_saveexec_b32 s13, s15
	s_cbranch_execz .LBB51_14
; %bb.350:                              ;   in Loop: Header=BB51_17 Depth=1
	s_mov_b32 s17, -1
	s_mov_b32 s18, -1
	s_mov_b32 s16, exec_lo
                                        ; implicit-def: $sgpr14
                                        ; implicit-def: $sgpr15
	v_cmpx_lt_i32_e64 v16, v8
	s_cbranch_execz .LBB51_460
; %bb.351:                              ;   in Loop: Header=BB51_17 Depth=1
	v_add_nc_u32_e32 v18, s3, v16
	s_mov_b32 s19, 0
	s_mov_b32 s14, exec_lo
	s_wait_loadcnt_dscnt 0x0
	s_delay_alu instid0(VALU_DEP_1) | instskip(NEXT) | instid1(VALU_DEP_1)
	v_mul_lo_u32 v0, v18, v11
	v_add_nc_u64_e32 v[2:3], v[4:5], v[0:1]
                                        ; implicit-def: $vgpr0
	v_cmpx_lt_i16_e32 10, v9
	s_xor_b32 s14, exec_lo, s14
	s_cbranch_execz .LBB51_411
; %bb.352:                              ;   in Loop: Header=BB51_17 Depth=1
	s_mov_b32 s18, 0
	s_mov_b32 s15, exec_lo
                                        ; implicit-def: $vgpr0
	v_cmpx_lt_i16_e32 25, v9
	s_xor_b32 s15, exec_lo, s15
	s_cbranch_execz .LBB51_384
; %bb.353:                              ;   in Loop: Header=BB51_17 Depth=1
	s_mov_b32 s19, exec_lo
                                        ; implicit-def: $vgpr0
	v_cmpx_lt_i16_e32 28, v9
	s_xor_b32 s19, exec_lo, s19
	s_cbranch_execz .LBB51_369
; %bb.354:                              ;   in Loop: Header=BB51_17 Depth=1
	s_mov_b32 s20, 0
	s_mov_b32 s18, exec_lo
                                        ; implicit-def: $vgpr0
	v_cmpx_lt_i16_e32 43, v9
	s_xor_b32 s18, exec_lo, s18
	s_cbranch_execz .LBB51_364
; %bb.355:                              ;   in Loop: Header=BB51_17 Depth=1
	s_mov_b32 s21, exec_lo
                                        ; implicit-def: $vgpr0
	v_cmpx_lt_i16_e32 45, v9
	s_xor_b32 s21, exec_lo, s21
	s_cbranch_execz .LBB51_359
; %bb.356:                              ;   in Loop: Header=BB51_17 Depth=1
	s_mov_b32 s22, exec_lo
                                        ; implicit-def: $vgpr0
	v_cmpx_eq_u16_e32 46, v9
	s_cbranch_execz .LBB51_358
; %bb.357:                              ;   in Loop: Header=BB51_17 Depth=1
	flat_load_b32 v0, v[2:3]
	s_mov_b32 s20, exec_lo
	s_wait_loadcnt_dscnt 0x0
	v_lshlrev_b32_e32 v0, 16, v0
.LBB51_358:                             ;   in Loop: Header=BB51_17 Depth=1
	s_wait_xcnt 0x0
	s_or_b32 exec_lo, exec_lo, s22
	s_delay_alu instid0(SALU_CYCLE_1)
	s_and_b32 s20, s20, exec_lo
                                        ; implicit-def: $vgpr2_vgpr3
.LBB51_359:                             ;   in Loop: Header=BB51_17 Depth=1
	s_and_not1_saveexec_b32 s21, s21
	s_cbranch_execz .LBB51_363
; %bb.360:                              ;   in Loop: Header=BB51_17 Depth=1
	s_mov_b32 s23, s20
	s_mov_b32 s22, exec_lo
                                        ; implicit-def: $vgpr0
	v_cmpx_eq_u16_e32 44, v9
	s_cbranch_execz .LBB51_362
; %bb.361:                              ;   in Loop: Header=BB51_17 Depth=1
	flat_load_u8 v0, v[2:3]
	s_or_b32 s23, s20, exec_lo
	s_wait_loadcnt_dscnt 0x0
	v_lshlrev_b32_e32 v2, 23, v0
	v_cmp_ne_u32_e32 vcc_lo, 0xff, v0
	s_delay_alu instid0(VALU_DEP_2) | instskip(SKIP_1) | instid1(VALU_DEP_2)
	v_cndmask_b32_e32 v2, 0x7f800001, v2, vcc_lo
	v_cmp_ne_u32_e32 vcc_lo, 0, v0
	v_cndmask_b32_e32 v0, 0x400000, v2, vcc_lo
.LBB51_362:                             ;   in Loop: Header=BB51_17 Depth=1
	s_or_b32 exec_lo, exec_lo, s22
	s_delay_alu instid0(SALU_CYCLE_1) | instskip(SKIP_1) | instid1(SALU_CYCLE_1)
	s_and_not1_b32 s20, s20, exec_lo
	s_and_b32 s22, s23, exec_lo
	s_or_b32 s20, s20, s22
.LBB51_363:                             ;   in Loop: Header=BB51_17 Depth=1
	s_or_b32 exec_lo, exec_lo, s21
	s_delay_alu instid0(SALU_CYCLE_1)
	s_and_b32 s20, s20, exec_lo
                                        ; implicit-def: $vgpr2_vgpr3
.LBB51_364:                             ;   in Loop: Header=BB51_17 Depth=1
	s_and_not1_saveexec_b32 s18, s18
	s_cbranch_execz .LBB51_368
; %bb.365:                              ;   in Loop: Header=BB51_17 Depth=1
	s_mov_b32 s22, s20
	s_mov_b32 s21, exec_lo
                                        ; implicit-def: $vgpr0
	v_cmpx_eq_u16_e32 29, v9
	s_cbranch_execz .LBB51_367
; %bb.366:                              ;   in Loop: Header=BB51_17 Depth=1
	flat_load_b64 v[2:3], v[2:3]
	s_or_b32 s22, s20, exec_lo
	s_wait_loadcnt_dscnt 0x0
	v_clz_i32_u32_e32 v0, v3
	s_delay_alu instid0(VALU_DEP_1) | instskip(SKIP_1) | instid1(VALU_DEP_1)
	v_min_u32_e32 v0, 32, v0
	s_wait_xcnt 0x0
	v_lshlrev_b64_e32 v[2:3], v0, v[2:3]
	v_sub_nc_u32_e32 v0, 32, v0
	s_delay_alu instid0(VALU_DEP_2) | instskip(NEXT) | instid1(VALU_DEP_1)
	v_min_u32_e32 v2, 1, v2
	v_or_b32_e32 v2, v3, v2
	s_delay_alu instid0(VALU_DEP_1) | instskip(NEXT) | instid1(VALU_DEP_1)
	v_cvt_f32_u32_e32 v2, v2
	v_ldexp_f32 v0, v2, v0
.LBB51_367:                             ;   in Loop: Header=BB51_17 Depth=1
	s_or_b32 exec_lo, exec_lo, s21
	s_delay_alu instid0(SALU_CYCLE_1) | instskip(SKIP_1) | instid1(SALU_CYCLE_1)
	s_and_not1_b32 s20, s20, exec_lo
	s_and_b32 s21, s22, exec_lo
	s_or_b32 s20, s20, s21
.LBB51_368:                             ;   in Loop: Header=BB51_17 Depth=1
	s_or_b32 exec_lo, exec_lo, s18
	s_delay_alu instid0(SALU_CYCLE_1)
	s_and_b32 s18, s20, exec_lo
                                        ; implicit-def: $vgpr2_vgpr3
.LBB51_369:                             ;   in Loop: Header=BB51_17 Depth=1
	s_and_not1_saveexec_b32 s19, s19
	s_cbranch_execz .LBB51_383
; %bb.370:                              ;   in Loop: Header=BB51_17 Depth=1
	s_mov_b32 s20, exec_lo
                                        ; implicit-def: $vgpr0
	v_cmpx_lt_i16_e32 26, v9
	s_xor_b32 s20, exec_lo, s20
	s_cbranch_execz .LBB51_376
; %bb.371:                              ;   in Loop: Header=BB51_17 Depth=1
	s_mov_b32 s21, exec_lo
                                        ; implicit-def: $vgpr0
	v_cmpx_lt_i16_e32 27, v9
	s_xor_b32 s21, exec_lo, s21
	s_cbranch_execz .LBB51_373
; %bb.372:                              ;   in Loop: Header=BB51_17 Depth=1
	flat_load_b32 v0, v[2:3]
                                        ; implicit-def: $vgpr2_vgpr3
	s_wait_loadcnt_dscnt 0x0
	v_cvt_f32_u32_e32 v0, v0
.LBB51_373:                             ;   in Loop: Header=BB51_17 Depth=1
	s_wait_xcnt 0x0
	s_and_not1_saveexec_b32 s21, s21
	s_cbranch_execz .LBB51_375
; %bb.374:                              ;   in Loop: Header=BB51_17 Depth=1
	flat_load_u16 v0, v[2:3]
	s_wait_loadcnt_dscnt 0x0
	v_cvt_f32_u32_e32 v0, v0
.LBB51_375:                             ;   in Loop: Header=BB51_17 Depth=1
	s_wait_xcnt 0x0
	s_or_b32 exec_lo, exec_lo, s21
                                        ; implicit-def: $vgpr2_vgpr3
.LBB51_376:                             ;   in Loop: Header=BB51_17 Depth=1
	s_and_not1_saveexec_b32 s20, s20
	s_cbranch_execz .LBB51_382
; %bb.377:                              ;   in Loop: Header=BB51_17 Depth=1
	flat_load_u8 v2, v[2:3]
	s_mov_b32 s21, 0
	s_mov_b32 s22, exec_lo
	s_wait_loadcnt_dscnt 0x0
	v_cmpx_lt_i16_e32 0x7f, v2
	s_xor_b32 s22, exec_lo, s22
	s_cbranch_execnz .LBB51_2430
; %bb.378:                              ;   in Loop: Header=BB51_17 Depth=1
	s_or_saveexec_b32 s22, s22
	v_mov_b32_e32 v0, 0x7f800001
	s_xor_b32 exec_lo, exec_lo, s22
	s_cbranch_execnz .LBB51_2433
.LBB51_379:                             ;   in Loop: Header=BB51_17 Depth=1
	s_or_b32 exec_lo, exec_lo, s22
	s_and_saveexec_b32 s22, s21
	s_cbranch_execz .LBB51_381
.LBB51_380:                             ;   in Loop: Header=BB51_17 Depth=1
	v_and_b32_e32 v0, 0xffff, v2
	s_delay_alu instid0(VALU_DEP_1) | instskip(SKIP_1) | instid1(VALU_DEP_2)
	v_and_b32_e32 v3, 7, v0
	v_bfe_u32 v21, v0, 3, 4
	v_clz_i32_u32_e32 v19, v3
	s_delay_alu instid0(VALU_DEP_2) | instskip(NEXT) | instid1(VALU_DEP_2)
	v_cmp_eq_u32_e32 vcc_lo, 0, v21
	v_min_u32_e32 v19, 32, v19
	s_delay_alu instid0(VALU_DEP_1) | instskip(NEXT) | instid1(VALU_DEP_1)
	v_subrev_nc_u32_e32 v20, 28, v19
	v_dual_lshlrev_b32 v0, v20, v0 :: v_dual_sub_nc_u32 v19, 29, v19
	s_delay_alu instid0(VALU_DEP_1) | instskip(NEXT) | instid1(VALU_DEP_1)
	v_dual_lshlrev_b32 v2, 24, v2 :: v_dual_bitop2_b32 v0, 7, v0 bitop3:0x40
	v_dual_cndmask_b32 v19, v21, v19 :: v_dual_cndmask_b32 v0, v3, v0
	s_delay_alu instid0(VALU_DEP_2) | instskip(NEXT) | instid1(VALU_DEP_2)
	v_and_b32_e32 v2, 0x80000000, v2
	v_lshl_add_u32 v3, v19, 23, 0x3b800000
	s_delay_alu instid0(VALU_DEP_3) | instskip(NEXT) | instid1(VALU_DEP_1)
	v_lshlrev_b32_e32 v0, 20, v0
	v_or3_b32 v0, v2, v3, v0
.LBB51_381:                             ;   in Loop: Header=BB51_17 Depth=1
	s_or_b32 exec_lo, exec_lo, s22
.LBB51_382:                             ;   in Loop: Header=BB51_17 Depth=1
	s_delay_alu instid0(SALU_CYCLE_1) | instskip(NEXT) | instid1(SALU_CYCLE_1)
	s_or_b32 exec_lo, exec_lo, s20
	s_or_b32 s18, s18, exec_lo
.LBB51_383:                             ;   in Loop: Header=BB51_17 Depth=1
	s_or_b32 exec_lo, exec_lo, s19
	s_delay_alu instid0(SALU_CYCLE_1)
	s_and_b32 s18, s18, exec_lo
                                        ; implicit-def: $vgpr2_vgpr3
.LBB51_384:                             ;   in Loop: Header=BB51_17 Depth=1
	s_and_not1_saveexec_b32 s15, s15
	s_cbranch_execz .LBB51_410
; %bb.385:                              ;   in Loop: Header=BB51_17 Depth=1
	s_mov_b32 s20, s18
	s_mov_b32 s19, exec_lo
                                        ; implicit-def: $vgpr0
	v_cmpx_lt_i16_e32 22, v9
	s_xor_b32 s19, exec_lo, s19
	s_cbranch_execz .LBB51_399
; %bb.386:                              ;   in Loop: Header=BB51_17 Depth=1
	s_mov_b32 s20, exec_lo
                                        ; implicit-def: $vgpr0
	v_cmpx_lt_i16_e32 23, v9
	s_xor_b32 s20, exec_lo, s20
	s_cbranch_execz .LBB51_396
; %bb.387:                              ;   in Loop: Header=BB51_17 Depth=1
	;; [unrolled: 6-line block ×3, first 2 shown]
	flat_load_u8 v2, v[2:3]
	s_mov_b32 s22, 0
	s_mov_b32 s23, exec_lo
	s_wait_loadcnt_dscnt 0x0
	v_cmpx_lt_i16_e32 0x7f, v2
	s_xor_b32 s23, exec_lo, s23
	s_cbranch_execnz .LBB51_2542
; %bb.389:                              ;   in Loop: Header=BB51_17 Depth=1
	s_or_saveexec_b32 s23, s23
	v_mov_b32_e32 v0, 0x7f800001
	s_xor_b32 exec_lo, exec_lo, s23
	s_cbranch_execnz .LBB51_2545
.LBB51_390:                             ;   in Loop: Header=BB51_17 Depth=1
	s_or_b32 exec_lo, exec_lo, s23
	s_and_saveexec_b32 s23, s22
	s_cbranch_execz .LBB51_392
.LBB51_391:                             ;   in Loop: Header=BB51_17 Depth=1
	v_and_b32_e32 v0, 0xffff, v2
	s_delay_alu instid0(VALU_DEP_1) | instskip(SKIP_1) | instid1(VALU_DEP_2)
	v_and_b32_e32 v3, 3, v0
	v_bfe_u32 v21, v0, 2, 5
	v_clz_i32_u32_e32 v19, v3
	s_delay_alu instid0(VALU_DEP_2) | instskip(NEXT) | instid1(VALU_DEP_2)
	v_cmp_eq_u32_e32 vcc_lo, 0, v21
	v_min_u32_e32 v19, 32, v19
	s_delay_alu instid0(VALU_DEP_1) | instskip(NEXT) | instid1(VALU_DEP_1)
	v_subrev_nc_u32_e32 v20, 29, v19
	v_dual_lshlrev_b32 v0, v20, v0 :: v_dual_sub_nc_u32 v19, 30, v19
	s_delay_alu instid0(VALU_DEP_1) | instskip(NEXT) | instid1(VALU_DEP_1)
	v_dual_lshlrev_b32 v2, 24, v2 :: v_dual_bitop2_b32 v0, 3, v0 bitop3:0x40
	v_dual_cndmask_b32 v19, v21, v19 :: v_dual_cndmask_b32 v0, v3, v0
	s_delay_alu instid0(VALU_DEP_2) | instskip(NEXT) | instid1(VALU_DEP_2)
	v_and_b32_e32 v2, 0x80000000, v2
	v_lshl_add_u32 v3, v19, 23, 0x37800000
	s_delay_alu instid0(VALU_DEP_3) | instskip(NEXT) | instid1(VALU_DEP_1)
	v_lshlrev_b32_e32 v0, 21, v0
	v_or3_b32 v0, v2, v3, v0
.LBB51_392:                             ;   in Loop: Header=BB51_17 Depth=1
	s_or_b32 exec_lo, exec_lo, s23
                                        ; implicit-def: $vgpr2_vgpr3
.LBB51_393:                             ;   in Loop: Header=BB51_17 Depth=1
	s_and_not1_saveexec_b32 s21, s21
	s_cbranch_execz .LBB51_395
; %bb.394:                              ;   in Loop: Header=BB51_17 Depth=1
	flat_load_u8 v0, v[2:3]
	s_wait_loadcnt_dscnt 0x0
	v_lshlrev_b32_e32 v0, 24, v0
	s_wait_xcnt 0x0
	s_delay_alu instid0(VALU_DEP_1) | instskip(NEXT) | instid1(VALU_DEP_1)
	v_and_b32_e32 v2, 0x7f000000, v0
	v_clz_i32_u32_e32 v3, v2
	v_add_nc_u32_e32 v20, 0x1000000, v2
	v_cmp_ne_u32_e32 vcc_lo, 0, v2
	s_delay_alu instid0(VALU_DEP_3) | instskip(NEXT) | instid1(VALU_DEP_1)
	v_min_u32_e32 v3, 32, v3
	v_sub_nc_u32_e64 v3, v3, 4 clamp
	s_delay_alu instid0(VALU_DEP_1) | instskip(NEXT) | instid1(VALU_DEP_1)
	v_dual_lshlrev_b32 v19, v3, v2 :: v_dual_lshlrev_b32 v3, 23, v3
	v_lshrrev_b32_e32 v19, 4, v19
	s_delay_alu instid0(VALU_DEP_1) | instskip(NEXT) | instid1(VALU_DEP_1)
	v_dual_sub_nc_u32 v3, v19, v3 :: v_dual_ashrrev_i32 v19, 8, v20
	v_add_nc_u32_e32 v3, 0x3c000000, v3
	s_delay_alu instid0(VALU_DEP_1) | instskip(NEXT) | instid1(VALU_DEP_1)
	v_and_or_b32 v3, 0x7f800000, v19, v3
	v_cndmask_b32_e32 v2, 0, v3, vcc_lo
	s_delay_alu instid0(VALU_DEP_1)
	v_and_or_b32 v0, 0x80000000, v0, v2
.LBB51_395:                             ;   in Loop: Header=BB51_17 Depth=1
	s_or_b32 exec_lo, exec_lo, s21
                                        ; implicit-def: $vgpr2_vgpr3
.LBB51_396:                             ;   in Loop: Header=BB51_17 Depth=1
	s_and_not1_saveexec_b32 s20, s20
	s_cbranch_execz .LBB51_398
; %bb.397:                              ;   in Loop: Header=BB51_17 Depth=1
	flat_load_u8 v0, v[2:3]
	s_wait_loadcnt_dscnt 0x0
	v_lshlrev_b32_e32 v2, 25, v0
	v_lshlrev_b16 v0, 8, v0
	s_delay_alu instid0(VALU_DEP_1) | instskip(SKIP_1) | instid1(VALU_DEP_2)
	v_and_or_b32 v19, 0x7f00, v0, 0.5
	v_bfe_i32 v0, v0, 0, 16
	v_dual_add_f32 v19, -0.5, v19 :: v_dual_lshrrev_b32 v3, 4, v2
	v_cmp_gt_u32_e32 vcc_lo, 0x8000000, v2
	s_delay_alu instid0(VALU_DEP_2) | instskip(NEXT) | instid1(VALU_DEP_1)
	v_or_b32_e32 v3, 0x70000000, v3
	v_mul_f32_e32 v3, 0x7800000, v3
	s_delay_alu instid0(VALU_DEP_1) | instskip(NEXT) | instid1(VALU_DEP_1)
	v_cndmask_b32_e32 v2, v3, v19, vcc_lo
	v_and_or_b32 v0, 0x80000000, v0, v2
.LBB51_398:                             ;   in Loop: Header=BB51_17 Depth=1
	s_or_b32 exec_lo, exec_lo, s20
	s_delay_alu instid0(SALU_CYCLE_1)
	s_or_b32 s20, s18, exec_lo
                                        ; implicit-def: $vgpr2_vgpr3
.LBB51_399:                             ;   in Loop: Header=BB51_17 Depth=1
	s_and_not1_saveexec_b32 s19, s19
	s_cbranch_execz .LBB51_409
; %bb.400:                              ;   in Loop: Header=BB51_17 Depth=1
	s_mov_b32 s21, s20
	s_mov_b32 s22, exec_lo
                                        ; implicit-def: $vgpr0
	v_cmpx_lt_i16_e32 14, v9
	s_xor_b32 s22, exec_lo, s22
	s_cbranch_execz .LBB51_404
; %bb.401:                              ;   in Loop: Header=BB51_17 Depth=1
	s_mov_b32 s21, s20
	s_mov_b32 s23, exec_lo
                                        ; implicit-def: $vgpr0
	v_cmpx_eq_u16_e32 15, v9
	s_cbranch_execz .LBB51_403
; %bb.402:                              ;   in Loop: Header=BB51_17 Depth=1
	flat_load_u16 v0, v[2:3]
	s_or_b32 s21, s20, exec_lo
	s_wait_loadcnt_dscnt 0x0
	v_lshlrev_b32_e32 v0, 16, v0
.LBB51_403:                             ;   in Loop: Header=BB51_17 Depth=1
	s_wait_xcnt 0x0
	s_or_b32 exec_lo, exec_lo, s23
	s_delay_alu instid0(SALU_CYCLE_1) | instskip(SKIP_1) | instid1(SALU_CYCLE_1)
	s_and_not1_b32 s23, s20, exec_lo
	s_and_b32 s21, s21, exec_lo
                                        ; implicit-def: $vgpr2_vgpr3
	s_or_b32 s21, s23, s21
.LBB51_404:                             ;   in Loop: Header=BB51_17 Depth=1
	s_and_not1_saveexec_b32 s22, s22
	s_cbranch_execz .LBB51_408
; %bb.405:                              ;   in Loop: Header=BB51_17 Depth=1
	s_mov_b32 s23, s21
	s_mov_b32 s24, exec_lo
                                        ; implicit-def: $vgpr0
	v_cmpx_eq_u16_e32 11, v9
	s_cbranch_execz .LBB51_407
; %bb.406:                              ;   in Loop: Header=BB51_17 Depth=1
	flat_load_u8 v0, v[2:3]
	s_or_b32 s23, s21, exec_lo
	s_wait_loadcnt_dscnt 0x0
	v_cmp_ne_u16_e32 vcc_lo, 0, v0
	v_cndmask_b32_e64 v0, 0, 1.0, vcc_lo
.LBB51_407:                             ;   in Loop: Header=BB51_17 Depth=1
	s_wait_xcnt 0x0
	s_or_b32 exec_lo, exec_lo, s24
	s_delay_alu instid0(SALU_CYCLE_1) | instskip(SKIP_1) | instid1(SALU_CYCLE_1)
	s_and_not1_b32 s21, s21, exec_lo
	s_and_b32 s23, s23, exec_lo
	s_or_b32 s21, s21, s23
.LBB51_408:                             ;   in Loop: Header=BB51_17 Depth=1
	s_or_b32 exec_lo, exec_lo, s22
	s_delay_alu instid0(SALU_CYCLE_1) | instskip(SKIP_1) | instid1(SALU_CYCLE_1)
	s_and_not1_b32 s20, s20, exec_lo
	s_and_b32 s21, s21, exec_lo
	s_or_b32 s20, s20, s21
.LBB51_409:                             ;   in Loop: Header=BB51_17 Depth=1
	s_or_b32 exec_lo, exec_lo, s19
	s_delay_alu instid0(SALU_CYCLE_1) | instskip(SKIP_1) | instid1(SALU_CYCLE_1)
	s_and_not1_b32 s18, s18, exec_lo
	s_and_b32 s19, s20, exec_lo
	s_or_b32 s18, s18, s19
.LBB51_410:                             ;   in Loop: Header=BB51_17 Depth=1
	s_or_b32 exec_lo, exec_lo, s15
	s_delay_alu instid0(SALU_CYCLE_1)
	s_and_b32 s19, s18, exec_lo
                                        ; implicit-def: $vgpr2_vgpr3
.LBB51_411:                             ;   in Loop: Header=BB51_17 Depth=1
	s_and_not1_saveexec_b32 s14, s14
	s_cbranch_execz .LBB51_453
; %bb.412:                              ;   in Loop: Header=BB51_17 Depth=1
	s_mov_b32 s15, exec_lo
                                        ; implicit-def: $vgpr0
	v_cmpx_lt_i16_e32 4, v9
	s_xor_b32 s15, exec_lo, s15
	s_cbranch_execz .LBB51_434
; %bb.413:                              ;   in Loop: Header=BB51_17 Depth=1
	s_mov_b32 s18, exec_lo
                                        ; implicit-def: $vgpr0
	v_cmpx_lt_i16_e32 7, v9
	s_xor_b32 s18, exec_lo, s18
	;; [unrolled: 6-line block ×4, first 2 shown]
	s_cbranch_execz .LBB51_417
; %bb.416:                              ;   in Loop: Header=BB51_17 Depth=1
	flat_load_b64 v[2:3], v[2:3]
	s_wait_loadcnt_dscnt 0x0
	v_cvt_f32_f64_e32 v0, v[2:3]
                                        ; implicit-def: $vgpr2_vgpr3
.LBB51_417:                             ;   in Loop: Header=BB51_17 Depth=1
	s_wait_xcnt 0x0
	s_and_not1_saveexec_b32 s21, s21
	s_cbranch_execz .LBB51_419
; %bb.418:                              ;   in Loop: Header=BB51_17 Depth=1
	flat_load_b32 v0, v[2:3]
.LBB51_419:                             ;   in Loop: Header=BB51_17 Depth=1
	s_wait_xcnt 0x0
	s_or_b32 exec_lo, exec_lo, s21
                                        ; implicit-def: $vgpr2_vgpr3
.LBB51_420:                             ;   in Loop: Header=BB51_17 Depth=1
	s_and_not1_saveexec_b32 s20, s20
	s_cbranch_execz .LBB51_422
; %bb.421:                              ;   in Loop: Header=BB51_17 Depth=1
	s_wait_loadcnt_dscnt 0x0
	flat_load_b32 v0, v[2:3]
	s_wait_loadcnt_dscnt 0x0
	v_cvt_f32_f16_e32 v0, v0
.LBB51_422:                             ;   in Loop: Header=BB51_17 Depth=1
	s_wait_xcnt 0x0
	s_or_b32 exec_lo, exec_lo, s20
                                        ; implicit-def: $vgpr2_vgpr3
.LBB51_423:                             ;   in Loop: Header=BB51_17 Depth=1
	s_and_not1_saveexec_b32 s18, s18
	s_cbranch_execz .LBB51_433
; %bb.424:                              ;   in Loop: Header=BB51_17 Depth=1
	s_mov_b32 s20, exec_lo
                                        ; implicit-def: $vgpr0
	v_cmpx_lt_i16_e32 5, v9
	s_xor_b32 s20, exec_lo, s20
	s_cbranch_execz .LBB51_430
; %bb.425:                              ;   in Loop: Header=BB51_17 Depth=1
	s_mov_b32 s21, exec_lo
                                        ; implicit-def: $vgpr0
	v_cmpx_lt_i16_e32 6, v9
	s_xor_b32 s21, exec_lo, s21
	s_cbranch_execz .LBB51_427
; %bb.426:                              ;   in Loop: Header=BB51_17 Depth=1
	flat_load_b64 v[2:3], v[2:3]
	s_wait_loadcnt_dscnt 0x0
	v_cvt_f32_f64_e32 v0, v[2:3]
                                        ; implicit-def: $vgpr2_vgpr3
.LBB51_427:                             ;   in Loop: Header=BB51_17 Depth=1
	s_wait_xcnt 0x0
	s_and_not1_saveexec_b32 s21, s21
	s_cbranch_execz .LBB51_429
; %bb.428:                              ;   in Loop: Header=BB51_17 Depth=1
	s_wait_loadcnt_dscnt 0x0
	flat_load_b32 v0, v[2:3]
.LBB51_429:                             ;   in Loop: Header=BB51_17 Depth=1
	s_wait_xcnt 0x0
	s_or_b32 exec_lo, exec_lo, s21
                                        ; implicit-def: $vgpr2_vgpr3
.LBB51_430:                             ;   in Loop: Header=BB51_17 Depth=1
	s_and_not1_saveexec_b32 s20, s20
	s_cbranch_execz .LBB51_432
; %bb.431:                              ;   in Loop: Header=BB51_17 Depth=1
	s_wait_loadcnt_dscnt 0x0
	flat_load_u16 v0, v[2:3]
	s_wait_loadcnt_dscnt 0x0
	v_cvt_f32_f16_e32 v0, v0
.LBB51_432:                             ;   in Loop: Header=BB51_17 Depth=1
	s_wait_xcnt 0x0
	s_or_b32 exec_lo, exec_lo, s20
.LBB51_433:                             ;   in Loop: Header=BB51_17 Depth=1
	s_delay_alu instid0(SALU_CYCLE_1)
	s_or_b32 exec_lo, exec_lo, s18
                                        ; implicit-def: $vgpr2_vgpr3
.LBB51_434:                             ;   in Loop: Header=BB51_17 Depth=1
	s_and_not1_saveexec_b32 s15, s15
	s_cbranch_execz .LBB51_452
; %bb.435:                              ;   in Loop: Header=BB51_17 Depth=1
	s_mov_b32 s18, exec_lo
                                        ; implicit-def: $vgpr0
	v_cmpx_lt_i16_e32 1, v9
	s_xor_b32 s18, exec_lo, s18
	s_cbranch_execz .LBB51_445
; %bb.436:                              ;   in Loop: Header=BB51_17 Depth=1
	s_mov_b32 s20, exec_lo
                                        ; implicit-def: $vgpr0
	v_cmpx_lt_i16_e32 2, v9
	s_xor_b32 s20, exec_lo, s20
	;; [unrolled: 6-line block ×3, first 2 shown]
	s_cbranch_execz .LBB51_439
; %bb.438:                              ;   in Loop: Header=BB51_17 Depth=1
	flat_load_b64 v[2:3], v[2:3]
	s_wait_loadcnt_dscnt 0x0
	v_xor_b32_e32 v0, v2, v3
	v_cls_i32_e32 v19, v3
	s_delay_alu instid0(VALU_DEP_2) | instskip(NEXT) | instid1(VALU_DEP_1)
	v_ashrrev_i32_e32 v0, 31, v0
	v_add_nc_u32_e32 v0, 32, v0
	s_delay_alu instid0(VALU_DEP_1) | instskip(SKIP_1) | instid1(VALU_DEP_1)
	v_add_min_u32_e64 v0, v19, -1, v0
	s_wait_xcnt 0x0
	v_lshlrev_b64_e32 v[2:3], v0, v[2:3]
	v_sub_nc_u32_e32 v0, 32, v0
	s_delay_alu instid0(VALU_DEP_2) | instskip(NEXT) | instid1(VALU_DEP_1)
	v_min_u32_e32 v2, 1, v2
	v_or_b32_e32 v2, v3, v2
	s_delay_alu instid0(VALU_DEP_1) | instskip(NEXT) | instid1(VALU_DEP_1)
	v_cvt_f32_i32_e32 v2, v2
	v_ldexp_f32 v0, v2, v0
                                        ; implicit-def: $vgpr2_vgpr3
.LBB51_439:                             ;   in Loop: Header=BB51_17 Depth=1
	s_and_not1_saveexec_b32 s21, s21
	s_cbranch_execz .LBB51_441
; %bb.440:                              ;   in Loop: Header=BB51_17 Depth=1
	s_wait_loadcnt_dscnt 0x0
	flat_load_b32 v0, v[2:3]
	s_wait_loadcnt_dscnt 0x0
	v_cvt_f32_i32_e32 v0, v0
.LBB51_441:                             ;   in Loop: Header=BB51_17 Depth=1
	s_wait_xcnt 0x0
	s_or_b32 exec_lo, exec_lo, s21
                                        ; implicit-def: $vgpr2_vgpr3
.LBB51_442:                             ;   in Loop: Header=BB51_17 Depth=1
	s_and_not1_saveexec_b32 s20, s20
	s_cbranch_execz .LBB51_444
; %bb.443:                              ;   in Loop: Header=BB51_17 Depth=1
	s_wait_loadcnt_dscnt 0x0
	flat_load_i16 v0, v[2:3]
	s_wait_loadcnt_dscnt 0x0
	v_cvt_f32_i32_e32 v0, v0
.LBB51_444:                             ;   in Loop: Header=BB51_17 Depth=1
	s_wait_xcnt 0x0
	s_or_b32 exec_lo, exec_lo, s20
                                        ; implicit-def: $vgpr2_vgpr3
.LBB51_445:                             ;   in Loop: Header=BB51_17 Depth=1
	s_and_not1_saveexec_b32 s18, s18
	s_cbranch_execz .LBB51_451
; %bb.446:                              ;   in Loop: Header=BB51_17 Depth=1
	s_mov_b32 s20, exec_lo
                                        ; implicit-def: $vgpr0
	v_cmpx_lt_i16_e32 0, v9
	s_xor_b32 s20, exec_lo, s20
	s_cbranch_execz .LBB51_448
; %bb.447:                              ;   in Loop: Header=BB51_17 Depth=1
	s_wait_loadcnt_dscnt 0x0
	flat_load_i8 v0, v[2:3]
                                        ; implicit-def: $vgpr2_vgpr3
	s_wait_loadcnt_dscnt 0x0
	v_cvt_f32_i32_e32 v0, v0
.LBB51_448:                             ;   in Loop: Header=BB51_17 Depth=1
	s_wait_xcnt 0x0
	s_and_not1_saveexec_b32 s20, s20
	s_cbranch_execz .LBB51_450
; %bb.449:                              ;   in Loop: Header=BB51_17 Depth=1
	s_wait_loadcnt_dscnt 0x0
	flat_load_u8 v0, v[2:3]
	s_wait_loadcnt_dscnt 0x0
	v_cvt_f32_ubyte0_e32 v0, v0
.LBB51_450:                             ;   in Loop: Header=BB51_17 Depth=1
	s_wait_xcnt 0x0
	s_or_b32 exec_lo, exec_lo, s20
.LBB51_451:                             ;   in Loop: Header=BB51_17 Depth=1
	s_delay_alu instid0(SALU_CYCLE_1)
	s_or_b32 exec_lo, exec_lo, s18
.LBB51_452:                             ;   in Loop: Header=BB51_17 Depth=1
	s_delay_alu instid0(SALU_CYCLE_1) | instskip(NEXT) | instid1(SALU_CYCLE_1)
	s_or_b32 exec_lo, exec_lo, s15
	s_or_b32 s19, s19, exec_lo
.LBB51_453:                             ;   in Loop: Header=BB51_17 Depth=1
	s_or_b32 exec_lo, exec_lo, s14
	s_mov_b32 s14, -1
	s_mov_b32 s20, 0
	s_mov_b32 s15, 0
	s_and_saveexec_b32 s18, s19
	s_cbranch_execz .LBB51_459
; %bb.454:                              ;   in Loop: Header=BB51_17 Depth=1
	s_add_co_i32 s14, s33, s1
	s_mov_b32 s19, 0
	s_wait_loadcnt_dscnt 0x0
	scratch_store_b32 off, v0, s14 offset:28
	s_wait_xcnt 0x0
	v_mul_lo_u32 v0, v18, v12
	v_and_b32_e32 v18, 0xff, v10
	s_mov_b32 s15, exec_lo
	s_delay_alu instid0(VALU_DEP_2) | instskip(NEXT) | instid1(VALU_DEP_2)
	v_add_nc_u64_e32 v[2:3], v[6:7], v[0:1]
                                        ; implicit-def: $vgpr0
	v_cmpx_lt_i16_e32 10, v18
	s_xor_b32 s15, exec_lo, s15
	s_cbranch_execnz .LBB51_2098
; %bb.455:                              ;   in Loop: Header=BB51_17 Depth=1
	s_and_not1_saveexec_b32 s15, s15
	s_cbranch_execnz .LBB51_2157
.LBB51_456:                             ;   in Loop: Header=BB51_17 Depth=1
	s_or_b32 exec_lo, exec_lo, s15
	s_mov_b32 s20, 0
	s_and_saveexec_b32 s15, s19
	s_cbranch_execz .LBB51_458
.LBB51_457:                             ;   in Loop: Header=BB51_17 Depth=1
	v_add_nc_u32_e32 v16, 0x200, v16
	s_mov_b32 s20, exec_lo
	s_wait_loadcnt_dscnt 0x0
	scratch_store_b32 off, v0, s14 offset:24
.LBB51_458:                             ;   in Loop: Header=BB51_17 Depth=1
	s_wait_xcnt 0x0
	s_or_b32 exec_lo, exec_lo, s15
	s_delay_alu instid0(SALU_CYCLE_1)
	s_mov_b32 s15, exec_lo
	s_xor_b32 s14, exec_lo, -1
	s_and_b32 s20, s20, exec_lo
.LBB51_459:                             ;   in Loop: Header=BB51_17 Depth=1
	s_or_b32 exec_lo, exec_lo, s18
	s_delay_alu instid0(SALU_CYCLE_1)
	s_or_not1_b32 s18, s20, exec_lo
.LBB51_460:                             ;   in Loop: Header=BB51_17 Depth=1
	s_or_b32 exec_lo, exec_lo, s16
	s_and_saveexec_b32 s16, s18
	s_cbranch_execz .LBB51_13
; %bb.461:                              ;   in Loop: Header=BB51_17 Depth=1
	s_mov_b32 s20, -1
	s_mov_b32 s21, -1
	s_mov_b32 s19, exec_lo
                                        ; implicit-def: $sgpr17
                                        ; implicit-def: $sgpr18
	v_cmpx_lt_i32_e64 v16, v8
	s_cbranch_execz .LBB51_571
; %bb.462:                              ;   in Loop: Header=BB51_17 Depth=1
	v_add_nc_u32_e32 v18, s3, v16
	s_mov_b32 s22, 0
	s_mov_b32 s17, exec_lo
	s_wait_loadcnt_dscnt 0x0
	s_delay_alu instid0(VALU_DEP_1) | instskip(NEXT) | instid1(VALU_DEP_1)
	v_mul_lo_u32 v0, v18, v11
	v_add_nc_u64_e32 v[2:3], v[4:5], v[0:1]
                                        ; implicit-def: $vgpr0
	v_cmpx_lt_i16_e32 10, v9
	s_xor_b32 s17, exec_lo, s17
	s_cbranch_execz .LBB51_522
; %bb.463:                              ;   in Loop: Header=BB51_17 Depth=1
	s_mov_b32 s21, 0
	s_mov_b32 s18, exec_lo
                                        ; implicit-def: $vgpr0
	v_cmpx_lt_i16_e32 25, v9
	s_xor_b32 s18, exec_lo, s18
	s_cbranch_execz .LBB51_495
; %bb.464:                              ;   in Loop: Header=BB51_17 Depth=1
	s_mov_b32 s22, exec_lo
                                        ; implicit-def: $vgpr0
	v_cmpx_lt_i16_e32 28, v9
	s_xor_b32 s22, exec_lo, s22
	s_cbranch_execz .LBB51_480
; %bb.465:                              ;   in Loop: Header=BB51_17 Depth=1
	s_mov_b32 s23, 0
	s_mov_b32 s21, exec_lo
                                        ; implicit-def: $vgpr0
	v_cmpx_lt_i16_e32 43, v9
	s_xor_b32 s21, exec_lo, s21
	s_cbranch_execz .LBB51_475
; %bb.466:                              ;   in Loop: Header=BB51_17 Depth=1
	s_mov_b32 s24, exec_lo
                                        ; implicit-def: $vgpr0
	v_cmpx_lt_i16_e32 45, v9
	s_xor_b32 s24, exec_lo, s24
	s_cbranch_execz .LBB51_470
; %bb.467:                              ;   in Loop: Header=BB51_17 Depth=1
	s_mov_b32 s25, exec_lo
                                        ; implicit-def: $vgpr0
	v_cmpx_eq_u16_e32 46, v9
	s_cbranch_execz .LBB51_469
; %bb.468:                              ;   in Loop: Header=BB51_17 Depth=1
	flat_load_b32 v0, v[2:3]
	s_mov_b32 s23, exec_lo
	s_wait_loadcnt_dscnt 0x0
	v_lshlrev_b32_e32 v0, 16, v0
.LBB51_469:                             ;   in Loop: Header=BB51_17 Depth=1
	s_wait_xcnt 0x0
	s_or_b32 exec_lo, exec_lo, s25
	s_delay_alu instid0(SALU_CYCLE_1)
	s_and_b32 s23, s23, exec_lo
                                        ; implicit-def: $vgpr2_vgpr3
.LBB51_470:                             ;   in Loop: Header=BB51_17 Depth=1
	s_and_not1_saveexec_b32 s24, s24
	s_cbranch_execz .LBB51_474
; %bb.471:                              ;   in Loop: Header=BB51_17 Depth=1
	s_mov_b32 s26, s23
	s_mov_b32 s25, exec_lo
                                        ; implicit-def: $vgpr0
	v_cmpx_eq_u16_e32 44, v9
	s_cbranch_execz .LBB51_473
; %bb.472:                              ;   in Loop: Header=BB51_17 Depth=1
	flat_load_u8 v0, v[2:3]
	s_or_b32 s26, s23, exec_lo
	s_wait_loadcnt_dscnt 0x0
	v_lshlrev_b32_e32 v2, 23, v0
	v_cmp_ne_u32_e32 vcc_lo, 0xff, v0
	s_delay_alu instid0(VALU_DEP_2) | instskip(SKIP_1) | instid1(VALU_DEP_2)
	v_cndmask_b32_e32 v2, 0x7f800001, v2, vcc_lo
	v_cmp_ne_u32_e32 vcc_lo, 0, v0
	v_cndmask_b32_e32 v0, 0x400000, v2, vcc_lo
.LBB51_473:                             ;   in Loop: Header=BB51_17 Depth=1
	s_or_b32 exec_lo, exec_lo, s25
	s_delay_alu instid0(SALU_CYCLE_1) | instskip(SKIP_1) | instid1(SALU_CYCLE_1)
	s_and_not1_b32 s23, s23, exec_lo
	s_and_b32 s25, s26, exec_lo
	s_or_b32 s23, s23, s25
.LBB51_474:                             ;   in Loop: Header=BB51_17 Depth=1
	s_or_b32 exec_lo, exec_lo, s24
	s_delay_alu instid0(SALU_CYCLE_1)
	s_and_b32 s23, s23, exec_lo
                                        ; implicit-def: $vgpr2_vgpr3
.LBB51_475:                             ;   in Loop: Header=BB51_17 Depth=1
	s_and_not1_saveexec_b32 s21, s21
	s_cbranch_execz .LBB51_479
; %bb.476:                              ;   in Loop: Header=BB51_17 Depth=1
	s_mov_b32 s25, s23
	s_mov_b32 s24, exec_lo
                                        ; implicit-def: $vgpr0
	v_cmpx_eq_u16_e32 29, v9
	s_cbranch_execz .LBB51_478
; %bb.477:                              ;   in Loop: Header=BB51_17 Depth=1
	flat_load_b64 v[2:3], v[2:3]
	s_or_b32 s25, s23, exec_lo
	s_wait_loadcnt_dscnt 0x0
	v_clz_i32_u32_e32 v0, v3
	s_delay_alu instid0(VALU_DEP_1) | instskip(SKIP_1) | instid1(VALU_DEP_1)
	v_min_u32_e32 v0, 32, v0
	s_wait_xcnt 0x0
	v_lshlrev_b64_e32 v[2:3], v0, v[2:3]
	v_sub_nc_u32_e32 v0, 32, v0
	s_delay_alu instid0(VALU_DEP_2) | instskip(NEXT) | instid1(VALU_DEP_1)
	v_min_u32_e32 v2, 1, v2
	v_or_b32_e32 v2, v3, v2
	s_delay_alu instid0(VALU_DEP_1) | instskip(NEXT) | instid1(VALU_DEP_1)
	v_cvt_f32_u32_e32 v2, v2
	v_ldexp_f32 v0, v2, v0
.LBB51_478:                             ;   in Loop: Header=BB51_17 Depth=1
	s_or_b32 exec_lo, exec_lo, s24
	s_delay_alu instid0(SALU_CYCLE_1) | instskip(SKIP_1) | instid1(SALU_CYCLE_1)
	s_and_not1_b32 s23, s23, exec_lo
	s_and_b32 s24, s25, exec_lo
	s_or_b32 s23, s23, s24
.LBB51_479:                             ;   in Loop: Header=BB51_17 Depth=1
	s_or_b32 exec_lo, exec_lo, s21
	s_delay_alu instid0(SALU_CYCLE_1)
	s_and_b32 s21, s23, exec_lo
                                        ; implicit-def: $vgpr2_vgpr3
.LBB51_480:                             ;   in Loop: Header=BB51_17 Depth=1
	s_and_not1_saveexec_b32 s22, s22
	s_cbranch_execz .LBB51_494
; %bb.481:                              ;   in Loop: Header=BB51_17 Depth=1
	s_mov_b32 s23, exec_lo
                                        ; implicit-def: $vgpr0
	v_cmpx_lt_i16_e32 26, v9
	s_xor_b32 s23, exec_lo, s23
	s_cbranch_execz .LBB51_487
; %bb.482:                              ;   in Loop: Header=BB51_17 Depth=1
	s_mov_b32 s24, exec_lo
                                        ; implicit-def: $vgpr0
	v_cmpx_lt_i16_e32 27, v9
	s_xor_b32 s24, exec_lo, s24
	s_cbranch_execz .LBB51_484
; %bb.483:                              ;   in Loop: Header=BB51_17 Depth=1
	flat_load_b32 v0, v[2:3]
                                        ; implicit-def: $vgpr2_vgpr3
	s_wait_loadcnt_dscnt 0x0
	v_cvt_f32_u32_e32 v0, v0
.LBB51_484:                             ;   in Loop: Header=BB51_17 Depth=1
	s_wait_xcnt 0x0
	s_and_not1_saveexec_b32 s24, s24
	s_cbranch_execz .LBB51_486
; %bb.485:                              ;   in Loop: Header=BB51_17 Depth=1
	flat_load_u16 v0, v[2:3]
	s_wait_loadcnt_dscnt 0x0
	v_cvt_f32_u32_e32 v0, v0
.LBB51_486:                             ;   in Loop: Header=BB51_17 Depth=1
	s_wait_xcnt 0x0
	s_or_b32 exec_lo, exec_lo, s24
                                        ; implicit-def: $vgpr2_vgpr3
.LBB51_487:                             ;   in Loop: Header=BB51_17 Depth=1
	s_and_not1_saveexec_b32 s23, s23
	s_cbranch_execz .LBB51_493
; %bb.488:                              ;   in Loop: Header=BB51_17 Depth=1
	flat_load_u8 v2, v[2:3]
	s_mov_b32 s24, 0
	s_mov_b32 s25, exec_lo
	s_wait_loadcnt_dscnt 0x0
	v_cmpx_lt_i16_e32 0x7f, v2
	s_xor_b32 s25, exec_lo, s25
	s_cbranch_execnz .LBB51_2546
; %bb.489:                              ;   in Loop: Header=BB51_17 Depth=1
	s_or_saveexec_b32 s25, s25
	v_mov_b32_e32 v0, 0x7f800001
	s_xor_b32 exec_lo, exec_lo, s25
	s_cbranch_execnz .LBB51_2549
.LBB51_490:                             ;   in Loop: Header=BB51_17 Depth=1
	s_or_b32 exec_lo, exec_lo, s25
	s_and_saveexec_b32 s25, s24
	s_cbranch_execz .LBB51_492
.LBB51_491:                             ;   in Loop: Header=BB51_17 Depth=1
	v_and_b32_e32 v0, 0xffff, v2
	s_delay_alu instid0(VALU_DEP_1) | instskip(SKIP_1) | instid1(VALU_DEP_2)
	v_and_b32_e32 v3, 7, v0
	v_bfe_u32 v21, v0, 3, 4
	v_clz_i32_u32_e32 v19, v3
	s_delay_alu instid0(VALU_DEP_2) | instskip(NEXT) | instid1(VALU_DEP_2)
	v_cmp_eq_u32_e32 vcc_lo, 0, v21
	v_min_u32_e32 v19, 32, v19
	s_delay_alu instid0(VALU_DEP_1) | instskip(NEXT) | instid1(VALU_DEP_1)
	v_subrev_nc_u32_e32 v20, 28, v19
	v_dual_lshlrev_b32 v0, v20, v0 :: v_dual_sub_nc_u32 v19, 29, v19
	s_delay_alu instid0(VALU_DEP_1) | instskip(NEXT) | instid1(VALU_DEP_1)
	v_dual_lshlrev_b32 v2, 24, v2 :: v_dual_bitop2_b32 v0, 7, v0 bitop3:0x40
	v_dual_cndmask_b32 v19, v21, v19 :: v_dual_cndmask_b32 v0, v3, v0
	s_delay_alu instid0(VALU_DEP_2) | instskip(NEXT) | instid1(VALU_DEP_2)
	v_and_b32_e32 v2, 0x80000000, v2
	v_lshl_add_u32 v3, v19, 23, 0x3b800000
	s_delay_alu instid0(VALU_DEP_3) | instskip(NEXT) | instid1(VALU_DEP_1)
	v_lshlrev_b32_e32 v0, 20, v0
	v_or3_b32 v0, v2, v3, v0
.LBB51_492:                             ;   in Loop: Header=BB51_17 Depth=1
	s_or_b32 exec_lo, exec_lo, s25
.LBB51_493:                             ;   in Loop: Header=BB51_17 Depth=1
	s_delay_alu instid0(SALU_CYCLE_1) | instskip(NEXT) | instid1(SALU_CYCLE_1)
	s_or_b32 exec_lo, exec_lo, s23
	s_or_b32 s21, s21, exec_lo
.LBB51_494:                             ;   in Loop: Header=BB51_17 Depth=1
	s_or_b32 exec_lo, exec_lo, s22
	s_delay_alu instid0(SALU_CYCLE_1)
	s_and_b32 s21, s21, exec_lo
                                        ; implicit-def: $vgpr2_vgpr3
.LBB51_495:                             ;   in Loop: Header=BB51_17 Depth=1
	s_and_not1_saveexec_b32 s18, s18
	s_cbranch_execz .LBB51_521
; %bb.496:                              ;   in Loop: Header=BB51_17 Depth=1
	s_mov_b32 s23, s21
	s_mov_b32 s22, exec_lo
                                        ; implicit-def: $vgpr0
	v_cmpx_lt_i16_e32 22, v9
	s_xor_b32 s22, exec_lo, s22
	s_cbranch_execz .LBB51_510
; %bb.497:                              ;   in Loop: Header=BB51_17 Depth=1
	s_mov_b32 s23, exec_lo
                                        ; implicit-def: $vgpr0
	v_cmpx_lt_i16_e32 23, v9
	s_xor_b32 s23, exec_lo, s23
	s_cbranch_execz .LBB51_507
; %bb.498:                              ;   in Loop: Header=BB51_17 Depth=1
	;; [unrolled: 6-line block ×3, first 2 shown]
	flat_load_u8 v2, v[2:3]
	s_mov_b32 s25, 0
	s_mov_b32 s26, exec_lo
	s_wait_loadcnt_dscnt 0x0
	v_cmpx_lt_i16_e32 0x7f, v2
	s_xor_b32 s26, exec_lo, s26
	s_cbranch_execnz .LBB51_2658
; %bb.500:                              ;   in Loop: Header=BB51_17 Depth=1
	s_or_saveexec_b32 s26, s26
	v_mov_b32_e32 v0, 0x7f800001
	s_xor_b32 exec_lo, exec_lo, s26
	s_cbranch_execnz .LBB51_2661
.LBB51_501:                             ;   in Loop: Header=BB51_17 Depth=1
	s_or_b32 exec_lo, exec_lo, s26
	s_and_saveexec_b32 s26, s25
	s_cbranch_execz .LBB51_503
.LBB51_502:                             ;   in Loop: Header=BB51_17 Depth=1
	v_and_b32_e32 v0, 0xffff, v2
	s_delay_alu instid0(VALU_DEP_1) | instskip(SKIP_1) | instid1(VALU_DEP_2)
	v_and_b32_e32 v3, 3, v0
	v_bfe_u32 v21, v0, 2, 5
	v_clz_i32_u32_e32 v19, v3
	s_delay_alu instid0(VALU_DEP_2) | instskip(NEXT) | instid1(VALU_DEP_2)
	v_cmp_eq_u32_e32 vcc_lo, 0, v21
	v_min_u32_e32 v19, 32, v19
	s_delay_alu instid0(VALU_DEP_1) | instskip(NEXT) | instid1(VALU_DEP_1)
	v_subrev_nc_u32_e32 v20, 29, v19
	v_dual_lshlrev_b32 v0, v20, v0 :: v_dual_sub_nc_u32 v19, 30, v19
	s_delay_alu instid0(VALU_DEP_1) | instskip(NEXT) | instid1(VALU_DEP_1)
	v_dual_lshlrev_b32 v2, 24, v2 :: v_dual_bitop2_b32 v0, 3, v0 bitop3:0x40
	v_dual_cndmask_b32 v19, v21, v19 :: v_dual_cndmask_b32 v0, v3, v0
	s_delay_alu instid0(VALU_DEP_2) | instskip(NEXT) | instid1(VALU_DEP_2)
	v_and_b32_e32 v2, 0x80000000, v2
	v_lshl_add_u32 v3, v19, 23, 0x37800000
	s_delay_alu instid0(VALU_DEP_3) | instskip(NEXT) | instid1(VALU_DEP_1)
	v_lshlrev_b32_e32 v0, 21, v0
	v_or3_b32 v0, v2, v3, v0
.LBB51_503:                             ;   in Loop: Header=BB51_17 Depth=1
	s_or_b32 exec_lo, exec_lo, s26
                                        ; implicit-def: $vgpr2_vgpr3
.LBB51_504:                             ;   in Loop: Header=BB51_17 Depth=1
	s_and_not1_saveexec_b32 s24, s24
	s_cbranch_execz .LBB51_506
; %bb.505:                              ;   in Loop: Header=BB51_17 Depth=1
	flat_load_u8 v0, v[2:3]
	s_wait_loadcnt_dscnt 0x0
	v_lshlrev_b32_e32 v0, 24, v0
	s_wait_xcnt 0x0
	s_delay_alu instid0(VALU_DEP_1) | instskip(NEXT) | instid1(VALU_DEP_1)
	v_and_b32_e32 v2, 0x7f000000, v0
	v_clz_i32_u32_e32 v3, v2
	v_add_nc_u32_e32 v20, 0x1000000, v2
	v_cmp_ne_u32_e32 vcc_lo, 0, v2
	s_delay_alu instid0(VALU_DEP_3) | instskip(NEXT) | instid1(VALU_DEP_1)
	v_min_u32_e32 v3, 32, v3
	v_sub_nc_u32_e64 v3, v3, 4 clamp
	s_delay_alu instid0(VALU_DEP_1) | instskip(NEXT) | instid1(VALU_DEP_1)
	v_dual_lshlrev_b32 v19, v3, v2 :: v_dual_lshlrev_b32 v3, 23, v3
	v_lshrrev_b32_e32 v19, 4, v19
	s_delay_alu instid0(VALU_DEP_1) | instskip(NEXT) | instid1(VALU_DEP_1)
	v_dual_sub_nc_u32 v3, v19, v3 :: v_dual_ashrrev_i32 v19, 8, v20
	v_add_nc_u32_e32 v3, 0x3c000000, v3
	s_delay_alu instid0(VALU_DEP_1) | instskip(NEXT) | instid1(VALU_DEP_1)
	v_and_or_b32 v3, 0x7f800000, v19, v3
	v_cndmask_b32_e32 v2, 0, v3, vcc_lo
	s_delay_alu instid0(VALU_DEP_1)
	v_and_or_b32 v0, 0x80000000, v0, v2
.LBB51_506:                             ;   in Loop: Header=BB51_17 Depth=1
	s_or_b32 exec_lo, exec_lo, s24
                                        ; implicit-def: $vgpr2_vgpr3
.LBB51_507:                             ;   in Loop: Header=BB51_17 Depth=1
	s_and_not1_saveexec_b32 s23, s23
	s_cbranch_execz .LBB51_509
; %bb.508:                              ;   in Loop: Header=BB51_17 Depth=1
	flat_load_u8 v0, v[2:3]
	s_wait_loadcnt_dscnt 0x0
	v_lshlrev_b32_e32 v2, 25, v0
	v_lshlrev_b16 v0, 8, v0
	s_delay_alu instid0(VALU_DEP_1) | instskip(SKIP_1) | instid1(VALU_DEP_2)
	v_and_or_b32 v19, 0x7f00, v0, 0.5
	v_bfe_i32 v0, v0, 0, 16
	v_dual_add_f32 v19, -0.5, v19 :: v_dual_lshrrev_b32 v3, 4, v2
	v_cmp_gt_u32_e32 vcc_lo, 0x8000000, v2
	s_delay_alu instid0(VALU_DEP_2) | instskip(NEXT) | instid1(VALU_DEP_1)
	v_or_b32_e32 v3, 0x70000000, v3
	v_mul_f32_e32 v3, 0x7800000, v3
	s_delay_alu instid0(VALU_DEP_1) | instskip(NEXT) | instid1(VALU_DEP_1)
	v_cndmask_b32_e32 v2, v3, v19, vcc_lo
	v_and_or_b32 v0, 0x80000000, v0, v2
.LBB51_509:                             ;   in Loop: Header=BB51_17 Depth=1
	s_or_b32 exec_lo, exec_lo, s23
	s_delay_alu instid0(SALU_CYCLE_1)
	s_or_b32 s23, s21, exec_lo
                                        ; implicit-def: $vgpr2_vgpr3
.LBB51_510:                             ;   in Loop: Header=BB51_17 Depth=1
	s_and_not1_saveexec_b32 s22, s22
	s_cbranch_execz .LBB51_520
; %bb.511:                              ;   in Loop: Header=BB51_17 Depth=1
	s_mov_b32 s24, s23
	s_mov_b32 s25, exec_lo
                                        ; implicit-def: $vgpr0
	v_cmpx_lt_i16_e32 14, v9
	s_xor_b32 s25, exec_lo, s25
	s_cbranch_execz .LBB51_515
; %bb.512:                              ;   in Loop: Header=BB51_17 Depth=1
	s_mov_b32 s24, s23
	s_mov_b32 s26, exec_lo
                                        ; implicit-def: $vgpr0
	v_cmpx_eq_u16_e32 15, v9
	s_cbranch_execz .LBB51_514
; %bb.513:                              ;   in Loop: Header=BB51_17 Depth=1
	flat_load_u16 v0, v[2:3]
	s_or_b32 s24, s23, exec_lo
	s_wait_loadcnt_dscnt 0x0
	v_lshlrev_b32_e32 v0, 16, v0
.LBB51_514:                             ;   in Loop: Header=BB51_17 Depth=1
	s_wait_xcnt 0x0
	s_or_b32 exec_lo, exec_lo, s26
	s_delay_alu instid0(SALU_CYCLE_1) | instskip(SKIP_1) | instid1(SALU_CYCLE_1)
	s_and_not1_b32 s26, s23, exec_lo
	s_and_b32 s24, s24, exec_lo
                                        ; implicit-def: $vgpr2_vgpr3
	s_or_b32 s24, s26, s24
.LBB51_515:                             ;   in Loop: Header=BB51_17 Depth=1
	s_and_not1_saveexec_b32 s25, s25
	s_cbranch_execz .LBB51_519
; %bb.516:                              ;   in Loop: Header=BB51_17 Depth=1
	s_mov_b32 s26, s24
	s_mov_b32 s27, exec_lo
                                        ; implicit-def: $vgpr0
	v_cmpx_eq_u16_e32 11, v9
	s_cbranch_execz .LBB51_518
; %bb.517:                              ;   in Loop: Header=BB51_17 Depth=1
	flat_load_u8 v0, v[2:3]
	s_or_b32 s26, s24, exec_lo
	s_wait_loadcnt_dscnt 0x0
	v_cmp_ne_u16_e32 vcc_lo, 0, v0
	v_cndmask_b32_e64 v0, 0, 1.0, vcc_lo
.LBB51_518:                             ;   in Loop: Header=BB51_17 Depth=1
	s_wait_xcnt 0x0
	s_or_b32 exec_lo, exec_lo, s27
	s_delay_alu instid0(SALU_CYCLE_1) | instskip(SKIP_1) | instid1(SALU_CYCLE_1)
	s_and_not1_b32 s24, s24, exec_lo
	s_and_b32 s26, s26, exec_lo
	s_or_b32 s24, s24, s26
.LBB51_519:                             ;   in Loop: Header=BB51_17 Depth=1
	s_or_b32 exec_lo, exec_lo, s25
	s_delay_alu instid0(SALU_CYCLE_1) | instskip(SKIP_1) | instid1(SALU_CYCLE_1)
	s_and_not1_b32 s23, s23, exec_lo
	s_and_b32 s24, s24, exec_lo
	s_or_b32 s23, s23, s24
.LBB51_520:                             ;   in Loop: Header=BB51_17 Depth=1
	s_or_b32 exec_lo, exec_lo, s22
	s_delay_alu instid0(SALU_CYCLE_1) | instskip(SKIP_1) | instid1(SALU_CYCLE_1)
	s_and_not1_b32 s21, s21, exec_lo
	s_and_b32 s22, s23, exec_lo
	s_or_b32 s21, s21, s22
.LBB51_521:                             ;   in Loop: Header=BB51_17 Depth=1
	s_or_b32 exec_lo, exec_lo, s18
	s_delay_alu instid0(SALU_CYCLE_1)
	s_and_b32 s22, s21, exec_lo
                                        ; implicit-def: $vgpr2_vgpr3
.LBB51_522:                             ;   in Loop: Header=BB51_17 Depth=1
	s_and_not1_saveexec_b32 s17, s17
	s_cbranch_execz .LBB51_564
; %bb.523:                              ;   in Loop: Header=BB51_17 Depth=1
	s_mov_b32 s18, exec_lo
                                        ; implicit-def: $vgpr0
	v_cmpx_lt_i16_e32 4, v9
	s_xor_b32 s18, exec_lo, s18
	s_cbranch_execz .LBB51_545
; %bb.524:                              ;   in Loop: Header=BB51_17 Depth=1
	s_mov_b32 s21, exec_lo
                                        ; implicit-def: $vgpr0
	v_cmpx_lt_i16_e32 7, v9
	s_xor_b32 s21, exec_lo, s21
	;; [unrolled: 6-line block ×4, first 2 shown]
	s_cbranch_execz .LBB51_528
; %bb.527:                              ;   in Loop: Header=BB51_17 Depth=1
	flat_load_b64 v[2:3], v[2:3]
	s_wait_loadcnt_dscnt 0x0
	v_cvt_f32_f64_e32 v0, v[2:3]
                                        ; implicit-def: $vgpr2_vgpr3
.LBB51_528:                             ;   in Loop: Header=BB51_17 Depth=1
	s_wait_xcnt 0x0
	s_and_not1_saveexec_b32 s24, s24
	s_cbranch_execz .LBB51_530
; %bb.529:                              ;   in Loop: Header=BB51_17 Depth=1
	flat_load_b32 v0, v[2:3]
.LBB51_530:                             ;   in Loop: Header=BB51_17 Depth=1
	s_wait_xcnt 0x0
	s_or_b32 exec_lo, exec_lo, s24
                                        ; implicit-def: $vgpr2_vgpr3
.LBB51_531:                             ;   in Loop: Header=BB51_17 Depth=1
	s_and_not1_saveexec_b32 s23, s23
	s_cbranch_execz .LBB51_533
; %bb.532:                              ;   in Loop: Header=BB51_17 Depth=1
	s_wait_loadcnt_dscnt 0x0
	flat_load_b32 v0, v[2:3]
	s_wait_loadcnt_dscnt 0x0
	v_cvt_f32_f16_e32 v0, v0
.LBB51_533:                             ;   in Loop: Header=BB51_17 Depth=1
	s_wait_xcnt 0x0
	s_or_b32 exec_lo, exec_lo, s23
                                        ; implicit-def: $vgpr2_vgpr3
.LBB51_534:                             ;   in Loop: Header=BB51_17 Depth=1
	s_and_not1_saveexec_b32 s21, s21
	s_cbranch_execz .LBB51_544
; %bb.535:                              ;   in Loop: Header=BB51_17 Depth=1
	s_mov_b32 s23, exec_lo
                                        ; implicit-def: $vgpr0
	v_cmpx_lt_i16_e32 5, v9
	s_xor_b32 s23, exec_lo, s23
	s_cbranch_execz .LBB51_541
; %bb.536:                              ;   in Loop: Header=BB51_17 Depth=1
	s_mov_b32 s24, exec_lo
                                        ; implicit-def: $vgpr0
	v_cmpx_lt_i16_e32 6, v9
	s_xor_b32 s24, exec_lo, s24
	s_cbranch_execz .LBB51_538
; %bb.537:                              ;   in Loop: Header=BB51_17 Depth=1
	flat_load_b64 v[2:3], v[2:3]
	s_wait_loadcnt_dscnt 0x0
	v_cvt_f32_f64_e32 v0, v[2:3]
                                        ; implicit-def: $vgpr2_vgpr3
.LBB51_538:                             ;   in Loop: Header=BB51_17 Depth=1
	s_wait_xcnt 0x0
	s_and_not1_saveexec_b32 s24, s24
	s_cbranch_execz .LBB51_540
; %bb.539:                              ;   in Loop: Header=BB51_17 Depth=1
	s_wait_loadcnt_dscnt 0x0
	flat_load_b32 v0, v[2:3]
.LBB51_540:                             ;   in Loop: Header=BB51_17 Depth=1
	s_wait_xcnt 0x0
	s_or_b32 exec_lo, exec_lo, s24
                                        ; implicit-def: $vgpr2_vgpr3
.LBB51_541:                             ;   in Loop: Header=BB51_17 Depth=1
	s_and_not1_saveexec_b32 s23, s23
	s_cbranch_execz .LBB51_543
; %bb.542:                              ;   in Loop: Header=BB51_17 Depth=1
	s_wait_loadcnt_dscnt 0x0
	flat_load_u16 v0, v[2:3]
	s_wait_loadcnt_dscnt 0x0
	v_cvt_f32_f16_e32 v0, v0
.LBB51_543:                             ;   in Loop: Header=BB51_17 Depth=1
	s_wait_xcnt 0x0
	s_or_b32 exec_lo, exec_lo, s23
.LBB51_544:                             ;   in Loop: Header=BB51_17 Depth=1
	s_delay_alu instid0(SALU_CYCLE_1)
	s_or_b32 exec_lo, exec_lo, s21
                                        ; implicit-def: $vgpr2_vgpr3
.LBB51_545:                             ;   in Loop: Header=BB51_17 Depth=1
	s_and_not1_saveexec_b32 s18, s18
	s_cbranch_execz .LBB51_563
; %bb.546:                              ;   in Loop: Header=BB51_17 Depth=1
	s_mov_b32 s21, exec_lo
                                        ; implicit-def: $vgpr0
	v_cmpx_lt_i16_e32 1, v9
	s_xor_b32 s21, exec_lo, s21
	s_cbranch_execz .LBB51_556
; %bb.547:                              ;   in Loop: Header=BB51_17 Depth=1
	s_mov_b32 s23, exec_lo
                                        ; implicit-def: $vgpr0
	v_cmpx_lt_i16_e32 2, v9
	s_xor_b32 s23, exec_lo, s23
	;; [unrolled: 6-line block ×3, first 2 shown]
	s_cbranch_execz .LBB51_550
; %bb.549:                              ;   in Loop: Header=BB51_17 Depth=1
	flat_load_b64 v[2:3], v[2:3]
	s_wait_loadcnt_dscnt 0x0
	v_xor_b32_e32 v0, v2, v3
	v_cls_i32_e32 v19, v3
	s_delay_alu instid0(VALU_DEP_2) | instskip(NEXT) | instid1(VALU_DEP_1)
	v_ashrrev_i32_e32 v0, 31, v0
	v_add_nc_u32_e32 v0, 32, v0
	s_delay_alu instid0(VALU_DEP_1) | instskip(SKIP_1) | instid1(VALU_DEP_1)
	v_add_min_u32_e64 v0, v19, -1, v0
	s_wait_xcnt 0x0
	v_lshlrev_b64_e32 v[2:3], v0, v[2:3]
	v_sub_nc_u32_e32 v0, 32, v0
	s_delay_alu instid0(VALU_DEP_2) | instskip(NEXT) | instid1(VALU_DEP_1)
	v_min_u32_e32 v2, 1, v2
	v_or_b32_e32 v2, v3, v2
	s_delay_alu instid0(VALU_DEP_1) | instskip(NEXT) | instid1(VALU_DEP_1)
	v_cvt_f32_i32_e32 v2, v2
	v_ldexp_f32 v0, v2, v0
                                        ; implicit-def: $vgpr2_vgpr3
.LBB51_550:                             ;   in Loop: Header=BB51_17 Depth=1
	s_and_not1_saveexec_b32 s24, s24
	s_cbranch_execz .LBB51_552
; %bb.551:                              ;   in Loop: Header=BB51_17 Depth=1
	s_wait_loadcnt_dscnt 0x0
	flat_load_b32 v0, v[2:3]
	s_wait_loadcnt_dscnt 0x0
	v_cvt_f32_i32_e32 v0, v0
.LBB51_552:                             ;   in Loop: Header=BB51_17 Depth=1
	s_wait_xcnt 0x0
	s_or_b32 exec_lo, exec_lo, s24
                                        ; implicit-def: $vgpr2_vgpr3
.LBB51_553:                             ;   in Loop: Header=BB51_17 Depth=1
	s_and_not1_saveexec_b32 s23, s23
	s_cbranch_execz .LBB51_555
; %bb.554:                              ;   in Loop: Header=BB51_17 Depth=1
	s_wait_loadcnt_dscnt 0x0
	flat_load_i16 v0, v[2:3]
	s_wait_loadcnt_dscnt 0x0
	v_cvt_f32_i32_e32 v0, v0
.LBB51_555:                             ;   in Loop: Header=BB51_17 Depth=1
	s_wait_xcnt 0x0
	s_or_b32 exec_lo, exec_lo, s23
                                        ; implicit-def: $vgpr2_vgpr3
.LBB51_556:                             ;   in Loop: Header=BB51_17 Depth=1
	s_and_not1_saveexec_b32 s21, s21
	s_cbranch_execz .LBB51_562
; %bb.557:                              ;   in Loop: Header=BB51_17 Depth=1
	s_mov_b32 s23, exec_lo
                                        ; implicit-def: $vgpr0
	v_cmpx_lt_i16_e32 0, v9
	s_xor_b32 s23, exec_lo, s23
	s_cbranch_execz .LBB51_559
; %bb.558:                              ;   in Loop: Header=BB51_17 Depth=1
	s_wait_loadcnt_dscnt 0x0
	flat_load_i8 v0, v[2:3]
                                        ; implicit-def: $vgpr2_vgpr3
	s_wait_loadcnt_dscnt 0x0
	v_cvt_f32_i32_e32 v0, v0
.LBB51_559:                             ;   in Loop: Header=BB51_17 Depth=1
	s_wait_xcnt 0x0
	s_and_not1_saveexec_b32 s23, s23
	s_cbranch_execz .LBB51_561
; %bb.560:                              ;   in Loop: Header=BB51_17 Depth=1
	s_wait_loadcnt_dscnt 0x0
	flat_load_u8 v0, v[2:3]
	s_wait_loadcnt_dscnt 0x0
	v_cvt_f32_ubyte0_e32 v0, v0
.LBB51_561:                             ;   in Loop: Header=BB51_17 Depth=1
	s_wait_xcnt 0x0
	s_or_b32 exec_lo, exec_lo, s23
.LBB51_562:                             ;   in Loop: Header=BB51_17 Depth=1
	s_delay_alu instid0(SALU_CYCLE_1)
	s_or_b32 exec_lo, exec_lo, s21
.LBB51_563:                             ;   in Loop: Header=BB51_17 Depth=1
	s_delay_alu instid0(SALU_CYCLE_1) | instskip(NEXT) | instid1(SALU_CYCLE_1)
	s_or_b32 exec_lo, exec_lo, s18
	s_or_b32 s22, s22, exec_lo
.LBB51_564:                             ;   in Loop: Header=BB51_17 Depth=1
	s_or_b32 exec_lo, exec_lo, s17
	s_mov_b32 s17, -1
	s_mov_b32 s23, 0
	s_mov_b32 s18, 0
	s_and_saveexec_b32 s21, s22
	s_cbranch_execz .LBB51_570
; %bb.565:                              ;   in Loop: Header=BB51_17 Depth=1
	s_add_co_i32 s17, s33, s1
	s_mov_b32 s22, 0
	s_wait_loadcnt_dscnt 0x0
	scratch_store_b32 off, v0, s17 offset:36
	s_wait_xcnt 0x0
	v_mul_lo_u32 v0, v18, v12
	v_and_b32_e32 v18, 0xff, v10
	s_mov_b32 s18, exec_lo
	s_delay_alu instid0(VALU_DEP_2) | instskip(NEXT) | instid1(VALU_DEP_2)
	v_add_nc_u64_e32 v[2:3], v[6:7], v[0:1]
                                        ; implicit-def: $vgpr0
	v_cmpx_lt_i16_e32 10, v18
	s_xor_b32 s18, exec_lo, s18
	s_cbranch_execnz .LBB51_2206
; %bb.566:                              ;   in Loop: Header=BB51_17 Depth=1
	s_and_not1_saveexec_b32 s18, s18
	s_cbranch_execnz .LBB51_2265
.LBB51_567:                             ;   in Loop: Header=BB51_17 Depth=1
	s_or_b32 exec_lo, exec_lo, s18
	s_mov_b32 s23, 0
	s_and_saveexec_b32 s18, s22
	s_cbranch_execz .LBB51_569
.LBB51_568:                             ;   in Loop: Header=BB51_17 Depth=1
	v_add_nc_u32_e32 v16, 0x200, v16
	s_mov_b32 s23, exec_lo
	s_wait_loadcnt_dscnt 0x0
	scratch_store_b32 off, v0, s17 offset:32
.LBB51_569:                             ;   in Loop: Header=BB51_17 Depth=1
	s_wait_xcnt 0x0
	s_or_b32 exec_lo, exec_lo, s18
	s_delay_alu instid0(SALU_CYCLE_1)
	s_mov_b32 s18, exec_lo
	s_xor_b32 s17, exec_lo, -1
	s_and_b32 s23, s23, exec_lo
.LBB51_570:                             ;   in Loop: Header=BB51_17 Depth=1
	s_or_b32 exec_lo, exec_lo, s21
	s_delay_alu instid0(SALU_CYCLE_1)
	s_or_not1_b32 s21, s23, exec_lo
.LBB51_571:                             ;   in Loop: Header=BB51_17 Depth=1
	s_or_b32 exec_lo, exec_lo, s19
	s_and_saveexec_b32 s19, s21
	s_cbranch_execz .LBB51_12
; %bb.572:                              ;   in Loop: Header=BB51_17 Depth=1
	s_mov_b32 s23, -1
	s_mov_b32 s24, -1
	s_mov_b32 s22, exec_lo
                                        ; implicit-def: $sgpr20
                                        ; implicit-def: $sgpr21
	v_cmpx_lt_i32_e64 v16, v8
	s_cbranch_execz .LBB51_682
; %bb.573:                              ;   in Loop: Header=BB51_17 Depth=1
	v_add_nc_u32_e32 v18, s3, v16
	s_mov_b32 s25, 0
	s_mov_b32 s20, exec_lo
	s_wait_loadcnt_dscnt 0x0
	s_delay_alu instid0(VALU_DEP_1) | instskip(NEXT) | instid1(VALU_DEP_1)
	v_mul_lo_u32 v0, v18, v11
	v_add_nc_u64_e32 v[2:3], v[4:5], v[0:1]
                                        ; implicit-def: $vgpr0
	v_cmpx_lt_i16_e32 10, v9
	s_xor_b32 s20, exec_lo, s20
	s_cbranch_execz .LBB51_633
; %bb.574:                              ;   in Loop: Header=BB51_17 Depth=1
	s_mov_b32 s24, 0
	s_mov_b32 s21, exec_lo
                                        ; implicit-def: $vgpr0
	v_cmpx_lt_i16_e32 25, v9
	s_xor_b32 s21, exec_lo, s21
	s_cbranch_execz .LBB51_606
; %bb.575:                              ;   in Loop: Header=BB51_17 Depth=1
	s_mov_b32 s25, exec_lo
                                        ; implicit-def: $vgpr0
	v_cmpx_lt_i16_e32 28, v9
	s_xor_b32 s25, exec_lo, s25
	s_cbranch_execz .LBB51_591
; %bb.576:                              ;   in Loop: Header=BB51_17 Depth=1
	s_mov_b32 s26, 0
	s_mov_b32 s24, exec_lo
                                        ; implicit-def: $vgpr0
	v_cmpx_lt_i16_e32 43, v9
	s_xor_b32 s24, exec_lo, s24
	s_cbranch_execz .LBB51_586
; %bb.577:                              ;   in Loop: Header=BB51_17 Depth=1
	s_mov_b32 s27, exec_lo
                                        ; implicit-def: $vgpr0
	v_cmpx_lt_i16_e32 45, v9
	s_xor_b32 s27, exec_lo, s27
	s_cbranch_execz .LBB51_581
; %bb.578:                              ;   in Loop: Header=BB51_17 Depth=1
	s_mov_b32 s28, exec_lo
                                        ; implicit-def: $vgpr0
	v_cmpx_eq_u16_e32 46, v9
	s_cbranch_execz .LBB51_580
; %bb.579:                              ;   in Loop: Header=BB51_17 Depth=1
	flat_load_b32 v0, v[2:3]
	s_mov_b32 s26, exec_lo
	s_wait_loadcnt_dscnt 0x0
	v_lshlrev_b32_e32 v0, 16, v0
.LBB51_580:                             ;   in Loop: Header=BB51_17 Depth=1
	s_wait_xcnt 0x0
	s_or_b32 exec_lo, exec_lo, s28
	s_delay_alu instid0(SALU_CYCLE_1)
	s_and_b32 s26, s26, exec_lo
                                        ; implicit-def: $vgpr2_vgpr3
.LBB51_581:                             ;   in Loop: Header=BB51_17 Depth=1
	s_and_not1_saveexec_b32 s27, s27
	s_cbranch_execz .LBB51_585
; %bb.582:                              ;   in Loop: Header=BB51_17 Depth=1
	s_mov_b32 s29, s26
	s_mov_b32 s28, exec_lo
                                        ; implicit-def: $vgpr0
	v_cmpx_eq_u16_e32 44, v9
	s_cbranch_execz .LBB51_584
; %bb.583:                              ;   in Loop: Header=BB51_17 Depth=1
	flat_load_u8 v0, v[2:3]
	s_or_b32 s29, s26, exec_lo
	s_wait_loadcnt_dscnt 0x0
	v_lshlrev_b32_e32 v2, 23, v0
	v_cmp_ne_u32_e32 vcc_lo, 0xff, v0
	s_delay_alu instid0(VALU_DEP_2) | instskip(SKIP_1) | instid1(VALU_DEP_2)
	v_cndmask_b32_e32 v2, 0x7f800001, v2, vcc_lo
	v_cmp_ne_u32_e32 vcc_lo, 0, v0
	v_cndmask_b32_e32 v0, 0x400000, v2, vcc_lo
.LBB51_584:                             ;   in Loop: Header=BB51_17 Depth=1
	s_or_b32 exec_lo, exec_lo, s28
	s_delay_alu instid0(SALU_CYCLE_1) | instskip(SKIP_1) | instid1(SALU_CYCLE_1)
	s_and_not1_b32 s26, s26, exec_lo
	s_and_b32 s28, s29, exec_lo
	s_or_b32 s26, s26, s28
.LBB51_585:                             ;   in Loop: Header=BB51_17 Depth=1
	s_or_b32 exec_lo, exec_lo, s27
	s_delay_alu instid0(SALU_CYCLE_1)
	s_and_b32 s26, s26, exec_lo
                                        ; implicit-def: $vgpr2_vgpr3
.LBB51_586:                             ;   in Loop: Header=BB51_17 Depth=1
	s_and_not1_saveexec_b32 s24, s24
	s_cbranch_execz .LBB51_590
; %bb.587:                              ;   in Loop: Header=BB51_17 Depth=1
	s_mov_b32 s28, s26
	s_mov_b32 s27, exec_lo
                                        ; implicit-def: $vgpr0
	v_cmpx_eq_u16_e32 29, v9
	s_cbranch_execz .LBB51_589
; %bb.588:                              ;   in Loop: Header=BB51_17 Depth=1
	flat_load_b64 v[2:3], v[2:3]
	s_or_b32 s28, s26, exec_lo
	s_wait_loadcnt_dscnt 0x0
	v_clz_i32_u32_e32 v0, v3
	s_delay_alu instid0(VALU_DEP_1) | instskip(SKIP_1) | instid1(VALU_DEP_1)
	v_min_u32_e32 v0, 32, v0
	s_wait_xcnt 0x0
	v_lshlrev_b64_e32 v[2:3], v0, v[2:3]
	v_sub_nc_u32_e32 v0, 32, v0
	s_delay_alu instid0(VALU_DEP_2) | instskip(NEXT) | instid1(VALU_DEP_1)
	v_min_u32_e32 v2, 1, v2
	v_or_b32_e32 v2, v3, v2
	s_delay_alu instid0(VALU_DEP_1) | instskip(NEXT) | instid1(VALU_DEP_1)
	v_cvt_f32_u32_e32 v2, v2
	v_ldexp_f32 v0, v2, v0
.LBB51_589:                             ;   in Loop: Header=BB51_17 Depth=1
	s_or_b32 exec_lo, exec_lo, s27
	s_delay_alu instid0(SALU_CYCLE_1) | instskip(SKIP_1) | instid1(SALU_CYCLE_1)
	s_and_not1_b32 s26, s26, exec_lo
	s_and_b32 s27, s28, exec_lo
	s_or_b32 s26, s26, s27
.LBB51_590:                             ;   in Loop: Header=BB51_17 Depth=1
	s_or_b32 exec_lo, exec_lo, s24
	s_delay_alu instid0(SALU_CYCLE_1)
	s_and_b32 s24, s26, exec_lo
                                        ; implicit-def: $vgpr2_vgpr3
.LBB51_591:                             ;   in Loop: Header=BB51_17 Depth=1
	s_and_not1_saveexec_b32 s25, s25
	s_cbranch_execz .LBB51_605
; %bb.592:                              ;   in Loop: Header=BB51_17 Depth=1
	s_mov_b32 s26, exec_lo
                                        ; implicit-def: $vgpr0
	v_cmpx_lt_i16_e32 26, v9
	s_xor_b32 s26, exec_lo, s26
	s_cbranch_execz .LBB51_598
; %bb.593:                              ;   in Loop: Header=BB51_17 Depth=1
	s_mov_b32 s27, exec_lo
                                        ; implicit-def: $vgpr0
	v_cmpx_lt_i16_e32 27, v9
	s_xor_b32 s27, exec_lo, s27
	s_cbranch_execz .LBB51_595
; %bb.594:                              ;   in Loop: Header=BB51_17 Depth=1
	flat_load_b32 v0, v[2:3]
                                        ; implicit-def: $vgpr2_vgpr3
	s_wait_loadcnt_dscnt 0x0
	v_cvt_f32_u32_e32 v0, v0
.LBB51_595:                             ;   in Loop: Header=BB51_17 Depth=1
	s_wait_xcnt 0x0
	s_and_not1_saveexec_b32 s27, s27
	s_cbranch_execz .LBB51_597
; %bb.596:                              ;   in Loop: Header=BB51_17 Depth=1
	flat_load_u16 v0, v[2:3]
	s_wait_loadcnt_dscnt 0x0
	v_cvt_f32_u32_e32 v0, v0
.LBB51_597:                             ;   in Loop: Header=BB51_17 Depth=1
	s_wait_xcnt 0x0
	s_or_b32 exec_lo, exec_lo, s27
                                        ; implicit-def: $vgpr2_vgpr3
.LBB51_598:                             ;   in Loop: Header=BB51_17 Depth=1
	s_and_not1_saveexec_b32 s26, s26
	s_cbranch_execz .LBB51_604
; %bb.599:                              ;   in Loop: Header=BB51_17 Depth=1
	flat_load_u8 v2, v[2:3]
	s_mov_b32 s27, 0
	s_mov_b32 s28, exec_lo
	s_wait_loadcnt_dscnt 0x0
	v_cmpx_lt_i16_e32 0x7f, v2
	s_xor_b32 s28, exec_lo, s28
	s_cbranch_execnz .LBB51_2662
; %bb.600:                              ;   in Loop: Header=BB51_17 Depth=1
	s_or_saveexec_b32 s28, s28
	v_mov_b32_e32 v0, 0x7f800001
	s_xor_b32 exec_lo, exec_lo, s28
	s_cbranch_execnz .LBB51_2665
.LBB51_601:                             ;   in Loop: Header=BB51_17 Depth=1
	s_or_b32 exec_lo, exec_lo, s28
	s_and_saveexec_b32 s28, s27
	s_cbranch_execz .LBB51_603
.LBB51_602:                             ;   in Loop: Header=BB51_17 Depth=1
	v_and_b32_e32 v0, 0xffff, v2
	s_delay_alu instid0(VALU_DEP_1) | instskip(SKIP_1) | instid1(VALU_DEP_2)
	v_and_b32_e32 v3, 7, v0
	v_bfe_u32 v21, v0, 3, 4
	v_clz_i32_u32_e32 v19, v3
	s_delay_alu instid0(VALU_DEP_2) | instskip(NEXT) | instid1(VALU_DEP_2)
	v_cmp_eq_u32_e32 vcc_lo, 0, v21
	v_min_u32_e32 v19, 32, v19
	s_delay_alu instid0(VALU_DEP_1) | instskip(NEXT) | instid1(VALU_DEP_1)
	v_subrev_nc_u32_e32 v20, 28, v19
	v_dual_lshlrev_b32 v0, v20, v0 :: v_dual_sub_nc_u32 v19, 29, v19
	s_delay_alu instid0(VALU_DEP_1) | instskip(NEXT) | instid1(VALU_DEP_1)
	v_dual_lshlrev_b32 v2, 24, v2 :: v_dual_bitop2_b32 v0, 7, v0 bitop3:0x40
	v_dual_cndmask_b32 v19, v21, v19 :: v_dual_cndmask_b32 v0, v3, v0
	s_delay_alu instid0(VALU_DEP_2) | instskip(NEXT) | instid1(VALU_DEP_2)
	v_and_b32_e32 v2, 0x80000000, v2
	v_lshl_add_u32 v3, v19, 23, 0x3b800000
	s_delay_alu instid0(VALU_DEP_3) | instskip(NEXT) | instid1(VALU_DEP_1)
	v_lshlrev_b32_e32 v0, 20, v0
	v_or3_b32 v0, v2, v3, v0
.LBB51_603:                             ;   in Loop: Header=BB51_17 Depth=1
	s_or_b32 exec_lo, exec_lo, s28
.LBB51_604:                             ;   in Loop: Header=BB51_17 Depth=1
	s_delay_alu instid0(SALU_CYCLE_1) | instskip(NEXT) | instid1(SALU_CYCLE_1)
	s_or_b32 exec_lo, exec_lo, s26
	s_or_b32 s24, s24, exec_lo
.LBB51_605:                             ;   in Loop: Header=BB51_17 Depth=1
	s_or_b32 exec_lo, exec_lo, s25
	s_delay_alu instid0(SALU_CYCLE_1)
	s_and_b32 s24, s24, exec_lo
                                        ; implicit-def: $vgpr2_vgpr3
.LBB51_606:                             ;   in Loop: Header=BB51_17 Depth=1
	s_and_not1_saveexec_b32 s21, s21
	s_cbranch_execz .LBB51_632
; %bb.607:                              ;   in Loop: Header=BB51_17 Depth=1
	s_mov_b32 s26, s24
	s_mov_b32 s25, exec_lo
                                        ; implicit-def: $vgpr0
	v_cmpx_lt_i16_e32 22, v9
	s_xor_b32 s25, exec_lo, s25
	s_cbranch_execz .LBB51_621
; %bb.608:                              ;   in Loop: Header=BB51_17 Depth=1
	s_mov_b32 s26, exec_lo
                                        ; implicit-def: $vgpr0
	v_cmpx_lt_i16_e32 23, v9
	s_xor_b32 s26, exec_lo, s26
	s_cbranch_execz .LBB51_618
; %bb.609:                              ;   in Loop: Header=BB51_17 Depth=1
	;; [unrolled: 6-line block ×3, first 2 shown]
	flat_load_u8 v2, v[2:3]
	s_mov_b32 s28, 0
	s_mov_b32 s29, exec_lo
	s_wait_loadcnt_dscnt 0x0
	v_cmpx_lt_i16_e32 0x7f, v2
	s_xor_b32 s29, exec_lo, s29
	s_cbranch_execnz .LBB51_2774
; %bb.611:                              ;   in Loop: Header=BB51_17 Depth=1
	s_or_saveexec_b32 s29, s29
	v_mov_b32_e32 v0, 0x7f800001
	s_xor_b32 exec_lo, exec_lo, s29
	s_cbranch_execnz .LBB51_2777
.LBB51_612:                             ;   in Loop: Header=BB51_17 Depth=1
	s_or_b32 exec_lo, exec_lo, s29
	s_and_saveexec_b32 s29, s28
	s_cbranch_execz .LBB51_614
.LBB51_613:                             ;   in Loop: Header=BB51_17 Depth=1
	v_and_b32_e32 v0, 0xffff, v2
	s_delay_alu instid0(VALU_DEP_1) | instskip(SKIP_1) | instid1(VALU_DEP_2)
	v_and_b32_e32 v3, 3, v0
	v_bfe_u32 v21, v0, 2, 5
	v_clz_i32_u32_e32 v19, v3
	s_delay_alu instid0(VALU_DEP_2) | instskip(NEXT) | instid1(VALU_DEP_2)
	v_cmp_eq_u32_e32 vcc_lo, 0, v21
	v_min_u32_e32 v19, 32, v19
	s_delay_alu instid0(VALU_DEP_1) | instskip(NEXT) | instid1(VALU_DEP_1)
	v_subrev_nc_u32_e32 v20, 29, v19
	v_dual_lshlrev_b32 v0, v20, v0 :: v_dual_sub_nc_u32 v19, 30, v19
	s_delay_alu instid0(VALU_DEP_1) | instskip(NEXT) | instid1(VALU_DEP_1)
	v_dual_lshlrev_b32 v2, 24, v2 :: v_dual_bitop2_b32 v0, 3, v0 bitop3:0x40
	v_dual_cndmask_b32 v19, v21, v19 :: v_dual_cndmask_b32 v0, v3, v0
	s_delay_alu instid0(VALU_DEP_2) | instskip(NEXT) | instid1(VALU_DEP_2)
	v_and_b32_e32 v2, 0x80000000, v2
	v_lshl_add_u32 v3, v19, 23, 0x37800000
	s_delay_alu instid0(VALU_DEP_3) | instskip(NEXT) | instid1(VALU_DEP_1)
	v_lshlrev_b32_e32 v0, 21, v0
	v_or3_b32 v0, v2, v3, v0
.LBB51_614:                             ;   in Loop: Header=BB51_17 Depth=1
	s_or_b32 exec_lo, exec_lo, s29
                                        ; implicit-def: $vgpr2_vgpr3
.LBB51_615:                             ;   in Loop: Header=BB51_17 Depth=1
	s_and_not1_saveexec_b32 s27, s27
	s_cbranch_execz .LBB51_617
; %bb.616:                              ;   in Loop: Header=BB51_17 Depth=1
	flat_load_u8 v0, v[2:3]
	s_wait_loadcnt_dscnt 0x0
	v_lshlrev_b32_e32 v0, 24, v0
	s_wait_xcnt 0x0
	s_delay_alu instid0(VALU_DEP_1) | instskip(NEXT) | instid1(VALU_DEP_1)
	v_and_b32_e32 v2, 0x7f000000, v0
	v_clz_i32_u32_e32 v3, v2
	v_add_nc_u32_e32 v20, 0x1000000, v2
	v_cmp_ne_u32_e32 vcc_lo, 0, v2
	s_delay_alu instid0(VALU_DEP_3) | instskip(NEXT) | instid1(VALU_DEP_1)
	v_min_u32_e32 v3, 32, v3
	v_sub_nc_u32_e64 v3, v3, 4 clamp
	s_delay_alu instid0(VALU_DEP_1) | instskip(NEXT) | instid1(VALU_DEP_1)
	v_dual_lshlrev_b32 v19, v3, v2 :: v_dual_lshlrev_b32 v3, 23, v3
	v_lshrrev_b32_e32 v19, 4, v19
	s_delay_alu instid0(VALU_DEP_1) | instskip(NEXT) | instid1(VALU_DEP_1)
	v_dual_sub_nc_u32 v3, v19, v3 :: v_dual_ashrrev_i32 v19, 8, v20
	v_add_nc_u32_e32 v3, 0x3c000000, v3
	s_delay_alu instid0(VALU_DEP_1) | instskip(NEXT) | instid1(VALU_DEP_1)
	v_and_or_b32 v3, 0x7f800000, v19, v3
	v_cndmask_b32_e32 v2, 0, v3, vcc_lo
	s_delay_alu instid0(VALU_DEP_1)
	v_and_or_b32 v0, 0x80000000, v0, v2
.LBB51_617:                             ;   in Loop: Header=BB51_17 Depth=1
	s_or_b32 exec_lo, exec_lo, s27
                                        ; implicit-def: $vgpr2_vgpr3
.LBB51_618:                             ;   in Loop: Header=BB51_17 Depth=1
	s_and_not1_saveexec_b32 s26, s26
	s_cbranch_execz .LBB51_620
; %bb.619:                              ;   in Loop: Header=BB51_17 Depth=1
	flat_load_u8 v0, v[2:3]
	s_wait_loadcnt_dscnt 0x0
	v_lshlrev_b32_e32 v2, 25, v0
	v_lshlrev_b16 v0, 8, v0
	s_delay_alu instid0(VALU_DEP_1) | instskip(SKIP_1) | instid1(VALU_DEP_2)
	v_and_or_b32 v19, 0x7f00, v0, 0.5
	v_bfe_i32 v0, v0, 0, 16
	v_dual_add_f32 v19, -0.5, v19 :: v_dual_lshrrev_b32 v3, 4, v2
	v_cmp_gt_u32_e32 vcc_lo, 0x8000000, v2
	s_delay_alu instid0(VALU_DEP_2) | instskip(NEXT) | instid1(VALU_DEP_1)
	v_or_b32_e32 v3, 0x70000000, v3
	v_mul_f32_e32 v3, 0x7800000, v3
	s_delay_alu instid0(VALU_DEP_1) | instskip(NEXT) | instid1(VALU_DEP_1)
	v_cndmask_b32_e32 v2, v3, v19, vcc_lo
	v_and_or_b32 v0, 0x80000000, v0, v2
.LBB51_620:                             ;   in Loop: Header=BB51_17 Depth=1
	s_or_b32 exec_lo, exec_lo, s26
	s_delay_alu instid0(SALU_CYCLE_1)
	s_or_b32 s26, s24, exec_lo
                                        ; implicit-def: $vgpr2_vgpr3
.LBB51_621:                             ;   in Loop: Header=BB51_17 Depth=1
	s_and_not1_saveexec_b32 s25, s25
	s_cbranch_execz .LBB51_631
; %bb.622:                              ;   in Loop: Header=BB51_17 Depth=1
	s_mov_b32 s27, s26
	s_mov_b32 s28, exec_lo
                                        ; implicit-def: $vgpr0
	v_cmpx_lt_i16_e32 14, v9
	s_xor_b32 s28, exec_lo, s28
	s_cbranch_execz .LBB51_626
; %bb.623:                              ;   in Loop: Header=BB51_17 Depth=1
	s_mov_b32 s27, s26
	s_mov_b32 s29, exec_lo
                                        ; implicit-def: $vgpr0
	v_cmpx_eq_u16_e32 15, v9
	s_cbranch_execz .LBB51_625
; %bb.624:                              ;   in Loop: Header=BB51_17 Depth=1
	flat_load_u16 v0, v[2:3]
	s_or_b32 s27, s26, exec_lo
	s_wait_loadcnt_dscnt 0x0
	v_lshlrev_b32_e32 v0, 16, v0
.LBB51_625:                             ;   in Loop: Header=BB51_17 Depth=1
	s_wait_xcnt 0x0
	s_or_b32 exec_lo, exec_lo, s29
	s_delay_alu instid0(SALU_CYCLE_1) | instskip(SKIP_1) | instid1(SALU_CYCLE_1)
	s_and_not1_b32 s29, s26, exec_lo
	s_and_b32 s27, s27, exec_lo
                                        ; implicit-def: $vgpr2_vgpr3
	s_or_b32 s27, s29, s27
.LBB51_626:                             ;   in Loop: Header=BB51_17 Depth=1
	s_and_not1_saveexec_b32 s28, s28
	s_cbranch_execz .LBB51_630
; %bb.627:                              ;   in Loop: Header=BB51_17 Depth=1
	s_mov_b32 s29, s27
	s_mov_b32 s40, exec_lo
                                        ; implicit-def: $vgpr0
	v_cmpx_eq_u16_e32 11, v9
	s_cbranch_execz .LBB51_629
; %bb.628:                              ;   in Loop: Header=BB51_17 Depth=1
	flat_load_u8 v0, v[2:3]
	s_or_b32 s29, s27, exec_lo
	s_wait_loadcnt_dscnt 0x0
	v_cmp_ne_u16_e32 vcc_lo, 0, v0
	v_cndmask_b32_e64 v0, 0, 1.0, vcc_lo
.LBB51_629:                             ;   in Loop: Header=BB51_17 Depth=1
	s_wait_xcnt 0x0
	s_or_b32 exec_lo, exec_lo, s40
	s_delay_alu instid0(SALU_CYCLE_1) | instskip(SKIP_1) | instid1(SALU_CYCLE_1)
	s_and_not1_b32 s27, s27, exec_lo
	s_and_b32 s29, s29, exec_lo
	s_or_b32 s27, s27, s29
.LBB51_630:                             ;   in Loop: Header=BB51_17 Depth=1
	s_or_b32 exec_lo, exec_lo, s28
	s_delay_alu instid0(SALU_CYCLE_1) | instskip(SKIP_1) | instid1(SALU_CYCLE_1)
	s_and_not1_b32 s26, s26, exec_lo
	s_and_b32 s27, s27, exec_lo
	s_or_b32 s26, s26, s27
.LBB51_631:                             ;   in Loop: Header=BB51_17 Depth=1
	s_or_b32 exec_lo, exec_lo, s25
	s_delay_alu instid0(SALU_CYCLE_1) | instskip(SKIP_1) | instid1(SALU_CYCLE_1)
	s_and_not1_b32 s24, s24, exec_lo
	s_and_b32 s25, s26, exec_lo
	s_or_b32 s24, s24, s25
.LBB51_632:                             ;   in Loop: Header=BB51_17 Depth=1
	s_or_b32 exec_lo, exec_lo, s21
	s_delay_alu instid0(SALU_CYCLE_1)
	s_and_b32 s25, s24, exec_lo
                                        ; implicit-def: $vgpr2_vgpr3
.LBB51_633:                             ;   in Loop: Header=BB51_17 Depth=1
	s_and_not1_saveexec_b32 s20, s20
	s_cbranch_execz .LBB51_675
; %bb.634:                              ;   in Loop: Header=BB51_17 Depth=1
	s_mov_b32 s21, exec_lo
                                        ; implicit-def: $vgpr0
	v_cmpx_lt_i16_e32 4, v9
	s_xor_b32 s21, exec_lo, s21
	s_cbranch_execz .LBB51_656
; %bb.635:                              ;   in Loop: Header=BB51_17 Depth=1
	s_mov_b32 s24, exec_lo
                                        ; implicit-def: $vgpr0
	v_cmpx_lt_i16_e32 7, v9
	s_xor_b32 s24, exec_lo, s24
	;; [unrolled: 6-line block ×4, first 2 shown]
	s_cbranch_execz .LBB51_639
; %bb.638:                              ;   in Loop: Header=BB51_17 Depth=1
	flat_load_b64 v[2:3], v[2:3]
	s_wait_loadcnt_dscnt 0x0
	v_cvt_f32_f64_e32 v0, v[2:3]
                                        ; implicit-def: $vgpr2_vgpr3
.LBB51_639:                             ;   in Loop: Header=BB51_17 Depth=1
	s_wait_xcnt 0x0
	s_and_not1_saveexec_b32 s27, s27
	s_cbranch_execz .LBB51_641
; %bb.640:                              ;   in Loop: Header=BB51_17 Depth=1
	flat_load_b32 v0, v[2:3]
.LBB51_641:                             ;   in Loop: Header=BB51_17 Depth=1
	s_wait_xcnt 0x0
	s_or_b32 exec_lo, exec_lo, s27
                                        ; implicit-def: $vgpr2_vgpr3
.LBB51_642:                             ;   in Loop: Header=BB51_17 Depth=1
	s_and_not1_saveexec_b32 s26, s26
	s_cbranch_execz .LBB51_644
; %bb.643:                              ;   in Loop: Header=BB51_17 Depth=1
	s_wait_loadcnt_dscnt 0x0
	flat_load_b32 v0, v[2:3]
	s_wait_loadcnt_dscnt 0x0
	v_cvt_f32_f16_e32 v0, v0
.LBB51_644:                             ;   in Loop: Header=BB51_17 Depth=1
	s_wait_xcnt 0x0
	s_or_b32 exec_lo, exec_lo, s26
                                        ; implicit-def: $vgpr2_vgpr3
.LBB51_645:                             ;   in Loop: Header=BB51_17 Depth=1
	s_and_not1_saveexec_b32 s24, s24
	s_cbranch_execz .LBB51_655
; %bb.646:                              ;   in Loop: Header=BB51_17 Depth=1
	s_mov_b32 s26, exec_lo
                                        ; implicit-def: $vgpr0
	v_cmpx_lt_i16_e32 5, v9
	s_xor_b32 s26, exec_lo, s26
	s_cbranch_execz .LBB51_652
; %bb.647:                              ;   in Loop: Header=BB51_17 Depth=1
	s_mov_b32 s27, exec_lo
                                        ; implicit-def: $vgpr0
	v_cmpx_lt_i16_e32 6, v9
	s_xor_b32 s27, exec_lo, s27
	s_cbranch_execz .LBB51_649
; %bb.648:                              ;   in Loop: Header=BB51_17 Depth=1
	flat_load_b64 v[2:3], v[2:3]
	s_wait_loadcnt_dscnt 0x0
	v_cvt_f32_f64_e32 v0, v[2:3]
                                        ; implicit-def: $vgpr2_vgpr3
.LBB51_649:                             ;   in Loop: Header=BB51_17 Depth=1
	s_wait_xcnt 0x0
	s_and_not1_saveexec_b32 s27, s27
	s_cbranch_execz .LBB51_651
; %bb.650:                              ;   in Loop: Header=BB51_17 Depth=1
	s_wait_loadcnt_dscnt 0x0
	flat_load_b32 v0, v[2:3]
.LBB51_651:                             ;   in Loop: Header=BB51_17 Depth=1
	s_wait_xcnt 0x0
	s_or_b32 exec_lo, exec_lo, s27
                                        ; implicit-def: $vgpr2_vgpr3
.LBB51_652:                             ;   in Loop: Header=BB51_17 Depth=1
	s_and_not1_saveexec_b32 s26, s26
	s_cbranch_execz .LBB51_654
; %bb.653:                              ;   in Loop: Header=BB51_17 Depth=1
	s_wait_loadcnt_dscnt 0x0
	flat_load_u16 v0, v[2:3]
	s_wait_loadcnt_dscnt 0x0
	v_cvt_f32_f16_e32 v0, v0
.LBB51_654:                             ;   in Loop: Header=BB51_17 Depth=1
	s_wait_xcnt 0x0
	s_or_b32 exec_lo, exec_lo, s26
.LBB51_655:                             ;   in Loop: Header=BB51_17 Depth=1
	s_delay_alu instid0(SALU_CYCLE_1)
	s_or_b32 exec_lo, exec_lo, s24
                                        ; implicit-def: $vgpr2_vgpr3
.LBB51_656:                             ;   in Loop: Header=BB51_17 Depth=1
	s_and_not1_saveexec_b32 s21, s21
	s_cbranch_execz .LBB51_674
; %bb.657:                              ;   in Loop: Header=BB51_17 Depth=1
	s_mov_b32 s24, exec_lo
                                        ; implicit-def: $vgpr0
	v_cmpx_lt_i16_e32 1, v9
	s_xor_b32 s24, exec_lo, s24
	s_cbranch_execz .LBB51_667
; %bb.658:                              ;   in Loop: Header=BB51_17 Depth=1
	s_mov_b32 s26, exec_lo
                                        ; implicit-def: $vgpr0
	v_cmpx_lt_i16_e32 2, v9
	s_xor_b32 s26, exec_lo, s26
	;; [unrolled: 6-line block ×3, first 2 shown]
	s_cbranch_execz .LBB51_661
; %bb.660:                              ;   in Loop: Header=BB51_17 Depth=1
	flat_load_b64 v[2:3], v[2:3]
	s_wait_loadcnt_dscnt 0x0
	v_xor_b32_e32 v0, v2, v3
	v_cls_i32_e32 v19, v3
	s_delay_alu instid0(VALU_DEP_2) | instskip(NEXT) | instid1(VALU_DEP_1)
	v_ashrrev_i32_e32 v0, 31, v0
	v_add_nc_u32_e32 v0, 32, v0
	s_delay_alu instid0(VALU_DEP_1) | instskip(SKIP_1) | instid1(VALU_DEP_1)
	v_add_min_u32_e64 v0, v19, -1, v0
	s_wait_xcnt 0x0
	v_lshlrev_b64_e32 v[2:3], v0, v[2:3]
	v_sub_nc_u32_e32 v0, 32, v0
	s_delay_alu instid0(VALU_DEP_2) | instskip(NEXT) | instid1(VALU_DEP_1)
	v_min_u32_e32 v2, 1, v2
	v_or_b32_e32 v2, v3, v2
	s_delay_alu instid0(VALU_DEP_1) | instskip(NEXT) | instid1(VALU_DEP_1)
	v_cvt_f32_i32_e32 v2, v2
	v_ldexp_f32 v0, v2, v0
                                        ; implicit-def: $vgpr2_vgpr3
.LBB51_661:                             ;   in Loop: Header=BB51_17 Depth=1
	s_and_not1_saveexec_b32 s27, s27
	s_cbranch_execz .LBB51_663
; %bb.662:                              ;   in Loop: Header=BB51_17 Depth=1
	s_wait_loadcnt_dscnt 0x0
	flat_load_b32 v0, v[2:3]
	s_wait_loadcnt_dscnt 0x0
	v_cvt_f32_i32_e32 v0, v0
.LBB51_663:                             ;   in Loop: Header=BB51_17 Depth=1
	s_wait_xcnt 0x0
	s_or_b32 exec_lo, exec_lo, s27
                                        ; implicit-def: $vgpr2_vgpr3
.LBB51_664:                             ;   in Loop: Header=BB51_17 Depth=1
	s_and_not1_saveexec_b32 s26, s26
	s_cbranch_execz .LBB51_666
; %bb.665:                              ;   in Loop: Header=BB51_17 Depth=1
	s_wait_loadcnt_dscnt 0x0
	flat_load_i16 v0, v[2:3]
	s_wait_loadcnt_dscnt 0x0
	v_cvt_f32_i32_e32 v0, v0
.LBB51_666:                             ;   in Loop: Header=BB51_17 Depth=1
	s_wait_xcnt 0x0
	s_or_b32 exec_lo, exec_lo, s26
                                        ; implicit-def: $vgpr2_vgpr3
.LBB51_667:                             ;   in Loop: Header=BB51_17 Depth=1
	s_and_not1_saveexec_b32 s24, s24
	s_cbranch_execz .LBB51_673
; %bb.668:                              ;   in Loop: Header=BB51_17 Depth=1
	s_mov_b32 s26, exec_lo
                                        ; implicit-def: $vgpr0
	v_cmpx_lt_i16_e32 0, v9
	s_xor_b32 s26, exec_lo, s26
	s_cbranch_execz .LBB51_670
; %bb.669:                              ;   in Loop: Header=BB51_17 Depth=1
	s_wait_loadcnt_dscnt 0x0
	flat_load_i8 v0, v[2:3]
                                        ; implicit-def: $vgpr2_vgpr3
	s_wait_loadcnt_dscnt 0x0
	v_cvt_f32_i32_e32 v0, v0
.LBB51_670:                             ;   in Loop: Header=BB51_17 Depth=1
	s_wait_xcnt 0x0
	s_and_not1_saveexec_b32 s26, s26
	s_cbranch_execz .LBB51_672
; %bb.671:                              ;   in Loop: Header=BB51_17 Depth=1
	s_wait_loadcnt_dscnt 0x0
	flat_load_u8 v0, v[2:3]
	s_wait_loadcnt_dscnt 0x0
	v_cvt_f32_ubyte0_e32 v0, v0
.LBB51_672:                             ;   in Loop: Header=BB51_17 Depth=1
	s_wait_xcnt 0x0
	s_or_b32 exec_lo, exec_lo, s26
.LBB51_673:                             ;   in Loop: Header=BB51_17 Depth=1
	s_delay_alu instid0(SALU_CYCLE_1)
	s_or_b32 exec_lo, exec_lo, s24
.LBB51_674:                             ;   in Loop: Header=BB51_17 Depth=1
	s_delay_alu instid0(SALU_CYCLE_1) | instskip(NEXT) | instid1(SALU_CYCLE_1)
	s_or_b32 exec_lo, exec_lo, s21
	s_or_b32 s25, s25, exec_lo
.LBB51_675:                             ;   in Loop: Header=BB51_17 Depth=1
	s_or_b32 exec_lo, exec_lo, s20
	s_mov_b32 s20, -1
	s_mov_b32 s26, 0
	s_mov_b32 s21, 0
	s_and_saveexec_b32 s24, s25
	s_cbranch_execz .LBB51_681
; %bb.676:                              ;   in Loop: Header=BB51_17 Depth=1
	s_add_co_i32 s20, s33, s1
	s_mov_b32 s25, 0
	s_wait_loadcnt_dscnt 0x0
	scratch_store_b32 off, v0, s20 offset:44
	s_wait_xcnt 0x0
	v_mul_lo_u32 v0, v18, v12
	v_and_b32_e32 v18, 0xff, v10
	s_mov_b32 s21, exec_lo
	s_delay_alu instid0(VALU_DEP_2) | instskip(NEXT) | instid1(VALU_DEP_2)
	v_add_nc_u64_e32 v[2:3], v[6:7], v[0:1]
                                        ; implicit-def: $vgpr0
	v_cmpx_lt_i16_e32 10, v18
	s_xor_b32 s21, exec_lo, s21
	s_cbranch_execnz .LBB51_2318
; %bb.677:                              ;   in Loop: Header=BB51_17 Depth=1
	s_and_not1_saveexec_b32 s21, s21
	s_cbranch_execnz .LBB51_2377
.LBB51_678:                             ;   in Loop: Header=BB51_17 Depth=1
	s_or_b32 exec_lo, exec_lo, s21
	s_mov_b32 s26, 0
	s_and_saveexec_b32 s21, s25
	s_cbranch_execz .LBB51_680
.LBB51_679:                             ;   in Loop: Header=BB51_17 Depth=1
	v_add_nc_u32_e32 v16, 0x200, v16
	s_mov_b32 s26, exec_lo
	s_wait_loadcnt_dscnt 0x0
	scratch_store_b32 off, v0, s20 offset:40
.LBB51_680:                             ;   in Loop: Header=BB51_17 Depth=1
	s_wait_xcnt 0x0
	s_or_b32 exec_lo, exec_lo, s21
	s_delay_alu instid0(SALU_CYCLE_1)
	s_mov_b32 s21, exec_lo
	s_xor_b32 s20, exec_lo, -1
	s_and_b32 s26, s26, exec_lo
.LBB51_681:                             ;   in Loop: Header=BB51_17 Depth=1
	s_or_b32 exec_lo, exec_lo, s24
	s_delay_alu instid0(SALU_CYCLE_1)
	s_or_not1_b32 s24, s26, exec_lo
.LBB51_682:                             ;   in Loop: Header=BB51_17 Depth=1
	s_or_b32 exec_lo, exec_lo, s22
	s_and_saveexec_b32 s22, s24
	s_cbranch_execz .LBB51_11
; %bb.683:                              ;   in Loop: Header=BB51_17 Depth=1
	s_mov_b32 s26, -1
	s_mov_b32 s27, -1
	s_mov_b32 s25, exec_lo
                                        ; implicit-def: $sgpr23
                                        ; implicit-def: $sgpr24
	v_cmpx_lt_i32_e64 v16, v8
	s_cbranch_execz .LBB51_793
; %bb.684:                              ;   in Loop: Header=BB51_17 Depth=1
	v_add_nc_u32_e32 v18, s3, v16
	s_mov_b32 s28, 0
	s_mov_b32 s23, exec_lo
	s_wait_loadcnt_dscnt 0x0
	s_delay_alu instid0(VALU_DEP_1) | instskip(NEXT) | instid1(VALU_DEP_1)
	v_mul_lo_u32 v0, v18, v11
	v_add_nc_u64_e32 v[2:3], v[4:5], v[0:1]
                                        ; implicit-def: $vgpr0
	v_cmpx_lt_i16_e32 10, v9
	s_xor_b32 s23, exec_lo, s23
	s_cbranch_execz .LBB51_744
; %bb.685:                              ;   in Loop: Header=BB51_17 Depth=1
	s_mov_b32 s27, 0
	s_mov_b32 s24, exec_lo
                                        ; implicit-def: $vgpr0
	v_cmpx_lt_i16_e32 25, v9
	s_xor_b32 s24, exec_lo, s24
	s_cbranch_execz .LBB51_717
; %bb.686:                              ;   in Loop: Header=BB51_17 Depth=1
	s_mov_b32 s28, exec_lo
                                        ; implicit-def: $vgpr0
	v_cmpx_lt_i16_e32 28, v9
	s_xor_b32 s28, exec_lo, s28
	s_cbranch_execz .LBB51_702
; %bb.687:                              ;   in Loop: Header=BB51_17 Depth=1
	s_mov_b32 s29, 0
	s_mov_b32 s27, exec_lo
                                        ; implicit-def: $vgpr0
	v_cmpx_lt_i16_e32 43, v9
	s_xor_b32 s27, exec_lo, s27
	s_cbranch_execz .LBB51_697
; %bb.688:                              ;   in Loop: Header=BB51_17 Depth=1
	s_mov_b32 s40, exec_lo
                                        ; implicit-def: $vgpr0
	v_cmpx_lt_i16_e32 45, v9
	s_xor_b32 s40, exec_lo, s40
	s_cbranch_execz .LBB51_692
; %bb.689:                              ;   in Loop: Header=BB51_17 Depth=1
	s_mov_b32 s41, exec_lo
                                        ; implicit-def: $vgpr0
	v_cmpx_eq_u16_e32 46, v9
	s_cbranch_execz .LBB51_691
; %bb.690:                              ;   in Loop: Header=BB51_17 Depth=1
	flat_load_b32 v0, v[2:3]
	s_mov_b32 s29, exec_lo
	s_wait_loadcnt_dscnt 0x0
	v_lshlrev_b32_e32 v0, 16, v0
.LBB51_691:                             ;   in Loop: Header=BB51_17 Depth=1
	s_wait_xcnt 0x0
	s_or_b32 exec_lo, exec_lo, s41
	s_delay_alu instid0(SALU_CYCLE_1)
	s_and_b32 s29, s29, exec_lo
                                        ; implicit-def: $vgpr2_vgpr3
.LBB51_692:                             ;   in Loop: Header=BB51_17 Depth=1
	s_and_not1_saveexec_b32 s40, s40
	s_cbranch_execz .LBB51_696
; %bb.693:                              ;   in Loop: Header=BB51_17 Depth=1
	s_mov_b32 s42, s29
	s_mov_b32 s41, exec_lo
                                        ; implicit-def: $vgpr0
	v_cmpx_eq_u16_e32 44, v9
	s_cbranch_execz .LBB51_695
; %bb.694:                              ;   in Loop: Header=BB51_17 Depth=1
	flat_load_u8 v0, v[2:3]
	s_or_b32 s42, s29, exec_lo
	s_wait_loadcnt_dscnt 0x0
	v_lshlrev_b32_e32 v2, 23, v0
	v_cmp_ne_u32_e32 vcc_lo, 0xff, v0
	s_delay_alu instid0(VALU_DEP_2) | instskip(SKIP_1) | instid1(VALU_DEP_2)
	v_cndmask_b32_e32 v2, 0x7f800001, v2, vcc_lo
	v_cmp_ne_u32_e32 vcc_lo, 0, v0
	v_cndmask_b32_e32 v0, 0x400000, v2, vcc_lo
.LBB51_695:                             ;   in Loop: Header=BB51_17 Depth=1
	s_or_b32 exec_lo, exec_lo, s41
	s_delay_alu instid0(SALU_CYCLE_1) | instskip(SKIP_1) | instid1(SALU_CYCLE_1)
	s_and_not1_b32 s29, s29, exec_lo
	s_and_b32 s41, s42, exec_lo
	s_or_b32 s29, s29, s41
.LBB51_696:                             ;   in Loop: Header=BB51_17 Depth=1
	s_or_b32 exec_lo, exec_lo, s40
	s_delay_alu instid0(SALU_CYCLE_1)
	s_and_b32 s29, s29, exec_lo
                                        ; implicit-def: $vgpr2_vgpr3
.LBB51_697:                             ;   in Loop: Header=BB51_17 Depth=1
	s_and_not1_saveexec_b32 s27, s27
	s_cbranch_execz .LBB51_701
; %bb.698:                              ;   in Loop: Header=BB51_17 Depth=1
	s_mov_b32 s41, s29
	s_mov_b32 s40, exec_lo
                                        ; implicit-def: $vgpr0
	v_cmpx_eq_u16_e32 29, v9
	s_cbranch_execz .LBB51_700
; %bb.699:                              ;   in Loop: Header=BB51_17 Depth=1
	flat_load_b64 v[2:3], v[2:3]
	s_or_b32 s41, s29, exec_lo
	s_wait_loadcnt_dscnt 0x0
	v_clz_i32_u32_e32 v0, v3
	s_delay_alu instid0(VALU_DEP_1) | instskip(SKIP_1) | instid1(VALU_DEP_1)
	v_min_u32_e32 v0, 32, v0
	s_wait_xcnt 0x0
	v_lshlrev_b64_e32 v[2:3], v0, v[2:3]
	v_sub_nc_u32_e32 v0, 32, v0
	s_delay_alu instid0(VALU_DEP_2) | instskip(NEXT) | instid1(VALU_DEP_1)
	v_min_u32_e32 v2, 1, v2
	v_or_b32_e32 v2, v3, v2
	s_delay_alu instid0(VALU_DEP_1) | instskip(NEXT) | instid1(VALU_DEP_1)
	v_cvt_f32_u32_e32 v2, v2
	v_ldexp_f32 v0, v2, v0
.LBB51_700:                             ;   in Loop: Header=BB51_17 Depth=1
	s_or_b32 exec_lo, exec_lo, s40
	s_delay_alu instid0(SALU_CYCLE_1) | instskip(SKIP_1) | instid1(SALU_CYCLE_1)
	s_and_not1_b32 s29, s29, exec_lo
	s_and_b32 s40, s41, exec_lo
	s_or_b32 s29, s29, s40
.LBB51_701:                             ;   in Loop: Header=BB51_17 Depth=1
	s_or_b32 exec_lo, exec_lo, s27
	s_delay_alu instid0(SALU_CYCLE_1)
	s_and_b32 s27, s29, exec_lo
                                        ; implicit-def: $vgpr2_vgpr3
.LBB51_702:                             ;   in Loop: Header=BB51_17 Depth=1
	s_and_not1_saveexec_b32 s28, s28
	s_cbranch_execz .LBB51_716
; %bb.703:                              ;   in Loop: Header=BB51_17 Depth=1
	s_mov_b32 s29, exec_lo
                                        ; implicit-def: $vgpr0
	v_cmpx_lt_i16_e32 26, v9
	s_xor_b32 s29, exec_lo, s29
	s_cbranch_execz .LBB51_709
; %bb.704:                              ;   in Loop: Header=BB51_17 Depth=1
	s_mov_b32 s40, exec_lo
                                        ; implicit-def: $vgpr0
	v_cmpx_lt_i16_e32 27, v9
	s_xor_b32 s40, exec_lo, s40
	s_cbranch_execz .LBB51_706
; %bb.705:                              ;   in Loop: Header=BB51_17 Depth=1
	flat_load_b32 v0, v[2:3]
                                        ; implicit-def: $vgpr2_vgpr3
	s_wait_loadcnt_dscnt 0x0
	v_cvt_f32_u32_e32 v0, v0
.LBB51_706:                             ;   in Loop: Header=BB51_17 Depth=1
	s_wait_xcnt 0x0
	s_and_not1_saveexec_b32 s40, s40
	s_cbranch_execz .LBB51_708
; %bb.707:                              ;   in Loop: Header=BB51_17 Depth=1
	flat_load_u16 v0, v[2:3]
	s_wait_loadcnt_dscnt 0x0
	v_cvt_f32_u32_e32 v0, v0
.LBB51_708:                             ;   in Loop: Header=BB51_17 Depth=1
	s_wait_xcnt 0x0
	s_or_b32 exec_lo, exec_lo, s40
                                        ; implicit-def: $vgpr2_vgpr3
.LBB51_709:                             ;   in Loop: Header=BB51_17 Depth=1
	s_and_not1_saveexec_b32 s29, s29
	s_cbranch_execz .LBB51_715
; %bb.710:                              ;   in Loop: Header=BB51_17 Depth=1
	flat_load_u8 v2, v[2:3]
	s_mov_b32 s40, 0
	s_mov_b32 s41, exec_lo
	s_wait_loadcnt_dscnt 0x0
	v_cmpx_lt_i16_e32 0x7f, v2
	s_xor_b32 s41, exec_lo, s41
	s_cbranch_execnz .LBB51_2778
; %bb.711:                              ;   in Loop: Header=BB51_17 Depth=1
	s_or_saveexec_b32 s41, s41
	v_mov_b32_e32 v0, 0x7f800001
	s_xor_b32 exec_lo, exec_lo, s41
	s_cbranch_execnz .LBB51_2781
.LBB51_712:                             ;   in Loop: Header=BB51_17 Depth=1
	s_or_b32 exec_lo, exec_lo, s41
	s_and_saveexec_b32 s41, s40
	s_cbranch_execz .LBB51_714
.LBB51_713:                             ;   in Loop: Header=BB51_17 Depth=1
	v_and_b32_e32 v0, 0xffff, v2
	s_delay_alu instid0(VALU_DEP_1) | instskip(SKIP_1) | instid1(VALU_DEP_2)
	v_and_b32_e32 v3, 7, v0
	v_bfe_u32 v21, v0, 3, 4
	v_clz_i32_u32_e32 v19, v3
	s_delay_alu instid0(VALU_DEP_2) | instskip(NEXT) | instid1(VALU_DEP_2)
	v_cmp_eq_u32_e32 vcc_lo, 0, v21
	v_min_u32_e32 v19, 32, v19
	s_delay_alu instid0(VALU_DEP_1) | instskip(NEXT) | instid1(VALU_DEP_1)
	v_subrev_nc_u32_e32 v20, 28, v19
	v_dual_lshlrev_b32 v0, v20, v0 :: v_dual_sub_nc_u32 v19, 29, v19
	s_delay_alu instid0(VALU_DEP_1) | instskip(NEXT) | instid1(VALU_DEP_1)
	v_dual_lshlrev_b32 v2, 24, v2 :: v_dual_bitop2_b32 v0, 7, v0 bitop3:0x40
	v_dual_cndmask_b32 v19, v21, v19 :: v_dual_cndmask_b32 v0, v3, v0
	s_delay_alu instid0(VALU_DEP_2) | instskip(NEXT) | instid1(VALU_DEP_2)
	v_and_b32_e32 v2, 0x80000000, v2
	v_lshl_add_u32 v3, v19, 23, 0x3b800000
	s_delay_alu instid0(VALU_DEP_3) | instskip(NEXT) | instid1(VALU_DEP_1)
	v_lshlrev_b32_e32 v0, 20, v0
	v_or3_b32 v0, v2, v3, v0
.LBB51_714:                             ;   in Loop: Header=BB51_17 Depth=1
	s_or_b32 exec_lo, exec_lo, s41
.LBB51_715:                             ;   in Loop: Header=BB51_17 Depth=1
	s_delay_alu instid0(SALU_CYCLE_1) | instskip(NEXT) | instid1(SALU_CYCLE_1)
	s_or_b32 exec_lo, exec_lo, s29
	s_or_b32 s27, s27, exec_lo
.LBB51_716:                             ;   in Loop: Header=BB51_17 Depth=1
	s_or_b32 exec_lo, exec_lo, s28
	s_delay_alu instid0(SALU_CYCLE_1)
	s_and_b32 s27, s27, exec_lo
                                        ; implicit-def: $vgpr2_vgpr3
.LBB51_717:                             ;   in Loop: Header=BB51_17 Depth=1
	s_and_not1_saveexec_b32 s24, s24
	s_cbranch_execz .LBB51_743
; %bb.718:                              ;   in Loop: Header=BB51_17 Depth=1
	s_mov_b32 s29, s27
	s_mov_b32 s28, exec_lo
                                        ; implicit-def: $vgpr0
	v_cmpx_lt_i16_e32 22, v9
	s_xor_b32 s28, exec_lo, s28
	s_cbranch_execz .LBB51_732
; %bb.719:                              ;   in Loop: Header=BB51_17 Depth=1
	s_mov_b32 s29, exec_lo
                                        ; implicit-def: $vgpr0
	v_cmpx_lt_i16_e32 23, v9
	s_xor_b32 s29, exec_lo, s29
	s_cbranch_execz .LBB51_729
; %bb.720:                              ;   in Loop: Header=BB51_17 Depth=1
	s_mov_b32 s40, exec_lo
                                        ; implicit-def: $vgpr0
	v_cmpx_lt_i16_e32 24, v9
	s_xor_b32 s40, exec_lo, s40
	s_cbranch_execz .LBB51_726
; %bb.721:                              ;   in Loop: Header=BB51_17 Depth=1
	flat_load_u8 v2, v[2:3]
	s_mov_b32 s41, 0
	s_mov_b32 s42, exec_lo
	s_wait_loadcnt_dscnt 0x0
	v_cmpx_lt_i16_e32 0x7f, v2
	s_xor_b32 s42, exec_lo, s42
	s_cbranch_execnz .LBB51_2890
; %bb.722:                              ;   in Loop: Header=BB51_17 Depth=1
	s_or_saveexec_b32 s42, s42
	v_mov_b32_e32 v0, 0x7f800001
	s_xor_b32 exec_lo, exec_lo, s42
	s_cbranch_execnz .LBB51_2893
.LBB51_723:                             ;   in Loop: Header=BB51_17 Depth=1
	s_or_b32 exec_lo, exec_lo, s42
	s_and_saveexec_b32 s42, s41
	s_cbranch_execz .LBB51_725
.LBB51_724:                             ;   in Loop: Header=BB51_17 Depth=1
	v_and_b32_e32 v0, 0xffff, v2
	s_delay_alu instid0(VALU_DEP_1) | instskip(SKIP_1) | instid1(VALU_DEP_2)
	v_and_b32_e32 v3, 3, v0
	v_bfe_u32 v21, v0, 2, 5
	v_clz_i32_u32_e32 v19, v3
	s_delay_alu instid0(VALU_DEP_2) | instskip(NEXT) | instid1(VALU_DEP_2)
	v_cmp_eq_u32_e32 vcc_lo, 0, v21
	v_min_u32_e32 v19, 32, v19
	s_delay_alu instid0(VALU_DEP_1) | instskip(NEXT) | instid1(VALU_DEP_1)
	v_subrev_nc_u32_e32 v20, 29, v19
	v_dual_lshlrev_b32 v0, v20, v0 :: v_dual_sub_nc_u32 v19, 30, v19
	s_delay_alu instid0(VALU_DEP_1) | instskip(NEXT) | instid1(VALU_DEP_1)
	v_dual_lshlrev_b32 v2, 24, v2 :: v_dual_bitop2_b32 v0, 3, v0 bitop3:0x40
	v_dual_cndmask_b32 v19, v21, v19 :: v_dual_cndmask_b32 v0, v3, v0
	s_delay_alu instid0(VALU_DEP_2) | instskip(NEXT) | instid1(VALU_DEP_2)
	v_and_b32_e32 v2, 0x80000000, v2
	v_lshl_add_u32 v3, v19, 23, 0x37800000
	s_delay_alu instid0(VALU_DEP_3) | instskip(NEXT) | instid1(VALU_DEP_1)
	v_lshlrev_b32_e32 v0, 21, v0
	v_or3_b32 v0, v2, v3, v0
.LBB51_725:                             ;   in Loop: Header=BB51_17 Depth=1
	s_or_b32 exec_lo, exec_lo, s42
                                        ; implicit-def: $vgpr2_vgpr3
.LBB51_726:                             ;   in Loop: Header=BB51_17 Depth=1
	s_and_not1_saveexec_b32 s40, s40
	s_cbranch_execz .LBB51_728
; %bb.727:                              ;   in Loop: Header=BB51_17 Depth=1
	flat_load_u8 v0, v[2:3]
	s_wait_loadcnt_dscnt 0x0
	v_lshlrev_b32_e32 v0, 24, v0
	s_wait_xcnt 0x0
	s_delay_alu instid0(VALU_DEP_1) | instskip(NEXT) | instid1(VALU_DEP_1)
	v_and_b32_e32 v2, 0x7f000000, v0
	v_clz_i32_u32_e32 v3, v2
	v_add_nc_u32_e32 v20, 0x1000000, v2
	v_cmp_ne_u32_e32 vcc_lo, 0, v2
	s_delay_alu instid0(VALU_DEP_3) | instskip(NEXT) | instid1(VALU_DEP_1)
	v_min_u32_e32 v3, 32, v3
	v_sub_nc_u32_e64 v3, v3, 4 clamp
	s_delay_alu instid0(VALU_DEP_1) | instskip(NEXT) | instid1(VALU_DEP_1)
	v_dual_lshlrev_b32 v19, v3, v2 :: v_dual_lshlrev_b32 v3, 23, v3
	v_lshrrev_b32_e32 v19, 4, v19
	s_delay_alu instid0(VALU_DEP_1) | instskip(NEXT) | instid1(VALU_DEP_1)
	v_dual_sub_nc_u32 v3, v19, v3 :: v_dual_ashrrev_i32 v19, 8, v20
	v_add_nc_u32_e32 v3, 0x3c000000, v3
	s_delay_alu instid0(VALU_DEP_1) | instskip(NEXT) | instid1(VALU_DEP_1)
	v_and_or_b32 v3, 0x7f800000, v19, v3
	v_cndmask_b32_e32 v2, 0, v3, vcc_lo
	s_delay_alu instid0(VALU_DEP_1)
	v_and_or_b32 v0, 0x80000000, v0, v2
.LBB51_728:                             ;   in Loop: Header=BB51_17 Depth=1
	s_or_b32 exec_lo, exec_lo, s40
                                        ; implicit-def: $vgpr2_vgpr3
.LBB51_729:                             ;   in Loop: Header=BB51_17 Depth=1
	s_and_not1_saveexec_b32 s29, s29
	s_cbranch_execz .LBB51_731
; %bb.730:                              ;   in Loop: Header=BB51_17 Depth=1
	flat_load_u8 v0, v[2:3]
	s_wait_loadcnt_dscnt 0x0
	v_lshlrev_b32_e32 v2, 25, v0
	v_lshlrev_b16 v0, 8, v0
	s_delay_alu instid0(VALU_DEP_1) | instskip(SKIP_1) | instid1(VALU_DEP_2)
	v_and_or_b32 v19, 0x7f00, v0, 0.5
	v_bfe_i32 v0, v0, 0, 16
	v_dual_add_f32 v19, -0.5, v19 :: v_dual_lshrrev_b32 v3, 4, v2
	v_cmp_gt_u32_e32 vcc_lo, 0x8000000, v2
	s_delay_alu instid0(VALU_DEP_2) | instskip(NEXT) | instid1(VALU_DEP_1)
	v_or_b32_e32 v3, 0x70000000, v3
	v_mul_f32_e32 v3, 0x7800000, v3
	s_delay_alu instid0(VALU_DEP_1) | instskip(NEXT) | instid1(VALU_DEP_1)
	v_cndmask_b32_e32 v2, v3, v19, vcc_lo
	v_and_or_b32 v0, 0x80000000, v0, v2
.LBB51_731:                             ;   in Loop: Header=BB51_17 Depth=1
	s_or_b32 exec_lo, exec_lo, s29
	s_delay_alu instid0(SALU_CYCLE_1)
	s_or_b32 s29, s27, exec_lo
                                        ; implicit-def: $vgpr2_vgpr3
.LBB51_732:                             ;   in Loop: Header=BB51_17 Depth=1
	s_and_not1_saveexec_b32 s28, s28
	s_cbranch_execz .LBB51_742
; %bb.733:                              ;   in Loop: Header=BB51_17 Depth=1
	s_mov_b32 s40, s29
	s_mov_b32 s41, exec_lo
                                        ; implicit-def: $vgpr0
	v_cmpx_lt_i16_e32 14, v9
	s_xor_b32 s41, exec_lo, s41
	s_cbranch_execz .LBB51_737
; %bb.734:                              ;   in Loop: Header=BB51_17 Depth=1
	s_mov_b32 s40, s29
	s_mov_b32 s42, exec_lo
                                        ; implicit-def: $vgpr0
	v_cmpx_eq_u16_e32 15, v9
	s_cbranch_execz .LBB51_736
; %bb.735:                              ;   in Loop: Header=BB51_17 Depth=1
	flat_load_u16 v0, v[2:3]
	s_or_b32 s40, s29, exec_lo
	s_wait_loadcnt_dscnt 0x0
	v_lshlrev_b32_e32 v0, 16, v0
.LBB51_736:                             ;   in Loop: Header=BB51_17 Depth=1
	s_wait_xcnt 0x0
	s_or_b32 exec_lo, exec_lo, s42
	s_delay_alu instid0(SALU_CYCLE_1) | instskip(SKIP_1) | instid1(SALU_CYCLE_1)
	s_and_not1_b32 s42, s29, exec_lo
	s_and_b32 s40, s40, exec_lo
                                        ; implicit-def: $vgpr2_vgpr3
	s_or_b32 s40, s42, s40
.LBB51_737:                             ;   in Loop: Header=BB51_17 Depth=1
	s_and_not1_saveexec_b32 s41, s41
	s_cbranch_execz .LBB51_741
; %bb.738:                              ;   in Loop: Header=BB51_17 Depth=1
	s_mov_b32 s42, s40
	s_mov_b32 s43, exec_lo
                                        ; implicit-def: $vgpr0
	v_cmpx_eq_u16_e32 11, v9
	s_cbranch_execz .LBB51_740
; %bb.739:                              ;   in Loop: Header=BB51_17 Depth=1
	flat_load_u8 v0, v[2:3]
	s_or_b32 s42, s40, exec_lo
	s_wait_loadcnt_dscnt 0x0
	v_cmp_ne_u16_e32 vcc_lo, 0, v0
	v_cndmask_b32_e64 v0, 0, 1.0, vcc_lo
.LBB51_740:                             ;   in Loop: Header=BB51_17 Depth=1
	s_wait_xcnt 0x0
	s_or_b32 exec_lo, exec_lo, s43
	s_delay_alu instid0(SALU_CYCLE_1) | instskip(SKIP_1) | instid1(SALU_CYCLE_1)
	s_and_not1_b32 s40, s40, exec_lo
	s_and_b32 s42, s42, exec_lo
	s_or_b32 s40, s40, s42
.LBB51_741:                             ;   in Loop: Header=BB51_17 Depth=1
	s_or_b32 exec_lo, exec_lo, s41
	s_delay_alu instid0(SALU_CYCLE_1) | instskip(SKIP_1) | instid1(SALU_CYCLE_1)
	s_and_not1_b32 s29, s29, exec_lo
	s_and_b32 s40, s40, exec_lo
	s_or_b32 s29, s29, s40
.LBB51_742:                             ;   in Loop: Header=BB51_17 Depth=1
	s_or_b32 exec_lo, exec_lo, s28
	s_delay_alu instid0(SALU_CYCLE_1) | instskip(SKIP_1) | instid1(SALU_CYCLE_1)
	s_and_not1_b32 s27, s27, exec_lo
	s_and_b32 s28, s29, exec_lo
	s_or_b32 s27, s27, s28
.LBB51_743:                             ;   in Loop: Header=BB51_17 Depth=1
	s_or_b32 exec_lo, exec_lo, s24
	s_delay_alu instid0(SALU_CYCLE_1)
	s_and_b32 s28, s27, exec_lo
                                        ; implicit-def: $vgpr2_vgpr3
.LBB51_744:                             ;   in Loop: Header=BB51_17 Depth=1
	s_and_not1_saveexec_b32 s23, s23
	s_cbranch_execz .LBB51_786
; %bb.745:                              ;   in Loop: Header=BB51_17 Depth=1
	s_mov_b32 s24, exec_lo
                                        ; implicit-def: $vgpr0
	v_cmpx_lt_i16_e32 4, v9
	s_xor_b32 s24, exec_lo, s24
	s_cbranch_execz .LBB51_767
; %bb.746:                              ;   in Loop: Header=BB51_17 Depth=1
	s_mov_b32 s27, exec_lo
                                        ; implicit-def: $vgpr0
	v_cmpx_lt_i16_e32 7, v9
	s_xor_b32 s27, exec_lo, s27
	;; [unrolled: 6-line block ×4, first 2 shown]
	s_cbranch_execz .LBB51_750
; %bb.749:                              ;   in Loop: Header=BB51_17 Depth=1
	flat_load_b64 v[2:3], v[2:3]
	s_wait_loadcnt_dscnt 0x0
	v_cvt_f32_f64_e32 v0, v[2:3]
                                        ; implicit-def: $vgpr2_vgpr3
.LBB51_750:                             ;   in Loop: Header=BB51_17 Depth=1
	s_wait_xcnt 0x0
	s_and_not1_saveexec_b32 s40, s40
	s_cbranch_execz .LBB51_752
; %bb.751:                              ;   in Loop: Header=BB51_17 Depth=1
	flat_load_b32 v0, v[2:3]
.LBB51_752:                             ;   in Loop: Header=BB51_17 Depth=1
	s_wait_xcnt 0x0
	s_or_b32 exec_lo, exec_lo, s40
                                        ; implicit-def: $vgpr2_vgpr3
.LBB51_753:                             ;   in Loop: Header=BB51_17 Depth=1
	s_and_not1_saveexec_b32 s29, s29
	s_cbranch_execz .LBB51_755
; %bb.754:                              ;   in Loop: Header=BB51_17 Depth=1
	s_wait_loadcnt_dscnt 0x0
	flat_load_b32 v0, v[2:3]
	s_wait_loadcnt_dscnt 0x0
	v_cvt_f32_f16_e32 v0, v0
.LBB51_755:                             ;   in Loop: Header=BB51_17 Depth=1
	s_wait_xcnt 0x0
	s_or_b32 exec_lo, exec_lo, s29
                                        ; implicit-def: $vgpr2_vgpr3
.LBB51_756:                             ;   in Loop: Header=BB51_17 Depth=1
	s_and_not1_saveexec_b32 s27, s27
	s_cbranch_execz .LBB51_766
; %bb.757:                              ;   in Loop: Header=BB51_17 Depth=1
	s_mov_b32 s29, exec_lo
                                        ; implicit-def: $vgpr0
	v_cmpx_lt_i16_e32 5, v9
	s_xor_b32 s29, exec_lo, s29
	s_cbranch_execz .LBB51_763
; %bb.758:                              ;   in Loop: Header=BB51_17 Depth=1
	s_mov_b32 s40, exec_lo
                                        ; implicit-def: $vgpr0
	v_cmpx_lt_i16_e32 6, v9
	s_xor_b32 s40, exec_lo, s40
	s_cbranch_execz .LBB51_760
; %bb.759:                              ;   in Loop: Header=BB51_17 Depth=1
	flat_load_b64 v[2:3], v[2:3]
	s_wait_loadcnt_dscnt 0x0
	v_cvt_f32_f64_e32 v0, v[2:3]
                                        ; implicit-def: $vgpr2_vgpr3
.LBB51_760:                             ;   in Loop: Header=BB51_17 Depth=1
	s_wait_xcnt 0x0
	s_and_not1_saveexec_b32 s40, s40
	s_cbranch_execz .LBB51_762
; %bb.761:                              ;   in Loop: Header=BB51_17 Depth=1
	s_wait_loadcnt_dscnt 0x0
	flat_load_b32 v0, v[2:3]
.LBB51_762:                             ;   in Loop: Header=BB51_17 Depth=1
	s_wait_xcnt 0x0
	s_or_b32 exec_lo, exec_lo, s40
                                        ; implicit-def: $vgpr2_vgpr3
.LBB51_763:                             ;   in Loop: Header=BB51_17 Depth=1
	s_and_not1_saveexec_b32 s29, s29
	s_cbranch_execz .LBB51_765
; %bb.764:                              ;   in Loop: Header=BB51_17 Depth=1
	s_wait_loadcnt_dscnt 0x0
	flat_load_u16 v0, v[2:3]
	s_wait_loadcnt_dscnt 0x0
	v_cvt_f32_f16_e32 v0, v0
.LBB51_765:                             ;   in Loop: Header=BB51_17 Depth=1
	s_wait_xcnt 0x0
	s_or_b32 exec_lo, exec_lo, s29
.LBB51_766:                             ;   in Loop: Header=BB51_17 Depth=1
	s_delay_alu instid0(SALU_CYCLE_1)
	s_or_b32 exec_lo, exec_lo, s27
                                        ; implicit-def: $vgpr2_vgpr3
.LBB51_767:                             ;   in Loop: Header=BB51_17 Depth=1
	s_and_not1_saveexec_b32 s24, s24
	s_cbranch_execz .LBB51_785
; %bb.768:                              ;   in Loop: Header=BB51_17 Depth=1
	s_mov_b32 s27, exec_lo
                                        ; implicit-def: $vgpr0
	v_cmpx_lt_i16_e32 1, v9
	s_xor_b32 s27, exec_lo, s27
	s_cbranch_execz .LBB51_778
; %bb.769:                              ;   in Loop: Header=BB51_17 Depth=1
	s_mov_b32 s29, exec_lo
                                        ; implicit-def: $vgpr0
	v_cmpx_lt_i16_e32 2, v9
	s_xor_b32 s29, exec_lo, s29
	;; [unrolled: 6-line block ×3, first 2 shown]
	s_cbranch_execz .LBB51_772
; %bb.771:                              ;   in Loop: Header=BB51_17 Depth=1
	flat_load_b64 v[2:3], v[2:3]
	s_wait_loadcnt_dscnt 0x0
	v_xor_b32_e32 v0, v2, v3
	v_cls_i32_e32 v19, v3
	s_delay_alu instid0(VALU_DEP_2) | instskip(NEXT) | instid1(VALU_DEP_1)
	v_ashrrev_i32_e32 v0, 31, v0
	v_add_nc_u32_e32 v0, 32, v0
	s_delay_alu instid0(VALU_DEP_1) | instskip(SKIP_1) | instid1(VALU_DEP_1)
	v_add_min_u32_e64 v0, v19, -1, v0
	s_wait_xcnt 0x0
	v_lshlrev_b64_e32 v[2:3], v0, v[2:3]
	v_sub_nc_u32_e32 v0, 32, v0
	s_delay_alu instid0(VALU_DEP_2) | instskip(NEXT) | instid1(VALU_DEP_1)
	v_min_u32_e32 v2, 1, v2
	v_or_b32_e32 v2, v3, v2
	s_delay_alu instid0(VALU_DEP_1) | instskip(NEXT) | instid1(VALU_DEP_1)
	v_cvt_f32_i32_e32 v2, v2
	v_ldexp_f32 v0, v2, v0
                                        ; implicit-def: $vgpr2_vgpr3
.LBB51_772:                             ;   in Loop: Header=BB51_17 Depth=1
	s_and_not1_saveexec_b32 s40, s40
	s_cbranch_execz .LBB51_774
; %bb.773:                              ;   in Loop: Header=BB51_17 Depth=1
	s_wait_loadcnt_dscnt 0x0
	flat_load_b32 v0, v[2:3]
	s_wait_loadcnt_dscnt 0x0
	v_cvt_f32_i32_e32 v0, v0
.LBB51_774:                             ;   in Loop: Header=BB51_17 Depth=1
	s_wait_xcnt 0x0
	s_or_b32 exec_lo, exec_lo, s40
                                        ; implicit-def: $vgpr2_vgpr3
.LBB51_775:                             ;   in Loop: Header=BB51_17 Depth=1
	s_and_not1_saveexec_b32 s29, s29
	s_cbranch_execz .LBB51_777
; %bb.776:                              ;   in Loop: Header=BB51_17 Depth=1
	s_wait_loadcnt_dscnt 0x0
	flat_load_i16 v0, v[2:3]
	s_wait_loadcnt_dscnt 0x0
	v_cvt_f32_i32_e32 v0, v0
.LBB51_777:                             ;   in Loop: Header=BB51_17 Depth=1
	s_wait_xcnt 0x0
	s_or_b32 exec_lo, exec_lo, s29
                                        ; implicit-def: $vgpr2_vgpr3
.LBB51_778:                             ;   in Loop: Header=BB51_17 Depth=1
	s_and_not1_saveexec_b32 s27, s27
	s_cbranch_execz .LBB51_784
; %bb.779:                              ;   in Loop: Header=BB51_17 Depth=1
	s_mov_b32 s29, exec_lo
                                        ; implicit-def: $vgpr0
	v_cmpx_lt_i16_e32 0, v9
	s_xor_b32 s29, exec_lo, s29
	s_cbranch_execz .LBB51_781
; %bb.780:                              ;   in Loop: Header=BB51_17 Depth=1
	s_wait_loadcnt_dscnt 0x0
	flat_load_i8 v0, v[2:3]
                                        ; implicit-def: $vgpr2_vgpr3
	s_wait_loadcnt_dscnt 0x0
	v_cvt_f32_i32_e32 v0, v0
.LBB51_781:                             ;   in Loop: Header=BB51_17 Depth=1
	s_wait_xcnt 0x0
	s_and_not1_saveexec_b32 s29, s29
	s_cbranch_execz .LBB51_783
; %bb.782:                              ;   in Loop: Header=BB51_17 Depth=1
	s_wait_loadcnt_dscnt 0x0
	flat_load_u8 v0, v[2:3]
	s_wait_loadcnt_dscnt 0x0
	v_cvt_f32_ubyte0_e32 v0, v0
.LBB51_783:                             ;   in Loop: Header=BB51_17 Depth=1
	s_wait_xcnt 0x0
	s_or_b32 exec_lo, exec_lo, s29
.LBB51_784:                             ;   in Loop: Header=BB51_17 Depth=1
	s_delay_alu instid0(SALU_CYCLE_1)
	s_or_b32 exec_lo, exec_lo, s27
.LBB51_785:                             ;   in Loop: Header=BB51_17 Depth=1
	s_delay_alu instid0(SALU_CYCLE_1) | instskip(NEXT) | instid1(SALU_CYCLE_1)
	s_or_b32 exec_lo, exec_lo, s24
	s_or_b32 s28, s28, exec_lo
.LBB51_786:                             ;   in Loop: Header=BB51_17 Depth=1
	s_or_b32 exec_lo, exec_lo, s23
	s_mov_b32 s23, -1
	s_mov_b32 s29, 0
	s_mov_b32 s24, 0
	s_and_saveexec_b32 s27, s28
	s_cbranch_execz .LBB51_792
; %bb.787:                              ;   in Loop: Header=BB51_17 Depth=1
	s_add_co_i32 s23, s33, s1
	s_mov_b32 s28, 0
	s_wait_loadcnt_dscnt 0x0
	scratch_store_b32 off, v0, s23 offset:52
	s_wait_xcnt 0x0
	v_mul_lo_u32 v0, v18, v12
	v_and_b32_e32 v18, 0xff, v10
	s_mov_b32 s24, exec_lo
	s_delay_alu instid0(VALU_DEP_2) | instskip(NEXT) | instid1(VALU_DEP_2)
	v_add_nc_u64_e32 v[2:3], v[6:7], v[0:1]
                                        ; implicit-def: $vgpr0
	v_cmpx_lt_i16_e32 10, v18
	s_xor_b32 s24, exec_lo, s24
	s_cbranch_execnz .LBB51_2434
; %bb.788:                              ;   in Loop: Header=BB51_17 Depth=1
	s_and_not1_saveexec_b32 s24, s24
	s_cbranch_execnz .LBB51_2493
.LBB51_789:                             ;   in Loop: Header=BB51_17 Depth=1
	s_or_b32 exec_lo, exec_lo, s24
	s_mov_b32 s29, 0
	s_and_saveexec_b32 s24, s28
	s_cbranch_execz .LBB51_791
.LBB51_790:                             ;   in Loop: Header=BB51_17 Depth=1
	v_add_nc_u32_e32 v16, 0x200, v16
	s_mov_b32 s29, exec_lo
	s_wait_loadcnt_dscnt 0x0
	scratch_store_b32 off, v0, s23 offset:48
.LBB51_791:                             ;   in Loop: Header=BB51_17 Depth=1
	s_wait_xcnt 0x0
	s_or_b32 exec_lo, exec_lo, s24
	s_delay_alu instid0(SALU_CYCLE_1)
	s_mov_b32 s24, exec_lo
	s_xor_b32 s23, exec_lo, -1
	s_and_b32 s29, s29, exec_lo
.LBB51_792:                             ;   in Loop: Header=BB51_17 Depth=1
	s_or_b32 exec_lo, exec_lo, s27
	s_delay_alu instid0(SALU_CYCLE_1)
	s_or_not1_b32 s27, s29, exec_lo
.LBB51_793:                             ;   in Loop: Header=BB51_17 Depth=1
	s_or_b32 exec_lo, exec_lo, s25
	s_and_saveexec_b32 s25, s27
	s_cbranch_execz .LBB51_10
; %bb.794:                              ;   in Loop: Header=BB51_17 Depth=1
	s_mov_b32 s29, -1
	s_mov_b32 s40, -1
	s_mov_b32 s28, exec_lo
                                        ; implicit-def: $sgpr26
                                        ; implicit-def: $sgpr27
	v_cmpx_lt_i32_e64 v16, v8
	s_cbranch_execz .LBB51_904
; %bb.795:                              ;   in Loop: Header=BB51_17 Depth=1
	v_add_nc_u32_e32 v18, s3, v16
	s_mov_b32 s41, 0
	s_mov_b32 s26, exec_lo
	s_wait_loadcnt_dscnt 0x0
	s_delay_alu instid0(VALU_DEP_1) | instskip(NEXT) | instid1(VALU_DEP_1)
	v_mul_lo_u32 v0, v18, v11
	v_add_nc_u64_e32 v[2:3], v[4:5], v[0:1]
                                        ; implicit-def: $vgpr0
	v_cmpx_lt_i16_e32 10, v9
	s_xor_b32 s26, exec_lo, s26
	s_cbranch_execz .LBB51_855
; %bb.796:                              ;   in Loop: Header=BB51_17 Depth=1
	s_mov_b32 s40, 0
	s_mov_b32 s27, exec_lo
                                        ; implicit-def: $vgpr0
	v_cmpx_lt_i16_e32 25, v9
	s_xor_b32 s27, exec_lo, s27
	s_cbranch_execz .LBB51_828
; %bb.797:                              ;   in Loop: Header=BB51_17 Depth=1
	s_mov_b32 s41, exec_lo
                                        ; implicit-def: $vgpr0
	v_cmpx_lt_i16_e32 28, v9
	s_xor_b32 s41, exec_lo, s41
	s_cbranch_execz .LBB51_813
; %bb.798:                              ;   in Loop: Header=BB51_17 Depth=1
	s_mov_b32 s42, 0
	s_mov_b32 s40, exec_lo
                                        ; implicit-def: $vgpr0
	v_cmpx_lt_i16_e32 43, v9
	s_xor_b32 s40, exec_lo, s40
	s_cbranch_execz .LBB51_808
; %bb.799:                              ;   in Loop: Header=BB51_17 Depth=1
	s_mov_b32 s43, exec_lo
                                        ; implicit-def: $vgpr0
	v_cmpx_lt_i16_e32 45, v9
	s_xor_b32 s43, exec_lo, s43
	s_cbranch_execz .LBB51_803
; %bb.800:                              ;   in Loop: Header=BB51_17 Depth=1
	s_mov_b32 s44, exec_lo
                                        ; implicit-def: $vgpr0
	v_cmpx_eq_u16_e32 46, v9
	s_cbranch_execz .LBB51_802
; %bb.801:                              ;   in Loop: Header=BB51_17 Depth=1
	flat_load_b32 v0, v[2:3]
	s_mov_b32 s42, exec_lo
	s_wait_loadcnt_dscnt 0x0
	v_lshlrev_b32_e32 v0, 16, v0
.LBB51_802:                             ;   in Loop: Header=BB51_17 Depth=1
	s_wait_xcnt 0x0
	s_or_b32 exec_lo, exec_lo, s44
	s_delay_alu instid0(SALU_CYCLE_1)
	s_and_b32 s42, s42, exec_lo
                                        ; implicit-def: $vgpr2_vgpr3
.LBB51_803:                             ;   in Loop: Header=BB51_17 Depth=1
	s_and_not1_saveexec_b32 s43, s43
	s_cbranch_execz .LBB51_807
; %bb.804:                              ;   in Loop: Header=BB51_17 Depth=1
	s_mov_b32 s45, s42
	s_mov_b32 s44, exec_lo
                                        ; implicit-def: $vgpr0
	v_cmpx_eq_u16_e32 44, v9
	s_cbranch_execz .LBB51_806
; %bb.805:                              ;   in Loop: Header=BB51_17 Depth=1
	flat_load_u8 v0, v[2:3]
	s_or_b32 s45, s42, exec_lo
	s_wait_loadcnt_dscnt 0x0
	v_lshlrev_b32_e32 v2, 23, v0
	v_cmp_ne_u32_e32 vcc_lo, 0xff, v0
	s_delay_alu instid0(VALU_DEP_2) | instskip(SKIP_1) | instid1(VALU_DEP_2)
	v_cndmask_b32_e32 v2, 0x7f800001, v2, vcc_lo
	v_cmp_ne_u32_e32 vcc_lo, 0, v0
	v_cndmask_b32_e32 v0, 0x400000, v2, vcc_lo
.LBB51_806:                             ;   in Loop: Header=BB51_17 Depth=1
	s_or_b32 exec_lo, exec_lo, s44
	s_delay_alu instid0(SALU_CYCLE_1) | instskip(SKIP_1) | instid1(SALU_CYCLE_1)
	s_and_not1_b32 s42, s42, exec_lo
	s_and_b32 s44, s45, exec_lo
	s_or_b32 s42, s42, s44
.LBB51_807:                             ;   in Loop: Header=BB51_17 Depth=1
	s_or_b32 exec_lo, exec_lo, s43
	s_delay_alu instid0(SALU_CYCLE_1)
	s_and_b32 s42, s42, exec_lo
                                        ; implicit-def: $vgpr2_vgpr3
.LBB51_808:                             ;   in Loop: Header=BB51_17 Depth=1
	s_and_not1_saveexec_b32 s40, s40
	s_cbranch_execz .LBB51_812
; %bb.809:                              ;   in Loop: Header=BB51_17 Depth=1
	s_mov_b32 s44, s42
	s_mov_b32 s43, exec_lo
                                        ; implicit-def: $vgpr0
	v_cmpx_eq_u16_e32 29, v9
	s_cbranch_execz .LBB51_811
; %bb.810:                              ;   in Loop: Header=BB51_17 Depth=1
	flat_load_b64 v[2:3], v[2:3]
	s_or_b32 s44, s42, exec_lo
	s_wait_loadcnt_dscnt 0x0
	v_clz_i32_u32_e32 v0, v3
	s_delay_alu instid0(VALU_DEP_1) | instskip(SKIP_1) | instid1(VALU_DEP_1)
	v_min_u32_e32 v0, 32, v0
	s_wait_xcnt 0x0
	v_lshlrev_b64_e32 v[2:3], v0, v[2:3]
	v_sub_nc_u32_e32 v0, 32, v0
	s_delay_alu instid0(VALU_DEP_2) | instskip(NEXT) | instid1(VALU_DEP_1)
	v_min_u32_e32 v2, 1, v2
	v_or_b32_e32 v2, v3, v2
	s_delay_alu instid0(VALU_DEP_1) | instskip(NEXT) | instid1(VALU_DEP_1)
	v_cvt_f32_u32_e32 v2, v2
	v_ldexp_f32 v0, v2, v0
.LBB51_811:                             ;   in Loop: Header=BB51_17 Depth=1
	s_or_b32 exec_lo, exec_lo, s43
	s_delay_alu instid0(SALU_CYCLE_1) | instskip(SKIP_1) | instid1(SALU_CYCLE_1)
	s_and_not1_b32 s42, s42, exec_lo
	s_and_b32 s43, s44, exec_lo
	s_or_b32 s42, s42, s43
.LBB51_812:                             ;   in Loop: Header=BB51_17 Depth=1
	s_or_b32 exec_lo, exec_lo, s40
	s_delay_alu instid0(SALU_CYCLE_1)
	s_and_b32 s40, s42, exec_lo
                                        ; implicit-def: $vgpr2_vgpr3
.LBB51_813:                             ;   in Loop: Header=BB51_17 Depth=1
	s_and_not1_saveexec_b32 s41, s41
	s_cbranch_execz .LBB51_827
; %bb.814:                              ;   in Loop: Header=BB51_17 Depth=1
	s_mov_b32 s42, exec_lo
                                        ; implicit-def: $vgpr0
	v_cmpx_lt_i16_e32 26, v9
	s_xor_b32 s42, exec_lo, s42
	s_cbranch_execz .LBB51_820
; %bb.815:                              ;   in Loop: Header=BB51_17 Depth=1
	s_mov_b32 s43, exec_lo
                                        ; implicit-def: $vgpr0
	v_cmpx_lt_i16_e32 27, v9
	s_xor_b32 s43, exec_lo, s43
	s_cbranch_execz .LBB51_817
; %bb.816:                              ;   in Loop: Header=BB51_17 Depth=1
	flat_load_b32 v0, v[2:3]
                                        ; implicit-def: $vgpr2_vgpr3
	s_wait_loadcnt_dscnt 0x0
	v_cvt_f32_u32_e32 v0, v0
.LBB51_817:                             ;   in Loop: Header=BB51_17 Depth=1
	s_wait_xcnt 0x0
	s_and_not1_saveexec_b32 s43, s43
	s_cbranch_execz .LBB51_819
; %bb.818:                              ;   in Loop: Header=BB51_17 Depth=1
	flat_load_u16 v0, v[2:3]
	s_wait_loadcnt_dscnt 0x0
	v_cvt_f32_u32_e32 v0, v0
.LBB51_819:                             ;   in Loop: Header=BB51_17 Depth=1
	s_wait_xcnt 0x0
	s_or_b32 exec_lo, exec_lo, s43
                                        ; implicit-def: $vgpr2_vgpr3
.LBB51_820:                             ;   in Loop: Header=BB51_17 Depth=1
	s_and_not1_saveexec_b32 s42, s42
	s_cbranch_execz .LBB51_826
; %bb.821:                              ;   in Loop: Header=BB51_17 Depth=1
	flat_load_u8 v2, v[2:3]
	s_mov_b32 s43, 0
	s_mov_b32 s44, exec_lo
	s_wait_loadcnt_dscnt 0x0
	v_cmpx_lt_i16_e32 0x7f, v2
	s_xor_b32 s44, exec_lo, s44
	s_cbranch_execnz .LBB51_2894
; %bb.822:                              ;   in Loop: Header=BB51_17 Depth=1
	s_or_saveexec_b32 s44, s44
	v_mov_b32_e32 v0, 0x7f800001
	s_xor_b32 exec_lo, exec_lo, s44
	s_cbranch_execnz .LBB51_2897
.LBB51_823:                             ;   in Loop: Header=BB51_17 Depth=1
	s_or_b32 exec_lo, exec_lo, s44
	s_and_saveexec_b32 s44, s43
	s_cbranch_execz .LBB51_825
.LBB51_824:                             ;   in Loop: Header=BB51_17 Depth=1
	v_and_b32_e32 v0, 0xffff, v2
	s_delay_alu instid0(VALU_DEP_1) | instskip(SKIP_1) | instid1(VALU_DEP_2)
	v_and_b32_e32 v3, 7, v0
	v_bfe_u32 v21, v0, 3, 4
	v_clz_i32_u32_e32 v19, v3
	s_delay_alu instid0(VALU_DEP_2) | instskip(NEXT) | instid1(VALU_DEP_2)
	v_cmp_eq_u32_e32 vcc_lo, 0, v21
	v_min_u32_e32 v19, 32, v19
	s_delay_alu instid0(VALU_DEP_1) | instskip(NEXT) | instid1(VALU_DEP_1)
	v_subrev_nc_u32_e32 v20, 28, v19
	v_dual_lshlrev_b32 v0, v20, v0 :: v_dual_sub_nc_u32 v19, 29, v19
	s_delay_alu instid0(VALU_DEP_1) | instskip(NEXT) | instid1(VALU_DEP_1)
	v_dual_lshlrev_b32 v2, 24, v2 :: v_dual_bitop2_b32 v0, 7, v0 bitop3:0x40
	v_dual_cndmask_b32 v19, v21, v19 :: v_dual_cndmask_b32 v0, v3, v0
	s_delay_alu instid0(VALU_DEP_2) | instskip(NEXT) | instid1(VALU_DEP_2)
	v_and_b32_e32 v2, 0x80000000, v2
	v_lshl_add_u32 v3, v19, 23, 0x3b800000
	s_delay_alu instid0(VALU_DEP_3) | instskip(NEXT) | instid1(VALU_DEP_1)
	v_lshlrev_b32_e32 v0, 20, v0
	v_or3_b32 v0, v2, v3, v0
.LBB51_825:                             ;   in Loop: Header=BB51_17 Depth=1
	s_or_b32 exec_lo, exec_lo, s44
.LBB51_826:                             ;   in Loop: Header=BB51_17 Depth=1
	s_delay_alu instid0(SALU_CYCLE_1) | instskip(NEXT) | instid1(SALU_CYCLE_1)
	s_or_b32 exec_lo, exec_lo, s42
	s_or_b32 s40, s40, exec_lo
.LBB51_827:                             ;   in Loop: Header=BB51_17 Depth=1
	s_or_b32 exec_lo, exec_lo, s41
	s_delay_alu instid0(SALU_CYCLE_1)
	s_and_b32 s40, s40, exec_lo
                                        ; implicit-def: $vgpr2_vgpr3
.LBB51_828:                             ;   in Loop: Header=BB51_17 Depth=1
	s_and_not1_saveexec_b32 s27, s27
	s_cbranch_execz .LBB51_854
; %bb.829:                              ;   in Loop: Header=BB51_17 Depth=1
	s_mov_b32 s42, s40
	s_mov_b32 s41, exec_lo
                                        ; implicit-def: $vgpr0
	v_cmpx_lt_i16_e32 22, v9
	s_xor_b32 s41, exec_lo, s41
	s_cbranch_execz .LBB51_843
; %bb.830:                              ;   in Loop: Header=BB51_17 Depth=1
	s_mov_b32 s42, exec_lo
                                        ; implicit-def: $vgpr0
	v_cmpx_lt_i16_e32 23, v9
	s_xor_b32 s42, exec_lo, s42
	s_cbranch_execz .LBB51_840
; %bb.831:                              ;   in Loop: Header=BB51_17 Depth=1
	;; [unrolled: 6-line block ×3, first 2 shown]
	flat_load_u8 v2, v[2:3]
	s_mov_b32 s44, 0
	s_mov_b32 s45, exec_lo
	s_wait_loadcnt_dscnt 0x0
	v_cmpx_lt_i16_e32 0x7f, v2
	s_xor_b32 s45, exec_lo, s45
	s_cbranch_execnz .LBB51_3006
; %bb.833:                              ;   in Loop: Header=BB51_17 Depth=1
	s_or_saveexec_b32 s45, s45
	v_mov_b32_e32 v0, 0x7f800001
	s_xor_b32 exec_lo, exec_lo, s45
	s_cbranch_execnz .LBB51_3009
.LBB51_834:                             ;   in Loop: Header=BB51_17 Depth=1
	s_or_b32 exec_lo, exec_lo, s45
	s_and_saveexec_b32 s45, s44
	s_cbranch_execz .LBB51_836
.LBB51_835:                             ;   in Loop: Header=BB51_17 Depth=1
	v_and_b32_e32 v0, 0xffff, v2
	s_delay_alu instid0(VALU_DEP_1) | instskip(SKIP_1) | instid1(VALU_DEP_2)
	v_and_b32_e32 v3, 3, v0
	v_bfe_u32 v21, v0, 2, 5
	v_clz_i32_u32_e32 v19, v3
	s_delay_alu instid0(VALU_DEP_2) | instskip(NEXT) | instid1(VALU_DEP_2)
	v_cmp_eq_u32_e32 vcc_lo, 0, v21
	v_min_u32_e32 v19, 32, v19
	s_delay_alu instid0(VALU_DEP_1) | instskip(NEXT) | instid1(VALU_DEP_1)
	v_subrev_nc_u32_e32 v20, 29, v19
	v_dual_lshlrev_b32 v0, v20, v0 :: v_dual_sub_nc_u32 v19, 30, v19
	s_delay_alu instid0(VALU_DEP_1) | instskip(NEXT) | instid1(VALU_DEP_1)
	v_dual_lshlrev_b32 v2, 24, v2 :: v_dual_bitop2_b32 v0, 3, v0 bitop3:0x40
	v_dual_cndmask_b32 v19, v21, v19 :: v_dual_cndmask_b32 v0, v3, v0
	s_delay_alu instid0(VALU_DEP_2) | instskip(NEXT) | instid1(VALU_DEP_2)
	v_and_b32_e32 v2, 0x80000000, v2
	v_lshl_add_u32 v3, v19, 23, 0x37800000
	s_delay_alu instid0(VALU_DEP_3) | instskip(NEXT) | instid1(VALU_DEP_1)
	v_lshlrev_b32_e32 v0, 21, v0
	v_or3_b32 v0, v2, v3, v0
.LBB51_836:                             ;   in Loop: Header=BB51_17 Depth=1
	s_or_b32 exec_lo, exec_lo, s45
                                        ; implicit-def: $vgpr2_vgpr3
.LBB51_837:                             ;   in Loop: Header=BB51_17 Depth=1
	s_and_not1_saveexec_b32 s43, s43
	s_cbranch_execz .LBB51_839
; %bb.838:                              ;   in Loop: Header=BB51_17 Depth=1
	flat_load_u8 v0, v[2:3]
	s_wait_loadcnt_dscnt 0x0
	v_lshlrev_b32_e32 v0, 24, v0
	s_wait_xcnt 0x0
	s_delay_alu instid0(VALU_DEP_1) | instskip(NEXT) | instid1(VALU_DEP_1)
	v_and_b32_e32 v2, 0x7f000000, v0
	v_clz_i32_u32_e32 v3, v2
	v_add_nc_u32_e32 v20, 0x1000000, v2
	v_cmp_ne_u32_e32 vcc_lo, 0, v2
	s_delay_alu instid0(VALU_DEP_3) | instskip(NEXT) | instid1(VALU_DEP_1)
	v_min_u32_e32 v3, 32, v3
	v_sub_nc_u32_e64 v3, v3, 4 clamp
	s_delay_alu instid0(VALU_DEP_1) | instskip(NEXT) | instid1(VALU_DEP_1)
	v_dual_lshlrev_b32 v19, v3, v2 :: v_dual_lshlrev_b32 v3, 23, v3
	v_lshrrev_b32_e32 v19, 4, v19
	s_delay_alu instid0(VALU_DEP_1) | instskip(NEXT) | instid1(VALU_DEP_1)
	v_dual_sub_nc_u32 v3, v19, v3 :: v_dual_ashrrev_i32 v19, 8, v20
	v_add_nc_u32_e32 v3, 0x3c000000, v3
	s_delay_alu instid0(VALU_DEP_1) | instskip(NEXT) | instid1(VALU_DEP_1)
	v_and_or_b32 v3, 0x7f800000, v19, v3
	v_cndmask_b32_e32 v2, 0, v3, vcc_lo
	s_delay_alu instid0(VALU_DEP_1)
	v_and_or_b32 v0, 0x80000000, v0, v2
.LBB51_839:                             ;   in Loop: Header=BB51_17 Depth=1
	s_or_b32 exec_lo, exec_lo, s43
                                        ; implicit-def: $vgpr2_vgpr3
.LBB51_840:                             ;   in Loop: Header=BB51_17 Depth=1
	s_and_not1_saveexec_b32 s42, s42
	s_cbranch_execz .LBB51_842
; %bb.841:                              ;   in Loop: Header=BB51_17 Depth=1
	flat_load_u8 v0, v[2:3]
	s_wait_loadcnt_dscnt 0x0
	v_lshlrev_b32_e32 v2, 25, v0
	v_lshlrev_b16 v0, 8, v0
	s_delay_alu instid0(VALU_DEP_1) | instskip(SKIP_1) | instid1(VALU_DEP_2)
	v_and_or_b32 v19, 0x7f00, v0, 0.5
	v_bfe_i32 v0, v0, 0, 16
	v_dual_add_f32 v19, -0.5, v19 :: v_dual_lshrrev_b32 v3, 4, v2
	v_cmp_gt_u32_e32 vcc_lo, 0x8000000, v2
	s_delay_alu instid0(VALU_DEP_2) | instskip(NEXT) | instid1(VALU_DEP_1)
	v_or_b32_e32 v3, 0x70000000, v3
	v_mul_f32_e32 v3, 0x7800000, v3
	s_delay_alu instid0(VALU_DEP_1) | instskip(NEXT) | instid1(VALU_DEP_1)
	v_cndmask_b32_e32 v2, v3, v19, vcc_lo
	v_and_or_b32 v0, 0x80000000, v0, v2
.LBB51_842:                             ;   in Loop: Header=BB51_17 Depth=1
	s_or_b32 exec_lo, exec_lo, s42
	s_delay_alu instid0(SALU_CYCLE_1)
	s_or_b32 s42, s40, exec_lo
                                        ; implicit-def: $vgpr2_vgpr3
.LBB51_843:                             ;   in Loop: Header=BB51_17 Depth=1
	s_and_not1_saveexec_b32 s41, s41
	s_cbranch_execz .LBB51_853
; %bb.844:                              ;   in Loop: Header=BB51_17 Depth=1
	s_mov_b32 s43, s42
	s_mov_b32 s44, exec_lo
                                        ; implicit-def: $vgpr0
	v_cmpx_lt_i16_e32 14, v9
	s_xor_b32 s44, exec_lo, s44
	s_cbranch_execz .LBB51_848
; %bb.845:                              ;   in Loop: Header=BB51_17 Depth=1
	s_mov_b32 s43, s42
	s_mov_b32 s45, exec_lo
                                        ; implicit-def: $vgpr0
	v_cmpx_eq_u16_e32 15, v9
	s_cbranch_execz .LBB51_847
; %bb.846:                              ;   in Loop: Header=BB51_17 Depth=1
	flat_load_u16 v0, v[2:3]
	s_or_b32 s43, s42, exec_lo
	s_wait_loadcnt_dscnt 0x0
	v_lshlrev_b32_e32 v0, 16, v0
.LBB51_847:                             ;   in Loop: Header=BB51_17 Depth=1
	s_wait_xcnt 0x0
	s_or_b32 exec_lo, exec_lo, s45
	s_delay_alu instid0(SALU_CYCLE_1) | instskip(SKIP_1) | instid1(SALU_CYCLE_1)
	s_and_not1_b32 s45, s42, exec_lo
	s_and_b32 s43, s43, exec_lo
                                        ; implicit-def: $vgpr2_vgpr3
	s_or_b32 s43, s45, s43
.LBB51_848:                             ;   in Loop: Header=BB51_17 Depth=1
	s_and_not1_saveexec_b32 s44, s44
	s_cbranch_execz .LBB51_852
; %bb.849:                              ;   in Loop: Header=BB51_17 Depth=1
	s_mov_b32 s45, s43
	s_mov_b32 s46, exec_lo
                                        ; implicit-def: $vgpr0
	v_cmpx_eq_u16_e32 11, v9
	s_cbranch_execz .LBB51_851
; %bb.850:                              ;   in Loop: Header=BB51_17 Depth=1
	flat_load_u8 v0, v[2:3]
	s_or_b32 s45, s43, exec_lo
	s_wait_loadcnt_dscnt 0x0
	v_cmp_ne_u16_e32 vcc_lo, 0, v0
	v_cndmask_b32_e64 v0, 0, 1.0, vcc_lo
.LBB51_851:                             ;   in Loop: Header=BB51_17 Depth=1
	s_wait_xcnt 0x0
	s_or_b32 exec_lo, exec_lo, s46
	s_delay_alu instid0(SALU_CYCLE_1) | instskip(SKIP_1) | instid1(SALU_CYCLE_1)
	s_and_not1_b32 s43, s43, exec_lo
	s_and_b32 s45, s45, exec_lo
	s_or_b32 s43, s43, s45
.LBB51_852:                             ;   in Loop: Header=BB51_17 Depth=1
	s_or_b32 exec_lo, exec_lo, s44
	s_delay_alu instid0(SALU_CYCLE_1) | instskip(SKIP_1) | instid1(SALU_CYCLE_1)
	s_and_not1_b32 s42, s42, exec_lo
	s_and_b32 s43, s43, exec_lo
	s_or_b32 s42, s42, s43
.LBB51_853:                             ;   in Loop: Header=BB51_17 Depth=1
	s_or_b32 exec_lo, exec_lo, s41
	s_delay_alu instid0(SALU_CYCLE_1) | instskip(SKIP_1) | instid1(SALU_CYCLE_1)
	s_and_not1_b32 s40, s40, exec_lo
	s_and_b32 s41, s42, exec_lo
	s_or_b32 s40, s40, s41
.LBB51_854:                             ;   in Loop: Header=BB51_17 Depth=1
	s_or_b32 exec_lo, exec_lo, s27
	s_delay_alu instid0(SALU_CYCLE_1)
	s_and_b32 s41, s40, exec_lo
                                        ; implicit-def: $vgpr2_vgpr3
.LBB51_855:                             ;   in Loop: Header=BB51_17 Depth=1
	s_and_not1_saveexec_b32 s26, s26
	s_cbranch_execz .LBB51_897
; %bb.856:                              ;   in Loop: Header=BB51_17 Depth=1
	s_mov_b32 s27, exec_lo
                                        ; implicit-def: $vgpr0
	v_cmpx_lt_i16_e32 4, v9
	s_xor_b32 s27, exec_lo, s27
	s_cbranch_execz .LBB51_878
; %bb.857:                              ;   in Loop: Header=BB51_17 Depth=1
	s_mov_b32 s40, exec_lo
                                        ; implicit-def: $vgpr0
	v_cmpx_lt_i16_e32 7, v9
	s_xor_b32 s40, exec_lo, s40
	;; [unrolled: 6-line block ×4, first 2 shown]
	s_cbranch_execz .LBB51_861
; %bb.860:                              ;   in Loop: Header=BB51_17 Depth=1
	flat_load_b64 v[2:3], v[2:3]
	s_wait_loadcnt_dscnt 0x0
	v_cvt_f32_f64_e32 v0, v[2:3]
                                        ; implicit-def: $vgpr2_vgpr3
.LBB51_861:                             ;   in Loop: Header=BB51_17 Depth=1
	s_wait_xcnt 0x0
	s_and_not1_saveexec_b32 s43, s43
	s_cbranch_execz .LBB51_863
; %bb.862:                              ;   in Loop: Header=BB51_17 Depth=1
	flat_load_b32 v0, v[2:3]
.LBB51_863:                             ;   in Loop: Header=BB51_17 Depth=1
	s_wait_xcnt 0x0
	s_or_b32 exec_lo, exec_lo, s43
                                        ; implicit-def: $vgpr2_vgpr3
.LBB51_864:                             ;   in Loop: Header=BB51_17 Depth=1
	s_and_not1_saveexec_b32 s42, s42
	s_cbranch_execz .LBB51_866
; %bb.865:                              ;   in Loop: Header=BB51_17 Depth=1
	s_wait_loadcnt_dscnt 0x0
	flat_load_b32 v0, v[2:3]
	s_wait_loadcnt_dscnt 0x0
	v_cvt_f32_f16_e32 v0, v0
.LBB51_866:                             ;   in Loop: Header=BB51_17 Depth=1
	s_wait_xcnt 0x0
	s_or_b32 exec_lo, exec_lo, s42
                                        ; implicit-def: $vgpr2_vgpr3
.LBB51_867:                             ;   in Loop: Header=BB51_17 Depth=1
	s_and_not1_saveexec_b32 s40, s40
	s_cbranch_execz .LBB51_877
; %bb.868:                              ;   in Loop: Header=BB51_17 Depth=1
	s_mov_b32 s42, exec_lo
                                        ; implicit-def: $vgpr0
	v_cmpx_lt_i16_e32 5, v9
	s_xor_b32 s42, exec_lo, s42
	s_cbranch_execz .LBB51_874
; %bb.869:                              ;   in Loop: Header=BB51_17 Depth=1
	s_mov_b32 s43, exec_lo
                                        ; implicit-def: $vgpr0
	v_cmpx_lt_i16_e32 6, v9
	s_xor_b32 s43, exec_lo, s43
	s_cbranch_execz .LBB51_871
; %bb.870:                              ;   in Loop: Header=BB51_17 Depth=1
	flat_load_b64 v[2:3], v[2:3]
	s_wait_loadcnt_dscnt 0x0
	v_cvt_f32_f64_e32 v0, v[2:3]
                                        ; implicit-def: $vgpr2_vgpr3
.LBB51_871:                             ;   in Loop: Header=BB51_17 Depth=1
	s_wait_xcnt 0x0
	s_and_not1_saveexec_b32 s43, s43
	s_cbranch_execz .LBB51_873
; %bb.872:                              ;   in Loop: Header=BB51_17 Depth=1
	s_wait_loadcnt_dscnt 0x0
	flat_load_b32 v0, v[2:3]
.LBB51_873:                             ;   in Loop: Header=BB51_17 Depth=1
	s_wait_xcnt 0x0
	s_or_b32 exec_lo, exec_lo, s43
                                        ; implicit-def: $vgpr2_vgpr3
.LBB51_874:                             ;   in Loop: Header=BB51_17 Depth=1
	s_and_not1_saveexec_b32 s42, s42
	s_cbranch_execz .LBB51_876
; %bb.875:                              ;   in Loop: Header=BB51_17 Depth=1
	s_wait_loadcnt_dscnt 0x0
	flat_load_u16 v0, v[2:3]
	s_wait_loadcnt_dscnt 0x0
	v_cvt_f32_f16_e32 v0, v0
.LBB51_876:                             ;   in Loop: Header=BB51_17 Depth=1
	s_wait_xcnt 0x0
	s_or_b32 exec_lo, exec_lo, s42
.LBB51_877:                             ;   in Loop: Header=BB51_17 Depth=1
	s_delay_alu instid0(SALU_CYCLE_1)
	s_or_b32 exec_lo, exec_lo, s40
                                        ; implicit-def: $vgpr2_vgpr3
.LBB51_878:                             ;   in Loop: Header=BB51_17 Depth=1
	s_and_not1_saveexec_b32 s27, s27
	s_cbranch_execz .LBB51_896
; %bb.879:                              ;   in Loop: Header=BB51_17 Depth=1
	s_mov_b32 s40, exec_lo
                                        ; implicit-def: $vgpr0
	v_cmpx_lt_i16_e32 1, v9
	s_xor_b32 s40, exec_lo, s40
	s_cbranch_execz .LBB51_889
; %bb.880:                              ;   in Loop: Header=BB51_17 Depth=1
	s_mov_b32 s42, exec_lo
                                        ; implicit-def: $vgpr0
	v_cmpx_lt_i16_e32 2, v9
	s_xor_b32 s42, exec_lo, s42
	;; [unrolled: 6-line block ×3, first 2 shown]
	s_cbranch_execz .LBB51_883
; %bb.882:                              ;   in Loop: Header=BB51_17 Depth=1
	flat_load_b64 v[2:3], v[2:3]
	s_wait_loadcnt_dscnt 0x0
	v_xor_b32_e32 v0, v2, v3
	v_cls_i32_e32 v19, v3
	s_delay_alu instid0(VALU_DEP_2) | instskip(NEXT) | instid1(VALU_DEP_1)
	v_ashrrev_i32_e32 v0, 31, v0
	v_add_nc_u32_e32 v0, 32, v0
	s_delay_alu instid0(VALU_DEP_1) | instskip(SKIP_1) | instid1(VALU_DEP_1)
	v_add_min_u32_e64 v0, v19, -1, v0
	s_wait_xcnt 0x0
	v_lshlrev_b64_e32 v[2:3], v0, v[2:3]
	v_sub_nc_u32_e32 v0, 32, v0
	s_delay_alu instid0(VALU_DEP_2) | instskip(NEXT) | instid1(VALU_DEP_1)
	v_min_u32_e32 v2, 1, v2
	v_or_b32_e32 v2, v3, v2
	s_delay_alu instid0(VALU_DEP_1) | instskip(NEXT) | instid1(VALU_DEP_1)
	v_cvt_f32_i32_e32 v2, v2
	v_ldexp_f32 v0, v2, v0
                                        ; implicit-def: $vgpr2_vgpr3
.LBB51_883:                             ;   in Loop: Header=BB51_17 Depth=1
	s_and_not1_saveexec_b32 s43, s43
	s_cbranch_execz .LBB51_885
; %bb.884:                              ;   in Loop: Header=BB51_17 Depth=1
	s_wait_loadcnt_dscnt 0x0
	flat_load_b32 v0, v[2:3]
	s_wait_loadcnt_dscnt 0x0
	v_cvt_f32_i32_e32 v0, v0
.LBB51_885:                             ;   in Loop: Header=BB51_17 Depth=1
	s_wait_xcnt 0x0
	s_or_b32 exec_lo, exec_lo, s43
                                        ; implicit-def: $vgpr2_vgpr3
.LBB51_886:                             ;   in Loop: Header=BB51_17 Depth=1
	s_and_not1_saveexec_b32 s42, s42
	s_cbranch_execz .LBB51_888
; %bb.887:                              ;   in Loop: Header=BB51_17 Depth=1
	s_wait_loadcnt_dscnt 0x0
	flat_load_i16 v0, v[2:3]
	s_wait_loadcnt_dscnt 0x0
	v_cvt_f32_i32_e32 v0, v0
.LBB51_888:                             ;   in Loop: Header=BB51_17 Depth=1
	s_wait_xcnt 0x0
	s_or_b32 exec_lo, exec_lo, s42
                                        ; implicit-def: $vgpr2_vgpr3
.LBB51_889:                             ;   in Loop: Header=BB51_17 Depth=1
	s_and_not1_saveexec_b32 s40, s40
	s_cbranch_execz .LBB51_895
; %bb.890:                              ;   in Loop: Header=BB51_17 Depth=1
	s_mov_b32 s42, exec_lo
                                        ; implicit-def: $vgpr0
	v_cmpx_lt_i16_e32 0, v9
	s_xor_b32 s42, exec_lo, s42
	s_cbranch_execz .LBB51_892
; %bb.891:                              ;   in Loop: Header=BB51_17 Depth=1
	s_wait_loadcnt_dscnt 0x0
	flat_load_i8 v0, v[2:3]
                                        ; implicit-def: $vgpr2_vgpr3
	s_wait_loadcnt_dscnt 0x0
	v_cvt_f32_i32_e32 v0, v0
.LBB51_892:                             ;   in Loop: Header=BB51_17 Depth=1
	s_wait_xcnt 0x0
	s_and_not1_saveexec_b32 s42, s42
	s_cbranch_execz .LBB51_894
; %bb.893:                              ;   in Loop: Header=BB51_17 Depth=1
	s_wait_loadcnt_dscnt 0x0
	flat_load_u8 v0, v[2:3]
	s_wait_loadcnt_dscnt 0x0
	v_cvt_f32_ubyte0_e32 v0, v0
.LBB51_894:                             ;   in Loop: Header=BB51_17 Depth=1
	s_wait_xcnt 0x0
	s_or_b32 exec_lo, exec_lo, s42
.LBB51_895:                             ;   in Loop: Header=BB51_17 Depth=1
	s_delay_alu instid0(SALU_CYCLE_1)
	s_or_b32 exec_lo, exec_lo, s40
.LBB51_896:                             ;   in Loop: Header=BB51_17 Depth=1
	s_delay_alu instid0(SALU_CYCLE_1) | instskip(NEXT) | instid1(SALU_CYCLE_1)
	s_or_b32 exec_lo, exec_lo, s27
	s_or_b32 s41, s41, exec_lo
.LBB51_897:                             ;   in Loop: Header=BB51_17 Depth=1
	s_or_b32 exec_lo, exec_lo, s26
	s_mov_b32 s26, -1
	s_mov_b32 s42, 0
	s_mov_b32 s27, 0
	s_and_saveexec_b32 s40, s41
	s_cbranch_execz .LBB51_903
; %bb.898:                              ;   in Loop: Header=BB51_17 Depth=1
	s_add_co_i32 s26, s33, s1
	s_mov_b32 s41, 0
	s_wait_loadcnt_dscnt 0x0
	scratch_store_b32 off, v0, s26 offset:60
	s_wait_xcnt 0x0
	v_mul_lo_u32 v0, v18, v12
	v_and_b32_e32 v18, 0xff, v10
	s_mov_b32 s27, exec_lo
	s_delay_alu instid0(VALU_DEP_2) | instskip(NEXT) | instid1(VALU_DEP_2)
	v_add_nc_u64_e32 v[2:3], v[6:7], v[0:1]
                                        ; implicit-def: $vgpr0
	v_cmpx_lt_i16_e32 10, v18
	s_xor_b32 s27, exec_lo, s27
	s_cbranch_execnz .LBB51_2550
; %bb.899:                              ;   in Loop: Header=BB51_17 Depth=1
	s_and_not1_saveexec_b32 s27, s27
	s_cbranch_execnz .LBB51_2609
.LBB51_900:                             ;   in Loop: Header=BB51_17 Depth=1
	s_or_b32 exec_lo, exec_lo, s27
	s_mov_b32 s42, 0
	s_and_saveexec_b32 s27, s41
	s_cbranch_execz .LBB51_902
.LBB51_901:                             ;   in Loop: Header=BB51_17 Depth=1
	v_add_nc_u32_e32 v16, 0x200, v16
	s_mov_b32 s42, exec_lo
	s_wait_loadcnt_dscnt 0x0
	scratch_store_b32 off, v0, s26 offset:56
.LBB51_902:                             ;   in Loop: Header=BB51_17 Depth=1
	s_wait_xcnt 0x0
	s_or_b32 exec_lo, exec_lo, s27
	s_delay_alu instid0(SALU_CYCLE_1)
	s_mov_b32 s27, exec_lo
	s_xor_b32 s26, exec_lo, -1
	s_and_b32 s42, s42, exec_lo
.LBB51_903:                             ;   in Loop: Header=BB51_17 Depth=1
	s_or_b32 exec_lo, exec_lo, s40
	s_delay_alu instid0(SALU_CYCLE_1)
	s_or_not1_b32 s40, s42, exec_lo
.LBB51_904:                             ;   in Loop: Header=BB51_17 Depth=1
	s_or_b32 exec_lo, exec_lo, s28
	s_and_saveexec_b32 s28, s40
	s_cbranch_execz .LBB51_9
; %bb.905:                              ;   in Loop: Header=BB51_17 Depth=1
	s_mov_b32 s42, -1
	s_mov_b32 s43, -1
	s_mov_b32 s41, exec_lo
                                        ; implicit-def: $sgpr29
                                        ; implicit-def: $sgpr40
	v_cmpx_lt_i32_e64 v16, v8
	s_cbranch_execz .LBB51_1015
; %bb.906:                              ;   in Loop: Header=BB51_17 Depth=1
	v_add_nc_u32_e32 v18, s3, v16
	s_mov_b32 s44, 0
	s_mov_b32 s29, exec_lo
	s_wait_loadcnt_dscnt 0x0
	s_delay_alu instid0(VALU_DEP_1) | instskip(NEXT) | instid1(VALU_DEP_1)
	v_mul_lo_u32 v0, v18, v11
	v_add_nc_u64_e32 v[2:3], v[4:5], v[0:1]
                                        ; implicit-def: $vgpr0
	v_cmpx_lt_i16_e32 10, v9
	s_xor_b32 s29, exec_lo, s29
	s_cbranch_execz .LBB51_966
; %bb.907:                              ;   in Loop: Header=BB51_17 Depth=1
	s_mov_b32 s43, 0
	s_mov_b32 s40, exec_lo
                                        ; implicit-def: $vgpr0
	v_cmpx_lt_i16_e32 25, v9
	s_xor_b32 s40, exec_lo, s40
	s_cbranch_execz .LBB51_939
; %bb.908:                              ;   in Loop: Header=BB51_17 Depth=1
	s_mov_b32 s44, exec_lo
                                        ; implicit-def: $vgpr0
	v_cmpx_lt_i16_e32 28, v9
	s_xor_b32 s44, exec_lo, s44
	s_cbranch_execz .LBB51_924
; %bb.909:                              ;   in Loop: Header=BB51_17 Depth=1
	s_mov_b32 s45, 0
	s_mov_b32 s43, exec_lo
                                        ; implicit-def: $vgpr0
	v_cmpx_lt_i16_e32 43, v9
	s_xor_b32 s43, exec_lo, s43
	s_cbranch_execz .LBB51_919
; %bb.910:                              ;   in Loop: Header=BB51_17 Depth=1
	s_mov_b32 s46, exec_lo
                                        ; implicit-def: $vgpr0
	v_cmpx_lt_i16_e32 45, v9
	s_xor_b32 s46, exec_lo, s46
	s_cbranch_execz .LBB51_914
; %bb.911:                              ;   in Loop: Header=BB51_17 Depth=1
	s_mov_b32 s47, exec_lo
                                        ; implicit-def: $vgpr0
	v_cmpx_eq_u16_e32 46, v9
	s_cbranch_execz .LBB51_913
; %bb.912:                              ;   in Loop: Header=BB51_17 Depth=1
	flat_load_b32 v0, v[2:3]
	s_mov_b32 s45, exec_lo
	s_wait_loadcnt_dscnt 0x0
	v_lshlrev_b32_e32 v0, 16, v0
.LBB51_913:                             ;   in Loop: Header=BB51_17 Depth=1
	s_wait_xcnt 0x0
	s_or_b32 exec_lo, exec_lo, s47
	s_delay_alu instid0(SALU_CYCLE_1)
	s_and_b32 s45, s45, exec_lo
                                        ; implicit-def: $vgpr2_vgpr3
.LBB51_914:                             ;   in Loop: Header=BB51_17 Depth=1
	s_and_not1_saveexec_b32 s46, s46
	s_cbranch_execz .LBB51_918
; %bb.915:                              ;   in Loop: Header=BB51_17 Depth=1
	s_mov_b32 s56, s45
	s_mov_b32 s47, exec_lo
                                        ; implicit-def: $vgpr0
	v_cmpx_eq_u16_e32 44, v9
	s_cbranch_execz .LBB51_917
; %bb.916:                              ;   in Loop: Header=BB51_17 Depth=1
	flat_load_u8 v0, v[2:3]
	s_or_b32 s56, s45, exec_lo
	s_wait_loadcnt_dscnt 0x0
	v_lshlrev_b32_e32 v2, 23, v0
	v_cmp_ne_u32_e32 vcc_lo, 0xff, v0
	s_delay_alu instid0(VALU_DEP_2) | instskip(SKIP_1) | instid1(VALU_DEP_2)
	v_cndmask_b32_e32 v2, 0x7f800001, v2, vcc_lo
	v_cmp_ne_u32_e32 vcc_lo, 0, v0
	v_cndmask_b32_e32 v0, 0x400000, v2, vcc_lo
.LBB51_917:                             ;   in Loop: Header=BB51_17 Depth=1
	s_or_b32 exec_lo, exec_lo, s47
	s_delay_alu instid0(SALU_CYCLE_1) | instskip(SKIP_1) | instid1(SALU_CYCLE_1)
	s_and_not1_b32 s45, s45, exec_lo
	s_and_b32 s47, s56, exec_lo
	s_or_b32 s45, s45, s47
.LBB51_918:                             ;   in Loop: Header=BB51_17 Depth=1
	s_or_b32 exec_lo, exec_lo, s46
	s_delay_alu instid0(SALU_CYCLE_1)
	s_and_b32 s45, s45, exec_lo
                                        ; implicit-def: $vgpr2_vgpr3
.LBB51_919:                             ;   in Loop: Header=BB51_17 Depth=1
	s_and_not1_saveexec_b32 s43, s43
	s_cbranch_execz .LBB51_923
; %bb.920:                              ;   in Loop: Header=BB51_17 Depth=1
	s_mov_b32 s47, s45
	s_mov_b32 s46, exec_lo
                                        ; implicit-def: $vgpr0
	v_cmpx_eq_u16_e32 29, v9
	s_cbranch_execz .LBB51_922
; %bb.921:                              ;   in Loop: Header=BB51_17 Depth=1
	flat_load_b64 v[2:3], v[2:3]
	s_or_b32 s47, s45, exec_lo
	s_wait_loadcnt_dscnt 0x0
	v_clz_i32_u32_e32 v0, v3
	s_delay_alu instid0(VALU_DEP_1) | instskip(SKIP_1) | instid1(VALU_DEP_1)
	v_min_u32_e32 v0, 32, v0
	s_wait_xcnt 0x0
	v_lshlrev_b64_e32 v[2:3], v0, v[2:3]
	v_sub_nc_u32_e32 v0, 32, v0
	s_delay_alu instid0(VALU_DEP_2) | instskip(NEXT) | instid1(VALU_DEP_1)
	v_min_u32_e32 v2, 1, v2
	v_or_b32_e32 v2, v3, v2
	s_delay_alu instid0(VALU_DEP_1) | instskip(NEXT) | instid1(VALU_DEP_1)
	v_cvt_f32_u32_e32 v2, v2
	v_ldexp_f32 v0, v2, v0
.LBB51_922:                             ;   in Loop: Header=BB51_17 Depth=1
	s_or_b32 exec_lo, exec_lo, s46
	s_delay_alu instid0(SALU_CYCLE_1) | instskip(SKIP_1) | instid1(SALU_CYCLE_1)
	s_and_not1_b32 s45, s45, exec_lo
	s_and_b32 s46, s47, exec_lo
	s_or_b32 s45, s45, s46
.LBB51_923:                             ;   in Loop: Header=BB51_17 Depth=1
	s_or_b32 exec_lo, exec_lo, s43
	s_delay_alu instid0(SALU_CYCLE_1)
	s_and_b32 s43, s45, exec_lo
                                        ; implicit-def: $vgpr2_vgpr3
.LBB51_924:                             ;   in Loop: Header=BB51_17 Depth=1
	s_and_not1_saveexec_b32 s44, s44
	s_cbranch_execz .LBB51_938
; %bb.925:                              ;   in Loop: Header=BB51_17 Depth=1
	s_mov_b32 s45, exec_lo
                                        ; implicit-def: $vgpr0
	v_cmpx_lt_i16_e32 26, v9
	s_xor_b32 s45, exec_lo, s45
	s_cbranch_execz .LBB51_931
; %bb.926:                              ;   in Loop: Header=BB51_17 Depth=1
	s_mov_b32 s46, exec_lo
                                        ; implicit-def: $vgpr0
	v_cmpx_lt_i16_e32 27, v9
	s_xor_b32 s46, exec_lo, s46
	s_cbranch_execz .LBB51_928
; %bb.927:                              ;   in Loop: Header=BB51_17 Depth=1
	flat_load_b32 v0, v[2:3]
                                        ; implicit-def: $vgpr2_vgpr3
	s_wait_loadcnt_dscnt 0x0
	v_cvt_f32_u32_e32 v0, v0
.LBB51_928:                             ;   in Loop: Header=BB51_17 Depth=1
	s_wait_xcnt 0x0
	s_and_not1_saveexec_b32 s46, s46
	s_cbranch_execz .LBB51_930
; %bb.929:                              ;   in Loop: Header=BB51_17 Depth=1
	flat_load_u16 v0, v[2:3]
	s_wait_loadcnt_dscnt 0x0
	v_cvt_f32_u32_e32 v0, v0
.LBB51_930:                             ;   in Loop: Header=BB51_17 Depth=1
	s_wait_xcnt 0x0
	s_or_b32 exec_lo, exec_lo, s46
                                        ; implicit-def: $vgpr2_vgpr3
.LBB51_931:                             ;   in Loop: Header=BB51_17 Depth=1
	s_and_not1_saveexec_b32 s45, s45
	s_cbranch_execz .LBB51_937
; %bb.932:                              ;   in Loop: Header=BB51_17 Depth=1
	flat_load_u8 v2, v[2:3]
	s_mov_b32 s46, 0
	s_mov_b32 s47, exec_lo
	s_wait_loadcnt_dscnt 0x0
	v_cmpx_lt_i16_e32 0x7f, v2
	s_xor_b32 s47, exec_lo, s47
	s_cbranch_execnz .LBB51_3010
; %bb.933:                              ;   in Loop: Header=BB51_17 Depth=1
	s_or_saveexec_b32 s47, s47
	v_mov_b32_e32 v0, 0x7f800001
	s_xor_b32 exec_lo, exec_lo, s47
	s_cbranch_execnz .LBB51_3013
.LBB51_934:                             ;   in Loop: Header=BB51_17 Depth=1
	s_or_b32 exec_lo, exec_lo, s47
	s_and_saveexec_b32 s47, s46
	s_cbranch_execz .LBB51_936
.LBB51_935:                             ;   in Loop: Header=BB51_17 Depth=1
	v_and_b32_e32 v0, 0xffff, v2
	s_delay_alu instid0(VALU_DEP_1) | instskip(SKIP_1) | instid1(VALU_DEP_2)
	v_and_b32_e32 v3, 7, v0
	v_bfe_u32 v21, v0, 3, 4
	v_clz_i32_u32_e32 v19, v3
	s_delay_alu instid0(VALU_DEP_2) | instskip(NEXT) | instid1(VALU_DEP_2)
	v_cmp_eq_u32_e32 vcc_lo, 0, v21
	v_min_u32_e32 v19, 32, v19
	s_delay_alu instid0(VALU_DEP_1) | instskip(NEXT) | instid1(VALU_DEP_1)
	v_subrev_nc_u32_e32 v20, 28, v19
	v_dual_lshlrev_b32 v0, v20, v0 :: v_dual_sub_nc_u32 v19, 29, v19
	s_delay_alu instid0(VALU_DEP_1) | instskip(NEXT) | instid1(VALU_DEP_1)
	v_dual_lshlrev_b32 v2, 24, v2 :: v_dual_bitop2_b32 v0, 7, v0 bitop3:0x40
	v_dual_cndmask_b32 v19, v21, v19 :: v_dual_cndmask_b32 v0, v3, v0
	s_delay_alu instid0(VALU_DEP_2) | instskip(NEXT) | instid1(VALU_DEP_2)
	v_and_b32_e32 v2, 0x80000000, v2
	v_lshl_add_u32 v3, v19, 23, 0x3b800000
	s_delay_alu instid0(VALU_DEP_3) | instskip(NEXT) | instid1(VALU_DEP_1)
	v_lshlrev_b32_e32 v0, 20, v0
	v_or3_b32 v0, v2, v3, v0
.LBB51_936:                             ;   in Loop: Header=BB51_17 Depth=1
	s_or_b32 exec_lo, exec_lo, s47
.LBB51_937:                             ;   in Loop: Header=BB51_17 Depth=1
	s_delay_alu instid0(SALU_CYCLE_1) | instskip(NEXT) | instid1(SALU_CYCLE_1)
	s_or_b32 exec_lo, exec_lo, s45
	s_or_b32 s43, s43, exec_lo
.LBB51_938:                             ;   in Loop: Header=BB51_17 Depth=1
	s_or_b32 exec_lo, exec_lo, s44
	s_delay_alu instid0(SALU_CYCLE_1)
	s_and_b32 s43, s43, exec_lo
                                        ; implicit-def: $vgpr2_vgpr3
.LBB51_939:                             ;   in Loop: Header=BB51_17 Depth=1
	s_and_not1_saveexec_b32 s40, s40
	s_cbranch_execz .LBB51_965
; %bb.940:                              ;   in Loop: Header=BB51_17 Depth=1
	s_mov_b32 s45, s43
	s_mov_b32 s44, exec_lo
                                        ; implicit-def: $vgpr0
	v_cmpx_lt_i16_e32 22, v9
	s_xor_b32 s44, exec_lo, s44
	s_cbranch_execz .LBB51_954
; %bb.941:                              ;   in Loop: Header=BB51_17 Depth=1
	s_mov_b32 s45, exec_lo
                                        ; implicit-def: $vgpr0
	v_cmpx_lt_i16_e32 23, v9
	s_xor_b32 s45, exec_lo, s45
	s_cbranch_execz .LBB51_951
; %bb.942:                              ;   in Loop: Header=BB51_17 Depth=1
	;; [unrolled: 6-line block ×3, first 2 shown]
	flat_load_u8 v2, v[2:3]
	s_mov_b32 s47, 0
	s_mov_b32 s56, exec_lo
	s_wait_loadcnt_dscnt 0x0
	v_cmpx_lt_i16_e32 0x7f, v2
	s_xor_b32 s56, exec_lo, s56
	s_cbranch_execnz .LBB51_3122
; %bb.944:                              ;   in Loop: Header=BB51_17 Depth=1
	s_or_saveexec_b32 s56, s56
	v_mov_b32_e32 v0, 0x7f800001
	s_xor_b32 exec_lo, exec_lo, s56
	s_cbranch_execnz .LBB51_3125
.LBB51_945:                             ;   in Loop: Header=BB51_17 Depth=1
	s_or_b32 exec_lo, exec_lo, s56
	s_and_saveexec_b32 s56, s47
	s_cbranch_execz .LBB51_947
.LBB51_946:                             ;   in Loop: Header=BB51_17 Depth=1
	v_and_b32_e32 v0, 0xffff, v2
	s_delay_alu instid0(VALU_DEP_1) | instskip(SKIP_1) | instid1(VALU_DEP_2)
	v_and_b32_e32 v3, 3, v0
	v_bfe_u32 v21, v0, 2, 5
	v_clz_i32_u32_e32 v19, v3
	s_delay_alu instid0(VALU_DEP_2) | instskip(NEXT) | instid1(VALU_DEP_2)
	v_cmp_eq_u32_e32 vcc_lo, 0, v21
	v_min_u32_e32 v19, 32, v19
	s_delay_alu instid0(VALU_DEP_1) | instskip(NEXT) | instid1(VALU_DEP_1)
	v_subrev_nc_u32_e32 v20, 29, v19
	v_dual_lshlrev_b32 v0, v20, v0 :: v_dual_sub_nc_u32 v19, 30, v19
	s_delay_alu instid0(VALU_DEP_1) | instskip(NEXT) | instid1(VALU_DEP_1)
	v_dual_lshlrev_b32 v2, 24, v2 :: v_dual_bitop2_b32 v0, 3, v0 bitop3:0x40
	v_dual_cndmask_b32 v19, v21, v19 :: v_dual_cndmask_b32 v0, v3, v0
	s_delay_alu instid0(VALU_DEP_2) | instskip(NEXT) | instid1(VALU_DEP_2)
	v_and_b32_e32 v2, 0x80000000, v2
	v_lshl_add_u32 v3, v19, 23, 0x37800000
	s_delay_alu instid0(VALU_DEP_3) | instskip(NEXT) | instid1(VALU_DEP_1)
	v_lshlrev_b32_e32 v0, 21, v0
	v_or3_b32 v0, v2, v3, v0
.LBB51_947:                             ;   in Loop: Header=BB51_17 Depth=1
	s_or_b32 exec_lo, exec_lo, s56
                                        ; implicit-def: $vgpr2_vgpr3
.LBB51_948:                             ;   in Loop: Header=BB51_17 Depth=1
	s_and_not1_saveexec_b32 s46, s46
	s_cbranch_execz .LBB51_950
; %bb.949:                              ;   in Loop: Header=BB51_17 Depth=1
	flat_load_u8 v0, v[2:3]
	s_wait_loadcnt_dscnt 0x0
	v_lshlrev_b32_e32 v0, 24, v0
	s_wait_xcnt 0x0
	s_delay_alu instid0(VALU_DEP_1) | instskip(NEXT) | instid1(VALU_DEP_1)
	v_and_b32_e32 v2, 0x7f000000, v0
	v_clz_i32_u32_e32 v3, v2
	v_add_nc_u32_e32 v20, 0x1000000, v2
	v_cmp_ne_u32_e32 vcc_lo, 0, v2
	s_delay_alu instid0(VALU_DEP_3) | instskip(NEXT) | instid1(VALU_DEP_1)
	v_min_u32_e32 v3, 32, v3
	v_sub_nc_u32_e64 v3, v3, 4 clamp
	s_delay_alu instid0(VALU_DEP_1) | instskip(NEXT) | instid1(VALU_DEP_1)
	v_dual_lshlrev_b32 v19, v3, v2 :: v_dual_lshlrev_b32 v3, 23, v3
	v_lshrrev_b32_e32 v19, 4, v19
	s_delay_alu instid0(VALU_DEP_1) | instskip(NEXT) | instid1(VALU_DEP_1)
	v_dual_sub_nc_u32 v3, v19, v3 :: v_dual_ashrrev_i32 v19, 8, v20
	v_add_nc_u32_e32 v3, 0x3c000000, v3
	s_delay_alu instid0(VALU_DEP_1) | instskip(NEXT) | instid1(VALU_DEP_1)
	v_and_or_b32 v3, 0x7f800000, v19, v3
	v_cndmask_b32_e32 v2, 0, v3, vcc_lo
	s_delay_alu instid0(VALU_DEP_1)
	v_and_or_b32 v0, 0x80000000, v0, v2
.LBB51_950:                             ;   in Loop: Header=BB51_17 Depth=1
	s_or_b32 exec_lo, exec_lo, s46
                                        ; implicit-def: $vgpr2_vgpr3
.LBB51_951:                             ;   in Loop: Header=BB51_17 Depth=1
	s_and_not1_saveexec_b32 s45, s45
	s_cbranch_execz .LBB51_953
; %bb.952:                              ;   in Loop: Header=BB51_17 Depth=1
	flat_load_u8 v0, v[2:3]
	s_wait_loadcnt_dscnt 0x0
	v_lshlrev_b32_e32 v2, 25, v0
	v_lshlrev_b16 v0, 8, v0
	s_delay_alu instid0(VALU_DEP_1) | instskip(SKIP_1) | instid1(VALU_DEP_2)
	v_and_or_b32 v19, 0x7f00, v0, 0.5
	v_bfe_i32 v0, v0, 0, 16
	v_dual_add_f32 v19, -0.5, v19 :: v_dual_lshrrev_b32 v3, 4, v2
	v_cmp_gt_u32_e32 vcc_lo, 0x8000000, v2
	s_delay_alu instid0(VALU_DEP_2) | instskip(NEXT) | instid1(VALU_DEP_1)
	v_or_b32_e32 v3, 0x70000000, v3
	v_mul_f32_e32 v3, 0x7800000, v3
	s_delay_alu instid0(VALU_DEP_1) | instskip(NEXT) | instid1(VALU_DEP_1)
	v_cndmask_b32_e32 v2, v3, v19, vcc_lo
	v_and_or_b32 v0, 0x80000000, v0, v2
.LBB51_953:                             ;   in Loop: Header=BB51_17 Depth=1
	s_or_b32 exec_lo, exec_lo, s45
	s_delay_alu instid0(SALU_CYCLE_1)
	s_or_b32 s45, s43, exec_lo
                                        ; implicit-def: $vgpr2_vgpr3
.LBB51_954:                             ;   in Loop: Header=BB51_17 Depth=1
	s_and_not1_saveexec_b32 s44, s44
	s_cbranch_execz .LBB51_964
; %bb.955:                              ;   in Loop: Header=BB51_17 Depth=1
	s_mov_b32 s46, s45
	s_mov_b32 s47, exec_lo
                                        ; implicit-def: $vgpr0
	v_cmpx_lt_i16_e32 14, v9
	s_xor_b32 s47, exec_lo, s47
	s_cbranch_execz .LBB51_959
; %bb.956:                              ;   in Loop: Header=BB51_17 Depth=1
	s_mov_b32 s46, s45
	s_mov_b32 s56, exec_lo
                                        ; implicit-def: $vgpr0
	v_cmpx_eq_u16_e32 15, v9
	s_cbranch_execz .LBB51_958
; %bb.957:                              ;   in Loop: Header=BB51_17 Depth=1
	flat_load_u16 v0, v[2:3]
	s_or_b32 s46, s45, exec_lo
	s_wait_loadcnt_dscnt 0x0
	v_lshlrev_b32_e32 v0, 16, v0
.LBB51_958:                             ;   in Loop: Header=BB51_17 Depth=1
	s_wait_xcnt 0x0
	s_or_b32 exec_lo, exec_lo, s56
	s_delay_alu instid0(SALU_CYCLE_1) | instskip(SKIP_1) | instid1(SALU_CYCLE_1)
	s_and_not1_b32 s56, s45, exec_lo
	s_and_b32 s46, s46, exec_lo
                                        ; implicit-def: $vgpr2_vgpr3
	s_or_b32 s46, s56, s46
.LBB51_959:                             ;   in Loop: Header=BB51_17 Depth=1
	s_and_not1_saveexec_b32 s47, s47
	s_cbranch_execz .LBB51_963
; %bb.960:                              ;   in Loop: Header=BB51_17 Depth=1
	s_mov_b32 s56, s46
	s_mov_b32 s57, exec_lo
                                        ; implicit-def: $vgpr0
	v_cmpx_eq_u16_e32 11, v9
	s_cbranch_execz .LBB51_962
; %bb.961:                              ;   in Loop: Header=BB51_17 Depth=1
	flat_load_u8 v0, v[2:3]
	s_or_b32 s56, s46, exec_lo
	s_wait_loadcnt_dscnt 0x0
	v_cmp_ne_u16_e32 vcc_lo, 0, v0
	v_cndmask_b32_e64 v0, 0, 1.0, vcc_lo
.LBB51_962:                             ;   in Loop: Header=BB51_17 Depth=1
	s_wait_xcnt 0x0
	s_or_b32 exec_lo, exec_lo, s57
	s_delay_alu instid0(SALU_CYCLE_1) | instskip(SKIP_1) | instid1(SALU_CYCLE_1)
	s_and_not1_b32 s46, s46, exec_lo
	s_and_b32 s56, s56, exec_lo
	s_or_b32 s46, s46, s56
.LBB51_963:                             ;   in Loop: Header=BB51_17 Depth=1
	s_or_b32 exec_lo, exec_lo, s47
	s_delay_alu instid0(SALU_CYCLE_1) | instskip(SKIP_1) | instid1(SALU_CYCLE_1)
	s_and_not1_b32 s45, s45, exec_lo
	s_and_b32 s46, s46, exec_lo
	s_or_b32 s45, s45, s46
.LBB51_964:                             ;   in Loop: Header=BB51_17 Depth=1
	s_or_b32 exec_lo, exec_lo, s44
	s_delay_alu instid0(SALU_CYCLE_1) | instskip(SKIP_1) | instid1(SALU_CYCLE_1)
	s_and_not1_b32 s43, s43, exec_lo
	s_and_b32 s44, s45, exec_lo
	s_or_b32 s43, s43, s44
.LBB51_965:                             ;   in Loop: Header=BB51_17 Depth=1
	s_or_b32 exec_lo, exec_lo, s40
	s_delay_alu instid0(SALU_CYCLE_1)
	s_and_b32 s44, s43, exec_lo
                                        ; implicit-def: $vgpr2_vgpr3
.LBB51_966:                             ;   in Loop: Header=BB51_17 Depth=1
	s_and_not1_saveexec_b32 s29, s29
	s_cbranch_execz .LBB51_1008
; %bb.967:                              ;   in Loop: Header=BB51_17 Depth=1
	s_mov_b32 s40, exec_lo
                                        ; implicit-def: $vgpr0
	v_cmpx_lt_i16_e32 4, v9
	s_xor_b32 s40, exec_lo, s40
	s_cbranch_execz .LBB51_989
; %bb.968:                              ;   in Loop: Header=BB51_17 Depth=1
	s_mov_b32 s43, exec_lo
                                        ; implicit-def: $vgpr0
	v_cmpx_lt_i16_e32 7, v9
	s_xor_b32 s43, exec_lo, s43
	;; [unrolled: 6-line block ×4, first 2 shown]
	s_cbranch_execz .LBB51_972
; %bb.971:                              ;   in Loop: Header=BB51_17 Depth=1
	flat_load_b64 v[2:3], v[2:3]
	s_wait_loadcnt_dscnt 0x0
	v_cvt_f32_f64_e32 v0, v[2:3]
                                        ; implicit-def: $vgpr2_vgpr3
.LBB51_972:                             ;   in Loop: Header=BB51_17 Depth=1
	s_wait_xcnt 0x0
	s_and_not1_saveexec_b32 s46, s46
	s_cbranch_execz .LBB51_974
; %bb.973:                              ;   in Loop: Header=BB51_17 Depth=1
	flat_load_b32 v0, v[2:3]
.LBB51_974:                             ;   in Loop: Header=BB51_17 Depth=1
	s_wait_xcnt 0x0
	s_or_b32 exec_lo, exec_lo, s46
                                        ; implicit-def: $vgpr2_vgpr3
.LBB51_975:                             ;   in Loop: Header=BB51_17 Depth=1
	s_and_not1_saveexec_b32 s45, s45
	s_cbranch_execz .LBB51_977
; %bb.976:                              ;   in Loop: Header=BB51_17 Depth=1
	s_wait_loadcnt_dscnt 0x0
	flat_load_b32 v0, v[2:3]
	s_wait_loadcnt_dscnt 0x0
	v_cvt_f32_f16_e32 v0, v0
.LBB51_977:                             ;   in Loop: Header=BB51_17 Depth=1
	s_wait_xcnt 0x0
	s_or_b32 exec_lo, exec_lo, s45
                                        ; implicit-def: $vgpr2_vgpr3
.LBB51_978:                             ;   in Loop: Header=BB51_17 Depth=1
	s_and_not1_saveexec_b32 s43, s43
	s_cbranch_execz .LBB51_988
; %bb.979:                              ;   in Loop: Header=BB51_17 Depth=1
	s_mov_b32 s45, exec_lo
                                        ; implicit-def: $vgpr0
	v_cmpx_lt_i16_e32 5, v9
	s_xor_b32 s45, exec_lo, s45
	s_cbranch_execz .LBB51_985
; %bb.980:                              ;   in Loop: Header=BB51_17 Depth=1
	s_mov_b32 s46, exec_lo
                                        ; implicit-def: $vgpr0
	v_cmpx_lt_i16_e32 6, v9
	s_xor_b32 s46, exec_lo, s46
	s_cbranch_execz .LBB51_982
; %bb.981:                              ;   in Loop: Header=BB51_17 Depth=1
	flat_load_b64 v[2:3], v[2:3]
	s_wait_loadcnt_dscnt 0x0
	v_cvt_f32_f64_e32 v0, v[2:3]
                                        ; implicit-def: $vgpr2_vgpr3
.LBB51_982:                             ;   in Loop: Header=BB51_17 Depth=1
	s_wait_xcnt 0x0
	s_and_not1_saveexec_b32 s46, s46
	s_cbranch_execz .LBB51_984
; %bb.983:                              ;   in Loop: Header=BB51_17 Depth=1
	s_wait_loadcnt_dscnt 0x0
	flat_load_b32 v0, v[2:3]
.LBB51_984:                             ;   in Loop: Header=BB51_17 Depth=1
	s_wait_xcnt 0x0
	s_or_b32 exec_lo, exec_lo, s46
                                        ; implicit-def: $vgpr2_vgpr3
.LBB51_985:                             ;   in Loop: Header=BB51_17 Depth=1
	s_and_not1_saveexec_b32 s45, s45
	s_cbranch_execz .LBB51_987
; %bb.986:                              ;   in Loop: Header=BB51_17 Depth=1
	s_wait_loadcnt_dscnt 0x0
	flat_load_u16 v0, v[2:3]
	s_wait_loadcnt_dscnt 0x0
	v_cvt_f32_f16_e32 v0, v0
.LBB51_987:                             ;   in Loop: Header=BB51_17 Depth=1
	s_wait_xcnt 0x0
	s_or_b32 exec_lo, exec_lo, s45
.LBB51_988:                             ;   in Loop: Header=BB51_17 Depth=1
	s_delay_alu instid0(SALU_CYCLE_1)
	s_or_b32 exec_lo, exec_lo, s43
                                        ; implicit-def: $vgpr2_vgpr3
.LBB51_989:                             ;   in Loop: Header=BB51_17 Depth=1
	s_and_not1_saveexec_b32 s40, s40
	s_cbranch_execz .LBB51_1007
; %bb.990:                              ;   in Loop: Header=BB51_17 Depth=1
	s_mov_b32 s43, exec_lo
                                        ; implicit-def: $vgpr0
	v_cmpx_lt_i16_e32 1, v9
	s_xor_b32 s43, exec_lo, s43
	s_cbranch_execz .LBB51_1000
; %bb.991:                              ;   in Loop: Header=BB51_17 Depth=1
	s_mov_b32 s45, exec_lo
                                        ; implicit-def: $vgpr0
	v_cmpx_lt_i16_e32 2, v9
	s_xor_b32 s45, exec_lo, s45
	;; [unrolled: 6-line block ×3, first 2 shown]
	s_cbranch_execz .LBB51_994
; %bb.993:                              ;   in Loop: Header=BB51_17 Depth=1
	flat_load_b64 v[2:3], v[2:3]
	s_wait_loadcnt_dscnt 0x0
	v_xor_b32_e32 v0, v2, v3
	v_cls_i32_e32 v19, v3
	s_delay_alu instid0(VALU_DEP_2) | instskip(NEXT) | instid1(VALU_DEP_1)
	v_ashrrev_i32_e32 v0, 31, v0
	v_add_nc_u32_e32 v0, 32, v0
	s_delay_alu instid0(VALU_DEP_1) | instskip(SKIP_1) | instid1(VALU_DEP_1)
	v_add_min_u32_e64 v0, v19, -1, v0
	s_wait_xcnt 0x0
	v_lshlrev_b64_e32 v[2:3], v0, v[2:3]
	v_sub_nc_u32_e32 v0, 32, v0
	s_delay_alu instid0(VALU_DEP_2) | instskip(NEXT) | instid1(VALU_DEP_1)
	v_min_u32_e32 v2, 1, v2
	v_or_b32_e32 v2, v3, v2
	s_delay_alu instid0(VALU_DEP_1) | instskip(NEXT) | instid1(VALU_DEP_1)
	v_cvt_f32_i32_e32 v2, v2
	v_ldexp_f32 v0, v2, v0
                                        ; implicit-def: $vgpr2_vgpr3
.LBB51_994:                             ;   in Loop: Header=BB51_17 Depth=1
	s_and_not1_saveexec_b32 s46, s46
	s_cbranch_execz .LBB51_996
; %bb.995:                              ;   in Loop: Header=BB51_17 Depth=1
	s_wait_loadcnt_dscnt 0x0
	flat_load_b32 v0, v[2:3]
	s_wait_loadcnt_dscnt 0x0
	v_cvt_f32_i32_e32 v0, v0
.LBB51_996:                             ;   in Loop: Header=BB51_17 Depth=1
	s_wait_xcnt 0x0
	s_or_b32 exec_lo, exec_lo, s46
                                        ; implicit-def: $vgpr2_vgpr3
.LBB51_997:                             ;   in Loop: Header=BB51_17 Depth=1
	s_and_not1_saveexec_b32 s45, s45
	s_cbranch_execz .LBB51_999
; %bb.998:                              ;   in Loop: Header=BB51_17 Depth=1
	s_wait_loadcnt_dscnt 0x0
	flat_load_i16 v0, v[2:3]
	s_wait_loadcnt_dscnt 0x0
	v_cvt_f32_i32_e32 v0, v0
.LBB51_999:                             ;   in Loop: Header=BB51_17 Depth=1
	s_wait_xcnt 0x0
	s_or_b32 exec_lo, exec_lo, s45
                                        ; implicit-def: $vgpr2_vgpr3
.LBB51_1000:                            ;   in Loop: Header=BB51_17 Depth=1
	s_and_not1_saveexec_b32 s43, s43
	s_cbranch_execz .LBB51_1006
; %bb.1001:                             ;   in Loop: Header=BB51_17 Depth=1
	s_mov_b32 s45, exec_lo
                                        ; implicit-def: $vgpr0
	v_cmpx_lt_i16_e32 0, v9
	s_xor_b32 s45, exec_lo, s45
	s_cbranch_execz .LBB51_1003
; %bb.1002:                             ;   in Loop: Header=BB51_17 Depth=1
	s_wait_loadcnt_dscnt 0x0
	flat_load_i8 v0, v[2:3]
                                        ; implicit-def: $vgpr2_vgpr3
	s_wait_loadcnt_dscnt 0x0
	v_cvt_f32_i32_e32 v0, v0
.LBB51_1003:                            ;   in Loop: Header=BB51_17 Depth=1
	s_wait_xcnt 0x0
	s_and_not1_saveexec_b32 s45, s45
	s_cbranch_execz .LBB51_1005
; %bb.1004:                             ;   in Loop: Header=BB51_17 Depth=1
	s_wait_loadcnt_dscnt 0x0
	flat_load_u8 v0, v[2:3]
	s_wait_loadcnt_dscnt 0x0
	v_cvt_f32_ubyte0_e32 v0, v0
.LBB51_1005:                            ;   in Loop: Header=BB51_17 Depth=1
	s_wait_xcnt 0x0
	s_or_b32 exec_lo, exec_lo, s45
.LBB51_1006:                            ;   in Loop: Header=BB51_17 Depth=1
	s_delay_alu instid0(SALU_CYCLE_1)
	s_or_b32 exec_lo, exec_lo, s43
.LBB51_1007:                            ;   in Loop: Header=BB51_17 Depth=1
	s_delay_alu instid0(SALU_CYCLE_1) | instskip(NEXT) | instid1(SALU_CYCLE_1)
	s_or_b32 exec_lo, exec_lo, s40
	s_or_b32 s44, s44, exec_lo
.LBB51_1008:                            ;   in Loop: Header=BB51_17 Depth=1
	s_or_b32 exec_lo, exec_lo, s29
	s_mov_b32 s29, -1
	s_mov_b32 s45, 0
	s_mov_b32 s40, 0
	s_and_saveexec_b32 s43, s44
	s_cbranch_execz .LBB51_1014
; %bb.1009:                             ;   in Loop: Header=BB51_17 Depth=1
	s_add_co_i32 s29, s33, s1
	s_mov_b32 s44, 0
	s_wait_loadcnt_dscnt 0x0
	scratch_store_b32 off, v0, s29 offset:68
	s_wait_xcnt 0x0
	v_mul_lo_u32 v0, v18, v12
	v_and_b32_e32 v18, 0xff, v10
	s_mov_b32 s40, exec_lo
	s_delay_alu instid0(VALU_DEP_2) | instskip(NEXT) | instid1(VALU_DEP_2)
	v_add_nc_u64_e32 v[2:3], v[6:7], v[0:1]
                                        ; implicit-def: $vgpr0
	v_cmpx_lt_i16_e32 10, v18
	s_xor_b32 s40, exec_lo, s40
	s_cbranch_execnz .LBB51_2666
; %bb.1010:                             ;   in Loop: Header=BB51_17 Depth=1
	s_and_not1_saveexec_b32 s40, s40
	s_cbranch_execnz .LBB51_2725
.LBB51_1011:                            ;   in Loop: Header=BB51_17 Depth=1
	s_or_b32 exec_lo, exec_lo, s40
	s_mov_b32 s45, 0
	s_and_saveexec_b32 s40, s44
	s_cbranch_execz .LBB51_1013
.LBB51_1012:                            ;   in Loop: Header=BB51_17 Depth=1
	v_add_nc_u32_e32 v16, 0x200, v16
	s_mov_b32 s45, exec_lo
	s_wait_loadcnt_dscnt 0x0
	scratch_store_b32 off, v0, s29 offset:64
.LBB51_1013:                            ;   in Loop: Header=BB51_17 Depth=1
	s_wait_xcnt 0x0
	s_or_b32 exec_lo, exec_lo, s40
	s_delay_alu instid0(SALU_CYCLE_1)
	s_mov_b32 s40, exec_lo
	s_xor_b32 s29, exec_lo, -1
	s_and_b32 s45, s45, exec_lo
.LBB51_1014:                            ;   in Loop: Header=BB51_17 Depth=1
	s_or_b32 exec_lo, exec_lo, s43
	s_delay_alu instid0(SALU_CYCLE_1)
	s_or_not1_b32 s43, s45, exec_lo
.LBB51_1015:                            ;   in Loop: Header=BB51_17 Depth=1
	s_or_b32 exec_lo, exec_lo, s41
	s_and_saveexec_b32 s41, s43
	s_cbranch_execz .LBB51_8
; %bb.1016:                             ;   in Loop: Header=BB51_17 Depth=1
	s_mov_b32 s45, -1
	s_mov_b32 s46, -1
	s_mov_b32 s44, exec_lo
                                        ; implicit-def: $sgpr42
                                        ; implicit-def: $sgpr43
	v_cmpx_lt_i32_e64 v16, v8
	s_cbranch_execz .LBB51_1126
; %bb.1017:                             ;   in Loop: Header=BB51_17 Depth=1
	v_add_nc_u32_e32 v18, s3, v16
	s_mov_b32 s47, 0
	s_mov_b32 s42, exec_lo
	s_wait_loadcnt_dscnt 0x0
	s_delay_alu instid0(VALU_DEP_1) | instskip(NEXT) | instid1(VALU_DEP_1)
	v_mul_lo_u32 v0, v18, v11
	v_add_nc_u64_e32 v[2:3], v[4:5], v[0:1]
                                        ; implicit-def: $vgpr0
	v_cmpx_lt_i16_e32 10, v9
	s_xor_b32 s42, exec_lo, s42
	s_cbranch_execz .LBB51_1077
; %bb.1018:                             ;   in Loop: Header=BB51_17 Depth=1
	s_mov_b32 s46, 0
	s_mov_b32 s43, exec_lo
                                        ; implicit-def: $vgpr0
	v_cmpx_lt_i16_e32 25, v9
	s_xor_b32 s43, exec_lo, s43
	s_cbranch_execz .LBB51_1050
; %bb.1019:                             ;   in Loop: Header=BB51_17 Depth=1
	s_mov_b32 s47, exec_lo
                                        ; implicit-def: $vgpr0
	v_cmpx_lt_i16_e32 28, v9
	s_xor_b32 s47, exec_lo, s47
	s_cbranch_execz .LBB51_1035
; %bb.1020:                             ;   in Loop: Header=BB51_17 Depth=1
	s_mov_b32 s56, 0
	s_mov_b32 s46, exec_lo
                                        ; implicit-def: $vgpr0
	v_cmpx_lt_i16_e32 43, v9
	s_xor_b32 s46, exec_lo, s46
	s_cbranch_execz .LBB51_1030
; %bb.1021:                             ;   in Loop: Header=BB51_17 Depth=1
	s_mov_b32 s57, exec_lo
                                        ; implicit-def: $vgpr0
	v_cmpx_lt_i16_e32 45, v9
	s_xor_b32 s57, exec_lo, s57
	s_cbranch_execz .LBB51_1025
; %bb.1022:                             ;   in Loop: Header=BB51_17 Depth=1
	s_mov_b32 s58, exec_lo
                                        ; implicit-def: $vgpr0
	v_cmpx_eq_u16_e32 46, v9
	s_cbranch_execz .LBB51_1024
; %bb.1023:                             ;   in Loop: Header=BB51_17 Depth=1
	flat_load_b32 v0, v[2:3]
	s_mov_b32 s56, exec_lo
	s_wait_loadcnt_dscnt 0x0
	v_lshlrev_b32_e32 v0, 16, v0
.LBB51_1024:                            ;   in Loop: Header=BB51_17 Depth=1
	s_wait_xcnt 0x0
	s_or_b32 exec_lo, exec_lo, s58
	s_delay_alu instid0(SALU_CYCLE_1)
	s_and_b32 s56, s56, exec_lo
                                        ; implicit-def: $vgpr2_vgpr3
.LBB51_1025:                            ;   in Loop: Header=BB51_17 Depth=1
	s_and_not1_saveexec_b32 s57, s57
	s_cbranch_execz .LBB51_1029
; %bb.1026:                             ;   in Loop: Header=BB51_17 Depth=1
	s_mov_b32 s59, s56
	s_mov_b32 s58, exec_lo
                                        ; implicit-def: $vgpr0
	v_cmpx_eq_u16_e32 44, v9
	s_cbranch_execz .LBB51_1028
; %bb.1027:                             ;   in Loop: Header=BB51_17 Depth=1
	flat_load_u8 v0, v[2:3]
	s_or_b32 s59, s56, exec_lo
	s_wait_loadcnt_dscnt 0x0
	v_lshlrev_b32_e32 v2, 23, v0
	v_cmp_ne_u32_e32 vcc_lo, 0xff, v0
	s_delay_alu instid0(VALU_DEP_2) | instskip(SKIP_1) | instid1(VALU_DEP_2)
	v_cndmask_b32_e32 v2, 0x7f800001, v2, vcc_lo
	v_cmp_ne_u32_e32 vcc_lo, 0, v0
	v_cndmask_b32_e32 v0, 0x400000, v2, vcc_lo
.LBB51_1028:                            ;   in Loop: Header=BB51_17 Depth=1
	s_or_b32 exec_lo, exec_lo, s58
	s_delay_alu instid0(SALU_CYCLE_1) | instskip(SKIP_1) | instid1(SALU_CYCLE_1)
	s_and_not1_b32 s56, s56, exec_lo
	s_and_b32 s58, s59, exec_lo
	s_or_b32 s56, s56, s58
.LBB51_1029:                            ;   in Loop: Header=BB51_17 Depth=1
	s_or_b32 exec_lo, exec_lo, s57
	s_delay_alu instid0(SALU_CYCLE_1)
	s_and_b32 s56, s56, exec_lo
                                        ; implicit-def: $vgpr2_vgpr3
.LBB51_1030:                            ;   in Loop: Header=BB51_17 Depth=1
	s_and_not1_saveexec_b32 s46, s46
	s_cbranch_execz .LBB51_1034
; %bb.1031:                             ;   in Loop: Header=BB51_17 Depth=1
	s_mov_b32 s58, s56
	s_mov_b32 s57, exec_lo
                                        ; implicit-def: $vgpr0
	v_cmpx_eq_u16_e32 29, v9
	s_cbranch_execz .LBB51_1033
; %bb.1032:                             ;   in Loop: Header=BB51_17 Depth=1
	flat_load_b64 v[2:3], v[2:3]
	s_or_b32 s58, s56, exec_lo
	s_wait_loadcnt_dscnt 0x0
	v_clz_i32_u32_e32 v0, v3
	s_delay_alu instid0(VALU_DEP_1) | instskip(SKIP_1) | instid1(VALU_DEP_1)
	v_min_u32_e32 v0, 32, v0
	s_wait_xcnt 0x0
	v_lshlrev_b64_e32 v[2:3], v0, v[2:3]
	v_sub_nc_u32_e32 v0, 32, v0
	s_delay_alu instid0(VALU_DEP_2) | instskip(NEXT) | instid1(VALU_DEP_1)
	v_min_u32_e32 v2, 1, v2
	v_or_b32_e32 v2, v3, v2
	s_delay_alu instid0(VALU_DEP_1) | instskip(NEXT) | instid1(VALU_DEP_1)
	v_cvt_f32_u32_e32 v2, v2
	v_ldexp_f32 v0, v2, v0
.LBB51_1033:                            ;   in Loop: Header=BB51_17 Depth=1
	s_or_b32 exec_lo, exec_lo, s57
	s_delay_alu instid0(SALU_CYCLE_1) | instskip(SKIP_1) | instid1(SALU_CYCLE_1)
	s_and_not1_b32 s56, s56, exec_lo
	s_and_b32 s57, s58, exec_lo
	s_or_b32 s56, s56, s57
.LBB51_1034:                            ;   in Loop: Header=BB51_17 Depth=1
	s_or_b32 exec_lo, exec_lo, s46
	s_delay_alu instid0(SALU_CYCLE_1)
	s_and_b32 s46, s56, exec_lo
                                        ; implicit-def: $vgpr2_vgpr3
.LBB51_1035:                            ;   in Loop: Header=BB51_17 Depth=1
	s_and_not1_saveexec_b32 s47, s47
	s_cbranch_execz .LBB51_1049
; %bb.1036:                             ;   in Loop: Header=BB51_17 Depth=1
	s_mov_b32 s56, exec_lo
                                        ; implicit-def: $vgpr0
	v_cmpx_lt_i16_e32 26, v9
	s_xor_b32 s56, exec_lo, s56
	s_cbranch_execz .LBB51_1042
; %bb.1037:                             ;   in Loop: Header=BB51_17 Depth=1
	s_mov_b32 s57, exec_lo
                                        ; implicit-def: $vgpr0
	v_cmpx_lt_i16_e32 27, v9
	s_xor_b32 s57, exec_lo, s57
	s_cbranch_execz .LBB51_1039
; %bb.1038:                             ;   in Loop: Header=BB51_17 Depth=1
	flat_load_b32 v0, v[2:3]
                                        ; implicit-def: $vgpr2_vgpr3
	s_wait_loadcnt_dscnt 0x0
	v_cvt_f32_u32_e32 v0, v0
.LBB51_1039:                            ;   in Loop: Header=BB51_17 Depth=1
	s_wait_xcnt 0x0
	s_and_not1_saveexec_b32 s57, s57
	s_cbranch_execz .LBB51_1041
; %bb.1040:                             ;   in Loop: Header=BB51_17 Depth=1
	flat_load_u16 v0, v[2:3]
	s_wait_loadcnt_dscnt 0x0
	v_cvt_f32_u32_e32 v0, v0
.LBB51_1041:                            ;   in Loop: Header=BB51_17 Depth=1
	s_wait_xcnt 0x0
	s_or_b32 exec_lo, exec_lo, s57
                                        ; implicit-def: $vgpr2_vgpr3
.LBB51_1042:                            ;   in Loop: Header=BB51_17 Depth=1
	s_and_not1_saveexec_b32 s56, s56
	s_cbranch_execz .LBB51_1048
; %bb.1043:                             ;   in Loop: Header=BB51_17 Depth=1
	flat_load_u8 v2, v[2:3]
	s_mov_b32 s57, 0
	s_mov_b32 s58, exec_lo
	s_wait_loadcnt_dscnt 0x0
	v_cmpx_lt_i16_e32 0x7f, v2
	s_xor_b32 s58, exec_lo, s58
	s_cbranch_execnz .LBB51_3126
; %bb.1044:                             ;   in Loop: Header=BB51_17 Depth=1
	s_or_saveexec_b32 s58, s58
	v_mov_b32_e32 v0, 0x7f800001
	s_xor_b32 exec_lo, exec_lo, s58
	s_cbranch_execnz .LBB51_3129
.LBB51_1045:                            ;   in Loop: Header=BB51_17 Depth=1
	s_or_b32 exec_lo, exec_lo, s58
	s_and_saveexec_b32 s58, s57
	s_cbranch_execz .LBB51_1047
.LBB51_1046:                            ;   in Loop: Header=BB51_17 Depth=1
	v_and_b32_e32 v0, 0xffff, v2
	s_delay_alu instid0(VALU_DEP_1) | instskip(SKIP_1) | instid1(VALU_DEP_2)
	v_and_b32_e32 v3, 7, v0
	v_bfe_u32 v21, v0, 3, 4
	v_clz_i32_u32_e32 v19, v3
	s_delay_alu instid0(VALU_DEP_2) | instskip(NEXT) | instid1(VALU_DEP_2)
	v_cmp_eq_u32_e32 vcc_lo, 0, v21
	v_min_u32_e32 v19, 32, v19
	s_delay_alu instid0(VALU_DEP_1) | instskip(NEXT) | instid1(VALU_DEP_1)
	v_subrev_nc_u32_e32 v20, 28, v19
	v_dual_lshlrev_b32 v0, v20, v0 :: v_dual_sub_nc_u32 v19, 29, v19
	s_delay_alu instid0(VALU_DEP_1) | instskip(NEXT) | instid1(VALU_DEP_1)
	v_dual_lshlrev_b32 v2, 24, v2 :: v_dual_bitop2_b32 v0, 7, v0 bitop3:0x40
	v_dual_cndmask_b32 v19, v21, v19 :: v_dual_cndmask_b32 v0, v3, v0
	s_delay_alu instid0(VALU_DEP_2) | instskip(NEXT) | instid1(VALU_DEP_2)
	v_and_b32_e32 v2, 0x80000000, v2
	v_lshl_add_u32 v3, v19, 23, 0x3b800000
	s_delay_alu instid0(VALU_DEP_3) | instskip(NEXT) | instid1(VALU_DEP_1)
	v_lshlrev_b32_e32 v0, 20, v0
	v_or3_b32 v0, v2, v3, v0
.LBB51_1047:                            ;   in Loop: Header=BB51_17 Depth=1
	s_or_b32 exec_lo, exec_lo, s58
.LBB51_1048:                            ;   in Loop: Header=BB51_17 Depth=1
	s_delay_alu instid0(SALU_CYCLE_1) | instskip(NEXT) | instid1(SALU_CYCLE_1)
	s_or_b32 exec_lo, exec_lo, s56
	s_or_b32 s46, s46, exec_lo
.LBB51_1049:                            ;   in Loop: Header=BB51_17 Depth=1
	s_or_b32 exec_lo, exec_lo, s47
	s_delay_alu instid0(SALU_CYCLE_1)
	s_and_b32 s46, s46, exec_lo
                                        ; implicit-def: $vgpr2_vgpr3
.LBB51_1050:                            ;   in Loop: Header=BB51_17 Depth=1
	s_and_not1_saveexec_b32 s43, s43
	s_cbranch_execz .LBB51_1076
; %bb.1051:                             ;   in Loop: Header=BB51_17 Depth=1
	s_mov_b32 s56, s46
	s_mov_b32 s47, exec_lo
                                        ; implicit-def: $vgpr0
	v_cmpx_lt_i16_e32 22, v9
	s_xor_b32 s47, exec_lo, s47
	s_cbranch_execz .LBB51_1065
; %bb.1052:                             ;   in Loop: Header=BB51_17 Depth=1
	s_mov_b32 s56, exec_lo
                                        ; implicit-def: $vgpr0
	v_cmpx_lt_i16_e32 23, v9
	s_xor_b32 s56, exec_lo, s56
	s_cbranch_execz .LBB51_1062
; %bb.1053:                             ;   in Loop: Header=BB51_17 Depth=1
	s_mov_b32 s57, exec_lo
                                        ; implicit-def: $vgpr0
	v_cmpx_lt_i16_e32 24, v9
	s_xor_b32 s57, exec_lo, s57
	s_cbranch_execz .LBB51_1059
; %bb.1054:                             ;   in Loop: Header=BB51_17 Depth=1
	flat_load_u8 v2, v[2:3]
	s_mov_b32 s58, 0
	s_mov_b32 s59, exec_lo
	s_wait_loadcnt_dscnt 0x0
	v_cmpx_lt_i16_e32 0x7f, v2
	s_xor_b32 s59, exec_lo, s59
	s_cbranch_execnz .LBB51_3238
; %bb.1055:                             ;   in Loop: Header=BB51_17 Depth=1
	s_or_saveexec_b32 s59, s59
	v_mov_b32_e32 v0, 0x7f800001
	s_xor_b32 exec_lo, exec_lo, s59
	s_cbranch_execnz .LBB51_3241
.LBB51_1056:                            ;   in Loop: Header=BB51_17 Depth=1
	s_or_b32 exec_lo, exec_lo, s59
	s_and_saveexec_b32 s59, s58
	s_cbranch_execz .LBB51_1058
.LBB51_1057:                            ;   in Loop: Header=BB51_17 Depth=1
	v_and_b32_e32 v0, 0xffff, v2
	s_delay_alu instid0(VALU_DEP_1) | instskip(SKIP_1) | instid1(VALU_DEP_2)
	v_and_b32_e32 v3, 3, v0
	v_bfe_u32 v21, v0, 2, 5
	v_clz_i32_u32_e32 v19, v3
	s_delay_alu instid0(VALU_DEP_2) | instskip(NEXT) | instid1(VALU_DEP_2)
	v_cmp_eq_u32_e32 vcc_lo, 0, v21
	v_min_u32_e32 v19, 32, v19
	s_delay_alu instid0(VALU_DEP_1) | instskip(NEXT) | instid1(VALU_DEP_1)
	v_subrev_nc_u32_e32 v20, 29, v19
	v_dual_lshlrev_b32 v0, v20, v0 :: v_dual_sub_nc_u32 v19, 30, v19
	s_delay_alu instid0(VALU_DEP_1) | instskip(NEXT) | instid1(VALU_DEP_1)
	v_dual_lshlrev_b32 v2, 24, v2 :: v_dual_bitop2_b32 v0, 3, v0 bitop3:0x40
	v_dual_cndmask_b32 v19, v21, v19 :: v_dual_cndmask_b32 v0, v3, v0
	s_delay_alu instid0(VALU_DEP_2) | instskip(NEXT) | instid1(VALU_DEP_2)
	v_and_b32_e32 v2, 0x80000000, v2
	v_lshl_add_u32 v3, v19, 23, 0x37800000
	s_delay_alu instid0(VALU_DEP_3) | instskip(NEXT) | instid1(VALU_DEP_1)
	v_lshlrev_b32_e32 v0, 21, v0
	v_or3_b32 v0, v2, v3, v0
.LBB51_1058:                            ;   in Loop: Header=BB51_17 Depth=1
	s_or_b32 exec_lo, exec_lo, s59
                                        ; implicit-def: $vgpr2_vgpr3
.LBB51_1059:                            ;   in Loop: Header=BB51_17 Depth=1
	s_and_not1_saveexec_b32 s57, s57
	s_cbranch_execz .LBB51_1061
; %bb.1060:                             ;   in Loop: Header=BB51_17 Depth=1
	flat_load_u8 v0, v[2:3]
	s_wait_loadcnt_dscnt 0x0
	v_lshlrev_b32_e32 v0, 24, v0
	s_wait_xcnt 0x0
	s_delay_alu instid0(VALU_DEP_1) | instskip(NEXT) | instid1(VALU_DEP_1)
	v_and_b32_e32 v2, 0x7f000000, v0
	v_clz_i32_u32_e32 v3, v2
	v_add_nc_u32_e32 v20, 0x1000000, v2
	v_cmp_ne_u32_e32 vcc_lo, 0, v2
	s_delay_alu instid0(VALU_DEP_3) | instskip(NEXT) | instid1(VALU_DEP_1)
	v_min_u32_e32 v3, 32, v3
	v_sub_nc_u32_e64 v3, v3, 4 clamp
	s_delay_alu instid0(VALU_DEP_1) | instskip(NEXT) | instid1(VALU_DEP_1)
	v_dual_lshlrev_b32 v19, v3, v2 :: v_dual_lshlrev_b32 v3, 23, v3
	v_lshrrev_b32_e32 v19, 4, v19
	s_delay_alu instid0(VALU_DEP_1) | instskip(NEXT) | instid1(VALU_DEP_1)
	v_dual_sub_nc_u32 v3, v19, v3 :: v_dual_ashrrev_i32 v19, 8, v20
	v_add_nc_u32_e32 v3, 0x3c000000, v3
	s_delay_alu instid0(VALU_DEP_1) | instskip(NEXT) | instid1(VALU_DEP_1)
	v_and_or_b32 v3, 0x7f800000, v19, v3
	v_cndmask_b32_e32 v2, 0, v3, vcc_lo
	s_delay_alu instid0(VALU_DEP_1)
	v_and_or_b32 v0, 0x80000000, v0, v2
.LBB51_1061:                            ;   in Loop: Header=BB51_17 Depth=1
	s_or_b32 exec_lo, exec_lo, s57
                                        ; implicit-def: $vgpr2_vgpr3
.LBB51_1062:                            ;   in Loop: Header=BB51_17 Depth=1
	s_and_not1_saveexec_b32 s56, s56
	s_cbranch_execz .LBB51_1064
; %bb.1063:                             ;   in Loop: Header=BB51_17 Depth=1
	flat_load_u8 v0, v[2:3]
	s_wait_loadcnt_dscnt 0x0
	v_lshlrev_b32_e32 v2, 25, v0
	v_lshlrev_b16 v0, 8, v0
	s_delay_alu instid0(VALU_DEP_1) | instskip(SKIP_1) | instid1(VALU_DEP_2)
	v_and_or_b32 v19, 0x7f00, v0, 0.5
	v_bfe_i32 v0, v0, 0, 16
	v_dual_add_f32 v19, -0.5, v19 :: v_dual_lshrrev_b32 v3, 4, v2
	v_cmp_gt_u32_e32 vcc_lo, 0x8000000, v2
	s_delay_alu instid0(VALU_DEP_2) | instskip(NEXT) | instid1(VALU_DEP_1)
	v_or_b32_e32 v3, 0x70000000, v3
	v_mul_f32_e32 v3, 0x7800000, v3
	s_delay_alu instid0(VALU_DEP_1) | instskip(NEXT) | instid1(VALU_DEP_1)
	v_cndmask_b32_e32 v2, v3, v19, vcc_lo
	v_and_or_b32 v0, 0x80000000, v0, v2
.LBB51_1064:                            ;   in Loop: Header=BB51_17 Depth=1
	s_or_b32 exec_lo, exec_lo, s56
	s_delay_alu instid0(SALU_CYCLE_1)
	s_or_b32 s56, s46, exec_lo
                                        ; implicit-def: $vgpr2_vgpr3
.LBB51_1065:                            ;   in Loop: Header=BB51_17 Depth=1
	s_and_not1_saveexec_b32 s47, s47
	s_cbranch_execz .LBB51_1075
; %bb.1066:                             ;   in Loop: Header=BB51_17 Depth=1
	s_mov_b32 s57, s56
	s_mov_b32 s58, exec_lo
                                        ; implicit-def: $vgpr0
	v_cmpx_lt_i16_e32 14, v9
	s_xor_b32 s58, exec_lo, s58
	s_cbranch_execz .LBB51_1070
; %bb.1067:                             ;   in Loop: Header=BB51_17 Depth=1
	s_mov_b32 s57, s56
	s_mov_b32 s59, exec_lo
                                        ; implicit-def: $vgpr0
	v_cmpx_eq_u16_e32 15, v9
	s_cbranch_execz .LBB51_1069
; %bb.1068:                             ;   in Loop: Header=BB51_17 Depth=1
	flat_load_u16 v0, v[2:3]
	s_or_b32 s57, s56, exec_lo
	s_wait_loadcnt_dscnt 0x0
	v_lshlrev_b32_e32 v0, 16, v0
.LBB51_1069:                            ;   in Loop: Header=BB51_17 Depth=1
	s_wait_xcnt 0x0
	s_or_b32 exec_lo, exec_lo, s59
	s_delay_alu instid0(SALU_CYCLE_1) | instskip(SKIP_1) | instid1(SALU_CYCLE_1)
	s_and_not1_b32 s59, s56, exec_lo
	s_and_b32 s57, s57, exec_lo
                                        ; implicit-def: $vgpr2_vgpr3
	s_or_b32 s57, s59, s57
.LBB51_1070:                            ;   in Loop: Header=BB51_17 Depth=1
	s_and_not1_saveexec_b32 s58, s58
	s_cbranch_execz .LBB51_1074
; %bb.1071:                             ;   in Loop: Header=BB51_17 Depth=1
	s_mov_b32 s59, s57
	s_mov_b32 s60, exec_lo
                                        ; implicit-def: $vgpr0
	v_cmpx_eq_u16_e32 11, v9
	s_cbranch_execz .LBB51_1073
; %bb.1072:                             ;   in Loop: Header=BB51_17 Depth=1
	flat_load_u8 v0, v[2:3]
	s_or_b32 s59, s57, exec_lo
	s_wait_loadcnt_dscnt 0x0
	v_cmp_ne_u16_e32 vcc_lo, 0, v0
	v_cndmask_b32_e64 v0, 0, 1.0, vcc_lo
.LBB51_1073:                            ;   in Loop: Header=BB51_17 Depth=1
	s_wait_xcnt 0x0
	s_or_b32 exec_lo, exec_lo, s60
	s_delay_alu instid0(SALU_CYCLE_1) | instskip(SKIP_1) | instid1(SALU_CYCLE_1)
	s_and_not1_b32 s57, s57, exec_lo
	s_and_b32 s59, s59, exec_lo
	s_or_b32 s57, s57, s59
.LBB51_1074:                            ;   in Loop: Header=BB51_17 Depth=1
	s_or_b32 exec_lo, exec_lo, s58
	s_delay_alu instid0(SALU_CYCLE_1) | instskip(SKIP_1) | instid1(SALU_CYCLE_1)
	s_and_not1_b32 s56, s56, exec_lo
	s_and_b32 s57, s57, exec_lo
	s_or_b32 s56, s56, s57
.LBB51_1075:                            ;   in Loop: Header=BB51_17 Depth=1
	s_or_b32 exec_lo, exec_lo, s47
	s_delay_alu instid0(SALU_CYCLE_1) | instskip(SKIP_1) | instid1(SALU_CYCLE_1)
	s_and_not1_b32 s46, s46, exec_lo
	s_and_b32 s47, s56, exec_lo
	s_or_b32 s46, s46, s47
.LBB51_1076:                            ;   in Loop: Header=BB51_17 Depth=1
	s_or_b32 exec_lo, exec_lo, s43
	s_delay_alu instid0(SALU_CYCLE_1)
	s_and_b32 s47, s46, exec_lo
                                        ; implicit-def: $vgpr2_vgpr3
.LBB51_1077:                            ;   in Loop: Header=BB51_17 Depth=1
	s_and_not1_saveexec_b32 s42, s42
	s_cbranch_execz .LBB51_1119
; %bb.1078:                             ;   in Loop: Header=BB51_17 Depth=1
	s_mov_b32 s43, exec_lo
                                        ; implicit-def: $vgpr0
	v_cmpx_lt_i16_e32 4, v9
	s_xor_b32 s43, exec_lo, s43
	s_cbranch_execz .LBB51_1100
; %bb.1079:                             ;   in Loop: Header=BB51_17 Depth=1
	s_mov_b32 s46, exec_lo
                                        ; implicit-def: $vgpr0
	v_cmpx_lt_i16_e32 7, v9
	s_xor_b32 s46, exec_lo, s46
	;; [unrolled: 6-line block ×4, first 2 shown]
	s_cbranch_execz .LBB51_1083
; %bb.1082:                             ;   in Loop: Header=BB51_17 Depth=1
	flat_load_b64 v[2:3], v[2:3]
	s_wait_loadcnt_dscnt 0x0
	v_cvt_f32_f64_e32 v0, v[2:3]
                                        ; implicit-def: $vgpr2_vgpr3
.LBB51_1083:                            ;   in Loop: Header=BB51_17 Depth=1
	s_wait_xcnt 0x0
	s_and_not1_saveexec_b32 s57, s57
	s_cbranch_execz .LBB51_1085
; %bb.1084:                             ;   in Loop: Header=BB51_17 Depth=1
	flat_load_b32 v0, v[2:3]
.LBB51_1085:                            ;   in Loop: Header=BB51_17 Depth=1
	s_wait_xcnt 0x0
	s_or_b32 exec_lo, exec_lo, s57
                                        ; implicit-def: $vgpr2_vgpr3
.LBB51_1086:                            ;   in Loop: Header=BB51_17 Depth=1
	s_and_not1_saveexec_b32 s56, s56
	s_cbranch_execz .LBB51_1088
; %bb.1087:                             ;   in Loop: Header=BB51_17 Depth=1
	s_wait_loadcnt_dscnt 0x0
	flat_load_b32 v0, v[2:3]
	s_wait_loadcnt_dscnt 0x0
	v_cvt_f32_f16_e32 v0, v0
.LBB51_1088:                            ;   in Loop: Header=BB51_17 Depth=1
	s_wait_xcnt 0x0
	s_or_b32 exec_lo, exec_lo, s56
                                        ; implicit-def: $vgpr2_vgpr3
.LBB51_1089:                            ;   in Loop: Header=BB51_17 Depth=1
	s_and_not1_saveexec_b32 s46, s46
	s_cbranch_execz .LBB51_1099
; %bb.1090:                             ;   in Loop: Header=BB51_17 Depth=1
	s_mov_b32 s56, exec_lo
                                        ; implicit-def: $vgpr0
	v_cmpx_lt_i16_e32 5, v9
	s_xor_b32 s56, exec_lo, s56
	s_cbranch_execz .LBB51_1096
; %bb.1091:                             ;   in Loop: Header=BB51_17 Depth=1
	s_mov_b32 s57, exec_lo
                                        ; implicit-def: $vgpr0
	v_cmpx_lt_i16_e32 6, v9
	s_xor_b32 s57, exec_lo, s57
	s_cbranch_execz .LBB51_1093
; %bb.1092:                             ;   in Loop: Header=BB51_17 Depth=1
	flat_load_b64 v[2:3], v[2:3]
	s_wait_loadcnt_dscnt 0x0
	v_cvt_f32_f64_e32 v0, v[2:3]
                                        ; implicit-def: $vgpr2_vgpr3
.LBB51_1093:                            ;   in Loop: Header=BB51_17 Depth=1
	s_wait_xcnt 0x0
	s_and_not1_saveexec_b32 s57, s57
	s_cbranch_execz .LBB51_1095
; %bb.1094:                             ;   in Loop: Header=BB51_17 Depth=1
	s_wait_loadcnt_dscnt 0x0
	flat_load_b32 v0, v[2:3]
.LBB51_1095:                            ;   in Loop: Header=BB51_17 Depth=1
	s_wait_xcnt 0x0
	s_or_b32 exec_lo, exec_lo, s57
                                        ; implicit-def: $vgpr2_vgpr3
.LBB51_1096:                            ;   in Loop: Header=BB51_17 Depth=1
	s_and_not1_saveexec_b32 s56, s56
	s_cbranch_execz .LBB51_1098
; %bb.1097:                             ;   in Loop: Header=BB51_17 Depth=1
	s_wait_loadcnt_dscnt 0x0
	flat_load_u16 v0, v[2:3]
	s_wait_loadcnt_dscnt 0x0
	v_cvt_f32_f16_e32 v0, v0
.LBB51_1098:                            ;   in Loop: Header=BB51_17 Depth=1
	s_wait_xcnt 0x0
	s_or_b32 exec_lo, exec_lo, s56
.LBB51_1099:                            ;   in Loop: Header=BB51_17 Depth=1
	s_delay_alu instid0(SALU_CYCLE_1)
	s_or_b32 exec_lo, exec_lo, s46
                                        ; implicit-def: $vgpr2_vgpr3
.LBB51_1100:                            ;   in Loop: Header=BB51_17 Depth=1
	s_and_not1_saveexec_b32 s43, s43
	s_cbranch_execz .LBB51_1118
; %bb.1101:                             ;   in Loop: Header=BB51_17 Depth=1
	s_mov_b32 s46, exec_lo
                                        ; implicit-def: $vgpr0
	v_cmpx_lt_i16_e32 1, v9
	s_xor_b32 s46, exec_lo, s46
	s_cbranch_execz .LBB51_1111
; %bb.1102:                             ;   in Loop: Header=BB51_17 Depth=1
	s_mov_b32 s56, exec_lo
                                        ; implicit-def: $vgpr0
	v_cmpx_lt_i16_e32 2, v9
	s_xor_b32 s56, exec_lo, s56
	;; [unrolled: 6-line block ×3, first 2 shown]
	s_cbranch_execz .LBB51_1105
; %bb.1104:                             ;   in Loop: Header=BB51_17 Depth=1
	flat_load_b64 v[2:3], v[2:3]
	s_wait_loadcnt_dscnt 0x0
	v_xor_b32_e32 v0, v2, v3
	v_cls_i32_e32 v19, v3
	s_delay_alu instid0(VALU_DEP_2) | instskip(NEXT) | instid1(VALU_DEP_1)
	v_ashrrev_i32_e32 v0, 31, v0
	v_add_nc_u32_e32 v0, 32, v0
	s_delay_alu instid0(VALU_DEP_1) | instskip(SKIP_1) | instid1(VALU_DEP_1)
	v_add_min_u32_e64 v0, v19, -1, v0
	s_wait_xcnt 0x0
	v_lshlrev_b64_e32 v[2:3], v0, v[2:3]
	v_sub_nc_u32_e32 v0, 32, v0
	s_delay_alu instid0(VALU_DEP_2) | instskip(NEXT) | instid1(VALU_DEP_1)
	v_min_u32_e32 v2, 1, v2
	v_or_b32_e32 v2, v3, v2
	s_delay_alu instid0(VALU_DEP_1) | instskip(NEXT) | instid1(VALU_DEP_1)
	v_cvt_f32_i32_e32 v2, v2
	v_ldexp_f32 v0, v2, v0
                                        ; implicit-def: $vgpr2_vgpr3
.LBB51_1105:                            ;   in Loop: Header=BB51_17 Depth=1
	s_and_not1_saveexec_b32 s57, s57
	s_cbranch_execz .LBB51_1107
; %bb.1106:                             ;   in Loop: Header=BB51_17 Depth=1
	s_wait_loadcnt_dscnt 0x0
	flat_load_b32 v0, v[2:3]
	s_wait_loadcnt_dscnt 0x0
	v_cvt_f32_i32_e32 v0, v0
.LBB51_1107:                            ;   in Loop: Header=BB51_17 Depth=1
	s_wait_xcnt 0x0
	s_or_b32 exec_lo, exec_lo, s57
                                        ; implicit-def: $vgpr2_vgpr3
.LBB51_1108:                            ;   in Loop: Header=BB51_17 Depth=1
	s_and_not1_saveexec_b32 s56, s56
	s_cbranch_execz .LBB51_1110
; %bb.1109:                             ;   in Loop: Header=BB51_17 Depth=1
	s_wait_loadcnt_dscnt 0x0
	flat_load_i16 v0, v[2:3]
	s_wait_loadcnt_dscnt 0x0
	v_cvt_f32_i32_e32 v0, v0
.LBB51_1110:                            ;   in Loop: Header=BB51_17 Depth=1
	s_wait_xcnt 0x0
	s_or_b32 exec_lo, exec_lo, s56
                                        ; implicit-def: $vgpr2_vgpr3
.LBB51_1111:                            ;   in Loop: Header=BB51_17 Depth=1
	s_and_not1_saveexec_b32 s46, s46
	s_cbranch_execz .LBB51_1117
; %bb.1112:                             ;   in Loop: Header=BB51_17 Depth=1
	s_mov_b32 s56, exec_lo
                                        ; implicit-def: $vgpr0
	v_cmpx_lt_i16_e32 0, v9
	s_xor_b32 s56, exec_lo, s56
	s_cbranch_execz .LBB51_1114
; %bb.1113:                             ;   in Loop: Header=BB51_17 Depth=1
	s_wait_loadcnt_dscnt 0x0
	flat_load_i8 v0, v[2:3]
                                        ; implicit-def: $vgpr2_vgpr3
	s_wait_loadcnt_dscnt 0x0
	v_cvt_f32_i32_e32 v0, v0
.LBB51_1114:                            ;   in Loop: Header=BB51_17 Depth=1
	s_wait_xcnt 0x0
	s_and_not1_saveexec_b32 s56, s56
	s_cbranch_execz .LBB51_1116
; %bb.1115:                             ;   in Loop: Header=BB51_17 Depth=1
	s_wait_loadcnt_dscnt 0x0
	flat_load_u8 v0, v[2:3]
	s_wait_loadcnt_dscnt 0x0
	v_cvt_f32_ubyte0_e32 v0, v0
.LBB51_1116:                            ;   in Loop: Header=BB51_17 Depth=1
	s_wait_xcnt 0x0
	s_or_b32 exec_lo, exec_lo, s56
.LBB51_1117:                            ;   in Loop: Header=BB51_17 Depth=1
	s_delay_alu instid0(SALU_CYCLE_1)
	s_or_b32 exec_lo, exec_lo, s46
.LBB51_1118:                            ;   in Loop: Header=BB51_17 Depth=1
	s_delay_alu instid0(SALU_CYCLE_1) | instskip(NEXT) | instid1(SALU_CYCLE_1)
	s_or_b32 exec_lo, exec_lo, s43
	s_or_b32 s47, s47, exec_lo
.LBB51_1119:                            ;   in Loop: Header=BB51_17 Depth=1
	s_or_b32 exec_lo, exec_lo, s42
	s_mov_b32 s42, -1
	s_mov_b32 s56, 0
	s_mov_b32 s43, 0
	s_and_saveexec_b32 s46, s47
	s_cbranch_execz .LBB51_1125
; %bb.1120:                             ;   in Loop: Header=BB51_17 Depth=1
	s_add_co_i32 s42, s33, s1
	s_mov_b32 s47, 0
	s_wait_loadcnt_dscnt 0x0
	scratch_store_b32 off, v0, s42 offset:76
	s_wait_xcnt 0x0
	v_mul_lo_u32 v0, v18, v12
	v_and_b32_e32 v18, 0xff, v10
	s_mov_b32 s43, exec_lo
	s_delay_alu instid0(VALU_DEP_2) | instskip(NEXT) | instid1(VALU_DEP_2)
	v_add_nc_u64_e32 v[2:3], v[6:7], v[0:1]
                                        ; implicit-def: $vgpr0
	v_cmpx_lt_i16_e32 10, v18
	s_xor_b32 s43, exec_lo, s43
	s_cbranch_execnz .LBB51_2782
; %bb.1121:                             ;   in Loop: Header=BB51_17 Depth=1
	s_and_not1_saveexec_b32 s43, s43
	s_cbranch_execnz .LBB51_2841
.LBB51_1122:                            ;   in Loop: Header=BB51_17 Depth=1
	s_or_b32 exec_lo, exec_lo, s43
	s_mov_b32 s56, 0
	s_and_saveexec_b32 s43, s47
	s_cbranch_execz .LBB51_1124
.LBB51_1123:                            ;   in Loop: Header=BB51_17 Depth=1
	v_add_nc_u32_e32 v16, 0x200, v16
	s_mov_b32 s56, exec_lo
	s_wait_loadcnt_dscnt 0x0
	scratch_store_b32 off, v0, s42 offset:72
.LBB51_1124:                            ;   in Loop: Header=BB51_17 Depth=1
	s_wait_xcnt 0x0
	s_or_b32 exec_lo, exec_lo, s43
	s_delay_alu instid0(SALU_CYCLE_1)
	s_mov_b32 s43, exec_lo
	s_xor_b32 s42, exec_lo, -1
	s_and_b32 s56, s56, exec_lo
.LBB51_1125:                            ;   in Loop: Header=BB51_17 Depth=1
	s_or_b32 exec_lo, exec_lo, s46
	s_delay_alu instid0(SALU_CYCLE_1)
	s_or_not1_b32 s46, s56, exec_lo
.LBB51_1126:                            ;   in Loop: Header=BB51_17 Depth=1
	s_or_b32 exec_lo, exec_lo, s44
	s_and_saveexec_b32 s44, s46
	s_cbranch_execz .LBB51_7
; %bb.1127:                             ;   in Loop: Header=BB51_17 Depth=1
	s_mov_b32 s56, -1
	s_mov_b32 s57, -1
	s_mov_b32 s47, exec_lo
                                        ; implicit-def: $sgpr45
                                        ; implicit-def: $sgpr46
	v_cmpx_lt_i32_e64 v16, v8
	s_cbranch_execz .LBB51_1237
; %bb.1128:                             ;   in Loop: Header=BB51_17 Depth=1
	v_add_nc_u32_e32 v18, s3, v16
	s_mov_b32 s58, 0
	s_mov_b32 s45, exec_lo
	s_wait_loadcnt_dscnt 0x0
	s_delay_alu instid0(VALU_DEP_1) | instskip(NEXT) | instid1(VALU_DEP_1)
	v_mul_lo_u32 v0, v18, v11
	v_add_nc_u64_e32 v[2:3], v[4:5], v[0:1]
                                        ; implicit-def: $vgpr0
	v_cmpx_lt_i16_e32 10, v9
	s_xor_b32 s45, exec_lo, s45
	s_cbranch_execz .LBB51_1188
; %bb.1129:                             ;   in Loop: Header=BB51_17 Depth=1
	s_mov_b32 s57, 0
	s_mov_b32 s46, exec_lo
                                        ; implicit-def: $vgpr0
	v_cmpx_lt_i16_e32 25, v9
	s_xor_b32 s46, exec_lo, s46
	s_cbranch_execz .LBB51_1161
; %bb.1130:                             ;   in Loop: Header=BB51_17 Depth=1
	s_mov_b32 s58, exec_lo
                                        ; implicit-def: $vgpr0
	v_cmpx_lt_i16_e32 28, v9
	s_xor_b32 s58, exec_lo, s58
	s_cbranch_execz .LBB51_1146
; %bb.1131:                             ;   in Loop: Header=BB51_17 Depth=1
	s_mov_b32 s59, 0
	s_mov_b32 s57, exec_lo
                                        ; implicit-def: $vgpr0
	v_cmpx_lt_i16_e32 43, v9
	s_xor_b32 s57, exec_lo, s57
	s_cbranch_execz .LBB51_1141
; %bb.1132:                             ;   in Loop: Header=BB51_17 Depth=1
	s_mov_b32 s60, exec_lo
                                        ; implicit-def: $vgpr0
	v_cmpx_lt_i16_e32 45, v9
	s_xor_b32 s60, exec_lo, s60
	s_cbranch_execz .LBB51_1136
; %bb.1133:                             ;   in Loop: Header=BB51_17 Depth=1
	s_mov_b32 s61, exec_lo
                                        ; implicit-def: $vgpr0
	v_cmpx_eq_u16_e32 46, v9
	s_cbranch_execz .LBB51_1135
; %bb.1134:                             ;   in Loop: Header=BB51_17 Depth=1
	flat_load_b32 v0, v[2:3]
	s_mov_b32 s59, exec_lo
	s_wait_loadcnt_dscnt 0x0
	v_lshlrev_b32_e32 v0, 16, v0
.LBB51_1135:                            ;   in Loop: Header=BB51_17 Depth=1
	s_wait_xcnt 0x0
	s_or_b32 exec_lo, exec_lo, s61
	s_delay_alu instid0(SALU_CYCLE_1)
	s_and_b32 s59, s59, exec_lo
                                        ; implicit-def: $vgpr2_vgpr3
.LBB51_1136:                            ;   in Loop: Header=BB51_17 Depth=1
	s_and_not1_saveexec_b32 s60, s60
	s_cbranch_execz .LBB51_1140
; %bb.1137:                             ;   in Loop: Header=BB51_17 Depth=1
	s_mov_b32 s62, s59
	s_mov_b32 s61, exec_lo
                                        ; implicit-def: $vgpr0
	v_cmpx_eq_u16_e32 44, v9
	s_cbranch_execz .LBB51_1139
; %bb.1138:                             ;   in Loop: Header=BB51_17 Depth=1
	flat_load_u8 v0, v[2:3]
	s_or_b32 s62, s59, exec_lo
	s_wait_loadcnt_dscnt 0x0
	v_lshlrev_b32_e32 v2, 23, v0
	v_cmp_ne_u32_e32 vcc_lo, 0xff, v0
	s_delay_alu instid0(VALU_DEP_2) | instskip(SKIP_1) | instid1(VALU_DEP_2)
	v_cndmask_b32_e32 v2, 0x7f800001, v2, vcc_lo
	v_cmp_ne_u32_e32 vcc_lo, 0, v0
	v_cndmask_b32_e32 v0, 0x400000, v2, vcc_lo
.LBB51_1139:                            ;   in Loop: Header=BB51_17 Depth=1
	s_or_b32 exec_lo, exec_lo, s61
	s_delay_alu instid0(SALU_CYCLE_1) | instskip(SKIP_1) | instid1(SALU_CYCLE_1)
	s_and_not1_b32 s59, s59, exec_lo
	s_and_b32 s61, s62, exec_lo
	s_or_b32 s59, s59, s61
.LBB51_1140:                            ;   in Loop: Header=BB51_17 Depth=1
	s_or_b32 exec_lo, exec_lo, s60
	s_delay_alu instid0(SALU_CYCLE_1)
	s_and_b32 s59, s59, exec_lo
                                        ; implicit-def: $vgpr2_vgpr3
.LBB51_1141:                            ;   in Loop: Header=BB51_17 Depth=1
	s_and_not1_saveexec_b32 s57, s57
	s_cbranch_execz .LBB51_1145
; %bb.1142:                             ;   in Loop: Header=BB51_17 Depth=1
	s_mov_b32 s61, s59
	s_mov_b32 s60, exec_lo
                                        ; implicit-def: $vgpr0
	v_cmpx_eq_u16_e32 29, v9
	s_cbranch_execz .LBB51_1144
; %bb.1143:                             ;   in Loop: Header=BB51_17 Depth=1
	flat_load_b64 v[2:3], v[2:3]
	s_or_b32 s61, s59, exec_lo
	s_wait_loadcnt_dscnt 0x0
	v_clz_i32_u32_e32 v0, v3
	s_delay_alu instid0(VALU_DEP_1) | instskip(SKIP_1) | instid1(VALU_DEP_1)
	v_min_u32_e32 v0, 32, v0
	s_wait_xcnt 0x0
	v_lshlrev_b64_e32 v[2:3], v0, v[2:3]
	v_sub_nc_u32_e32 v0, 32, v0
	s_delay_alu instid0(VALU_DEP_2) | instskip(NEXT) | instid1(VALU_DEP_1)
	v_min_u32_e32 v2, 1, v2
	v_or_b32_e32 v2, v3, v2
	s_delay_alu instid0(VALU_DEP_1) | instskip(NEXT) | instid1(VALU_DEP_1)
	v_cvt_f32_u32_e32 v2, v2
	v_ldexp_f32 v0, v2, v0
.LBB51_1144:                            ;   in Loop: Header=BB51_17 Depth=1
	s_or_b32 exec_lo, exec_lo, s60
	s_delay_alu instid0(SALU_CYCLE_1) | instskip(SKIP_1) | instid1(SALU_CYCLE_1)
	s_and_not1_b32 s59, s59, exec_lo
	s_and_b32 s60, s61, exec_lo
	s_or_b32 s59, s59, s60
.LBB51_1145:                            ;   in Loop: Header=BB51_17 Depth=1
	s_or_b32 exec_lo, exec_lo, s57
	s_delay_alu instid0(SALU_CYCLE_1)
	s_and_b32 s57, s59, exec_lo
                                        ; implicit-def: $vgpr2_vgpr3
.LBB51_1146:                            ;   in Loop: Header=BB51_17 Depth=1
	s_and_not1_saveexec_b32 s58, s58
	s_cbranch_execz .LBB51_1160
; %bb.1147:                             ;   in Loop: Header=BB51_17 Depth=1
	s_mov_b32 s59, exec_lo
                                        ; implicit-def: $vgpr0
	v_cmpx_lt_i16_e32 26, v9
	s_xor_b32 s59, exec_lo, s59
	s_cbranch_execz .LBB51_1153
; %bb.1148:                             ;   in Loop: Header=BB51_17 Depth=1
	s_mov_b32 s60, exec_lo
                                        ; implicit-def: $vgpr0
	v_cmpx_lt_i16_e32 27, v9
	s_xor_b32 s60, exec_lo, s60
	s_cbranch_execz .LBB51_1150
; %bb.1149:                             ;   in Loop: Header=BB51_17 Depth=1
	flat_load_b32 v0, v[2:3]
                                        ; implicit-def: $vgpr2_vgpr3
	s_wait_loadcnt_dscnt 0x0
	v_cvt_f32_u32_e32 v0, v0
.LBB51_1150:                            ;   in Loop: Header=BB51_17 Depth=1
	s_wait_xcnt 0x0
	s_and_not1_saveexec_b32 s60, s60
	s_cbranch_execz .LBB51_1152
; %bb.1151:                             ;   in Loop: Header=BB51_17 Depth=1
	flat_load_u16 v0, v[2:3]
	s_wait_loadcnt_dscnt 0x0
	v_cvt_f32_u32_e32 v0, v0
.LBB51_1152:                            ;   in Loop: Header=BB51_17 Depth=1
	s_wait_xcnt 0x0
	s_or_b32 exec_lo, exec_lo, s60
                                        ; implicit-def: $vgpr2_vgpr3
.LBB51_1153:                            ;   in Loop: Header=BB51_17 Depth=1
	s_and_not1_saveexec_b32 s59, s59
	s_cbranch_execz .LBB51_1159
; %bb.1154:                             ;   in Loop: Header=BB51_17 Depth=1
	flat_load_u8 v2, v[2:3]
	s_mov_b32 s60, 0
	s_mov_b32 s61, exec_lo
	s_wait_loadcnt_dscnt 0x0
	v_cmpx_lt_i16_e32 0x7f, v2
	s_xor_b32 s61, exec_lo, s61
	s_cbranch_execnz .LBB51_3242
; %bb.1155:                             ;   in Loop: Header=BB51_17 Depth=1
	s_or_saveexec_b32 s61, s61
	v_mov_b32_e32 v0, 0x7f800001
	s_xor_b32 exec_lo, exec_lo, s61
	s_cbranch_execnz .LBB51_3245
.LBB51_1156:                            ;   in Loop: Header=BB51_17 Depth=1
	s_or_b32 exec_lo, exec_lo, s61
	s_and_saveexec_b32 s61, s60
	s_cbranch_execz .LBB51_1158
.LBB51_1157:                            ;   in Loop: Header=BB51_17 Depth=1
	v_and_b32_e32 v0, 0xffff, v2
	s_delay_alu instid0(VALU_DEP_1) | instskip(SKIP_1) | instid1(VALU_DEP_2)
	v_and_b32_e32 v3, 7, v0
	v_bfe_u32 v21, v0, 3, 4
	v_clz_i32_u32_e32 v19, v3
	s_delay_alu instid0(VALU_DEP_2) | instskip(NEXT) | instid1(VALU_DEP_2)
	v_cmp_eq_u32_e32 vcc_lo, 0, v21
	v_min_u32_e32 v19, 32, v19
	s_delay_alu instid0(VALU_DEP_1) | instskip(NEXT) | instid1(VALU_DEP_1)
	v_subrev_nc_u32_e32 v20, 28, v19
	v_dual_lshlrev_b32 v0, v20, v0 :: v_dual_sub_nc_u32 v19, 29, v19
	s_delay_alu instid0(VALU_DEP_1) | instskip(NEXT) | instid1(VALU_DEP_1)
	v_dual_lshlrev_b32 v2, 24, v2 :: v_dual_bitop2_b32 v0, 7, v0 bitop3:0x40
	v_dual_cndmask_b32 v19, v21, v19 :: v_dual_cndmask_b32 v0, v3, v0
	s_delay_alu instid0(VALU_DEP_2) | instskip(NEXT) | instid1(VALU_DEP_2)
	v_and_b32_e32 v2, 0x80000000, v2
	v_lshl_add_u32 v3, v19, 23, 0x3b800000
	s_delay_alu instid0(VALU_DEP_3) | instskip(NEXT) | instid1(VALU_DEP_1)
	v_lshlrev_b32_e32 v0, 20, v0
	v_or3_b32 v0, v2, v3, v0
.LBB51_1158:                            ;   in Loop: Header=BB51_17 Depth=1
	s_or_b32 exec_lo, exec_lo, s61
.LBB51_1159:                            ;   in Loop: Header=BB51_17 Depth=1
	s_delay_alu instid0(SALU_CYCLE_1) | instskip(NEXT) | instid1(SALU_CYCLE_1)
	s_or_b32 exec_lo, exec_lo, s59
	s_or_b32 s57, s57, exec_lo
.LBB51_1160:                            ;   in Loop: Header=BB51_17 Depth=1
	s_or_b32 exec_lo, exec_lo, s58
	s_delay_alu instid0(SALU_CYCLE_1)
	s_and_b32 s57, s57, exec_lo
                                        ; implicit-def: $vgpr2_vgpr3
.LBB51_1161:                            ;   in Loop: Header=BB51_17 Depth=1
	s_and_not1_saveexec_b32 s46, s46
	s_cbranch_execz .LBB51_1187
; %bb.1162:                             ;   in Loop: Header=BB51_17 Depth=1
	s_mov_b32 s59, s57
	s_mov_b32 s58, exec_lo
                                        ; implicit-def: $vgpr0
	v_cmpx_lt_i16_e32 22, v9
	s_xor_b32 s58, exec_lo, s58
	s_cbranch_execz .LBB51_1176
; %bb.1163:                             ;   in Loop: Header=BB51_17 Depth=1
	s_mov_b32 s59, exec_lo
                                        ; implicit-def: $vgpr0
	v_cmpx_lt_i16_e32 23, v9
	s_xor_b32 s59, exec_lo, s59
	s_cbranch_execz .LBB51_1173
; %bb.1164:                             ;   in Loop: Header=BB51_17 Depth=1
	;; [unrolled: 6-line block ×3, first 2 shown]
	flat_load_u8 v2, v[2:3]
	s_mov_b32 s61, 0
	s_mov_b32 s62, exec_lo
	s_wait_loadcnt_dscnt 0x0
	v_cmpx_lt_i16_e32 0x7f, v2
	s_xor_b32 s62, exec_lo, s62
	s_cbranch_execnz .LBB51_3354
; %bb.1166:                             ;   in Loop: Header=BB51_17 Depth=1
	s_or_saveexec_b32 s62, s62
	v_mov_b32_e32 v0, 0x7f800001
	s_xor_b32 exec_lo, exec_lo, s62
	s_cbranch_execnz .LBB51_3357
.LBB51_1167:                            ;   in Loop: Header=BB51_17 Depth=1
	s_or_b32 exec_lo, exec_lo, s62
	s_and_saveexec_b32 s62, s61
	s_cbranch_execz .LBB51_1169
.LBB51_1168:                            ;   in Loop: Header=BB51_17 Depth=1
	v_and_b32_e32 v0, 0xffff, v2
	s_delay_alu instid0(VALU_DEP_1) | instskip(SKIP_1) | instid1(VALU_DEP_2)
	v_and_b32_e32 v3, 3, v0
	v_bfe_u32 v21, v0, 2, 5
	v_clz_i32_u32_e32 v19, v3
	s_delay_alu instid0(VALU_DEP_2) | instskip(NEXT) | instid1(VALU_DEP_2)
	v_cmp_eq_u32_e32 vcc_lo, 0, v21
	v_min_u32_e32 v19, 32, v19
	s_delay_alu instid0(VALU_DEP_1) | instskip(NEXT) | instid1(VALU_DEP_1)
	v_subrev_nc_u32_e32 v20, 29, v19
	v_dual_lshlrev_b32 v0, v20, v0 :: v_dual_sub_nc_u32 v19, 30, v19
	s_delay_alu instid0(VALU_DEP_1) | instskip(NEXT) | instid1(VALU_DEP_1)
	v_dual_lshlrev_b32 v2, 24, v2 :: v_dual_bitop2_b32 v0, 3, v0 bitop3:0x40
	v_dual_cndmask_b32 v19, v21, v19 :: v_dual_cndmask_b32 v0, v3, v0
	s_delay_alu instid0(VALU_DEP_2) | instskip(NEXT) | instid1(VALU_DEP_2)
	v_and_b32_e32 v2, 0x80000000, v2
	v_lshl_add_u32 v3, v19, 23, 0x37800000
	s_delay_alu instid0(VALU_DEP_3) | instskip(NEXT) | instid1(VALU_DEP_1)
	v_lshlrev_b32_e32 v0, 21, v0
	v_or3_b32 v0, v2, v3, v0
.LBB51_1169:                            ;   in Loop: Header=BB51_17 Depth=1
	s_or_b32 exec_lo, exec_lo, s62
                                        ; implicit-def: $vgpr2_vgpr3
.LBB51_1170:                            ;   in Loop: Header=BB51_17 Depth=1
	s_and_not1_saveexec_b32 s60, s60
	s_cbranch_execz .LBB51_1172
; %bb.1171:                             ;   in Loop: Header=BB51_17 Depth=1
	flat_load_u8 v0, v[2:3]
	s_wait_loadcnt_dscnt 0x0
	v_lshlrev_b32_e32 v0, 24, v0
	s_wait_xcnt 0x0
	s_delay_alu instid0(VALU_DEP_1) | instskip(NEXT) | instid1(VALU_DEP_1)
	v_and_b32_e32 v2, 0x7f000000, v0
	v_clz_i32_u32_e32 v3, v2
	v_add_nc_u32_e32 v20, 0x1000000, v2
	v_cmp_ne_u32_e32 vcc_lo, 0, v2
	s_delay_alu instid0(VALU_DEP_3) | instskip(NEXT) | instid1(VALU_DEP_1)
	v_min_u32_e32 v3, 32, v3
	v_sub_nc_u32_e64 v3, v3, 4 clamp
	s_delay_alu instid0(VALU_DEP_1) | instskip(NEXT) | instid1(VALU_DEP_1)
	v_dual_lshlrev_b32 v19, v3, v2 :: v_dual_lshlrev_b32 v3, 23, v3
	v_lshrrev_b32_e32 v19, 4, v19
	s_delay_alu instid0(VALU_DEP_1) | instskip(NEXT) | instid1(VALU_DEP_1)
	v_dual_sub_nc_u32 v3, v19, v3 :: v_dual_ashrrev_i32 v19, 8, v20
	v_add_nc_u32_e32 v3, 0x3c000000, v3
	s_delay_alu instid0(VALU_DEP_1) | instskip(NEXT) | instid1(VALU_DEP_1)
	v_and_or_b32 v3, 0x7f800000, v19, v3
	v_cndmask_b32_e32 v2, 0, v3, vcc_lo
	s_delay_alu instid0(VALU_DEP_1)
	v_and_or_b32 v0, 0x80000000, v0, v2
.LBB51_1172:                            ;   in Loop: Header=BB51_17 Depth=1
	s_or_b32 exec_lo, exec_lo, s60
                                        ; implicit-def: $vgpr2_vgpr3
.LBB51_1173:                            ;   in Loop: Header=BB51_17 Depth=1
	s_and_not1_saveexec_b32 s59, s59
	s_cbranch_execz .LBB51_1175
; %bb.1174:                             ;   in Loop: Header=BB51_17 Depth=1
	flat_load_u8 v0, v[2:3]
	s_wait_loadcnt_dscnt 0x0
	v_lshlrev_b32_e32 v2, 25, v0
	v_lshlrev_b16 v0, 8, v0
	s_delay_alu instid0(VALU_DEP_1) | instskip(SKIP_1) | instid1(VALU_DEP_2)
	v_and_or_b32 v19, 0x7f00, v0, 0.5
	v_bfe_i32 v0, v0, 0, 16
	v_dual_add_f32 v19, -0.5, v19 :: v_dual_lshrrev_b32 v3, 4, v2
	v_cmp_gt_u32_e32 vcc_lo, 0x8000000, v2
	s_delay_alu instid0(VALU_DEP_2) | instskip(NEXT) | instid1(VALU_DEP_1)
	v_or_b32_e32 v3, 0x70000000, v3
	v_mul_f32_e32 v3, 0x7800000, v3
	s_delay_alu instid0(VALU_DEP_1) | instskip(NEXT) | instid1(VALU_DEP_1)
	v_cndmask_b32_e32 v2, v3, v19, vcc_lo
	v_and_or_b32 v0, 0x80000000, v0, v2
.LBB51_1175:                            ;   in Loop: Header=BB51_17 Depth=1
	s_or_b32 exec_lo, exec_lo, s59
	s_delay_alu instid0(SALU_CYCLE_1)
	s_or_b32 s59, s57, exec_lo
                                        ; implicit-def: $vgpr2_vgpr3
.LBB51_1176:                            ;   in Loop: Header=BB51_17 Depth=1
	s_and_not1_saveexec_b32 s58, s58
	s_cbranch_execz .LBB51_1186
; %bb.1177:                             ;   in Loop: Header=BB51_17 Depth=1
	s_mov_b32 s60, s59
	s_mov_b32 s61, exec_lo
                                        ; implicit-def: $vgpr0
	v_cmpx_lt_i16_e32 14, v9
	s_xor_b32 s61, exec_lo, s61
	s_cbranch_execz .LBB51_1181
; %bb.1178:                             ;   in Loop: Header=BB51_17 Depth=1
	s_mov_b32 s60, s59
	s_mov_b32 s62, exec_lo
                                        ; implicit-def: $vgpr0
	v_cmpx_eq_u16_e32 15, v9
	s_cbranch_execz .LBB51_1180
; %bb.1179:                             ;   in Loop: Header=BB51_17 Depth=1
	flat_load_u16 v0, v[2:3]
	s_or_b32 s60, s59, exec_lo
	s_wait_loadcnt_dscnt 0x0
	v_lshlrev_b32_e32 v0, 16, v0
.LBB51_1180:                            ;   in Loop: Header=BB51_17 Depth=1
	s_wait_xcnt 0x0
	s_or_b32 exec_lo, exec_lo, s62
	s_delay_alu instid0(SALU_CYCLE_1) | instskip(SKIP_1) | instid1(SALU_CYCLE_1)
	s_and_not1_b32 s62, s59, exec_lo
	s_and_b32 s60, s60, exec_lo
                                        ; implicit-def: $vgpr2_vgpr3
	s_or_b32 s60, s62, s60
.LBB51_1181:                            ;   in Loop: Header=BB51_17 Depth=1
	s_and_not1_saveexec_b32 s61, s61
	s_cbranch_execz .LBB51_1185
; %bb.1182:                             ;   in Loop: Header=BB51_17 Depth=1
	s_mov_b32 s62, s60
	s_mov_b32 s63, exec_lo
                                        ; implicit-def: $vgpr0
	v_cmpx_eq_u16_e32 11, v9
	s_cbranch_execz .LBB51_1184
; %bb.1183:                             ;   in Loop: Header=BB51_17 Depth=1
	flat_load_u8 v0, v[2:3]
	s_or_b32 s62, s60, exec_lo
	s_wait_loadcnt_dscnt 0x0
	v_cmp_ne_u16_e32 vcc_lo, 0, v0
	v_cndmask_b32_e64 v0, 0, 1.0, vcc_lo
.LBB51_1184:                            ;   in Loop: Header=BB51_17 Depth=1
	s_wait_xcnt 0x0
	s_or_b32 exec_lo, exec_lo, s63
	s_delay_alu instid0(SALU_CYCLE_1) | instskip(SKIP_1) | instid1(SALU_CYCLE_1)
	s_and_not1_b32 s60, s60, exec_lo
	s_and_b32 s62, s62, exec_lo
	s_or_b32 s60, s60, s62
.LBB51_1185:                            ;   in Loop: Header=BB51_17 Depth=1
	s_or_b32 exec_lo, exec_lo, s61
	s_delay_alu instid0(SALU_CYCLE_1) | instskip(SKIP_1) | instid1(SALU_CYCLE_1)
	s_and_not1_b32 s59, s59, exec_lo
	s_and_b32 s60, s60, exec_lo
	s_or_b32 s59, s59, s60
.LBB51_1186:                            ;   in Loop: Header=BB51_17 Depth=1
	s_or_b32 exec_lo, exec_lo, s58
	s_delay_alu instid0(SALU_CYCLE_1) | instskip(SKIP_1) | instid1(SALU_CYCLE_1)
	s_and_not1_b32 s57, s57, exec_lo
	s_and_b32 s58, s59, exec_lo
	s_or_b32 s57, s57, s58
.LBB51_1187:                            ;   in Loop: Header=BB51_17 Depth=1
	s_or_b32 exec_lo, exec_lo, s46
	s_delay_alu instid0(SALU_CYCLE_1)
	s_and_b32 s58, s57, exec_lo
                                        ; implicit-def: $vgpr2_vgpr3
.LBB51_1188:                            ;   in Loop: Header=BB51_17 Depth=1
	s_and_not1_saveexec_b32 s45, s45
	s_cbranch_execz .LBB51_1230
; %bb.1189:                             ;   in Loop: Header=BB51_17 Depth=1
	s_mov_b32 s46, exec_lo
                                        ; implicit-def: $vgpr0
	v_cmpx_lt_i16_e32 4, v9
	s_xor_b32 s46, exec_lo, s46
	s_cbranch_execz .LBB51_1211
; %bb.1190:                             ;   in Loop: Header=BB51_17 Depth=1
	s_mov_b32 s57, exec_lo
                                        ; implicit-def: $vgpr0
	v_cmpx_lt_i16_e32 7, v9
	s_xor_b32 s57, exec_lo, s57
	;; [unrolled: 6-line block ×4, first 2 shown]
	s_cbranch_execz .LBB51_1194
; %bb.1193:                             ;   in Loop: Header=BB51_17 Depth=1
	flat_load_b64 v[2:3], v[2:3]
	s_wait_loadcnt_dscnt 0x0
	v_cvt_f32_f64_e32 v0, v[2:3]
                                        ; implicit-def: $vgpr2_vgpr3
.LBB51_1194:                            ;   in Loop: Header=BB51_17 Depth=1
	s_wait_xcnt 0x0
	s_and_not1_saveexec_b32 s60, s60
	s_cbranch_execz .LBB51_1196
; %bb.1195:                             ;   in Loop: Header=BB51_17 Depth=1
	flat_load_b32 v0, v[2:3]
.LBB51_1196:                            ;   in Loop: Header=BB51_17 Depth=1
	s_wait_xcnt 0x0
	s_or_b32 exec_lo, exec_lo, s60
                                        ; implicit-def: $vgpr2_vgpr3
.LBB51_1197:                            ;   in Loop: Header=BB51_17 Depth=1
	s_and_not1_saveexec_b32 s59, s59
	s_cbranch_execz .LBB51_1199
; %bb.1198:                             ;   in Loop: Header=BB51_17 Depth=1
	s_wait_loadcnt_dscnt 0x0
	flat_load_b32 v0, v[2:3]
	s_wait_loadcnt_dscnt 0x0
	v_cvt_f32_f16_e32 v0, v0
.LBB51_1199:                            ;   in Loop: Header=BB51_17 Depth=1
	s_wait_xcnt 0x0
	s_or_b32 exec_lo, exec_lo, s59
                                        ; implicit-def: $vgpr2_vgpr3
.LBB51_1200:                            ;   in Loop: Header=BB51_17 Depth=1
	s_and_not1_saveexec_b32 s57, s57
	s_cbranch_execz .LBB51_1210
; %bb.1201:                             ;   in Loop: Header=BB51_17 Depth=1
	s_mov_b32 s59, exec_lo
                                        ; implicit-def: $vgpr0
	v_cmpx_lt_i16_e32 5, v9
	s_xor_b32 s59, exec_lo, s59
	s_cbranch_execz .LBB51_1207
; %bb.1202:                             ;   in Loop: Header=BB51_17 Depth=1
	s_mov_b32 s60, exec_lo
                                        ; implicit-def: $vgpr0
	v_cmpx_lt_i16_e32 6, v9
	s_xor_b32 s60, exec_lo, s60
	s_cbranch_execz .LBB51_1204
; %bb.1203:                             ;   in Loop: Header=BB51_17 Depth=1
	flat_load_b64 v[2:3], v[2:3]
	s_wait_loadcnt_dscnt 0x0
	v_cvt_f32_f64_e32 v0, v[2:3]
                                        ; implicit-def: $vgpr2_vgpr3
.LBB51_1204:                            ;   in Loop: Header=BB51_17 Depth=1
	s_wait_xcnt 0x0
	s_and_not1_saveexec_b32 s60, s60
	s_cbranch_execz .LBB51_1206
; %bb.1205:                             ;   in Loop: Header=BB51_17 Depth=1
	s_wait_loadcnt_dscnt 0x0
	flat_load_b32 v0, v[2:3]
.LBB51_1206:                            ;   in Loop: Header=BB51_17 Depth=1
	s_wait_xcnt 0x0
	s_or_b32 exec_lo, exec_lo, s60
                                        ; implicit-def: $vgpr2_vgpr3
.LBB51_1207:                            ;   in Loop: Header=BB51_17 Depth=1
	s_and_not1_saveexec_b32 s59, s59
	s_cbranch_execz .LBB51_1209
; %bb.1208:                             ;   in Loop: Header=BB51_17 Depth=1
	s_wait_loadcnt_dscnt 0x0
	flat_load_u16 v0, v[2:3]
	s_wait_loadcnt_dscnt 0x0
	v_cvt_f32_f16_e32 v0, v0
.LBB51_1209:                            ;   in Loop: Header=BB51_17 Depth=1
	s_wait_xcnt 0x0
	s_or_b32 exec_lo, exec_lo, s59
.LBB51_1210:                            ;   in Loop: Header=BB51_17 Depth=1
	s_delay_alu instid0(SALU_CYCLE_1)
	s_or_b32 exec_lo, exec_lo, s57
                                        ; implicit-def: $vgpr2_vgpr3
.LBB51_1211:                            ;   in Loop: Header=BB51_17 Depth=1
	s_and_not1_saveexec_b32 s46, s46
	s_cbranch_execz .LBB51_1229
; %bb.1212:                             ;   in Loop: Header=BB51_17 Depth=1
	s_mov_b32 s57, exec_lo
                                        ; implicit-def: $vgpr0
	v_cmpx_lt_i16_e32 1, v9
	s_xor_b32 s57, exec_lo, s57
	s_cbranch_execz .LBB51_1222
; %bb.1213:                             ;   in Loop: Header=BB51_17 Depth=1
	s_mov_b32 s59, exec_lo
                                        ; implicit-def: $vgpr0
	v_cmpx_lt_i16_e32 2, v9
	s_xor_b32 s59, exec_lo, s59
	;; [unrolled: 6-line block ×3, first 2 shown]
	s_cbranch_execz .LBB51_1216
; %bb.1215:                             ;   in Loop: Header=BB51_17 Depth=1
	flat_load_b64 v[2:3], v[2:3]
	s_wait_loadcnt_dscnt 0x0
	v_xor_b32_e32 v0, v2, v3
	v_cls_i32_e32 v19, v3
	s_delay_alu instid0(VALU_DEP_2) | instskip(NEXT) | instid1(VALU_DEP_1)
	v_ashrrev_i32_e32 v0, 31, v0
	v_add_nc_u32_e32 v0, 32, v0
	s_delay_alu instid0(VALU_DEP_1) | instskip(SKIP_1) | instid1(VALU_DEP_1)
	v_add_min_u32_e64 v0, v19, -1, v0
	s_wait_xcnt 0x0
	v_lshlrev_b64_e32 v[2:3], v0, v[2:3]
	v_sub_nc_u32_e32 v0, 32, v0
	s_delay_alu instid0(VALU_DEP_2) | instskip(NEXT) | instid1(VALU_DEP_1)
	v_min_u32_e32 v2, 1, v2
	v_or_b32_e32 v2, v3, v2
	s_delay_alu instid0(VALU_DEP_1) | instskip(NEXT) | instid1(VALU_DEP_1)
	v_cvt_f32_i32_e32 v2, v2
	v_ldexp_f32 v0, v2, v0
                                        ; implicit-def: $vgpr2_vgpr3
.LBB51_1216:                            ;   in Loop: Header=BB51_17 Depth=1
	s_and_not1_saveexec_b32 s60, s60
	s_cbranch_execz .LBB51_1218
; %bb.1217:                             ;   in Loop: Header=BB51_17 Depth=1
	s_wait_loadcnt_dscnt 0x0
	flat_load_b32 v0, v[2:3]
	s_wait_loadcnt_dscnt 0x0
	v_cvt_f32_i32_e32 v0, v0
.LBB51_1218:                            ;   in Loop: Header=BB51_17 Depth=1
	s_wait_xcnt 0x0
	s_or_b32 exec_lo, exec_lo, s60
                                        ; implicit-def: $vgpr2_vgpr3
.LBB51_1219:                            ;   in Loop: Header=BB51_17 Depth=1
	s_and_not1_saveexec_b32 s59, s59
	s_cbranch_execz .LBB51_1221
; %bb.1220:                             ;   in Loop: Header=BB51_17 Depth=1
	s_wait_loadcnt_dscnt 0x0
	flat_load_i16 v0, v[2:3]
	s_wait_loadcnt_dscnt 0x0
	v_cvt_f32_i32_e32 v0, v0
.LBB51_1221:                            ;   in Loop: Header=BB51_17 Depth=1
	s_wait_xcnt 0x0
	s_or_b32 exec_lo, exec_lo, s59
                                        ; implicit-def: $vgpr2_vgpr3
.LBB51_1222:                            ;   in Loop: Header=BB51_17 Depth=1
	s_and_not1_saveexec_b32 s57, s57
	s_cbranch_execz .LBB51_1228
; %bb.1223:                             ;   in Loop: Header=BB51_17 Depth=1
	s_mov_b32 s59, exec_lo
                                        ; implicit-def: $vgpr0
	v_cmpx_lt_i16_e32 0, v9
	s_xor_b32 s59, exec_lo, s59
	s_cbranch_execz .LBB51_1225
; %bb.1224:                             ;   in Loop: Header=BB51_17 Depth=1
	s_wait_loadcnt_dscnt 0x0
	flat_load_i8 v0, v[2:3]
                                        ; implicit-def: $vgpr2_vgpr3
	s_wait_loadcnt_dscnt 0x0
	v_cvt_f32_i32_e32 v0, v0
.LBB51_1225:                            ;   in Loop: Header=BB51_17 Depth=1
	s_wait_xcnt 0x0
	s_and_not1_saveexec_b32 s59, s59
	s_cbranch_execz .LBB51_1227
; %bb.1226:                             ;   in Loop: Header=BB51_17 Depth=1
	s_wait_loadcnt_dscnt 0x0
	flat_load_u8 v0, v[2:3]
	s_wait_loadcnt_dscnt 0x0
	v_cvt_f32_ubyte0_e32 v0, v0
.LBB51_1227:                            ;   in Loop: Header=BB51_17 Depth=1
	s_wait_xcnt 0x0
	s_or_b32 exec_lo, exec_lo, s59
.LBB51_1228:                            ;   in Loop: Header=BB51_17 Depth=1
	s_delay_alu instid0(SALU_CYCLE_1)
	s_or_b32 exec_lo, exec_lo, s57
.LBB51_1229:                            ;   in Loop: Header=BB51_17 Depth=1
	s_delay_alu instid0(SALU_CYCLE_1) | instskip(NEXT) | instid1(SALU_CYCLE_1)
	s_or_b32 exec_lo, exec_lo, s46
	s_or_b32 s58, s58, exec_lo
.LBB51_1230:                            ;   in Loop: Header=BB51_17 Depth=1
	s_or_b32 exec_lo, exec_lo, s45
	s_mov_b32 s45, -1
	s_mov_b32 s59, 0
	s_mov_b32 s46, 0
	s_and_saveexec_b32 s57, s58
	s_cbranch_execz .LBB51_1236
; %bb.1231:                             ;   in Loop: Header=BB51_17 Depth=1
	s_add_co_i32 s45, s33, s1
	s_mov_b32 s58, 0
	s_wait_loadcnt_dscnt 0x0
	scratch_store_b32 off, v0, s45 offset:84
	s_wait_xcnt 0x0
	v_mul_lo_u32 v0, v18, v12
	v_and_b32_e32 v18, 0xff, v10
	s_mov_b32 s46, exec_lo
	s_delay_alu instid0(VALU_DEP_2) | instskip(NEXT) | instid1(VALU_DEP_2)
	v_add_nc_u64_e32 v[2:3], v[6:7], v[0:1]
                                        ; implicit-def: $vgpr0
	v_cmpx_lt_i16_e32 10, v18
	s_xor_b32 s46, exec_lo, s46
	s_cbranch_execnz .LBB51_2898
; %bb.1232:                             ;   in Loop: Header=BB51_17 Depth=1
	s_and_not1_saveexec_b32 s46, s46
	s_cbranch_execnz .LBB51_2957
.LBB51_1233:                            ;   in Loop: Header=BB51_17 Depth=1
	s_or_b32 exec_lo, exec_lo, s46
	s_mov_b32 s59, 0
	s_and_saveexec_b32 s46, s58
	s_cbranch_execz .LBB51_1235
.LBB51_1234:                            ;   in Loop: Header=BB51_17 Depth=1
	v_add_nc_u32_e32 v16, 0x200, v16
	s_mov_b32 s59, exec_lo
	s_wait_loadcnt_dscnt 0x0
	scratch_store_b32 off, v0, s45 offset:80
.LBB51_1235:                            ;   in Loop: Header=BB51_17 Depth=1
	s_wait_xcnt 0x0
	s_or_b32 exec_lo, exec_lo, s46
	s_delay_alu instid0(SALU_CYCLE_1)
	s_mov_b32 s46, exec_lo
	s_xor_b32 s45, exec_lo, -1
	s_and_b32 s59, s59, exec_lo
.LBB51_1236:                            ;   in Loop: Header=BB51_17 Depth=1
	s_or_b32 exec_lo, exec_lo, s57
	s_delay_alu instid0(SALU_CYCLE_1)
	s_or_not1_b32 s57, s59, exec_lo
.LBB51_1237:                            ;   in Loop: Header=BB51_17 Depth=1
	s_or_b32 exec_lo, exec_lo, s47
	s_and_saveexec_b32 s47, s57
	s_cbranch_execz .LBB51_6
; %bb.1238:                             ;   in Loop: Header=BB51_17 Depth=1
	s_mov_b32 s59, -1
	s_mov_b32 s60, -1
	s_mov_b32 s58, exec_lo
                                        ; implicit-def: $sgpr56
                                        ; implicit-def: $sgpr57
	v_cmpx_lt_i32_e64 v16, v8
	s_cbranch_execz .LBB51_1348
; %bb.1239:                             ;   in Loop: Header=BB51_17 Depth=1
	v_add_nc_u32_e32 v18, s3, v16
	s_mov_b32 s61, 0
	s_mov_b32 s56, exec_lo
	s_wait_loadcnt_dscnt 0x0
	s_delay_alu instid0(VALU_DEP_1) | instskip(NEXT) | instid1(VALU_DEP_1)
	v_mul_lo_u32 v0, v18, v11
	v_add_nc_u64_e32 v[2:3], v[4:5], v[0:1]
                                        ; implicit-def: $vgpr0
	v_cmpx_lt_i16_e32 10, v9
	s_xor_b32 s56, exec_lo, s56
	s_cbranch_execz .LBB51_1299
; %bb.1240:                             ;   in Loop: Header=BB51_17 Depth=1
	s_mov_b32 s60, 0
	s_mov_b32 s57, exec_lo
                                        ; implicit-def: $vgpr0
	v_cmpx_lt_i16_e32 25, v9
	s_xor_b32 s57, exec_lo, s57
	s_cbranch_execz .LBB51_1272
; %bb.1241:                             ;   in Loop: Header=BB51_17 Depth=1
	s_mov_b32 s61, exec_lo
                                        ; implicit-def: $vgpr0
	v_cmpx_lt_i16_e32 28, v9
	s_xor_b32 s61, exec_lo, s61
	s_cbranch_execz .LBB51_1257
; %bb.1242:                             ;   in Loop: Header=BB51_17 Depth=1
	s_mov_b32 s62, 0
	s_mov_b32 s60, exec_lo
                                        ; implicit-def: $vgpr0
	v_cmpx_lt_i16_e32 43, v9
	s_xor_b32 s60, exec_lo, s60
	s_cbranch_execz .LBB51_1252
; %bb.1243:                             ;   in Loop: Header=BB51_17 Depth=1
	s_mov_b32 s63, exec_lo
                                        ; implicit-def: $vgpr0
	v_cmpx_lt_i16_e32 45, v9
	s_xor_b32 s63, exec_lo, s63
	s_cbranch_execz .LBB51_1247
; %bb.1244:                             ;   in Loop: Header=BB51_17 Depth=1
	s_mov_b32 s72, exec_lo
                                        ; implicit-def: $vgpr0
	v_cmpx_eq_u16_e32 46, v9
	s_cbranch_execz .LBB51_1246
; %bb.1245:                             ;   in Loop: Header=BB51_17 Depth=1
	flat_load_b32 v0, v[2:3]
	s_mov_b32 s62, exec_lo
	s_wait_loadcnt_dscnt 0x0
	v_lshlrev_b32_e32 v0, 16, v0
.LBB51_1246:                            ;   in Loop: Header=BB51_17 Depth=1
	s_wait_xcnt 0x0
	s_or_b32 exec_lo, exec_lo, s72
	s_delay_alu instid0(SALU_CYCLE_1)
	s_and_b32 s62, s62, exec_lo
                                        ; implicit-def: $vgpr2_vgpr3
.LBB51_1247:                            ;   in Loop: Header=BB51_17 Depth=1
	s_and_not1_saveexec_b32 s63, s63
	s_cbranch_execz .LBB51_1251
; %bb.1248:                             ;   in Loop: Header=BB51_17 Depth=1
	s_mov_b32 s73, s62
	s_mov_b32 s72, exec_lo
                                        ; implicit-def: $vgpr0
	v_cmpx_eq_u16_e32 44, v9
	s_cbranch_execz .LBB51_1250
; %bb.1249:                             ;   in Loop: Header=BB51_17 Depth=1
	flat_load_u8 v0, v[2:3]
	s_or_b32 s73, s62, exec_lo
	s_wait_loadcnt_dscnt 0x0
	v_lshlrev_b32_e32 v2, 23, v0
	v_cmp_ne_u32_e32 vcc_lo, 0xff, v0
	s_delay_alu instid0(VALU_DEP_2) | instskip(SKIP_1) | instid1(VALU_DEP_2)
	v_cndmask_b32_e32 v2, 0x7f800001, v2, vcc_lo
	v_cmp_ne_u32_e32 vcc_lo, 0, v0
	v_cndmask_b32_e32 v0, 0x400000, v2, vcc_lo
.LBB51_1250:                            ;   in Loop: Header=BB51_17 Depth=1
	s_or_b32 exec_lo, exec_lo, s72
	s_delay_alu instid0(SALU_CYCLE_1) | instskip(SKIP_1) | instid1(SALU_CYCLE_1)
	s_and_not1_b32 s62, s62, exec_lo
	s_and_b32 s72, s73, exec_lo
	s_or_b32 s62, s62, s72
.LBB51_1251:                            ;   in Loop: Header=BB51_17 Depth=1
	s_or_b32 exec_lo, exec_lo, s63
	s_delay_alu instid0(SALU_CYCLE_1)
	s_and_b32 s62, s62, exec_lo
                                        ; implicit-def: $vgpr2_vgpr3
.LBB51_1252:                            ;   in Loop: Header=BB51_17 Depth=1
	s_and_not1_saveexec_b32 s60, s60
	s_cbranch_execz .LBB51_1256
; %bb.1253:                             ;   in Loop: Header=BB51_17 Depth=1
	s_mov_b32 s72, s62
	s_mov_b32 s63, exec_lo
                                        ; implicit-def: $vgpr0
	v_cmpx_eq_u16_e32 29, v9
	s_cbranch_execz .LBB51_1255
; %bb.1254:                             ;   in Loop: Header=BB51_17 Depth=1
	flat_load_b64 v[2:3], v[2:3]
	s_or_b32 s72, s62, exec_lo
	s_wait_loadcnt_dscnt 0x0
	v_clz_i32_u32_e32 v0, v3
	s_delay_alu instid0(VALU_DEP_1) | instskip(SKIP_1) | instid1(VALU_DEP_1)
	v_min_u32_e32 v0, 32, v0
	s_wait_xcnt 0x0
	v_lshlrev_b64_e32 v[2:3], v0, v[2:3]
	v_sub_nc_u32_e32 v0, 32, v0
	s_delay_alu instid0(VALU_DEP_2) | instskip(NEXT) | instid1(VALU_DEP_1)
	v_min_u32_e32 v2, 1, v2
	v_or_b32_e32 v2, v3, v2
	s_delay_alu instid0(VALU_DEP_1) | instskip(NEXT) | instid1(VALU_DEP_1)
	v_cvt_f32_u32_e32 v2, v2
	v_ldexp_f32 v0, v2, v0
.LBB51_1255:                            ;   in Loop: Header=BB51_17 Depth=1
	s_or_b32 exec_lo, exec_lo, s63
	s_delay_alu instid0(SALU_CYCLE_1) | instskip(SKIP_1) | instid1(SALU_CYCLE_1)
	s_and_not1_b32 s62, s62, exec_lo
	s_and_b32 s63, s72, exec_lo
	s_or_b32 s62, s62, s63
.LBB51_1256:                            ;   in Loop: Header=BB51_17 Depth=1
	s_or_b32 exec_lo, exec_lo, s60
	s_delay_alu instid0(SALU_CYCLE_1)
	s_and_b32 s60, s62, exec_lo
                                        ; implicit-def: $vgpr2_vgpr3
.LBB51_1257:                            ;   in Loop: Header=BB51_17 Depth=1
	s_and_not1_saveexec_b32 s61, s61
	s_cbranch_execz .LBB51_1271
; %bb.1258:                             ;   in Loop: Header=BB51_17 Depth=1
	s_mov_b32 s62, exec_lo
                                        ; implicit-def: $vgpr0
	v_cmpx_lt_i16_e32 26, v9
	s_xor_b32 s62, exec_lo, s62
	s_cbranch_execz .LBB51_1264
; %bb.1259:                             ;   in Loop: Header=BB51_17 Depth=1
	s_mov_b32 s63, exec_lo
                                        ; implicit-def: $vgpr0
	v_cmpx_lt_i16_e32 27, v9
	s_xor_b32 s63, exec_lo, s63
	s_cbranch_execz .LBB51_1261
; %bb.1260:                             ;   in Loop: Header=BB51_17 Depth=1
	flat_load_b32 v0, v[2:3]
                                        ; implicit-def: $vgpr2_vgpr3
	s_wait_loadcnt_dscnt 0x0
	v_cvt_f32_u32_e32 v0, v0
.LBB51_1261:                            ;   in Loop: Header=BB51_17 Depth=1
	s_wait_xcnt 0x0
	s_and_not1_saveexec_b32 s63, s63
	s_cbranch_execz .LBB51_1263
; %bb.1262:                             ;   in Loop: Header=BB51_17 Depth=1
	flat_load_u16 v0, v[2:3]
	s_wait_loadcnt_dscnt 0x0
	v_cvt_f32_u32_e32 v0, v0
.LBB51_1263:                            ;   in Loop: Header=BB51_17 Depth=1
	s_wait_xcnt 0x0
	s_or_b32 exec_lo, exec_lo, s63
                                        ; implicit-def: $vgpr2_vgpr3
.LBB51_1264:                            ;   in Loop: Header=BB51_17 Depth=1
	s_and_not1_saveexec_b32 s62, s62
	s_cbranch_execz .LBB51_1270
; %bb.1265:                             ;   in Loop: Header=BB51_17 Depth=1
	flat_load_u8 v2, v[2:3]
	s_mov_b32 s63, 0
	s_mov_b32 s72, exec_lo
	s_wait_loadcnt_dscnt 0x0
	v_cmpx_lt_i16_e32 0x7f, v2
	s_xor_b32 s72, exec_lo, s72
	s_cbranch_execnz .LBB51_3358
; %bb.1266:                             ;   in Loop: Header=BB51_17 Depth=1
	s_or_saveexec_b32 s72, s72
	v_mov_b32_e32 v0, 0x7f800001
	s_xor_b32 exec_lo, exec_lo, s72
	s_cbranch_execnz .LBB51_3361
.LBB51_1267:                            ;   in Loop: Header=BB51_17 Depth=1
	s_or_b32 exec_lo, exec_lo, s72
	s_and_saveexec_b32 s72, s63
	s_cbranch_execz .LBB51_1269
.LBB51_1268:                            ;   in Loop: Header=BB51_17 Depth=1
	v_and_b32_e32 v0, 0xffff, v2
	s_delay_alu instid0(VALU_DEP_1) | instskip(SKIP_1) | instid1(VALU_DEP_2)
	v_and_b32_e32 v3, 7, v0
	v_bfe_u32 v21, v0, 3, 4
	v_clz_i32_u32_e32 v19, v3
	s_delay_alu instid0(VALU_DEP_2) | instskip(NEXT) | instid1(VALU_DEP_2)
	v_cmp_eq_u32_e32 vcc_lo, 0, v21
	v_min_u32_e32 v19, 32, v19
	s_delay_alu instid0(VALU_DEP_1) | instskip(NEXT) | instid1(VALU_DEP_1)
	v_subrev_nc_u32_e32 v20, 28, v19
	v_dual_lshlrev_b32 v0, v20, v0 :: v_dual_sub_nc_u32 v19, 29, v19
	s_delay_alu instid0(VALU_DEP_1) | instskip(NEXT) | instid1(VALU_DEP_1)
	v_dual_lshlrev_b32 v2, 24, v2 :: v_dual_bitop2_b32 v0, 7, v0 bitop3:0x40
	v_dual_cndmask_b32 v19, v21, v19 :: v_dual_cndmask_b32 v0, v3, v0
	s_delay_alu instid0(VALU_DEP_2) | instskip(NEXT) | instid1(VALU_DEP_2)
	v_and_b32_e32 v2, 0x80000000, v2
	v_lshl_add_u32 v3, v19, 23, 0x3b800000
	s_delay_alu instid0(VALU_DEP_3) | instskip(NEXT) | instid1(VALU_DEP_1)
	v_lshlrev_b32_e32 v0, 20, v0
	v_or3_b32 v0, v2, v3, v0
.LBB51_1269:                            ;   in Loop: Header=BB51_17 Depth=1
	s_or_b32 exec_lo, exec_lo, s72
.LBB51_1270:                            ;   in Loop: Header=BB51_17 Depth=1
	s_delay_alu instid0(SALU_CYCLE_1) | instskip(NEXT) | instid1(SALU_CYCLE_1)
	s_or_b32 exec_lo, exec_lo, s62
	s_or_b32 s60, s60, exec_lo
.LBB51_1271:                            ;   in Loop: Header=BB51_17 Depth=1
	s_or_b32 exec_lo, exec_lo, s61
	s_delay_alu instid0(SALU_CYCLE_1)
	s_and_b32 s60, s60, exec_lo
                                        ; implicit-def: $vgpr2_vgpr3
.LBB51_1272:                            ;   in Loop: Header=BB51_17 Depth=1
	s_and_not1_saveexec_b32 s57, s57
	s_cbranch_execz .LBB51_1298
; %bb.1273:                             ;   in Loop: Header=BB51_17 Depth=1
	s_mov_b32 s62, s60
	s_mov_b32 s61, exec_lo
                                        ; implicit-def: $vgpr0
	v_cmpx_lt_i16_e32 22, v9
	s_xor_b32 s61, exec_lo, s61
	s_cbranch_execz .LBB51_1287
; %bb.1274:                             ;   in Loop: Header=BB51_17 Depth=1
	s_mov_b32 s62, exec_lo
                                        ; implicit-def: $vgpr0
	v_cmpx_lt_i16_e32 23, v9
	s_xor_b32 s62, exec_lo, s62
	s_cbranch_execz .LBB51_1284
; %bb.1275:                             ;   in Loop: Header=BB51_17 Depth=1
	;; [unrolled: 6-line block ×3, first 2 shown]
	flat_load_u8 v2, v[2:3]
	s_mov_b32 s72, 0
	s_mov_b32 s73, exec_lo
	s_wait_loadcnt_dscnt 0x0
	v_cmpx_lt_i16_e32 0x7f, v2
	s_xor_b32 s73, exec_lo, s73
	s_cbranch_execnz .LBB51_3470
; %bb.1277:                             ;   in Loop: Header=BB51_17 Depth=1
	s_or_saveexec_b32 s73, s73
	v_mov_b32_e32 v0, 0x7f800001
	s_xor_b32 exec_lo, exec_lo, s73
	s_cbranch_execnz .LBB51_3473
.LBB51_1278:                            ;   in Loop: Header=BB51_17 Depth=1
	s_or_b32 exec_lo, exec_lo, s73
	s_and_saveexec_b32 s73, s72
	s_cbranch_execz .LBB51_1280
.LBB51_1279:                            ;   in Loop: Header=BB51_17 Depth=1
	v_and_b32_e32 v0, 0xffff, v2
	s_delay_alu instid0(VALU_DEP_1) | instskip(SKIP_1) | instid1(VALU_DEP_2)
	v_and_b32_e32 v3, 3, v0
	v_bfe_u32 v21, v0, 2, 5
	v_clz_i32_u32_e32 v19, v3
	s_delay_alu instid0(VALU_DEP_2) | instskip(NEXT) | instid1(VALU_DEP_2)
	v_cmp_eq_u32_e32 vcc_lo, 0, v21
	v_min_u32_e32 v19, 32, v19
	s_delay_alu instid0(VALU_DEP_1) | instskip(NEXT) | instid1(VALU_DEP_1)
	v_subrev_nc_u32_e32 v20, 29, v19
	v_dual_lshlrev_b32 v0, v20, v0 :: v_dual_sub_nc_u32 v19, 30, v19
	s_delay_alu instid0(VALU_DEP_1) | instskip(NEXT) | instid1(VALU_DEP_1)
	v_dual_lshlrev_b32 v2, 24, v2 :: v_dual_bitop2_b32 v0, 3, v0 bitop3:0x40
	v_dual_cndmask_b32 v19, v21, v19 :: v_dual_cndmask_b32 v0, v3, v0
	s_delay_alu instid0(VALU_DEP_2) | instskip(NEXT) | instid1(VALU_DEP_2)
	v_and_b32_e32 v2, 0x80000000, v2
	v_lshl_add_u32 v3, v19, 23, 0x37800000
	s_delay_alu instid0(VALU_DEP_3) | instskip(NEXT) | instid1(VALU_DEP_1)
	v_lshlrev_b32_e32 v0, 21, v0
	v_or3_b32 v0, v2, v3, v0
.LBB51_1280:                            ;   in Loop: Header=BB51_17 Depth=1
	s_or_b32 exec_lo, exec_lo, s73
                                        ; implicit-def: $vgpr2_vgpr3
.LBB51_1281:                            ;   in Loop: Header=BB51_17 Depth=1
	s_and_not1_saveexec_b32 s63, s63
	s_cbranch_execz .LBB51_1283
; %bb.1282:                             ;   in Loop: Header=BB51_17 Depth=1
	flat_load_u8 v0, v[2:3]
	s_wait_loadcnt_dscnt 0x0
	v_lshlrev_b32_e32 v0, 24, v0
	s_wait_xcnt 0x0
	s_delay_alu instid0(VALU_DEP_1) | instskip(NEXT) | instid1(VALU_DEP_1)
	v_and_b32_e32 v2, 0x7f000000, v0
	v_clz_i32_u32_e32 v3, v2
	v_add_nc_u32_e32 v20, 0x1000000, v2
	v_cmp_ne_u32_e32 vcc_lo, 0, v2
	s_delay_alu instid0(VALU_DEP_3) | instskip(NEXT) | instid1(VALU_DEP_1)
	v_min_u32_e32 v3, 32, v3
	v_sub_nc_u32_e64 v3, v3, 4 clamp
	s_delay_alu instid0(VALU_DEP_1) | instskip(NEXT) | instid1(VALU_DEP_1)
	v_dual_lshlrev_b32 v19, v3, v2 :: v_dual_lshlrev_b32 v3, 23, v3
	v_lshrrev_b32_e32 v19, 4, v19
	s_delay_alu instid0(VALU_DEP_1) | instskip(NEXT) | instid1(VALU_DEP_1)
	v_dual_sub_nc_u32 v3, v19, v3 :: v_dual_ashrrev_i32 v19, 8, v20
	v_add_nc_u32_e32 v3, 0x3c000000, v3
	s_delay_alu instid0(VALU_DEP_1) | instskip(NEXT) | instid1(VALU_DEP_1)
	v_and_or_b32 v3, 0x7f800000, v19, v3
	v_cndmask_b32_e32 v2, 0, v3, vcc_lo
	s_delay_alu instid0(VALU_DEP_1)
	v_and_or_b32 v0, 0x80000000, v0, v2
.LBB51_1283:                            ;   in Loop: Header=BB51_17 Depth=1
	s_or_b32 exec_lo, exec_lo, s63
                                        ; implicit-def: $vgpr2_vgpr3
.LBB51_1284:                            ;   in Loop: Header=BB51_17 Depth=1
	s_and_not1_saveexec_b32 s62, s62
	s_cbranch_execz .LBB51_1286
; %bb.1285:                             ;   in Loop: Header=BB51_17 Depth=1
	flat_load_u8 v0, v[2:3]
	s_wait_loadcnt_dscnt 0x0
	v_lshlrev_b32_e32 v2, 25, v0
	v_lshlrev_b16 v0, 8, v0
	s_delay_alu instid0(VALU_DEP_1) | instskip(SKIP_1) | instid1(VALU_DEP_2)
	v_and_or_b32 v19, 0x7f00, v0, 0.5
	v_bfe_i32 v0, v0, 0, 16
	v_dual_add_f32 v19, -0.5, v19 :: v_dual_lshrrev_b32 v3, 4, v2
	v_cmp_gt_u32_e32 vcc_lo, 0x8000000, v2
	s_delay_alu instid0(VALU_DEP_2) | instskip(NEXT) | instid1(VALU_DEP_1)
	v_or_b32_e32 v3, 0x70000000, v3
	v_mul_f32_e32 v3, 0x7800000, v3
	s_delay_alu instid0(VALU_DEP_1) | instskip(NEXT) | instid1(VALU_DEP_1)
	v_cndmask_b32_e32 v2, v3, v19, vcc_lo
	v_and_or_b32 v0, 0x80000000, v0, v2
.LBB51_1286:                            ;   in Loop: Header=BB51_17 Depth=1
	s_or_b32 exec_lo, exec_lo, s62
	s_delay_alu instid0(SALU_CYCLE_1)
	s_or_b32 s62, s60, exec_lo
                                        ; implicit-def: $vgpr2_vgpr3
.LBB51_1287:                            ;   in Loop: Header=BB51_17 Depth=1
	s_and_not1_saveexec_b32 s61, s61
	s_cbranch_execz .LBB51_1297
; %bb.1288:                             ;   in Loop: Header=BB51_17 Depth=1
	s_mov_b32 s63, s62
	s_mov_b32 s72, exec_lo
                                        ; implicit-def: $vgpr0
	v_cmpx_lt_i16_e32 14, v9
	s_xor_b32 s72, exec_lo, s72
	s_cbranch_execz .LBB51_1292
; %bb.1289:                             ;   in Loop: Header=BB51_17 Depth=1
	s_mov_b32 s63, s62
	s_mov_b32 s73, exec_lo
                                        ; implicit-def: $vgpr0
	v_cmpx_eq_u16_e32 15, v9
	s_cbranch_execz .LBB51_1291
; %bb.1290:                             ;   in Loop: Header=BB51_17 Depth=1
	flat_load_u16 v0, v[2:3]
	s_or_b32 s63, s62, exec_lo
	s_wait_loadcnt_dscnt 0x0
	v_lshlrev_b32_e32 v0, 16, v0
.LBB51_1291:                            ;   in Loop: Header=BB51_17 Depth=1
	s_wait_xcnt 0x0
	s_or_b32 exec_lo, exec_lo, s73
	s_delay_alu instid0(SALU_CYCLE_1) | instskip(SKIP_1) | instid1(SALU_CYCLE_1)
	s_and_not1_b32 s73, s62, exec_lo
	s_and_b32 s63, s63, exec_lo
                                        ; implicit-def: $vgpr2_vgpr3
	s_or_b32 s63, s73, s63
.LBB51_1292:                            ;   in Loop: Header=BB51_17 Depth=1
	s_and_not1_saveexec_b32 s72, s72
	s_cbranch_execz .LBB51_1296
; %bb.1293:                             ;   in Loop: Header=BB51_17 Depth=1
	s_mov_b32 s73, s63
	s_mov_b32 s74, exec_lo
                                        ; implicit-def: $vgpr0
	v_cmpx_eq_u16_e32 11, v9
	s_cbranch_execz .LBB51_1295
; %bb.1294:                             ;   in Loop: Header=BB51_17 Depth=1
	flat_load_u8 v0, v[2:3]
	s_or_b32 s73, s63, exec_lo
	s_wait_loadcnt_dscnt 0x0
	v_cmp_ne_u16_e32 vcc_lo, 0, v0
	v_cndmask_b32_e64 v0, 0, 1.0, vcc_lo
.LBB51_1295:                            ;   in Loop: Header=BB51_17 Depth=1
	s_wait_xcnt 0x0
	s_or_b32 exec_lo, exec_lo, s74
	s_delay_alu instid0(SALU_CYCLE_1) | instskip(SKIP_1) | instid1(SALU_CYCLE_1)
	s_and_not1_b32 s63, s63, exec_lo
	s_and_b32 s73, s73, exec_lo
	s_or_b32 s63, s63, s73
.LBB51_1296:                            ;   in Loop: Header=BB51_17 Depth=1
	s_or_b32 exec_lo, exec_lo, s72
	s_delay_alu instid0(SALU_CYCLE_1) | instskip(SKIP_1) | instid1(SALU_CYCLE_1)
	s_and_not1_b32 s62, s62, exec_lo
	s_and_b32 s63, s63, exec_lo
	s_or_b32 s62, s62, s63
.LBB51_1297:                            ;   in Loop: Header=BB51_17 Depth=1
	s_or_b32 exec_lo, exec_lo, s61
	s_delay_alu instid0(SALU_CYCLE_1) | instskip(SKIP_1) | instid1(SALU_CYCLE_1)
	s_and_not1_b32 s60, s60, exec_lo
	s_and_b32 s61, s62, exec_lo
	s_or_b32 s60, s60, s61
.LBB51_1298:                            ;   in Loop: Header=BB51_17 Depth=1
	s_or_b32 exec_lo, exec_lo, s57
	s_delay_alu instid0(SALU_CYCLE_1)
	s_and_b32 s61, s60, exec_lo
                                        ; implicit-def: $vgpr2_vgpr3
.LBB51_1299:                            ;   in Loop: Header=BB51_17 Depth=1
	s_and_not1_saveexec_b32 s56, s56
	s_cbranch_execz .LBB51_1341
; %bb.1300:                             ;   in Loop: Header=BB51_17 Depth=1
	s_mov_b32 s57, exec_lo
                                        ; implicit-def: $vgpr0
	v_cmpx_lt_i16_e32 4, v9
	s_xor_b32 s57, exec_lo, s57
	s_cbranch_execz .LBB51_1322
; %bb.1301:                             ;   in Loop: Header=BB51_17 Depth=1
	s_mov_b32 s60, exec_lo
                                        ; implicit-def: $vgpr0
	v_cmpx_lt_i16_e32 7, v9
	s_xor_b32 s60, exec_lo, s60
	;; [unrolled: 6-line block ×4, first 2 shown]
	s_cbranch_execz .LBB51_1305
; %bb.1304:                             ;   in Loop: Header=BB51_17 Depth=1
	flat_load_b64 v[2:3], v[2:3]
	s_wait_loadcnt_dscnt 0x0
	v_cvt_f32_f64_e32 v0, v[2:3]
                                        ; implicit-def: $vgpr2_vgpr3
.LBB51_1305:                            ;   in Loop: Header=BB51_17 Depth=1
	s_wait_xcnt 0x0
	s_and_not1_saveexec_b32 s63, s63
	s_cbranch_execz .LBB51_1307
; %bb.1306:                             ;   in Loop: Header=BB51_17 Depth=1
	flat_load_b32 v0, v[2:3]
.LBB51_1307:                            ;   in Loop: Header=BB51_17 Depth=1
	s_wait_xcnt 0x0
	s_or_b32 exec_lo, exec_lo, s63
                                        ; implicit-def: $vgpr2_vgpr3
.LBB51_1308:                            ;   in Loop: Header=BB51_17 Depth=1
	s_and_not1_saveexec_b32 s62, s62
	s_cbranch_execz .LBB51_1310
; %bb.1309:                             ;   in Loop: Header=BB51_17 Depth=1
	s_wait_loadcnt_dscnt 0x0
	flat_load_b32 v0, v[2:3]
	s_wait_loadcnt_dscnt 0x0
	v_cvt_f32_f16_e32 v0, v0
.LBB51_1310:                            ;   in Loop: Header=BB51_17 Depth=1
	s_wait_xcnt 0x0
	s_or_b32 exec_lo, exec_lo, s62
                                        ; implicit-def: $vgpr2_vgpr3
.LBB51_1311:                            ;   in Loop: Header=BB51_17 Depth=1
	s_and_not1_saveexec_b32 s60, s60
	s_cbranch_execz .LBB51_1321
; %bb.1312:                             ;   in Loop: Header=BB51_17 Depth=1
	s_mov_b32 s62, exec_lo
                                        ; implicit-def: $vgpr0
	v_cmpx_lt_i16_e32 5, v9
	s_xor_b32 s62, exec_lo, s62
	s_cbranch_execz .LBB51_1318
; %bb.1313:                             ;   in Loop: Header=BB51_17 Depth=1
	s_mov_b32 s63, exec_lo
                                        ; implicit-def: $vgpr0
	v_cmpx_lt_i16_e32 6, v9
	s_xor_b32 s63, exec_lo, s63
	s_cbranch_execz .LBB51_1315
; %bb.1314:                             ;   in Loop: Header=BB51_17 Depth=1
	flat_load_b64 v[2:3], v[2:3]
	s_wait_loadcnt_dscnt 0x0
	v_cvt_f32_f64_e32 v0, v[2:3]
                                        ; implicit-def: $vgpr2_vgpr3
.LBB51_1315:                            ;   in Loop: Header=BB51_17 Depth=1
	s_wait_xcnt 0x0
	s_and_not1_saveexec_b32 s63, s63
	s_cbranch_execz .LBB51_1317
; %bb.1316:                             ;   in Loop: Header=BB51_17 Depth=1
	s_wait_loadcnt_dscnt 0x0
	flat_load_b32 v0, v[2:3]
.LBB51_1317:                            ;   in Loop: Header=BB51_17 Depth=1
	s_wait_xcnt 0x0
	s_or_b32 exec_lo, exec_lo, s63
                                        ; implicit-def: $vgpr2_vgpr3
.LBB51_1318:                            ;   in Loop: Header=BB51_17 Depth=1
	s_and_not1_saveexec_b32 s62, s62
	s_cbranch_execz .LBB51_1320
; %bb.1319:                             ;   in Loop: Header=BB51_17 Depth=1
	s_wait_loadcnt_dscnt 0x0
	flat_load_u16 v0, v[2:3]
	s_wait_loadcnt_dscnt 0x0
	v_cvt_f32_f16_e32 v0, v0
.LBB51_1320:                            ;   in Loop: Header=BB51_17 Depth=1
	s_wait_xcnt 0x0
	s_or_b32 exec_lo, exec_lo, s62
.LBB51_1321:                            ;   in Loop: Header=BB51_17 Depth=1
	s_delay_alu instid0(SALU_CYCLE_1)
	s_or_b32 exec_lo, exec_lo, s60
                                        ; implicit-def: $vgpr2_vgpr3
.LBB51_1322:                            ;   in Loop: Header=BB51_17 Depth=1
	s_and_not1_saveexec_b32 s57, s57
	s_cbranch_execz .LBB51_1340
; %bb.1323:                             ;   in Loop: Header=BB51_17 Depth=1
	s_mov_b32 s60, exec_lo
                                        ; implicit-def: $vgpr0
	v_cmpx_lt_i16_e32 1, v9
	s_xor_b32 s60, exec_lo, s60
	s_cbranch_execz .LBB51_1333
; %bb.1324:                             ;   in Loop: Header=BB51_17 Depth=1
	s_mov_b32 s62, exec_lo
                                        ; implicit-def: $vgpr0
	v_cmpx_lt_i16_e32 2, v9
	s_xor_b32 s62, exec_lo, s62
	;; [unrolled: 6-line block ×3, first 2 shown]
	s_cbranch_execz .LBB51_1327
; %bb.1326:                             ;   in Loop: Header=BB51_17 Depth=1
	flat_load_b64 v[2:3], v[2:3]
	s_wait_loadcnt_dscnt 0x0
	v_xor_b32_e32 v0, v2, v3
	v_cls_i32_e32 v19, v3
	s_delay_alu instid0(VALU_DEP_2) | instskip(NEXT) | instid1(VALU_DEP_1)
	v_ashrrev_i32_e32 v0, 31, v0
	v_add_nc_u32_e32 v0, 32, v0
	s_delay_alu instid0(VALU_DEP_1) | instskip(SKIP_1) | instid1(VALU_DEP_1)
	v_add_min_u32_e64 v0, v19, -1, v0
	s_wait_xcnt 0x0
	v_lshlrev_b64_e32 v[2:3], v0, v[2:3]
	v_sub_nc_u32_e32 v0, 32, v0
	s_delay_alu instid0(VALU_DEP_2) | instskip(NEXT) | instid1(VALU_DEP_1)
	v_min_u32_e32 v2, 1, v2
	v_or_b32_e32 v2, v3, v2
	s_delay_alu instid0(VALU_DEP_1) | instskip(NEXT) | instid1(VALU_DEP_1)
	v_cvt_f32_i32_e32 v2, v2
	v_ldexp_f32 v0, v2, v0
                                        ; implicit-def: $vgpr2_vgpr3
.LBB51_1327:                            ;   in Loop: Header=BB51_17 Depth=1
	s_and_not1_saveexec_b32 s63, s63
	s_cbranch_execz .LBB51_1329
; %bb.1328:                             ;   in Loop: Header=BB51_17 Depth=1
	s_wait_loadcnt_dscnt 0x0
	flat_load_b32 v0, v[2:3]
	s_wait_loadcnt_dscnt 0x0
	v_cvt_f32_i32_e32 v0, v0
.LBB51_1329:                            ;   in Loop: Header=BB51_17 Depth=1
	s_wait_xcnt 0x0
	s_or_b32 exec_lo, exec_lo, s63
                                        ; implicit-def: $vgpr2_vgpr3
.LBB51_1330:                            ;   in Loop: Header=BB51_17 Depth=1
	s_and_not1_saveexec_b32 s62, s62
	s_cbranch_execz .LBB51_1332
; %bb.1331:                             ;   in Loop: Header=BB51_17 Depth=1
	s_wait_loadcnt_dscnt 0x0
	flat_load_i16 v0, v[2:3]
	s_wait_loadcnt_dscnt 0x0
	v_cvt_f32_i32_e32 v0, v0
.LBB51_1332:                            ;   in Loop: Header=BB51_17 Depth=1
	s_wait_xcnt 0x0
	s_or_b32 exec_lo, exec_lo, s62
                                        ; implicit-def: $vgpr2_vgpr3
.LBB51_1333:                            ;   in Loop: Header=BB51_17 Depth=1
	s_and_not1_saveexec_b32 s60, s60
	s_cbranch_execz .LBB51_1339
; %bb.1334:                             ;   in Loop: Header=BB51_17 Depth=1
	s_mov_b32 s62, exec_lo
                                        ; implicit-def: $vgpr0
	v_cmpx_lt_i16_e32 0, v9
	s_xor_b32 s62, exec_lo, s62
	s_cbranch_execz .LBB51_1336
; %bb.1335:                             ;   in Loop: Header=BB51_17 Depth=1
	s_wait_loadcnt_dscnt 0x0
	flat_load_i8 v0, v[2:3]
                                        ; implicit-def: $vgpr2_vgpr3
	s_wait_loadcnt_dscnt 0x0
	v_cvt_f32_i32_e32 v0, v0
.LBB51_1336:                            ;   in Loop: Header=BB51_17 Depth=1
	s_wait_xcnt 0x0
	s_and_not1_saveexec_b32 s62, s62
	s_cbranch_execz .LBB51_1338
; %bb.1337:                             ;   in Loop: Header=BB51_17 Depth=1
	s_wait_loadcnt_dscnt 0x0
	flat_load_u8 v0, v[2:3]
	s_wait_loadcnt_dscnt 0x0
	v_cvt_f32_ubyte0_e32 v0, v0
.LBB51_1338:                            ;   in Loop: Header=BB51_17 Depth=1
	s_wait_xcnt 0x0
	s_or_b32 exec_lo, exec_lo, s62
.LBB51_1339:                            ;   in Loop: Header=BB51_17 Depth=1
	s_delay_alu instid0(SALU_CYCLE_1)
	s_or_b32 exec_lo, exec_lo, s60
.LBB51_1340:                            ;   in Loop: Header=BB51_17 Depth=1
	s_delay_alu instid0(SALU_CYCLE_1) | instskip(NEXT) | instid1(SALU_CYCLE_1)
	s_or_b32 exec_lo, exec_lo, s57
	s_or_b32 s61, s61, exec_lo
.LBB51_1341:                            ;   in Loop: Header=BB51_17 Depth=1
	s_or_b32 exec_lo, exec_lo, s56
	s_mov_b32 s56, -1
	s_mov_b32 s62, 0
	s_mov_b32 s57, 0
	s_and_saveexec_b32 s60, s61
	s_cbranch_execz .LBB51_1347
; %bb.1342:                             ;   in Loop: Header=BB51_17 Depth=1
	s_add_co_i32 s56, s33, s1
	s_mov_b32 s61, 0
	s_wait_loadcnt_dscnt 0x0
	scratch_store_b32 off, v0, s56 offset:92
	s_wait_xcnt 0x0
	v_mul_lo_u32 v0, v18, v12
	v_and_b32_e32 v18, 0xff, v10
	s_mov_b32 s57, exec_lo
	s_delay_alu instid0(VALU_DEP_2) | instskip(NEXT) | instid1(VALU_DEP_2)
	v_add_nc_u64_e32 v[2:3], v[6:7], v[0:1]
                                        ; implicit-def: $vgpr0
	v_cmpx_lt_i16_e32 10, v18
	s_xor_b32 s57, exec_lo, s57
	s_cbranch_execnz .LBB51_3014
; %bb.1343:                             ;   in Loop: Header=BB51_17 Depth=1
	s_and_not1_saveexec_b32 s57, s57
	s_cbranch_execnz .LBB51_3073
.LBB51_1344:                            ;   in Loop: Header=BB51_17 Depth=1
	s_or_b32 exec_lo, exec_lo, s57
	s_mov_b32 s62, 0
	s_and_saveexec_b32 s57, s61
	s_cbranch_execz .LBB51_1346
.LBB51_1345:                            ;   in Loop: Header=BB51_17 Depth=1
	v_add_nc_u32_e32 v16, 0x200, v16
	s_mov_b32 s62, exec_lo
	s_wait_loadcnt_dscnt 0x0
	scratch_store_b32 off, v0, s56 offset:88
.LBB51_1346:                            ;   in Loop: Header=BB51_17 Depth=1
	s_wait_xcnt 0x0
	s_or_b32 exec_lo, exec_lo, s57
	s_delay_alu instid0(SALU_CYCLE_1)
	s_mov_b32 s57, exec_lo
	s_xor_b32 s56, exec_lo, -1
	s_and_b32 s62, s62, exec_lo
.LBB51_1347:                            ;   in Loop: Header=BB51_17 Depth=1
	s_or_b32 exec_lo, exec_lo, s60
	s_delay_alu instid0(SALU_CYCLE_1)
	s_or_not1_b32 s60, s62, exec_lo
.LBB51_1348:                            ;   in Loop: Header=BB51_17 Depth=1
	s_or_b32 exec_lo, exec_lo, s58
	s_and_saveexec_b32 s58, s60
	s_cbranch_execz .LBB51_5
; %bb.1349:                             ;   in Loop: Header=BB51_17 Depth=1
	s_mov_b32 s62, -1
	s_mov_b32 s63, -1
	s_mov_b32 s61, exec_lo
                                        ; implicit-def: $sgpr59
                                        ; implicit-def: $sgpr60
	v_cmpx_lt_i32_e64 v16, v8
	s_cbranch_execz .LBB51_1459
; %bb.1350:                             ;   in Loop: Header=BB51_17 Depth=1
	v_add_nc_u32_e32 v18, s3, v16
	s_mov_b32 s72, 0
	s_mov_b32 s59, exec_lo
	s_wait_loadcnt_dscnt 0x0
	s_delay_alu instid0(VALU_DEP_1) | instskip(NEXT) | instid1(VALU_DEP_1)
	v_mul_lo_u32 v0, v18, v11
	v_add_nc_u64_e32 v[2:3], v[4:5], v[0:1]
                                        ; implicit-def: $vgpr0
	v_cmpx_lt_i16_e32 10, v9
	s_xor_b32 s59, exec_lo, s59
	s_cbranch_execz .LBB51_1410
; %bb.1351:                             ;   in Loop: Header=BB51_17 Depth=1
	s_mov_b32 s63, 0
	s_mov_b32 s60, exec_lo
                                        ; implicit-def: $vgpr0
	v_cmpx_lt_i16_e32 25, v9
	s_xor_b32 s60, exec_lo, s60
	s_cbranch_execz .LBB51_1383
; %bb.1352:                             ;   in Loop: Header=BB51_17 Depth=1
	s_mov_b32 s72, exec_lo
                                        ; implicit-def: $vgpr0
	v_cmpx_lt_i16_e32 28, v9
	s_xor_b32 s72, exec_lo, s72
	s_cbranch_execz .LBB51_1368
; %bb.1353:                             ;   in Loop: Header=BB51_17 Depth=1
	s_mov_b32 s73, 0
	s_mov_b32 s63, exec_lo
                                        ; implicit-def: $vgpr0
	v_cmpx_lt_i16_e32 43, v9
	s_xor_b32 s63, exec_lo, s63
	s_cbranch_execz .LBB51_1363
; %bb.1354:                             ;   in Loop: Header=BB51_17 Depth=1
	s_mov_b32 s74, exec_lo
                                        ; implicit-def: $vgpr0
	v_cmpx_lt_i16_e32 45, v9
	s_xor_b32 s74, exec_lo, s74
	s_cbranch_execz .LBB51_1358
; %bb.1355:                             ;   in Loop: Header=BB51_17 Depth=1
	s_mov_b32 s75, exec_lo
                                        ; implicit-def: $vgpr0
	v_cmpx_eq_u16_e32 46, v9
	s_cbranch_execz .LBB51_1357
; %bb.1356:                             ;   in Loop: Header=BB51_17 Depth=1
	flat_load_b32 v0, v[2:3]
	s_mov_b32 s73, exec_lo
	s_wait_loadcnt_dscnt 0x0
	v_lshlrev_b32_e32 v0, 16, v0
.LBB51_1357:                            ;   in Loop: Header=BB51_17 Depth=1
	s_wait_xcnt 0x0
	s_or_b32 exec_lo, exec_lo, s75
	s_delay_alu instid0(SALU_CYCLE_1)
	s_and_b32 s73, s73, exec_lo
                                        ; implicit-def: $vgpr2_vgpr3
.LBB51_1358:                            ;   in Loop: Header=BB51_17 Depth=1
	s_and_not1_saveexec_b32 s74, s74
	s_cbranch_execz .LBB51_1362
; %bb.1359:                             ;   in Loop: Header=BB51_17 Depth=1
	s_mov_b32 s76, s73
	s_mov_b32 s75, exec_lo
                                        ; implicit-def: $vgpr0
	v_cmpx_eq_u16_e32 44, v9
	s_cbranch_execz .LBB51_1361
; %bb.1360:                             ;   in Loop: Header=BB51_17 Depth=1
	flat_load_u8 v0, v[2:3]
	s_or_b32 s76, s73, exec_lo
	s_wait_loadcnt_dscnt 0x0
	v_lshlrev_b32_e32 v2, 23, v0
	v_cmp_ne_u32_e32 vcc_lo, 0xff, v0
	s_delay_alu instid0(VALU_DEP_2) | instskip(SKIP_1) | instid1(VALU_DEP_2)
	v_cndmask_b32_e32 v2, 0x7f800001, v2, vcc_lo
	v_cmp_ne_u32_e32 vcc_lo, 0, v0
	v_cndmask_b32_e32 v0, 0x400000, v2, vcc_lo
.LBB51_1361:                            ;   in Loop: Header=BB51_17 Depth=1
	s_or_b32 exec_lo, exec_lo, s75
	s_delay_alu instid0(SALU_CYCLE_1) | instskip(SKIP_1) | instid1(SALU_CYCLE_1)
	s_and_not1_b32 s73, s73, exec_lo
	s_and_b32 s75, s76, exec_lo
	s_or_b32 s73, s73, s75
.LBB51_1362:                            ;   in Loop: Header=BB51_17 Depth=1
	s_or_b32 exec_lo, exec_lo, s74
	s_delay_alu instid0(SALU_CYCLE_1)
	s_and_b32 s73, s73, exec_lo
                                        ; implicit-def: $vgpr2_vgpr3
.LBB51_1363:                            ;   in Loop: Header=BB51_17 Depth=1
	s_and_not1_saveexec_b32 s63, s63
	s_cbranch_execz .LBB51_1367
; %bb.1364:                             ;   in Loop: Header=BB51_17 Depth=1
	s_mov_b32 s75, s73
	s_mov_b32 s74, exec_lo
                                        ; implicit-def: $vgpr0
	v_cmpx_eq_u16_e32 29, v9
	s_cbranch_execz .LBB51_1366
; %bb.1365:                             ;   in Loop: Header=BB51_17 Depth=1
	flat_load_b64 v[2:3], v[2:3]
	s_or_b32 s75, s73, exec_lo
	s_wait_loadcnt_dscnt 0x0
	v_clz_i32_u32_e32 v0, v3
	s_delay_alu instid0(VALU_DEP_1) | instskip(SKIP_1) | instid1(VALU_DEP_1)
	v_min_u32_e32 v0, 32, v0
	s_wait_xcnt 0x0
	v_lshlrev_b64_e32 v[2:3], v0, v[2:3]
	v_sub_nc_u32_e32 v0, 32, v0
	s_delay_alu instid0(VALU_DEP_2) | instskip(NEXT) | instid1(VALU_DEP_1)
	v_min_u32_e32 v2, 1, v2
	v_or_b32_e32 v2, v3, v2
	s_delay_alu instid0(VALU_DEP_1) | instskip(NEXT) | instid1(VALU_DEP_1)
	v_cvt_f32_u32_e32 v2, v2
	v_ldexp_f32 v0, v2, v0
.LBB51_1366:                            ;   in Loop: Header=BB51_17 Depth=1
	s_or_b32 exec_lo, exec_lo, s74
	s_delay_alu instid0(SALU_CYCLE_1) | instskip(SKIP_1) | instid1(SALU_CYCLE_1)
	s_and_not1_b32 s73, s73, exec_lo
	s_and_b32 s74, s75, exec_lo
	s_or_b32 s73, s73, s74
.LBB51_1367:                            ;   in Loop: Header=BB51_17 Depth=1
	s_or_b32 exec_lo, exec_lo, s63
	s_delay_alu instid0(SALU_CYCLE_1)
	s_and_b32 s63, s73, exec_lo
                                        ; implicit-def: $vgpr2_vgpr3
.LBB51_1368:                            ;   in Loop: Header=BB51_17 Depth=1
	s_and_not1_saveexec_b32 s72, s72
	s_cbranch_execz .LBB51_1382
; %bb.1369:                             ;   in Loop: Header=BB51_17 Depth=1
	s_mov_b32 s73, exec_lo
                                        ; implicit-def: $vgpr0
	v_cmpx_lt_i16_e32 26, v9
	s_xor_b32 s73, exec_lo, s73
	s_cbranch_execz .LBB51_1375
; %bb.1370:                             ;   in Loop: Header=BB51_17 Depth=1
	s_mov_b32 s74, exec_lo
                                        ; implicit-def: $vgpr0
	v_cmpx_lt_i16_e32 27, v9
	s_xor_b32 s74, exec_lo, s74
	s_cbranch_execz .LBB51_1372
; %bb.1371:                             ;   in Loop: Header=BB51_17 Depth=1
	flat_load_b32 v0, v[2:3]
                                        ; implicit-def: $vgpr2_vgpr3
	s_wait_loadcnt_dscnt 0x0
	v_cvt_f32_u32_e32 v0, v0
.LBB51_1372:                            ;   in Loop: Header=BB51_17 Depth=1
	s_wait_xcnt 0x0
	s_and_not1_saveexec_b32 s74, s74
	s_cbranch_execz .LBB51_1374
; %bb.1373:                             ;   in Loop: Header=BB51_17 Depth=1
	flat_load_u16 v0, v[2:3]
	s_wait_loadcnt_dscnt 0x0
	v_cvt_f32_u32_e32 v0, v0
.LBB51_1374:                            ;   in Loop: Header=BB51_17 Depth=1
	s_wait_xcnt 0x0
	s_or_b32 exec_lo, exec_lo, s74
                                        ; implicit-def: $vgpr2_vgpr3
.LBB51_1375:                            ;   in Loop: Header=BB51_17 Depth=1
	s_and_not1_saveexec_b32 s73, s73
	s_cbranch_execz .LBB51_1381
; %bb.1376:                             ;   in Loop: Header=BB51_17 Depth=1
	flat_load_u8 v2, v[2:3]
	s_mov_b32 s74, 0
	s_mov_b32 s75, exec_lo
	s_wait_loadcnt_dscnt 0x0
	v_cmpx_lt_i16_e32 0x7f, v2
	s_xor_b32 s75, exec_lo, s75
	s_cbranch_execnz .LBB51_3474
; %bb.1377:                             ;   in Loop: Header=BB51_17 Depth=1
	s_or_saveexec_b32 s75, s75
	v_mov_b32_e32 v0, 0x7f800001
	s_xor_b32 exec_lo, exec_lo, s75
	s_cbranch_execnz .LBB51_3477
.LBB51_1378:                            ;   in Loop: Header=BB51_17 Depth=1
	s_or_b32 exec_lo, exec_lo, s75
	s_and_saveexec_b32 s75, s74
	s_cbranch_execz .LBB51_1380
.LBB51_1379:                            ;   in Loop: Header=BB51_17 Depth=1
	v_and_b32_e32 v0, 0xffff, v2
	s_delay_alu instid0(VALU_DEP_1) | instskip(SKIP_1) | instid1(VALU_DEP_2)
	v_and_b32_e32 v3, 7, v0
	v_bfe_u32 v21, v0, 3, 4
	v_clz_i32_u32_e32 v19, v3
	s_delay_alu instid0(VALU_DEP_2) | instskip(NEXT) | instid1(VALU_DEP_2)
	v_cmp_eq_u32_e32 vcc_lo, 0, v21
	v_min_u32_e32 v19, 32, v19
	s_delay_alu instid0(VALU_DEP_1) | instskip(NEXT) | instid1(VALU_DEP_1)
	v_subrev_nc_u32_e32 v20, 28, v19
	v_dual_lshlrev_b32 v0, v20, v0 :: v_dual_sub_nc_u32 v19, 29, v19
	s_delay_alu instid0(VALU_DEP_1) | instskip(NEXT) | instid1(VALU_DEP_1)
	v_dual_lshlrev_b32 v2, 24, v2 :: v_dual_bitop2_b32 v0, 7, v0 bitop3:0x40
	v_dual_cndmask_b32 v19, v21, v19 :: v_dual_cndmask_b32 v0, v3, v0
	s_delay_alu instid0(VALU_DEP_2) | instskip(NEXT) | instid1(VALU_DEP_2)
	v_and_b32_e32 v2, 0x80000000, v2
	v_lshl_add_u32 v3, v19, 23, 0x3b800000
	s_delay_alu instid0(VALU_DEP_3) | instskip(NEXT) | instid1(VALU_DEP_1)
	v_lshlrev_b32_e32 v0, 20, v0
	v_or3_b32 v0, v2, v3, v0
.LBB51_1380:                            ;   in Loop: Header=BB51_17 Depth=1
	s_or_b32 exec_lo, exec_lo, s75
.LBB51_1381:                            ;   in Loop: Header=BB51_17 Depth=1
	s_delay_alu instid0(SALU_CYCLE_1) | instskip(NEXT) | instid1(SALU_CYCLE_1)
	s_or_b32 exec_lo, exec_lo, s73
	s_or_b32 s63, s63, exec_lo
.LBB51_1382:                            ;   in Loop: Header=BB51_17 Depth=1
	s_or_b32 exec_lo, exec_lo, s72
	s_delay_alu instid0(SALU_CYCLE_1)
	s_and_b32 s63, s63, exec_lo
                                        ; implicit-def: $vgpr2_vgpr3
.LBB51_1383:                            ;   in Loop: Header=BB51_17 Depth=1
	s_and_not1_saveexec_b32 s60, s60
	s_cbranch_execz .LBB51_1409
; %bb.1384:                             ;   in Loop: Header=BB51_17 Depth=1
	s_mov_b32 s73, s63
	s_mov_b32 s72, exec_lo
                                        ; implicit-def: $vgpr0
	v_cmpx_lt_i16_e32 22, v9
	s_xor_b32 s72, exec_lo, s72
	s_cbranch_execz .LBB51_1398
; %bb.1385:                             ;   in Loop: Header=BB51_17 Depth=1
	s_mov_b32 s73, exec_lo
                                        ; implicit-def: $vgpr0
	v_cmpx_lt_i16_e32 23, v9
	s_xor_b32 s73, exec_lo, s73
	s_cbranch_execz .LBB51_1395
; %bb.1386:                             ;   in Loop: Header=BB51_17 Depth=1
	;; [unrolled: 6-line block ×3, first 2 shown]
	flat_load_u8 v2, v[2:3]
	s_mov_b32 s75, 0
	s_mov_b32 s76, exec_lo
	s_wait_loadcnt_dscnt 0x0
	v_cmpx_lt_i16_e32 0x7f, v2
	s_xor_b32 s76, exec_lo, s76
	s_cbranch_execnz .LBB51_3586
; %bb.1388:                             ;   in Loop: Header=BB51_17 Depth=1
	s_or_saveexec_b32 s76, s76
	v_mov_b32_e32 v0, 0x7f800001
	s_xor_b32 exec_lo, exec_lo, s76
	s_cbranch_execnz .LBB51_3589
.LBB51_1389:                            ;   in Loop: Header=BB51_17 Depth=1
	s_or_b32 exec_lo, exec_lo, s76
	s_and_saveexec_b32 s76, s75
	s_cbranch_execz .LBB51_1391
.LBB51_1390:                            ;   in Loop: Header=BB51_17 Depth=1
	v_and_b32_e32 v0, 0xffff, v2
	s_delay_alu instid0(VALU_DEP_1) | instskip(SKIP_1) | instid1(VALU_DEP_2)
	v_and_b32_e32 v3, 3, v0
	v_bfe_u32 v21, v0, 2, 5
	v_clz_i32_u32_e32 v19, v3
	s_delay_alu instid0(VALU_DEP_2) | instskip(NEXT) | instid1(VALU_DEP_2)
	v_cmp_eq_u32_e32 vcc_lo, 0, v21
	v_min_u32_e32 v19, 32, v19
	s_delay_alu instid0(VALU_DEP_1) | instskip(NEXT) | instid1(VALU_DEP_1)
	v_subrev_nc_u32_e32 v20, 29, v19
	v_dual_lshlrev_b32 v0, v20, v0 :: v_dual_sub_nc_u32 v19, 30, v19
	s_delay_alu instid0(VALU_DEP_1) | instskip(NEXT) | instid1(VALU_DEP_1)
	v_dual_lshlrev_b32 v2, 24, v2 :: v_dual_bitop2_b32 v0, 3, v0 bitop3:0x40
	v_dual_cndmask_b32 v19, v21, v19 :: v_dual_cndmask_b32 v0, v3, v0
	s_delay_alu instid0(VALU_DEP_2) | instskip(NEXT) | instid1(VALU_DEP_2)
	v_and_b32_e32 v2, 0x80000000, v2
	v_lshl_add_u32 v3, v19, 23, 0x37800000
	s_delay_alu instid0(VALU_DEP_3) | instskip(NEXT) | instid1(VALU_DEP_1)
	v_lshlrev_b32_e32 v0, 21, v0
	v_or3_b32 v0, v2, v3, v0
.LBB51_1391:                            ;   in Loop: Header=BB51_17 Depth=1
	s_or_b32 exec_lo, exec_lo, s76
                                        ; implicit-def: $vgpr2_vgpr3
.LBB51_1392:                            ;   in Loop: Header=BB51_17 Depth=1
	s_and_not1_saveexec_b32 s74, s74
	s_cbranch_execz .LBB51_1394
; %bb.1393:                             ;   in Loop: Header=BB51_17 Depth=1
	flat_load_u8 v0, v[2:3]
	s_wait_loadcnt_dscnt 0x0
	v_lshlrev_b32_e32 v0, 24, v0
	s_wait_xcnt 0x0
	s_delay_alu instid0(VALU_DEP_1) | instskip(NEXT) | instid1(VALU_DEP_1)
	v_and_b32_e32 v2, 0x7f000000, v0
	v_clz_i32_u32_e32 v3, v2
	v_add_nc_u32_e32 v20, 0x1000000, v2
	v_cmp_ne_u32_e32 vcc_lo, 0, v2
	s_delay_alu instid0(VALU_DEP_3) | instskip(NEXT) | instid1(VALU_DEP_1)
	v_min_u32_e32 v3, 32, v3
	v_sub_nc_u32_e64 v3, v3, 4 clamp
	s_delay_alu instid0(VALU_DEP_1) | instskip(NEXT) | instid1(VALU_DEP_1)
	v_dual_lshlrev_b32 v19, v3, v2 :: v_dual_lshlrev_b32 v3, 23, v3
	v_lshrrev_b32_e32 v19, 4, v19
	s_delay_alu instid0(VALU_DEP_1) | instskip(NEXT) | instid1(VALU_DEP_1)
	v_dual_sub_nc_u32 v3, v19, v3 :: v_dual_ashrrev_i32 v19, 8, v20
	v_add_nc_u32_e32 v3, 0x3c000000, v3
	s_delay_alu instid0(VALU_DEP_1) | instskip(NEXT) | instid1(VALU_DEP_1)
	v_and_or_b32 v3, 0x7f800000, v19, v3
	v_cndmask_b32_e32 v2, 0, v3, vcc_lo
	s_delay_alu instid0(VALU_DEP_1)
	v_and_or_b32 v0, 0x80000000, v0, v2
.LBB51_1394:                            ;   in Loop: Header=BB51_17 Depth=1
	s_or_b32 exec_lo, exec_lo, s74
                                        ; implicit-def: $vgpr2_vgpr3
.LBB51_1395:                            ;   in Loop: Header=BB51_17 Depth=1
	s_and_not1_saveexec_b32 s73, s73
	s_cbranch_execz .LBB51_1397
; %bb.1396:                             ;   in Loop: Header=BB51_17 Depth=1
	flat_load_u8 v0, v[2:3]
	s_wait_loadcnt_dscnt 0x0
	v_lshlrev_b32_e32 v2, 25, v0
	v_lshlrev_b16 v0, 8, v0
	s_delay_alu instid0(VALU_DEP_1) | instskip(SKIP_1) | instid1(VALU_DEP_2)
	v_and_or_b32 v19, 0x7f00, v0, 0.5
	v_bfe_i32 v0, v0, 0, 16
	v_dual_add_f32 v19, -0.5, v19 :: v_dual_lshrrev_b32 v3, 4, v2
	v_cmp_gt_u32_e32 vcc_lo, 0x8000000, v2
	s_delay_alu instid0(VALU_DEP_2) | instskip(NEXT) | instid1(VALU_DEP_1)
	v_or_b32_e32 v3, 0x70000000, v3
	v_mul_f32_e32 v3, 0x7800000, v3
	s_delay_alu instid0(VALU_DEP_1) | instskip(NEXT) | instid1(VALU_DEP_1)
	v_cndmask_b32_e32 v2, v3, v19, vcc_lo
	v_and_or_b32 v0, 0x80000000, v0, v2
.LBB51_1397:                            ;   in Loop: Header=BB51_17 Depth=1
	s_or_b32 exec_lo, exec_lo, s73
	s_delay_alu instid0(SALU_CYCLE_1)
	s_or_b32 s73, s63, exec_lo
                                        ; implicit-def: $vgpr2_vgpr3
.LBB51_1398:                            ;   in Loop: Header=BB51_17 Depth=1
	s_and_not1_saveexec_b32 s72, s72
	s_cbranch_execz .LBB51_1408
; %bb.1399:                             ;   in Loop: Header=BB51_17 Depth=1
	s_mov_b32 s74, s73
	s_mov_b32 s75, exec_lo
                                        ; implicit-def: $vgpr0
	v_cmpx_lt_i16_e32 14, v9
	s_xor_b32 s75, exec_lo, s75
	s_cbranch_execz .LBB51_1403
; %bb.1400:                             ;   in Loop: Header=BB51_17 Depth=1
	s_mov_b32 s74, s73
	s_mov_b32 s76, exec_lo
                                        ; implicit-def: $vgpr0
	v_cmpx_eq_u16_e32 15, v9
	s_cbranch_execz .LBB51_1402
; %bb.1401:                             ;   in Loop: Header=BB51_17 Depth=1
	flat_load_u16 v0, v[2:3]
	s_or_b32 s74, s73, exec_lo
	s_wait_loadcnt_dscnt 0x0
	v_lshlrev_b32_e32 v0, 16, v0
.LBB51_1402:                            ;   in Loop: Header=BB51_17 Depth=1
	s_wait_xcnt 0x0
	s_or_b32 exec_lo, exec_lo, s76
	s_delay_alu instid0(SALU_CYCLE_1) | instskip(SKIP_1) | instid1(SALU_CYCLE_1)
	s_and_not1_b32 s76, s73, exec_lo
	s_and_b32 s74, s74, exec_lo
                                        ; implicit-def: $vgpr2_vgpr3
	s_or_b32 s74, s76, s74
.LBB51_1403:                            ;   in Loop: Header=BB51_17 Depth=1
	s_and_not1_saveexec_b32 s75, s75
	s_cbranch_execz .LBB51_1407
; %bb.1404:                             ;   in Loop: Header=BB51_17 Depth=1
	s_mov_b32 s76, s74
	s_mov_b32 s77, exec_lo
                                        ; implicit-def: $vgpr0
	v_cmpx_eq_u16_e32 11, v9
	s_cbranch_execz .LBB51_1406
; %bb.1405:                             ;   in Loop: Header=BB51_17 Depth=1
	flat_load_u8 v0, v[2:3]
	s_or_b32 s76, s74, exec_lo
	s_wait_loadcnt_dscnt 0x0
	v_cmp_ne_u16_e32 vcc_lo, 0, v0
	v_cndmask_b32_e64 v0, 0, 1.0, vcc_lo
.LBB51_1406:                            ;   in Loop: Header=BB51_17 Depth=1
	s_wait_xcnt 0x0
	s_or_b32 exec_lo, exec_lo, s77
	s_delay_alu instid0(SALU_CYCLE_1) | instskip(SKIP_1) | instid1(SALU_CYCLE_1)
	s_and_not1_b32 s74, s74, exec_lo
	s_and_b32 s76, s76, exec_lo
	s_or_b32 s74, s74, s76
.LBB51_1407:                            ;   in Loop: Header=BB51_17 Depth=1
	s_or_b32 exec_lo, exec_lo, s75
	s_delay_alu instid0(SALU_CYCLE_1) | instskip(SKIP_1) | instid1(SALU_CYCLE_1)
	s_and_not1_b32 s73, s73, exec_lo
	s_and_b32 s74, s74, exec_lo
	s_or_b32 s73, s73, s74
.LBB51_1408:                            ;   in Loop: Header=BB51_17 Depth=1
	s_or_b32 exec_lo, exec_lo, s72
	s_delay_alu instid0(SALU_CYCLE_1) | instskip(SKIP_1) | instid1(SALU_CYCLE_1)
	s_and_not1_b32 s63, s63, exec_lo
	s_and_b32 s72, s73, exec_lo
	s_or_b32 s63, s63, s72
.LBB51_1409:                            ;   in Loop: Header=BB51_17 Depth=1
	s_or_b32 exec_lo, exec_lo, s60
	s_delay_alu instid0(SALU_CYCLE_1)
	s_and_b32 s72, s63, exec_lo
                                        ; implicit-def: $vgpr2_vgpr3
.LBB51_1410:                            ;   in Loop: Header=BB51_17 Depth=1
	s_and_not1_saveexec_b32 s59, s59
	s_cbranch_execz .LBB51_1452
; %bb.1411:                             ;   in Loop: Header=BB51_17 Depth=1
	s_mov_b32 s60, exec_lo
                                        ; implicit-def: $vgpr0
	v_cmpx_lt_i16_e32 4, v9
	s_xor_b32 s60, exec_lo, s60
	s_cbranch_execz .LBB51_1433
; %bb.1412:                             ;   in Loop: Header=BB51_17 Depth=1
	s_mov_b32 s63, exec_lo
                                        ; implicit-def: $vgpr0
	v_cmpx_lt_i16_e32 7, v9
	s_xor_b32 s63, exec_lo, s63
	;; [unrolled: 6-line block ×4, first 2 shown]
	s_cbranch_execz .LBB51_1416
; %bb.1415:                             ;   in Loop: Header=BB51_17 Depth=1
	flat_load_b64 v[2:3], v[2:3]
	s_wait_loadcnt_dscnt 0x0
	v_cvt_f32_f64_e32 v0, v[2:3]
                                        ; implicit-def: $vgpr2_vgpr3
.LBB51_1416:                            ;   in Loop: Header=BB51_17 Depth=1
	s_wait_xcnt 0x0
	s_and_not1_saveexec_b32 s74, s74
	s_cbranch_execz .LBB51_1418
; %bb.1417:                             ;   in Loop: Header=BB51_17 Depth=1
	flat_load_b32 v0, v[2:3]
.LBB51_1418:                            ;   in Loop: Header=BB51_17 Depth=1
	s_wait_xcnt 0x0
	s_or_b32 exec_lo, exec_lo, s74
                                        ; implicit-def: $vgpr2_vgpr3
.LBB51_1419:                            ;   in Loop: Header=BB51_17 Depth=1
	s_and_not1_saveexec_b32 s73, s73
	s_cbranch_execz .LBB51_1421
; %bb.1420:                             ;   in Loop: Header=BB51_17 Depth=1
	s_wait_loadcnt_dscnt 0x0
	flat_load_b32 v0, v[2:3]
	s_wait_loadcnt_dscnt 0x0
	v_cvt_f32_f16_e32 v0, v0
.LBB51_1421:                            ;   in Loop: Header=BB51_17 Depth=1
	s_wait_xcnt 0x0
	s_or_b32 exec_lo, exec_lo, s73
                                        ; implicit-def: $vgpr2_vgpr3
.LBB51_1422:                            ;   in Loop: Header=BB51_17 Depth=1
	s_and_not1_saveexec_b32 s63, s63
	s_cbranch_execz .LBB51_1432
; %bb.1423:                             ;   in Loop: Header=BB51_17 Depth=1
	s_mov_b32 s73, exec_lo
                                        ; implicit-def: $vgpr0
	v_cmpx_lt_i16_e32 5, v9
	s_xor_b32 s73, exec_lo, s73
	s_cbranch_execz .LBB51_1429
; %bb.1424:                             ;   in Loop: Header=BB51_17 Depth=1
	s_mov_b32 s74, exec_lo
                                        ; implicit-def: $vgpr0
	v_cmpx_lt_i16_e32 6, v9
	s_xor_b32 s74, exec_lo, s74
	s_cbranch_execz .LBB51_1426
; %bb.1425:                             ;   in Loop: Header=BB51_17 Depth=1
	flat_load_b64 v[2:3], v[2:3]
	s_wait_loadcnt_dscnt 0x0
	v_cvt_f32_f64_e32 v0, v[2:3]
                                        ; implicit-def: $vgpr2_vgpr3
.LBB51_1426:                            ;   in Loop: Header=BB51_17 Depth=1
	s_wait_xcnt 0x0
	s_and_not1_saveexec_b32 s74, s74
	s_cbranch_execz .LBB51_1428
; %bb.1427:                             ;   in Loop: Header=BB51_17 Depth=1
	s_wait_loadcnt_dscnt 0x0
	flat_load_b32 v0, v[2:3]
.LBB51_1428:                            ;   in Loop: Header=BB51_17 Depth=1
	s_wait_xcnt 0x0
	s_or_b32 exec_lo, exec_lo, s74
                                        ; implicit-def: $vgpr2_vgpr3
.LBB51_1429:                            ;   in Loop: Header=BB51_17 Depth=1
	s_and_not1_saveexec_b32 s73, s73
	s_cbranch_execz .LBB51_1431
; %bb.1430:                             ;   in Loop: Header=BB51_17 Depth=1
	s_wait_loadcnt_dscnt 0x0
	flat_load_u16 v0, v[2:3]
	s_wait_loadcnt_dscnt 0x0
	v_cvt_f32_f16_e32 v0, v0
.LBB51_1431:                            ;   in Loop: Header=BB51_17 Depth=1
	s_wait_xcnt 0x0
	s_or_b32 exec_lo, exec_lo, s73
.LBB51_1432:                            ;   in Loop: Header=BB51_17 Depth=1
	s_delay_alu instid0(SALU_CYCLE_1)
	s_or_b32 exec_lo, exec_lo, s63
                                        ; implicit-def: $vgpr2_vgpr3
.LBB51_1433:                            ;   in Loop: Header=BB51_17 Depth=1
	s_and_not1_saveexec_b32 s60, s60
	s_cbranch_execz .LBB51_1451
; %bb.1434:                             ;   in Loop: Header=BB51_17 Depth=1
	s_mov_b32 s63, exec_lo
                                        ; implicit-def: $vgpr0
	v_cmpx_lt_i16_e32 1, v9
	s_xor_b32 s63, exec_lo, s63
	s_cbranch_execz .LBB51_1444
; %bb.1435:                             ;   in Loop: Header=BB51_17 Depth=1
	s_mov_b32 s73, exec_lo
                                        ; implicit-def: $vgpr0
	v_cmpx_lt_i16_e32 2, v9
	s_xor_b32 s73, exec_lo, s73
	;; [unrolled: 6-line block ×3, first 2 shown]
	s_cbranch_execz .LBB51_1438
; %bb.1437:                             ;   in Loop: Header=BB51_17 Depth=1
	flat_load_b64 v[2:3], v[2:3]
	s_wait_loadcnt_dscnt 0x0
	v_xor_b32_e32 v0, v2, v3
	v_cls_i32_e32 v19, v3
	s_delay_alu instid0(VALU_DEP_2) | instskip(NEXT) | instid1(VALU_DEP_1)
	v_ashrrev_i32_e32 v0, 31, v0
	v_add_nc_u32_e32 v0, 32, v0
	s_delay_alu instid0(VALU_DEP_1) | instskip(SKIP_1) | instid1(VALU_DEP_1)
	v_add_min_u32_e64 v0, v19, -1, v0
	s_wait_xcnt 0x0
	v_lshlrev_b64_e32 v[2:3], v0, v[2:3]
	v_sub_nc_u32_e32 v0, 32, v0
	s_delay_alu instid0(VALU_DEP_2) | instskip(NEXT) | instid1(VALU_DEP_1)
	v_min_u32_e32 v2, 1, v2
	v_or_b32_e32 v2, v3, v2
	s_delay_alu instid0(VALU_DEP_1) | instskip(NEXT) | instid1(VALU_DEP_1)
	v_cvt_f32_i32_e32 v2, v2
	v_ldexp_f32 v0, v2, v0
                                        ; implicit-def: $vgpr2_vgpr3
.LBB51_1438:                            ;   in Loop: Header=BB51_17 Depth=1
	s_and_not1_saveexec_b32 s74, s74
	s_cbranch_execz .LBB51_1440
; %bb.1439:                             ;   in Loop: Header=BB51_17 Depth=1
	s_wait_loadcnt_dscnt 0x0
	flat_load_b32 v0, v[2:3]
	s_wait_loadcnt_dscnt 0x0
	v_cvt_f32_i32_e32 v0, v0
.LBB51_1440:                            ;   in Loop: Header=BB51_17 Depth=1
	s_wait_xcnt 0x0
	s_or_b32 exec_lo, exec_lo, s74
                                        ; implicit-def: $vgpr2_vgpr3
.LBB51_1441:                            ;   in Loop: Header=BB51_17 Depth=1
	s_and_not1_saveexec_b32 s73, s73
	s_cbranch_execz .LBB51_1443
; %bb.1442:                             ;   in Loop: Header=BB51_17 Depth=1
	s_wait_loadcnt_dscnt 0x0
	flat_load_i16 v0, v[2:3]
	s_wait_loadcnt_dscnt 0x0
	v_cvt_f32_i32_e32 v0, v0
.LBB51_1443:                            ;   in Loop: Header=BB51_17 Depth=1
	s_wait_xcnt 0x0
	s_or_b32 exec_lo, exec_lo, s73
                                        ; implicit-def: $vgpr2_vgpr3
.LBB51_1444:                            ;   in Loop: Header=BB51_17 Depth=1
	s_and_not1_saveexec_b32 s63, s63
	s_cbranch_execz .LBB51_1450
; %bb.1445:                             ;   in Loop: Header=BB51_17 Depth=1
	s_mov_b32 s73, exec_lo
                                        ; implicit-def: $vgpr0
	v_cmpx_lt_i16_e32 0, v9
	s_xor_b32 s73, exec_lo, s73
	s_cbranch_execz .LBB51_1447
; %bb.1446:                             ;   in Loop: Header=BB51_17 Depth=1
	s_wait_loadcnt_dscnt 0x0
	flat_load_i8 v0, v[2:3]
                                        ; implicit-def: $vgpr2_vgpr3
	s_wait_loadcnt_dscnt 0x0
	v_cvt_f32_i32_e32 v0, v0
.LBB51_1447:                            ;   in Loop: Header=BB51_17 Depth=1
	s_wait_xcnt 0x0
	s_and_not1_saveexec_b32 s73, s73
	s_cbranch_execz .LBB51_1449
; %bb.1448:                             ;   in Loop: Header=BB51_17 Depth=1
	s_wait_loadcnt_dscnt 0x0
	flat_load_u8 v0, v[2:3]
	s_wait_loadcnt_dscnt 0x0
	v_cvt_f32_ubyte0_e32 v0, v0
.LBB51_1449:                            ;   in Loop: Header=BB51_17 Depth=1
	s_wait_xcnt 0x0
	s_or_b32 exec_lo, exec_lo, s73
.LBB51_1450:                            ;   in Loop: Header=BB51_17 Depth=1
	s_delay_alu instid0(SALU_CYCLE_1)
	s_or_b32 exec_lo, exec_lo, s63
.LBB51_1451:                            ;   in Loop: Header=BB51_17 Depth=1
	s_delay_alu instid0(SALU_CYCLE_1) | instskip(NEXT) | instid1(SALU_CYCLE_1)
	s_or_b32 exec_lo, exec_lo, s60
	s_or_b32 s72, s72, exec_lo
.LBB51_1452:                            ;   in Loop: Header=BB51_17 Depth=1
	s_or_b32 exec_lo, exec_lo, s59
	s_mov_b32 s59, -1
	s_mov_b32 s73, 0
	s_mov_b32 s60, 0
	s_and_saveexec_b32 s63, s72
	s_cbranch_execz .LBB51_1458
; %bb.1453:                             ;   in Loop: Header=BB51_17 Depth=1
	s_add_co_i32 s59, s33, s1
	s_mov_b32 s72, 0
	s_wait_loadcnt_dscnt 0x0
	scratch_store_b32 off, v0, s59 offset:100
	s_wait_xcnt 0x0
	v_mul_lo_u32 v0, v18, v12
	v_and_b32_e32 v18, 0xff, v10
	s_mov_b32 s60, exec_lo
	s_delay_alu instid0(VALU_DEP_2) | instskip(NEXT) | instid1(VALU_DEP_2)
	v_add_nc_u64_e32 v[2:3], v[6:7], v[0:1]
                                        ; implicit-def: $vgpr0
	v_cmpx_lt_i16_e32 10, v18
	s_xor_b32 s60, exec_lo, s60
	s_cbranch_execnz .LBB51_3130
; %bb.1454:                             ;   in Loop: Header=BB51_17 Depth=1
	s_and_not1_saveexec_b32 s60, s60
	s_cbranch_execnz .LBB51_3189
.LBB51_1455:                            ;   in Loop: Header=BB51_17 Depth=1
	s_or_b32 exec_lo, exec_lo, s60
	s_mov_b32 s73, 0
	s_and_saveexec_b32 s60, s72
	s_cbranch_execz .LBB51_1457
.LBB51_1456:                            ;   in Loop: Header=BB51_17 Depth=1
	v_add_nc_u32_e32 v16, 0x200, v16
	s_mov_b32 s73, exec_lo
	s_wait_loadcnt_dscnt 0x0
	scratch_store_b32 off, v0, s59 offset:96
.LBB51_1457:                            ;   in Loop: Header=BB51_17 Depth=1
	s_wait_xcnt 0x0
	s_or_b32 exec_lo, exec_lo, s60
	s_delay_alu instid0(SALU_CYCLE_1)
	s_mov_b32 s60, exec_lo
	s_xor_b32 s59, exec_lo, -1
	s_and_b32 s73, s73, exec_lo
.LBB51_1458:                            ;   in Loop: Header=BB51_17 Depth=1
	s_or_b32 exec_lo, exec_lo, s63
	s_delay_alu instid0(SALU_CYCLE_1)
	s_or_not1_b32 s63, s73, exec_lo
.LBB51_1459:                            ;   in Loop: Header=BB51_17 Depth=1
	s_or_b32 exec_lo, exec_lo, s61
	s_and_saveexec_b32 s61, s63
	s_cbranch_execz .LBB51_4
; %bb.1460:                             ;   in Loop: Header=BB51_17 Depth=1
	s_mov_b32 s73, -1
	s_mov_b32 s74, -1
	s_mov_b32 s72, exec_lo
                                        ; implicit-def: $sgpr62
                                        ; implicit-def: $sgpr63
	v_cmpx_lt_i32_e64 v16, v8
	s_cbranch_execz .LBB51_1570
; %bb.1461:                             ;   in Loop: Header=BB51_17 Depth=1
	v_add_nc_u32_e32 v18, s3, v16
	s_mov_b32 s75, 0
	s_mov_b32 s62, exec_lo
	s_wait_loadcnt_dscnt 0x0
	s_delay_alu instid0(VALU_DEP_1) | instskip(NEXT) | instid1(VALU_DEP_1)
	v_mul_lo_u32 v0, v18, v11
	v_add_nc_u64_e32 v[2:3], v[4:5], v[0:1]
                                        ; implicit-def: $vgpr0
	v_cmpx_lt_i16_e32 10, v9
	s_xor_b32 s62, exec_lo, s62
	s_cbranch_execz .LBB51_1521
; %bb.1462:                             ;   in Loop: Header=BB51_17 Depth=1
	s_mov_b32 s74, 0
	s_mov_b32 s63, exec_lo
                                        ; implicit-def: $vgpr0
	v_cmpx_lt_i16_e32 25, v9
	s_xor_b32 s63, exec_lo, s63
	s_cbranch_execz .LBB51_1494
; %bb.1463:                             ;   in Loop: Header=BB51_17 Depth=1
	s_mov_b32 s75, exec_lo
                                        ; implicit-def: $vgpr0
	v_cmpx_lt_i16_e32 28, v9
	s_xor_b32 s75, exec_lo, s75
	s_cbranch_execz .LBB51_1479
; %bb.1464:                             ;   in Loop: Header=BB51_17 Depth=1
	s_mov_b32 s76, 0
	s_mov_b32 s74, exec_lo
                                        ; implicit-def: $vgpr0
	v_cmpx_lt_i16_e32 43, v9
	s_xor_b32 s74, exec_lo, s74
	s_cbranch_execz .LBB51_1474
; %bb.1465:                             ;   in Loop: Header=BB51_17 Depth=1
	s_mov_b32 s77, exec_lo
                                        ; implicit-def: $vgpr0
	v_cmpx_lt_i16_e32 45, v9
	s_xor_b32 s77, exec_lo, s77
	s_cbranch_execz .LBB51_1469
; %bb.1466:                             ;   in Loop: Header=BB51_17 Depth=1
	s_mov_b32 s78, exec_lo
                                        ; implicit-def: $vgpr0
	v_cmpx_eq_u16_e32 46, v9
	s_cbranch_execz .LBB51_1468
; %bb.1467:                             ;   in Loop: Header=BB51_17 Depth=1
	flat_load_b32 v0, v[2:3]
	s_mov_b32 s76, exec_lo
	s_wait_loadcnt_dscnt 0x0
	v_lshlrev_b32_e32 v0, 16, v0
.LBB51_1468:                            ;   in Loop: Header=BB51_17 Depth=1
	s_wait_xcnt 0x0
	s_or_b32 exec_lo, exec_lo, s78
	s_delay_alu instid0(SALU_CYCLE_1)
	s_and_b32 s76, s76, exec_lo
                                        ; implicit-def: $vgpr2_vgpr3
.LBB51_1469:                            ;   in Loop: Header=BB51_17 Depth=1
	s_and_not1_saveexec_b32 s77, s77
	s_cbranch_execz .LBB51_1473
; %bb.1470:                             ;   in Loop: Header=BB51_17 Depth=1
	s_mov_b32 s79, s76
	s_mov_b32 s78, exec_lo
                                        ; implicit-def: $vgpr0
	v_cmpx_eq_u16_e32 44, v9
	s_cbranch_execz .LBB51_1472
; %bb.1471:                             ;   in Loop: Header=BB51_17 Depth=1
	flat_load_u8 v0, v[2:3]
	s_or_b32 s79, s76, exec_lo
	s_wait_loadcnt_dscnt 0x0
	v_lshlrev_b32_e32 v2, 23, v0
	v_cmp_ne_u32_e32 vcc_lo, 0xff, v0
	s_delay_alu instid0(VALU_DEP_2) | instskip(SKIP_1) | instid1(VALU_DEP_2)
	v_cndmask_b32_e32 v2, 0x7f800001, v2, vcc_lo
	v_cmp_ne_u32_e32 vcc_lo, 0, v0
	v_cndmask_b32_e32 v0, 0x400000, v2, vcc_lo
.LBB51_1472:                            ;   in Loop: Header=BB51_17 Depth=1
	s_or_b32 exec_lo, exec_lo, s78
	s_delay_alu instid0(SALU_CYCLE_1) | instskip(SKIP_1) | instid1(SALU_CYCLE_1)
	s_and_not1_b32 s76, s76, exec_lo
	s_and_b32 s78, s79, exec_lo
	s_or_b32 s76, s76, s78
.LBB51_1473:                            ;   in Loop: Header=BB51_17 Depth=1
	s_or_b32 exec_lo, exec_lo, s77
	s_delay_alu instid0(SALU_CYCLE_1)
	s_and_b32 s76, s76, exec_lo
                                        ; implicit-def: $vgpr2_vgpr3
.LBB51_1474:                            ;   in Loop: Header=BB51_17 Depth=1
	s_and_not1_saveexec_b32 s74, s74
	s_cbranch_execz .LBB51_1478
; %bb.1475:                             ;   in Loop: Header=BB51_17 Depth=1
	s_mov_b32 s78, s76
	s_mov_b32 s77, exec_lo
                                        ; implicit-def: $vgpr0
	v_cmpx_eq_u16_e32 29, v9
	s_cbranch_execz .LBB51_1477
; %bb.1476:                             ;   in Loop: Header=BB51_17 Depth=1
	flat_load_b64 v[2:3], v[2:3]
	s_or_b32 s78, s76, exec_lo
	s_wait_loadcnt_dscnt 0x0
	v_clz_i32_u32_e32 v0, v3
	s_delay_alu instid0(VALU_DEP_1) | instskip(SKIP_1) | instid1(VALU_DEP_1)
	v_min_u32_e32 v0, 32, v0
	s_wait_xcnt 0x0
	v_lshlrev_b64_e32 v[2:3], v0, v[2:3]
	v_sub_nc_u32_e32 v0, 32, v0
	s_delay_alu instid0(VALU_DEP_2) | instskip(NEXT) | instid1(VALU_DEP_1)
	v_min_u32_e32 v2, 1, v2
	v_or_b32_e32 v2, v3, v2
	s_delay_alu instid0(VALU_DEP_1) | instskip(NEXT) | instid1(VALU_DEP_1)
	v_cvt_f32_u32_e32 v2, v2
	v_ldexp_f32 v0, v2, v0
.LBB51_1477:                            ;   in Loop: Header=BB51_17 Depth=1
	s_or_b32 exec_lo, exec_lo, s77
	s_delay_alu instid0(SALU_CYCLE_1) | instskip(SKIP_1) | instid1(SALU_CYCLE_1)
	s_and_not1_b32 s76, s76, exec_lo
	s_and_b32 s77, s78, exec_lo
	s_or_b32 s76, s76, s77
.LBB51_1478:                            ;   in Loop: Header=BB51_17 Depth=1
	s_or_b32 exec_lo, exec_lo, s74
	s_delay_alu instid0(SALU_CYCLE_1)
	s_and_b32 s74, s76, exec_lo
                                        ; implicit-def: $vgpr2_vgpr3
.LBB51_1479:                            ;   in Loop: Header=BB51_17 Depth=1
	s_and_not1_saveexec_b32 s75, s75
	s_cbranch_execz .LBB51_1493
; %bb.1480:                             ;   in Loop: Header=BB51_17 Depth=1
	s_mov_b32 s76, exec_lo
                                        ; implicit-def: $vgpr0
	v_cmpx_lt_i16_e32 26, v9
	s_xor_b32 s76, exec_lo, s76
	s_cbranch_execz .LBB51_1486
; %bb.1481:                             ;   in Loop: Header=BB51_17 Depth=1
	s_mov_b32 s77, exec_lo
                                        ; implicit-def: $vgpr0
	v_cmpx_lt_i16_e32 27, v9
	s_xor_b32 s77, exec_lo, s77
	s_cbranch_execz .LBB51_1483
; %bb.1482:                             ;   in Loop: Header=BB51_17 Depth=1
	flat_load_b32 v0, v[2:3]
                                        ; implicit-def: $vgpr2_vgpr3
	s_wait_loadcnt_dscnt 0x0
	v_cvt_f32_u32_e32 v0, v0
.LBB51_1483:                            ;   in Loop: Header=BB51_17 Depth=1
	s_wait_xcnt 0x0
	s_and_not1_saveexec_b32 s77, s77
	s_cbranch_execz .LBB51_1485
; %bb.1484:                             ;   in Loop: Header=BB51_17 Depth=1
	flat_load_u16 v0, v[2:3]
	s_wait_loadcnt_dscnt 0x0
	v_cvt_f32_u32_e32 v0, v0
.LBB51_1485:                            ;   in Loop: Header=BB51_17 Depth=1
	s_wait_xcnt 0x0
	s_or_b32 exec_lo, exec_lo, s77
                                        ; implicit-def: $vgpr2_vgpr3
.LBB51_1486:                            ;   in Loop: Header=BB51_17 Depth=1
	s_and_not1_saveexec_b32 s76, s76
	s_cbranch_execz .LBB51_1492
; %bb.1487:                             ;   in Loop: Header=BB51_17 Depth=1
	flat_load_u8 v2, v[2:3]
	s_mov_b32 s77, 0
	s_mov_b32 s78, exec_lo
	s_wait_loadcnt_dscnt 0x0
	v_cmpx_lt_i16_e32 0x7f, v2
	s_xor_b32 s78, exec_lo, s78
	s_cbranch_execnz .LBB51_3590
; %bb.1488:                             ;   in Loop: Header=BB51_17 Depth=1
	s_or_saveexec_b32 s78, s78
	v_mov_b32_e32 v0, 0x7f800001
	s_xor_b32 exec_lo, exec_lo, s78
	s_cbranch_execnz .LBB51_3593
.LBB51_1489:                            ;   in Loop: Header=BB51_17 Depth=1
	s_or_b32 exec_lo, exec_lo, s78
	s_and_saveexec_b32 s78, s77
	s_cbranch_execz .LBB51_1491
.LBB51_1490:                            ;   in Loop: Header=BB51_17 Depth=1
	v_and_b32_e32 v0, 0xffff, v2
	s_delay_alu instid0(VALU_DEP_1) | instskip(SKIP_1) | instid1(VALU_DEP_2)
	v_and_b32_e32 v3, 7, v0
	v_bfe_u32 v21, v0, 3, 4
	v_clz_i32_u32_e32 v19, v3
	s_delay_alu instid0(VALU_DEP_2) | instskip(NEXT) | instid1(VALU_DEP_2)
	v_cmp_eq_u32_e32 vcc_lo, 0, v21
	v_min_u32_e32 v19, 32, v19
	s_delay_alu instid0(VALU_DEP_1) | instskip(NEXT) | instid1(VALU_DEP_1)
	v_subrev_nc_u32_e32 v20, 28, v19
	v_dual_lshlrev_b32 v0, v20, v0 :: v_dual_sub_nc_u32 v19, 29, v19
	s_delay_alu instid0(VALU_DEP_1) | instskip(NEXT) | instid1(VALU_DEP_1)
	v_dual_lshlrev_b32 v2, 24, v2 :: v_dual_bitop2_b32 v0, 7, v0 bitop3:0x40
	v_dual_cndmask_b32 v19, v21, v19 :: v_dual_cndmask_b32 v0, v3, v0
	s_delay_alu instid0(VALU_DEP_2) | instskip(NEXT) | instid1(VALU_DEP_2)
	v_and_b32_e32 v2, 0x80000000, v2
	v_lshl_add_u32 v3, v19, 23, 0x3b800000
	s_delay_alu instid0(VALU_DEP_3) | instskip(NEXT) | instid1(VALU_DEP_1)
	v_lshlrev_b32_e32 v0, 20, v0
	v_or3_b32 v0, v2, v3, v0
.LBB51_1491:                            ;   in Loop: Header=BB51_17 Depth=1
	s_or_b32 exec_lo, exec_lo, s78
.LBB51_1492:                            ;   in Loop: Header=BB51_17 Depth=1
	s_delay_alu instid0(SALU_CYCLE_1) | instskip(NEXT) | instid1(SALU_CYCLE_1)
	s_or_b32 exec_lo, exec_lo, s76
	s_or_b32 s74, s74, exec_lo
.LBB51_1493:                            ;   in Loop: Header=BB51_17 Depth=1
	s_or_b32 exec_lo, exec_lo, s75
	s_delay_alu instid0(SALU_CYCLE_1)
	s_and_b32 s74, s74, exec_lo
                                        ; implicit-def: $vgpr2_vgpr3
.LBB51_1494:                            ;   in Loop: Header=BB51_17 Depth=1
	s_and_not1_saveexec_b32 s63, s63
	s_cbranch_execz .LBB51_1520
; %bb.1495:                             ;   in Loop: Header=BB51_17 Depth=1
	s_mov_b32 s76, s74
	s_mov_b32 s75, exec_lo
                                        ; implicit-def: $vgpr0
	v_cmpx_lt_i16_e32 22, v9
	s_xor_b32 s75, exec_lo, s75
	s_cbranch_execz .LBB51_1509
; %bb.1496:                             ;   in Loop: Header=BB51_17 Depth=1
	s_mov_b32 s76, exec_lo
                                        ; implicit-def: $vgpr0
	v_cmpx_lt_i16_e32 23, v9
	s_xor_b32 s76, exec_lo, s76
	s_cbranch_execz .LBB51_1506
; %bb.1497:                             ;   in Loop: Header=BB51_17 Depth=1
	;; [unrolled: 6-line block ×3, first 2 shown]
	flat_load_u8 v2, v[2:3]
	s_mov_b32 s78, 0
	s_mov_b32 s79, exec_lo
	s_wait_loadcnt_dscnt 0x0
	v_cmpx_lt_i16_e32 0x7f, v2
	s_xor_b32 s79, exec_lo, s79
	s_cbranch_execnz .LBB51_3602
; %bb.1499:                             ;   in Loop: Header=BB51_17 Depth=1
	s_or_saveexec_b32 s79, s79
	v_mov_b32_e32 v0, 0x7f800001
	s_xor_b32 exec_lo, exec_lo, s79
	s_cbranch_execnz .LBB51_3605
.LBB51_1500:                            ;   in Loop: Header=BB51_17 Depth=1
	s_or_b32 exec_lo, exec_lo, s79
	s_and_saveexec_b32 s79, s78
	s_cbranch_execz .LBB51_1502
.LBB51_1501:                            ;   in Loop: Header=BB51_17 Depth=1
	v_and_b32_e32 v0, 0xffff, v2
	s_delay_alu instid0(VALU_DEP_1) | instskip(SKIP_1) | instid1(VALU_DEP_2)
	v_and_b32_e32 v3, 3, v0
	v_bfe_u32 v21, v0, 2, 5
	v_clz_i32_u32_e32 v19, v3
	s_delay_alu instid0(VALU_DEP_2) | instskip(NEXT) | instid1(VALU_DEP_2)
	v_cmp_eq_u32_e32 vcc_lo, 0, v21
	v_min_u32_e32 v19, 32, v19
	s_delay_alu instid0(VALU_DEP_1) | instskip(NEXT) | instid1(VALU_DEP_1)
	v_subrev_nc_u32_e32 v20, 29, v19
	v_dual_lshlrev_b32 v0, v20, v0 :: v_dual_sub_nc_u32 v19, 30, v19
	s_delay_alu instid0(VALU_DEP_1) | instskip(NEXT) | instid1(VALU_DEP_1)
	v_dual_lshlrev_b32 v2, 24, v2 :: v_dual_bitop2_b32 v0, 3, v0 bitop3:0x40
	v_dual_cndmask_b32 v19, v21, v19 :: v_dual_cndmask_b32 v0, v3, v0
	s_delay_alu instid0(VALU_DEP_2) | instskip(NEXT) | instid1(VALU_DEP_2)
	v_and_b32_e32 v2, 0x80000000, v2
	v_lshl_add_u32 v3, v19, 23, 0x37800000
	s_delay_alu instid0(VALU_DEP_3) | instskip(NEXT) | instid1(VALU_DEP_1)
	v_lshlrev_b32_e32 v0, 21, v0
	v_or3_b32 v0, v2, v3, v0
.LBB51_1502:                            ;   in Loop: Header=BB51_17 Depth=1
	s_or_b32 exec_lo, exec_lo, s79
                                        ; implicit-def: $vgpr2_vgpr3
.LBB51_1503:                            ;   in Loop: Header=BB51_17 Depth=1
	s_and_not1_saveexec_b32 s77, s77
	s_cbranch_execz .LBB51_1505
; %bb.1504:                             ;   in Loop: Header=BB51_17 Depth=1
	flat_load_u8 v0, v[2:3]
	s_wait_loadcnt_dscnt 0x0
	v_lshlrev_b32_e32 v0, 24, v0
	s_wait_xcnt 0x0
	s_delay_alu instid0(VALU_DEP_1) | instskip(NEXT) | instid1(VALU_DEP_1)
	v_and_b32_e32 v2, 0x7f000000, v0
	v_clz_i32_u32_e32 v3, v2
	v_add_nc_u32_e32 v20, 0x1000000, v2
	v_cmp_ne_u32_e32 vcc_lo, 0, v2
	s_delay_alu instid0(VALU_DEP_3) | instskip(NEXT) | instid1(VALU_DEP_1)
	v_min_u32_e32 v3, 32, v3
	v_sub_nc_u32_e64 v3, v3, 4 clamp
	s_delay_alu instid0(VALU_DEP_1) | instskip(NEXT) | instid1(VALU_DEP_1)
	v_dual_lshlrev_b32 v19, v3, v2 :: v_dual_lshlrev_b32 v3, 23, v3
	v_lshrrev_b32_e32 v19, 4, v19
	s_delay_alu instid0(VALU_DEP_1) | instskip(NEXT) | instid1(VALU_DEP_1)
	v_dual_sub_nc_u32 v3, v19, v3 :: v_dual_ashrrev_i32 v19, 8, v20
	v_add_nc_u32_e32 v3, 0x3c000000, v3
	s_delay_alu instid0(VALU_DEP_1) | instskip(NEXT) | instid1(VALU_DEP_1)
	v_and_or_b32 v3, 0x7f800000, v19, v3
	v_cndmask_b32_e32 v2, 0, v3, vcc_lo
	s_delay_alu instid0(VALU_DEP_1)
	v_and_or_b32 v0, 0x80000000, v0, v2
.LBB51_1505:                            ;   in Loop: Header=BB51_17 Depth=1
	s_or_b32 exec_lo, exec_lo, s77
                                        ; implicit-def: $vgpr2_vgpr3
.LBB51_1506:                            ;   in Loop: Header=BB51_17 Depth=1
	s_and_not1_saveexec_b32 s76, s76
	s_cbranch_execz .LBB51_1508
; %bb.1507:                             ;   in Loop: Header=BB51_17 Depth=1
	flat_load_u8 v0, v[2:3]
	s_wait_loadcnt_dscnt 0x0
	v_lshlrev_b32_e32 v2, 25, v0
	v_lshlrev_b16 v0, 8, v0
	s_delay_alu instid0(VALU_DEP_1) | instskip(SKIP_1) | instid1(VALU_DEP_2)
	v_and_or_b32 v19, 0x7f00, v0, 0.5
	v_bfe_i32 v0, v0, 0, 16
	v_dual_add_f32 v19, -0.5, v19 :: v_dual_lshrrev_b32 v3, 4, v2
	v_cmp_gt_u32_e32 vcc_lo, 0x8000000, v2
	s_delay_alu instid0(VALU_DEP_2) | instskip(NEXT) | instid1(VALU_DEP_1)
	v_or_b32_e32 v3, 0x70000000, v3
	v_mul_f32_e32 v3, 0x7800000, v3
	s_delay_alu instid0(VALU_DEP_1) | instskip(NEXT) | instid1(VALU_DEP_1)
	v_cndmask_b32_e32 v2, v3, v19, vcc_lo
	v_and_or_b32 v0, 0x80000000, v0, v2
.LBB51_1508:                            ;   in Loop: Header=BB51_17 Depth=1
	s_or_b32 exec_lo, exec_lo, s76
	s_delay_alu instid0(SALU_CYCLE_1)
	s_or_b32 s76, s74, exec_lo
                                        ; implicit-def: $vgpr2_vgpr3
.LBB51_1509:                            ;   in Loop: Header=BB51_17 Depth=1
	s_and_not1_saveexec_b32 s75, s75
	s_cbranch_execz .LBB51_1519
; %bb.1510:                             ;   in Loop: Header=BB51_17 Depth=1
	s_mov_b32 s77, s76
	s_mov_b32 s78, exec_lo
                                        ; implicit-def: $vgpr0
	v_cmpx_lt_i16_e32 14, v9
	s_xor_b32 s78, exec_lo, s78
	s_cbranch_execz .LBB51_1514
; %bb.1511:                             ;   in Loop: Header=BB51_17 Depth=1
	s_mov_b32 s77, s76
	s_mov_b32 s79, exec_lo
                                        ; implicit-def: $vgpr0
	v_cmpx_eq_u16_e32 15, v9
	s_cbranch_execz .LBB51_1513
; %bb.1512:                             ;   in Loop: Header=BB51_17 Depth=1
	flat_load_u16 v0, v[2:3]
	s_or_b32 s77, s76, exec_lo
	s_wait_loadcnt_dscnt 0x0
	v_lshlrev_b32_e32 v0, 16, v0
.LBB51_1513:                            ;   in Loop: Header=BB51_17 Depth=1
	s_wait_xcnt 0x0
	s_or_b32 exec_lo, exec_lo, s79
	s_delay_alu instid0(SALU_CYCLE_1) | instskip(SKIP_1) | instid1(SALU_CYCLE_1)
	s_and_not1_b32 s79, s76, exec_lo
	s_and_b32 s77, s77, exec_lo
                                        ; implicit-def: $vgpr2_vgpr3
	s_or_b32 s77, s79, s77
.LBB51_1514:                            ;   in Loop: Header=BB51_17 Depth=1
	s_and_not1_saveexec_b32 s78, s78
	s_cbranch_execz .LBB51_1518
; %bb.1515:                             ;   in Loop: Header=BB51_17 Depth=1
	s_mov_b32 s79, s77
	s_mov_b32 s88, exec_lo
                                        ; implicit-def: $vgpr0
	v_cmpx_eq_u16_e32 11, v9
	s_cbranch_execz .LBB51_1517
; %bb.1516:                             ;   in Loop: Header=BB51_17 Depth=1
	flat_load_u8 v0, v[2:3]
	s_or_b32 s79, s77, exec_lo
	s_wait_loadcnt_dscnt 0x0
	v_cmp_ne_u16_e32 vcc_lo, 0, v0
	v_cndmask_b32_e64 v0, 0, 1.0, vcc_lo
.LBB51_1517:                            ;   in Loop: Header=BB51_17 Depth=1
	s_wait_xcnt 0x0
	s_or_b32 exec_lo, exec_lo, s88
	s_delay_alu instid0(SALU_CYCLE_1) | instskip(SKIP_1) | instid1(SALU_CYCLE_1)
	s_and_not1_b32 s77, s77, exec_lo
	s_and_b32 s79, s79, exec_lo
	s_or_b32 s77, s77, s79
.LBB51_1518:                            ;   in Loop: Header=BB51_17 Depth=1
	s_or_b32 exec_lo, exec_lo, s78
	s_delay_alu instid0(SALU_CYCLE_1) | instskip(SKIP_1) | instid1(SALU_CYCLE_1)
	s_and_not1_b32 s76, s76, exec_lo
	s_and_b32 s77, s77, exec_lo
	s_or_b32 s76, s76, s77
.LBB51_1519:                            ;   in Loop: Header=BB51_17 Depth=1
	s_or_b32 exec_lo, exec_lo, s75
	s_delay_alu instid0(SALU_CYCLE_1) | instskip(SKIP_1) | instid1(SALU_CYCLE_1)
	s_and_not1_b32 s74, s74, exec_lo
	s_and_b32 s75, s76, exec_lo
	s_or_b32 s74, s74, s75
.LBB51_1520:                            ;   in Loop: Header=BB51_17 Depth=1
	s_or_b32 exec_lo, exec_lo, s63
	s_delay_alu instid0(SALU_CYCLE_1)
	s_and_b32 s75, s74, exec_lo
                                        ; implicit-def: $vgpr2_vgpr3
.LBB51_1521:                            ;   in Loop: Header=BB51_17 Depth=1
	s_and_not1_saveexec_b32 s62, s62
	s_cbranch_execz .LBB51_1563
; %bb.1522:                             ;   in Loop: Header=BB51_17 Depth=1
	s_mov_b32 s63, exec_lo
                                        ; implicit-def: $vgpr0
	v_cmpx_lt_i16_e32 4, v9
	s_xor_b32 s63, exec_lo, s63
	s_cbranch_execz .LBB51_1544
; %bb.1523:                             ;   in Loop: Header=BB51_17 Depth=1
	s_mov_b32 s74, exec_lo
                                        ; implicit-def: $vgpr0
	v_cmpx_lt_i16_e32 7, v9
	s_xor_b32 s74, exec_lo, s74
	s_cbranch_execz .LBB51_1533
; %bb.1524:                             ;   in Loop: Header=BB51_17 Depth=1
	s_mov_b32 s76, exec_lo
                                        ; implicit-def: $vgpr0
	v_cmpx_lt_i16_e32 8, v9
	s_xor_b32 s76, exec_lo, s76
	s_cbranch_execz .LBB51_1530
; %bb.1525:                             ;   in Loop: Header=BB51_17 Depth=1
	s_mov_b32 s77, exec_lo
                                        ; implicit-def: $vgpr0
	v_cmpx_lt_i16_e32 9, v9
	s_xor_b32 s77, exec_lo, s77
	s_cbranch_execz .LBB51_1527
; %bb.1526:                             ;   in Loop: Header=BB51_17 Depth=1
	flat_load_b64 v[2:3], v[2:3]
	s_wait_loadcnt_dscnt 0x0
	v_cvt_f32_f64_e32 v0, v[2:3]
                                        ; implicit-def: $vgpr2_vgpr3
.LBB51_1527:                            ;   in Loop: Header=BB51_17 Depth=1
	s_wait_xcnt 0x0
	s_and_not1_saveexec_b32 s77, s77
	s_cbranch_execz .LBB51_1529
; %bb.1528:                             ;   in Loop: Header=BB51_17 Depth=1
	flat_load_b32 v0, v[2:3]
.LBB51_1529:                            ;   in Loop: Header=BB51_17 Depth=1
	s_wait_xcnt 0x0
	s_or_b32 exec_lo, exec_lo, s77
                                        ; implicit-def: $vgpr2_vgpr3
.LBB51_1530:                            ;   in Loop: Header=BB51_17 Depth=1
	s_and_not1_saveexec_b32 s76, s76
	s_cbranch_execz .LBB51_1532
; %bb.1531:                             ;   in Loop: Header=BB51_17 Depth=1
	s_wait_loadcnt_dscnt 0x0
	flat_load_b32 v0, v[2:3]
	s_wait_loadcnt_dscnt 0x0
	v_cvt_f32_f16_e32 v0, v0
.LBB51_1532:                            ;   in Loop: Header=BB51_17 Depth=1
	s_wait_xcnt 0x0
	s_or_b32 exec_lo, exec_lo, s76
                                        ; implicit-def: $vgpr2_vgpr3
.LBB51_1533:                            ;   in Loop: Header=BB51_17 Depth=1
	s_and_not1_saveexec_b32 s74, s74
	s_cbranch_execz .LBB51_1543
; %bb.1534:                             ;   in Loop: Header=BB51_17 Depth=1
	s_mov_b32 s76, exec_lo
                                        ; implicit-def: $vgpr0
	v_cmpx_lt_i16_e32 5, v9
	s_xor_b32 s76, exec_lo, s76
	s_cbranch_execz .LBB51_1540
; %bb.1535:                             ;   in Loop: Header=BB51_17 Depth=1
	s_mov_b32 s77, exec_lo
                                        ; implicit-def: $vgpr0
	v_cmpx_lt_i16_e32 6, v9
	s_xor_b32 s77, exec_lo, s77
	s_cbranch_execz .LBB51_1537
; %bb.1536:                             ;   in Loop: Header=BB51_17 Depth=1
	flat_load_b64 v[2:3], v[2:3]
	s_wait_loadcnt_dscnt 0x0
	v_cvt_f32_f64_e32 v0, v[2:3]
                                        ; implicit-def: $vgpr2_vgpr3
.LBB51_1537:                            ;   in Loop: Header=BB51_17 Depth=1
	s_wait_xcnt 0x0
	s_and_not1_saveexec_b32 s77, s77
	s_cbranch_execz .LBB51_1539
; %bb.1538:                             ;   in Loop: Header=BB51_17 Depth=1
	s_wait_loadcnt_dscnt 0x0
	flat_load_b32 v0, v[2:3]
.LBB51_1539:                            ;   in Loop: Header=BB51_17 Depth=1
	s_wait_xcnt 0x0
	s_or_b32 exec_lo, exec_lo, s77
                                        ; implicit-def: $vgpr2_vgpr3
.LBB51_1540:                            ;   in Loop: Header=BB51_17 Depth=1
	s_and_not1_saveexec_b32 s76, s76
	s_cbranch_execz .LBB51_1542
; %bb.1541:                             ;   in Loop: Header=BB51_17 Depth=1
	s_wait_loadcnt_dscnt 0x0
	flat_load_u16 v0, v[2:3]
	s_wait_loadcnt_dscnt 0x0
	v_cvt_f32_f16_e32 v0, v0
.LBB51_1542:                            ;   in Loop: Header=BB51_17 Depth=1
	s_wait_xcnt 0x0
	s_or_b32 exec_lo, exec_lo, s76
.LBB51_1543:                            ;   in Loop: Header=BB51_17 Depth=1
	s_delay_alu instid0(SALU_CYCLE_1)
	s_or_b32 exec_lo, exec_lo, s74
                                        ; implicit-def: $vgpr2_vgpr3
.LBB51_1544:                            ;   in Loop: Header=BB51_17 Depth=1
	s_and_not1_saveexec_b32 s63, s63
	s_cbranch_execz .LBB51_1562
; %bb.1545:                             ;   in Loop: Header=BB51_17 Depth=1
	s_mov_b32 s74, exec_lo
                                        ; implicit-def: $vgpr0
	v_cmpx_lt_i16_e32 1, v9
	s_xor_b32 s74, exec_lo, s74
	s_cbranch_execz .LBB51_1555
; %bb.1546:                             ;   in Loop: Header=BB51_17 Depth=1
	s_mov_b32 s76, exec_lo
                                        ; implicit-def: $vgpr0
	v_cmpx_lt_i16_e32 2, v9
	s_xor_b32 s76, exec_lo, s76
	;; [unrolled: 6-line block ×3, first 2 shown]
	s_cbranch_execz .LBB51_1549
; %bb.1548:                             ;   in Loop: Header=BB51_17 Depth=1
	flat_load_b64 v[2:3], v[2:3]
	s_wait_loadcnt_dscnt 0x0
	v_xor_b32_e32 v0, v2, v3
	v_cls_i32_e32 v19, v3
	s_delay_alu instid0(VALU_DEP_2) | instskip(NEXT) | instid1(VALU_DEP_1)
	v_ashrrev_i32_e32 v0, 31, v0
	v_add_nc_u32_e32 v0, 32, v0
	s_delay_alu instid0(VALU_DEP_1) | instskip(SKIP_1) | instid1(VALU_DEP_1)
	v_add_min_u32_e64 v0, v19, -1, v0
	s_wait_xcnt 0x0
	v_lshlrev_b64_e32 v[2:3], v0, v[2:3]
	v_sub_nc_u32_e32 v0, 32, v0
	s_delay_alu instid0(VALU_DEP_2) | instskip(NEXT) | instid1(VALU_DEP_1)
	v_min_u32_e32 v2, 1, v2
	v_or_b32_e32 v2, v3, v2
	s_delay_alu instid0(VALU_DEP_1) | instskip(NEXT) | instid1(VALU_DEP_1)
	v_cvt_f32_i32_e32 v2, v2
	v_ldexp_f32 v0, v2, v0
                                        ; implicit-def: $vgpr2_vgpr3
.LBB51_1549:                            ;   in Loop: Header=BB51_17 Depth=1
	s_and_not1_saveexec_b32 s77, s77
	s_cbranch_execz .LBB51_1551
; %bb.1550:                             ;   in Loop: Header=BB51_17 Depth=1
	s_wait_loadcnt_dscnt 0x0
	flat_load_b32 v0, v[2:3]
	s_wait_loadcnt_dscnt 0x0
	v_cvt_f32_i32_e32 v0, v0
.LBB51_1551:                            ;   in Loop: Header=BB51_17 Depth=1
	s_wait_xcnt 0x0
	s_or_b32 exec_lo, exec_lo, s77
                                        ; implicit-def: $vgpr2_vgpr3
.LBB51_1552:                            ;   in Loop: Header=BB51_17 Depth=1
	s_and_not1_saveexec_b32 s76, s76
	s_cbranch_execz .LBB51_1554
; %bb.1553:                             ;   in Loop: Header=BB51_17 Depth=1
	s_wait_loadcnt_dscnt 0x0
	flat_load_i16 v0, v[2:3]
	s_wait_loadcnt_dscnt 0x0
	v_cvt_f32_i32_e32 v0, v0
.LBB51_1554:                            ;   in Loop: Header=BB51_17 Depth=1
	s_wait_xcnt 0x0
	s_or_b32 exec_lo, exec_lo, s76
                                        ; implicit-def: $vgpr2_vgpr3
.LBB51_1555:                            ;   in Loop: Header=BB51_17 Depth=1
	s_and_not1_saveexec_b32 s74, s74
	s_cbranch_execz .LBB51_1561
; %bb.1556:                             ;   in Loop: Header=BB51_17 Depth=1
	s_mov_b32 s76, exec_lo
                                        ; implicit-def: $vgpr0
	v_cmpx_lt_i16_e32 0, v9
	s_xor_b32 s76, exec_lo, s76
	s_cbranch_execz .LBB51_1558
; %bb.1557:                             ;   in Loop: Header=BB51_17 Depth=1
	s_wait_loadcnt_dscnt 0x0
	flat_load_i8 v0, v[2:3]
                                        ; implicit-def: $vgpr2_vgpr3
	s_wait_loadcnt_dscnt 0x0
	v_cvt_f32_i32_e32 v0, v0
.LBB51_1558:                            ;   in Loop: Header=BB51_17 Depth=1
	s_wait_xcnt 0x0
	s_and_not1_saveexec_b32 s76, s76
	s_cbranch_execz .LBB51_1560
; %bb.1559:                             ;   in Loop: Header=BB51_17 Depth=1
	s_wait_loadcnt_dscnt 0x0
	flat_load_u8 v0, v[2:3]
	s_wait_loadcnt_dscnt 0x0
	v_cvt_f32_ubyte0_e32 v0, v0
.LBB51_1560:                            ;   in Loop: Header=BB51_17 Depth=1
	s_wait_xcnt 0x0
	s_or_b32 exec_lo, exec_lo, s76
.LBB51_1561:                            ;   in Loop: Header=BB51_17 Depth=1
	s_delay_alu instid0(SALU_CYCLE_1)
	s_or_b32 exec_lo, exec_lo, s74
.LBB51_1562:                            ;   in Loop: Header=BB51_17 Depth=1
	s_delay_alu instid0(SALU_CYCLE_1) | instskip(NEXT) | instid1(SALU_CYCLE_1)
	s_or_b32 exec_lo, exec_lo, s63
	s_or_b32 s75, s75, exec_lo
.LBB51_1563:                            ;   in Loop: Header=BB51_17 Depth=1
	s_or_b32 exec_lo, exec_lo, s62
	s_mov_b32 s62, -1
	s_mov_b32 s76, 0
	s_mov_b32 s63, 0
	s_and_saveexec_b32 s74, s75
	s_cbranch_execz .LBB51_1569
; %bb.1564:                             ;   in Loop: Header=BB51_17 Depth=1
	s_add_co_i32 s62, s33, s1
	s_mov_b32 s75, 0
	s_wait_loadcnt_dscnt 0x0
	scratch_store_b32 off, v0, s62 offset:108
	s_wait_xcnt 0x0
	v_mul_lo_u32 v0, v18, v12
	v_and_b32_e32 v18, 0xff, v10
	s_mov_b32 s63, exec_lo
	s_delay_alu instid0(VALU_DEP_2) | instskip(NEXT) | instid1(VALU_DEP_2)
	v_add_nc_u64_e32 v[2:3], v[6:7], v[0:1]
                                        ; implicit-def: $vgpr0
	v_cmpx_lt_i16_e32 10, v18
	s_xor_b32 s63, exec_lo, s63
	s_cbranch_execnz .LBB51_3246
; %bb.1565:                             ;   in Loop: Header=BB51_17 Depth=1
	s_and_not1_saveexec_b32 s63, s63
	s_cbranch_execnz .LBB51_3305
.LBB51_1566:                            ;   in Loop: Header=BB51_17 Depth=1
	s_or_b32 exec_lo, exec_lo, s63
	s_mov_b32 s76, 0
	s_and_saveexec_b32 s63, s75
	s_cbranch_execz .LBB51_1568
.LBB51_1567:                            ;   in Loop: Header=BB51_17 Depth=1
	v_add_nc_u32_e32 v16, 0x200, v16
	s_mov_b32 s76, exec_lo
	s_wait_loadcnt_dscnt 0x0
	scratch_store_b32 off, v0, s62 offset:104
.LBB51_1568:                            ;   in Loop: Header=BB51_17 Depth=1
	s_wait_xcnt 0x0
	s_or_b32 exec_lo, exec_lo, s63
	s_delay_alu instid0(SALU_CYCLE_1)
	s_mov_b32 s63, exec_lo
	s_xor_b32 s62, exec_lo, -1
	s_and_b32 s76, s76, exec_lo
.LBB51_1569:                            ;   in Loop: Header=BB51_17 Depth=1
	s_or_b32 exec_lo, exec_lo, s74
	s_delay_alu instid0(SALU_CYCLE_1)
	s_or_not1_b32 s74, s76, exec_lo
.LBB51_1570:                            ;   in Loop: Header=BB51_17 Depth=1
	s_or_b32 exec_lo, exec_lo, s72
	s_and_saveexec_b32 s72, s74
	s_cbranch_execz .LBB51_3
; %bb.1571:                             ;   in Loop: Header=BB51_17 Depth=1
	s_mov_b32 s76, -1
	s_mov_b32 s77, -1
	s_mov_b32 s75, exec_lo
                                        ; implicit-def: $sgpr73
                                        ; implicit-def: $sgpr74
	v_cmpx_lt_i32_e64 v16, v8
	s_cbranch_execz .LBB51_1681
; %bb.1572:                             ;   in Loop: Header=BB51_17 Depth=1
	v_add_nc_u32_e32 v18, s3, v16
	s_mov_b32 s78, 0
	s_mov_b32 s73, exec_lo
	s_wait_loadcnt_dscnt 0x0
	s_delay_alu instid0(VALU_DEP_1) | instskip(NEXT) | instid1(VALU_DEP_1)
	v_mul_lo_u32 v0, v18, v11
	v_add_nc_u64_e32 v[2:3], v[4:5], v[0:1]
                                        ; implicit-def: $vgpr0
	v_cmpx_lt_i16_e32 10, v9
	s_xor_b32 s73, exec_lo, s73
	s_cbranch_execz .LBB51_1632
; %bb.1573:                             ;   in Loop: Header=BB51_17 Depth=1
	s_mov_b32 s77, 0
	s_mov_b32 s74, exec_lo
                                        ; implicit-def: $vgpr0
	v_cmpx_lt_i16_e32 25, v9
	s_xor_b32 s74, exec_lo, s74
	s_cbranch_execz .LBB51_1605
; %bb.1574:                             ;   in Loop: Header=BB51_17 Depth=1
	s_mov_b32 s78, exec_lo
                                        ; implicit-def: $vgpr0
	v_cmpx_lt_i16_e32 28, v9
	s_xor_b32 s78, exec_lo, s78
	s_cbranch_execz .LBB51_1590
; %bb.1575:                             ;   in Loop: Header=BB51_17 Depth=1
	s_mov_b32 s79, 0
	s_mov_b32 s77, exec_lo
                                        ; implicit-def: $vgpr0
	v_cmpx_lt_i16_e32 43, v9
	s_xor_b32 s77, exec_lo, s77
	s_cbranch_execz .LBB51_1585
; %bb.1576:                             ;   in Loop: Header=BB51_17 Depth=1
	s_mov_b32 s88, exec_lo
                                        ; implicit-def: $vgpr0
	v_cmpx_lt_i16_e32 45, v9
	s_xor_b32 s88, exec_lo, s88
	s_cbranch_execz .LBB51_1580
; %bb.1577:                             ;   in Loop: Header=BB51_17 Depth=1
	s_mov_b32 s89, exec_lo
                                        ; implicit-def: $vgpr0
	v_cmpx_eq_u16_e32 46, v9
	s_cbranch_execz .LBB51_1579
; %bb.1578:                             ;   in Loop: Header=BB51_17 Depth=1
	flat_load_b32 v0, v[2:3]
	s_mov_b32 s79, exec_lo
	s_wait_loadcnt_dscnt 0x0
	v_lshlrev_b32_e32 v0, 16, v0
.LBB51_1579:                            ;   in Loop: Header=BB51_17 Depth=1
	s_wait_xcnt 0x0
	s_or_b32 exec_lo, exec_lo, s89
	s_delay_alu instid0(SALU_CYCLE_1)
	s_and_b32 s79, s79, exec_lo
                                        ; implicit-def: $vgpr2_vgpr3
.LBB51_1580:                            ;   in Loop: Header=BB51_17 Depth=1
	s_and_not1_saveexec_b32 s88, s88
	s_cbranch_execz .LBB51_1584
; %bb.1581:                             ;   in Loop: Header=BB51_17 Depth=1
	s_mov_b32 s90, s79
	s_mov_b32 s89, exec_lo
                                        ; implicit-def: $vgpr0
	v_cmpx_eq_u16_e32 44, v9
	s_cbranch_execz .LBB51_1583
; %bb.1582:                             ;   in Loop: Header=BB51_17 Depth=1
	flat_load_u8 v0, v[2:3]
	s_or_b32 s90, s79, exec_lo
	s_wait_loadcnt_dscnt 0x0
	v_lshlrev_b32_e32 v2, 23, v0
	v_cmp_ne_u32_e32 vcc_lo, 0xff, v0
	s_delay_alu instid0(VALU_DEP_2) | instskip(SKIP_1) | instid1(VALU_DEP_2)
	v_cndmask_b32_e32 v2, 0x7f800001, v2, vcc_lo
	v_cmp_ne_u32_e32 vcc_lo, 0, v0
	v_cndmask_b32_e32 v0, 0x400000, v2, vcc_lo
.LBB51_1583:                            ;   in Loop: Header=BB51_17 Depth=1
	s_or_b32 exec_lo, exec_lo, s89
	s_delay_alu instid0(SALU_CYCLE_1) | instskip(SKIP_1) | instid1(SALU_CYCLE_1)
	s_and_not1_b32 s79, s79, exec_lo
	s_and_b32 s89, s90, exec_lo
	s_or_b32 s79, s79, s89
.LBB51_1584:                            ;   in Loop: Header=BB51_17 Depth=1
	s_or_b32 exec_lo, exec_lo, s88
	s_delay_alu instid0(SALU_CYCLE_1)
	s_and_b32 s79, s79, exec_lo
                                        ; implicit-def: $vgpr2_vgpr3
.LBB51_1585:                            ;   in Loop: Header=BB51_17 Depth=1
	s_and_not1_saveexec_b32 s77, s77
	s_cbranch_execz .LBB51_1589
; %bb.1586:                             ;   in Loop: Header=BB51_17 Depth=1
	s_mov_b32 s89, s79
	s_mov_b32 s88, exec_lo
                                        ; implicit-def: $vgpr0
	v_cmpx_eq_u16_e32 29, v9
	s_cbranch_execz .LBB51_1588
; %bb.1587:                             ;   in Loop: Header=BB51_17 Depth=1
	flat_load_b64 v[2:3], v[2:3]
	s_or_b32 s89, s79, exec_lo
	s_wait_loadcnt_dscnt 0x0
	v_clz_i32_u32_e32 v0, v3
	s_delay_alu instid0(VALU_DEP_1) | instskip(SKIP_1) | instid1(VALU_DEP_1)
	v_min_u32_e32 v0, 32, v0
	s_wait_xcnt 0x0
	v_lshlrev_b64_e32 v[2:3], v0, v[2:3]
	v_sub_nc_u32_e32 v0, 32, v0
	s_delay_alu instid0(VALU_DEP_2) | instskip(NEXT) | instid1(VALU_DEP_1)
	v_min_u32_e32 v2, 1, v2
	v_or_b32_e32 v2, v3, v2
	s_delay_alu instid0(VALU_DEP_1) | instskip(NEXT) | instid1(VALU_DEP_1)
	v_cvt_f32_u32_e32 v2, v2
	v_ldexp_f32 v0, v2, v0
.LBB51_1588:                            ;   in Loop: Header=BB51_17 Depth=1
	s_or_b32 exec_lo, exec_lo, s88
	s_delay_alu instid0(SALU_CYCLE_1) | instskip(SKIP_1) | instid1(SALU_CYCLE_1)
	s_and_not1_b32 s79, s79, exec_lo
	s_and_b32 s88, s89, exec_lo
	s_or_b32 s79, s79, s88
.LBB51_1589:                            ;   in Loop: Header=BB51_17 Depth=1
	s_or_b32 exec_lo, exec_lo, s77
	s_delay_alu instid0(SALU_CYCLE_1)
	s_and_b32 s77, s79, exec_lo
                                        ; implicit-def: $vgpr2_vgpr3
.LBB51_1590:                            ;   in Loop: Header=BB51_17 Depth=1
	s_and_not1_saveexec_b32 s78, s78
	s_cbranch_execz .LBB51_1604
; %bb.1591:                             ;   in Loop: Header=BB51_17 Depth=1
	s_mov_b32 s79, exec_lo
                                        ; implicit-def: $vgpr0
	v_cmpx_lt_i16_e32 26, v9
	s_xor_b32 s79, exec_lo, s79
	s_cbranch_execz .LBB51_1597
; %bb.1592:                             ;   in Loop: Header=BB51_17 Depth=1
	s_mov_b32 s88, exec_lo
                                        ; implicit-def: $vgpr0
	v_cmpx_lt_i16_e32 27, v9
	s_xor_b32 s88, exec_lo, s88
	s_cbranch_execz .LBB51_1594
; %bb.1593:                             ;   in Loop: Header=BB51_17 Depth=1
	flat_load_b32 v0, v[2:3]
                                        ; implicit-def: $vgpr2_vgpr3
	s_wait_loadcnt_dscnt 0x0
	v_cvt_f32_u32_e32 v0, v0
.LBB51_1594:                            ;   in Loop: Header=BB51_17 Depth=1
	s_wait_xcnt 0x0
	s_and_not1_saveexec_b32 s88, s88
	s_cbranch_execz .LBB51_1596
; %bb.1595:                             ;   in Loop: Header=BB51_17 Depth=1
	flat_load_u16 v0, v[2:3]
	s_wait_loadcnt_dscnt 0x0
	v_cvt_f32_u32_e32 v0, v0
.LBB51_1596:                            ;   in Loop: Header=BB51_17 Depth=1
	s_wait_xcnt 0x0
	s_or_b32 exec_lo, exec_lo, s88
                                        ; implicit-def: $vgpr2_vgpr3
.LBB51_1597:                            ;   in Loop: Header=BB51_17 Depth=1
	s_and_not1_saveexec_b32 s79, s79
	s_cbranch_execz .LBB51_1603
; %bb.1598:                             ;   in Loop: Header=BB51_17 Depth=1
	flat_load_u8 v2, v[2:3]
	s_mov_b32 s88, 0
	s_mov_b32 s89, exec_lo
	s_wait_loadcnt_dscnt 0x0
	v_cmpx_lt_i16_e32 0x7f, v2
	s_xor_b32 s89, exec_lo, s89
	s_cbranch_execnz .LBB51_3606
; %bb.1599:                             ;   in Loop: Header=BB51_17 Depth=1
	s_or_saveexec_b32 s89, s89
	v_mov_b32_e32 v0, 0x7f800001
	s_xor_b32 exec_lo, exec_lo, s89
	s_cbranch_execnz .LBB51_3609
.LBB51_1600:                            ;   in Loop: Header=BB51_17 Depth=1
	s_or_b32 exec_lo, exec_lo, s89
	s_and_saveexec_b32 s89, s88
	s_cbranch_execz .LBB51_1602
.LBB51_1601:                            ;   in Loop: Header=BB51_17 Depth=1
	v_and_b32_e32 v0, 0xffff, v2
	s_delay_alu instid0(VALU_DEP_1) | instskip(SKIP_1) | instid1(VALU_DEP_2)
	v_and_b32_e32 v3, 7, v0
	v_bfe_u32 v21, v0, 3, 4
	v_clz_i32_u32_e32 v19, v3
	s_delay_alu instid0(VALU_DEP_2) | instskip(NEXT) | instid1(VALU_DEP_2)
	v_cmp_eq_u32_e32 vcc_lo, 0, v21
	v_min_u32_e32 v19, 32, v19
	s_delay_alu instid0(VALU_DEP_1) | instskip(NEXT) | instid1(VALU_DEP_1)
	v_subrev_nc_u32_e32 v20, 28, v19
	v_dual_lshlrev_b32 v0, v20, v0 :: v_dual_sub_nc_u32 v19, 29, v19
	s_delay_alu instid0(VALU_DEP_1) | instskip(NEXT) | instid1(VALU_DEP_1)
	v_dual_lshlrev_b32 v2, 24, v2 :: v_dual_bitop2_b32 v0, 7, v0 bitop3:0x40
	v_dual_cndmask_b32 v19, v21, v19 :: v_dual_cndmask_b32 v0, v3, v0
	s_delay_alu instid0(VALU_DEP_2) | instskip(NEXT) | instid1(VALU_DEP_2)
	v_and_b32_e32 v2, 0x80000000, v2
	v_lshl_add_u32 v3, v19, 23, 0x3b800000
	s_delay_alu instid0(VALU_DEP_3) | instskip(NEXT) | instid1(VALU_DEP_1)
	v_lshlrev_b32_e32 v0, 20, v0
	v_or3_b32 v0, v2, v3, v0
.LBB51_1602:                            ;   in Loop: Header=BB51_17 Depth=1
	s_or_b32 exec_lo, exec_lo, s89
.LBB51_1603:                            ;   in Loop: Header=BB51_17 Depth=1
	s_delay_alu instid0(SALU_CYCLE_1) | instskip(NEXT) | instid1(SALU_CYCLE_1)
	s_or_b32 exec_lo, exec_lo, s79
	s_or_b32 s77, s77, exec_lo
.LBB51_1604:                            ;   in Loop: Header=BB51_17 Depth=1
	s_or_b32 exec_lo, exec_lo, s78
	s_delay_alu instid0(SALU_CYCLE_1)
	s_and_b32 s77, s77, exec_lo
                                        ; implicit-def: $vgpr2_vgpr3
.LBB51_1605:                            ;   in Loop: Header=BB51_17 Depth=1
	s_and_not1_saveexec_b32 s74, s74
	s_cbranch_execz .LBB51_1631
; %bb.1606:                             ;   in Loop: Header=BB51_17 Depth=1
	s_mov_b32 s79, s77
	s_mov_b32 s78, exec_lo
                                        ; implicit-def: $vgpr0
	v_cmpx_lt_i16_e32 22, v9
	s_xor_b32 s78, exec_lo, s78
	s_cbranch_execz .LBB51_1620
; %bb.1607:                             ;   in Loop: Header=BB51_17 Depth=1
	s_mov_b32 s79, exec_lo
                                        ; implicit-def: $vgpr0
	v_cmpx_lt_i16_e32 23, v9
	s_xor_b32 s79, exec_lo, s79
	s_cbranch_execz .LBB51_1617
; %bb.1608:                             ;   in Loop: Header=BB51_17 Depth=1
	;; [unrolled: 6-line block ×3, first 2 shown]
	flat_load_u8 v2, v[2:3]
	s_mov_b32 s89, 0
	s_mov_b32 s90, exec_lo
	s_wait_loadcnt_dscnt 0x0
	v_cmpx_lt_i16_e32 0x7f, v2
	s_xor_b32 s90, exec_lo, s90
	s_cbranch_execnz .LBB51_3618
; %bb.1610:                             ;   in Loop: Header=BB51_17 Depth=1
	s_or_saveexec_b32 s90, s90
	v_mov_b32_e32 v0, 0x7f800001
	s_xor_b32 exec_lo, exec_lo, s90
	s_cbranch_execnz .LBB51_3621
.LBB51_1611:                            ;   in Loop: Header=BB51_17 Depth=1
	s_or_b32 exec_lo, exec_lo, s90
	s_and_saveexec_b32 s90, s89
	s_cbranch_execz .LBB51_1613
.LBB51_1612:                            ;   in Loop: Header=BB51_17 Depth=1
	v_and_b32_e32 v0, 0xffff, v2
	s_delay_alu instid0(VALU_DEP_1) | instskip(SKIP_1) | instid1(VALU_DEP_2)
	v_and_b32_e32 v3, 3, v0
	v_bfe_u32 v21, v0, 2, 5
	v_clz_i32_u32_e32 v19, v3
	s_delay_alu instid0(VALU_DEP_2) | instskip(NEXT) | instid1(VALU_DEP_2)
	v_cmp_eq_u32_e32 vcc_lo, 0, v21
	v_min_u32_e32 v19, 32, v19
	s_delay_alu instid0(VALU_DEP_1) | instskip(NEXT) | instid1(VALU_DEP_1)
	v_subrev_nc_u32_e32 v20, 29, v19
	v_dual_lshlrev_b32 v0, v20, v0 :: v_dual_sub_nc_u32 v19, 30, v19
	s_delay_alu instid0(VALU_DEP_1) | instskip(NEXT) | instid1(VALU_DEP_1)
	v_dual_lshlrev_b32 v2, 24, v2 :: v_dual_bitop2_b32 v0, 3, v0 bitop3:0x40
	v_dual_cndmask_b32 v19, v21, v19 :: v_dual_cndmask_b32 v0, v3, v0
	s_delay_alu instid0(VALU_DEP_2) | instskip(NEXT) | instid1(VALU_DEP_2)
	v_and_b32_e32 v2, 0x80000000, v2
	v_lshl_add_u32 v3, v19, 23, 0x37800000
	s_delay_alu instid0(VALU_DEP_3) | instskip(NEXT) | instid1(VALU_DEP_1)
	v_lshlrev_b32_e32 v0, 21, v0
	v_or3_b32 v0, v2, v3, v0
.LBB51_1613:                            ;   in Loop: Header=BB51_17 Depth=1
	s_or_b32 exec_lo, exec_lo, s90
                                        ; implicit-def: $vgpr2_vgpr3
.LBB51_1614:                            ;   in Loop: Header=BB51_17 Depth=1
	s_and_not1_saveexec_b32 s88, s88
	s_cbranch_execz .LBB51_1616
; %bb.1615:                             ;   in Loop: Header=BB51_17 Depth=1
	flat_load_u8 v0, v[2:3]
	s_wait_loadcnt_dscnt 0x0
	v_lshlrev_b32_e32 v0, 24, v0
	s_wait_xcnt 0x0
	s_delay_alu instid0(VALU_DEP_1) | instskip(NEXT) | instid1(VALU_DEP_1)
	v_and_b32_e32 v2, 0x7f000000, v0
	v_clz_i32_u32_e32 v3, v2
	v_add_nc_u32_e32 v20, 0x1000000, v2
	v_cmp_ne_u32_e32 vcc_lo, 0, v2
	s_delay_alu instid0(VALU_DEP_3) | instskip(NEXT) | instid1(VALU_DEP_1)
	v_min_u32_e32 v3, 32, v3
	v_sub_nc_u32_e64 v3, v3, 4 clamp
	s_delay_alu instid0(VALU_DEP_1) | instskip(NEXT) | instid1(VALU_DEP_1)
	v_dual_lshlrev_b32 v19, v3, v2 :: v_dual_lshlrev_b32 v3, 23, v3
	v_lshrrev_b32_e32 v19, 4, v19
	s_delay_alu instid0(VALU_DEP_1) | instskip(NEXT) | instid1(VALU_DEP_1)
	v_dual_sub_nc_u32 v3, v19, v3 :: v_dual_ashrrev_i32 v19, 8, v20
	v_add_nc_u32_e32 v3, 0x3c000000, v3
	s_delay_alu instid0(VALU_DEP_1) | instskip(NEXT) | instid1(VALU_DEP_1)
	v_and_or_b32 v3, 0x7f800000, v19, v3
	v_cndmask_b32_e32 v2, 0, v3, vcc_lo
	s_delay_alu instid0(VALU_DEP_1)
	v_and_or_b32 v0, 0x80000000, v0, v2
.LBB51_1616:                            ;   in Loop: Header=BB51_17 Depth=1
	s_or_b32 exec_lo, exec_lo, s88
                                        ; implicit-def: $vgpr2_vgpr3
.LBB51_1617:                            ;   in Loop: Header=BB51_17 Depth=1
	s_and_not1_saveexec_b32 s79, s79
	s_cbranch_execz .LBB51_1619
; %bb.1618:                             ;   in Loop: Header=BB51_17 Depth=1
	flat_load_u8 v0, v[2:3]
	s_wait_loadcnt_dscnt 0x0
	v_lshlrev_b32_e32 v2, 25, v0
	v_lshlrev_b16 v0, 8, v0
	s_delay_alu instid0(VALU_DEP_1) | instskip(SKIP_1) | instid1(VALU_DEP_2)
	v_and_or_b32 v19, 0x7f00, v0, 0.5
	v_bfe_i32 v0, v0, 0, 16
	v_dual_add_f32 v19, -0.5, v19 :: v_dual_lshrrev_b32 v3, 4, v2
	v_cmp_gt_u32_e32 vcc_lo, 0x8000000, v2
	s_delay_alu instid0(VALU_DEP_2) | instskip(NEXT) | instid1(VALU_DEP_1)
	v_or_b32_e32 v3, 0x70000000, v3
	v_mul_f32_e32 v3, 0x7800000, v3
	s_delay_alu instid0(VALU_DEP_1) | instskip(NEXT) | instid1(VALU_DEP_1)
	v_cndmask_b32_e32 v2, v3, v19, vcc_lo
	v_and_or_b32 v0, 0x80000000, v0, v2
.LBB51_1619:                            ;   in Loop: Header=BB51_17 Depth=1
	s_or_b32 exec_lo, exec_lo, s79
	s_delay_alu instid0(SALU_CYCLE_1)
	s_or_b32 s79, s77, exec_lo
                                        ; implicit-def: $vgpr2_vgpr3
.LBB51_1620:                            ;   in Loop: Header=BB51_17 Depth=1
	s_and_not1_saveexec_b32 s78, s78
	s_cbranch_execz .LBB51_1630
; %bb.1621:                             ;   in Loop: Header=BB51_17 Depth=1
	s_mov_b32 s88, s79
	s_mov_b32 s89, exec_lo
                                        ; implicit-def: $vgpr0
	v_cmpx_lt_i16_e32 14, v9
	s_xor_b32 s89, exec_lo, s89
	s_cbranch_execz .LBB51_1625
; %bb.1622:                             ;   in Loop: Header=BB51_17 Depth=1
	s_mov_b32 s88, s79
	s_mov_b32 s90, exec_lo
                                        ; implicit-def: $vgpr0
	v_cmpx_eq_u16_e32 15, v9
	s_cbranch_execz .LBB51_1624
; %bb.1623:                             ;   in Loop: Header=BB51_17 Depth=1
	flat_load_u16 v0, v[2:3]
	s_or_b32 s88, s79, exec_lo
	s_wait_loadcnt_dscnt 0x0
	v_lshlrev_b32_e32 v0, 16, v0
.LBB51_1624:                            ;   in Loop: Header=BB51_17 Depth=1
	s_wait_xcnt 0x0
	s_or_b32 exec_lo, exec_lo, s90
	s_delay_alu instid0(SALU_CYCLE_1) | instskip(SKIP_1) | instid1(SALU_CYCLE_1)
	s_and_not1_b32 s90, s79, exec_lo
	s_and_b32 s88, s88, exec_lo
                                        ; implicit-def: $vgpr2_vgpr3
	s_or_b32 s88, s90, s88
.LBB51_1625:                            ;   in Loop: Header=BB51_17 Depth=1
	s_and_not1_saveexec_b32 s89, s89
	s_cbranch_execz .LBB51_1629
; %bb.1626:                             ;   in Loop: Header=BB51_17 Depth=1
	s_mov_b32 s90, s88
	s_mov_b32 s91, exec_lo
                                        ; implicit-def: $vgpr0
	v_cmpx_eq_u16_e32 11, v9
	s_cbranch_execz .LBB51_1628
; %bb.1627:                             ;   in Loop: Header=BB51_17 Depth=1
	flat_load_u8 v0, v[2:3]
	s_or_b32 s90, s88, exec_lo
	s_wait_loadcnt_dscnt 0x0
	v_cmp_ne_u16_e32 vcc_lo, 0, v0
	v_cndmask_b32_e64 v0, 0, 1.0, vcc_lo
.LBB51_1628:                            ;   in Loop: Header=BB51_17 Depth=1
	s_wait_xcnt 0x0
	s_or_b32 exec_lo, exec_lo, s91
	s_delay_alu instid0(SALU_CYCLE_1) | instskip(SKIP_1) | instid1(SALU_CYCLE_1)
	s_and_not1_b32 s88, s88, exec_lo
	s_and_b32 s90, s90, exec_lo
	s_or_b32 s88, s88, s90
.LBB51_1629:                            ;   in Loop: Header=BB51_17 Depth=1
	s_or_b32 exec_lo, exec_lo, s89
	s_delay_alu instid0(SALU_CYCLE_1) | instskip(SKIP_1) | instid1(SALU_CYCLE_1)
	s_and_not1_b32 s79, s79, exec_lo
	s_and_b32 s88, s88, exec_lo
	s_or_b32 s79, s79, s88
.LBB51_1630:                            ;   in Loop: Header=BB51_17 Depth=1
	s_or_b32 exec_lo, exec_lo, s78
	s_delay_alu instid0(SALU_CYCLE_1) | instskip(SKIP_1) | instid1(SALU_CYCLE_1)
	s_and_not1_b32 s77, s77, exec_lo
	s_and_b32 s78, s79, exec_lo
	s_or_b32 s77, s77, s78
.LBB51_1631:                            ;   in Loop: Header=BB51_17 Depth=1
	s_or_b32 exec_lo, exec_lo, s74
	s_delay_alu instid0(SALU_CYCLE_1)
	s_and_b32 s78, s77, exec_lo
                                        ; implicit-def: $vgpr2_vgpr3
.LBB51_1632:                            ;   in Loop: Header=BB51_17 Depth=1
	s_and_not1_saveexec_b32 s73, s73
	s_cbranch_execz .LBB51_1674
; %bb.1633:                             ;   in Loop: Header=BB51_17 Depth=1
	s_mov_b32 s74, exec_lo
                                        ; implicit-def: $vgpr0
	v_cmpx_lt_i16_e32 4, v9
	s_xor_b32 s74, exec_lo, s74
	s_cbranch_execz .LBB51_1655
; %bb.1634:                             ;   in Loop: Header=BB51_17 Depth=1
	s_mov_b32 s77, exec_lo
                                        ; implicit-def: $vgpr0
	v_cmpx_lt_i16_e32 7, v9
	s_xor_b32 s77, exec_lo, s77
	;; [unrolled: 6-line block ×4, first 2 shown]
	s_cbranch_execz .LBB51_1638
; %bb.1637:                             ;   in Loop: Header=BB51_17 Depth=1
	flat_load_b64 v[2:3], v[2:3]
	s_wait_loadcnt_dscnt 0x0
	v_cvt_f32_f64_e32 v0, v[2:3]
                                        ; implicit-def: $vgpr2_vgpr3
.LBB51_1638:                            ;   in Loop: Header=BB51_17 Depth=1
	s_wait_xcnt 0x0
	s_and_not1_saveexec_b32 s88, s88
	s_cbranch_execz .LBB51_1640
; %bb.1639:                             ;   in Loop: Header=BB51_17 Depth=1
	flat_load_b32 v0, v[2:3]
.LBB51_1640:                            ;   in Loop: Header=BB51_17 Depth=1
	s_wait_xcnt 0x0
	s_or_b32 exec_lo, exec_lo, s88
                                        ; implicit-def: $vgpr2_vgpr3
.LBB51_1641:                            ;   in Loop: Header=BB51_17 Depth=1
	s_and_not1_saveexec_b32 s79, s79
	s_cbranch_execz .LBB51_1643
; %bb.1642:                             ;   in Loop: Header=BB51_17 Depth=1
	s_wait_loadcnt_dscnt 0x0
	flat_load_b32 v0, v[2:3]
	s_wait_loadcnt_dscnt 0x0
	v_cvt_f32_f16_e32 v0, v0
.LBB51_1643:                            ;   in Loop: Header=BB51_17 Depth=1
	s_wait_xcnt 0x0
	s_or_b32 exec_lo, exec_lo, s79
                                        ; implicit-def: $vgpr2_vgpr3
.LBB51_1644:                            ;   in Loop: Header=BB51_17 Depth=1
	s_and_not1_saveexec_b32 s77, s77
	s_cbranch_execz .LBB51_1654
; %bb.1645:                             ;   in Loop: Header=BB51_17 Depth=1
	s_mov_b32 s79, exec_lo
                                        ; implicit-def: $vgpr0
	v_cmpx_lt_i16_e32 5, v9
	s_xor_b32 s79, exec_lo, s79
	s_cbranch_execz .LBB51_1651
; %bb.1646:                             ;   in Loop: Header=BB51_17 Depth=1
	s_mov_b32 s88, exec_lo
                                        ; implicit-def: $vgpr0
	v_cmpx_lt_i16_e32 6, v9
	s_xor_b32 s88, exec_lo, s88
	s_cbranch_execz .LBB51_1648
; %bb.1647:                             ;   in Loop: Header=BB51_17 Depth=1
	flat_load_b64 v[2:3], v[2:3]
	s_wait_loadcnt_dscnt 0x0
	v_cvt_f32_f64_e32 v0, v[2:3]
                                        ; implicit-def: $vgpr2_vgpr3
.LBB51_1648:                            ;   in Loop: Header=BB51_17 Depth=1
	s_wait_xcnt 0x0
	s_and_not1_saveexec_b32 s88, s88
	s_cbranch_execz .LBB51_1650
; %bb.1649:                             ;   in Loop: Header=BB51_17 Depth=1
	s_wait_loadcnt_dscnt 0x0
	flat_load_b32 v0, v[2:3]
.LBB51_1650:                            ;   in Loop: Header=BB51_17 Depth=1
	s_wait_xcnt 0x0
	s_or_b32 exec_lo, exec_lo, s88
                                        ; implicit-def: $vgpr2_vgpr3
.LBB51_1651:                            ;   in Loop: Header=BB51_17 Depth=1
	s_and_not1_saveexec_b32 s79, s79
	s_cbranch_execz .LBB51_1653
; %bb.1652:                             ;   in Loop: Header=BB51_17 Depth=1
	s_wait_loadcnt_dscnt 0x0
	flat_load_u16 v0, v[2:3]
	s_wait_loadcnt_dscnt 0x0
	v_cvt_f32_f16_e32 v0, v0
.LBB51_1653:                            ;   in Loop: Header=BB51_17 Depth=1
	s_wait_xcnt 0x0
	s_or_b32 exec_lo, exec_lo, s79
.LBB51_1654:                            ;   in Loop: Header=BB51_17 Depth=1
	s_delay_alu instid0(SALU_CYCLE_1)
	s_or_b32 exec_lo, exec_lo, s77
                                        ; implicit-def: $vgpr2_vgpr3
.LBB51_1655:                            ;   in Loop: Header=BB51_17 Depth=1
	s_and_not1_saveexec_b32 s74, s74
	s_cbranch_execz .LBB51_1673
; %bb.1656:                             ;   in Loop: Header=BB51_17 Depth=1
	s_mov_b32 s77, exec_lo
                                        ; implicit-def: $vgpr0
	v_cmpx_lt_i16_e32 1, v9
	s_xor_b32 s77, exec_lo, s77
	s_cbranch_execz .LBB51_1666
; %bb.1657:                             ;   in Loop: Header=BB51_17 Depth=1
	s_mov_b32 s79, exec_lo
                                        ; implicit-def: $vgpr0
	v_cmpx_lt_i16_e32 2, v9
	s_xor_b32 s79, exec_lo, s79
	;; [unrolled: 6-line block ×3, first 2 shown]
	s_cbranch_execz .LBB51_1660
; %bb.1659:                             ;   in Loop: Header=BB51_17 Depth=1
	flat_load_b64 v[2:3], v[2:3]
	s_wait_loadcnt_dscnt 0x0
	v_xor_b32_e32 v0, v2, v3
	v_cls_i32_e32 v19, v3
	s_delay_alu instid0(VALU_DEP_2) | instskip(NEXT) | instid1(VALU_DEP_1)
	v_ashrrev_i32_e32 v0, 31, v0
	v_add_nc_u32_e32 v0, 32, v0
	s_delay_alu instid0(VALU_DEP_1) | instskip(SKIP_1) | instid1(VALU_DEP_1)
	v_add_min_u32_e64 v0, v19, -1, v0
	s_wait_xcnt 0x0
	v_lshlrev_b64_e32 v[2:3], v0, v[2:3]
	v_sub_nc_u32_e32 v0, 32, v0
	s_delay_alu instid0(VALU_DEP_2) | instskip(NEXT) | instid1(VALU_DEP_1)
	v_min_u32_e32 v2, 1, v2
	v_or_b32_e32 v2, v3, v2
	s_delay_alu instid0(VALU_DEP_1) | instskip(NEXT) | instid1(VALU_DEP_1)
	v_cvt_f32_i32_e32 v2, v2
	v_ldexp_f32 v0, v2, v0
                                        ; implicit-def: $vgpr2_vgpr3
.LBB51_1660:                            ;   in Loop: Header=BB51_17 Depth=1
	s_and_not1_saveexec_b32 s88, s88
	s_cbranch_execz .LBB51_1662
; %bb.1661:                             ;   in Loop: Header=BB51_17 Depth=1
	s_wait_loadcnt_dscnt 0x0
	flat_load_b32 v0, v[2:3]
	s_wait_loadcnt_dscnt 0x0
	v_cvt_f32_i32_e32 v0, v0
.LBB51_1662:                            ;   in Loop: Header=BB51_17 Depth=1
	s_wait_xcnt 0x0
	s_or_b32 exec_lo, exec_lo, s88
                                        ; implicit-def: $vgpr2_vgpr3
.LBB51_1663:                            ;   in Loop: Header=BB51_17 Depth=1
	s_and_not1_saveexec_b32 s79, s79
	s_cbranch_execz .LBB51_1665
; %bb.1664:                             ;   in Loop: Header=BB51_17 Depth=1
	s_wait_loadcnt_dscnt 0x0
	flat_load_i16 v0, v[2:3]
	s_wait_loadcnt_dscnt 0x0
	v_cvt_f32_i32_e32 v0, v0
.LBB51_1665:                            ;   in Loop: Header=BB51_17 Depth=1
	s_wait_xcnt 0x0
	s_or_b32 exec_lo, exec_lo, s79
                                        ; implicit-def: $vgpr2_vgpr3
.LBB51_1666:                            ;   in Loop: Header=BB51_17 Depth=1
	s_and_not1_saveexec_b32 s77, s77
	s_cbranch_execz .LBB51_1672
; %bb.1667:                             ;   in Loop: Header=BB51_17 Depth=1
	s_mov_b32 s79, exec_lo
                                        ; implicit-def: $vgpr0
	v_cmpx_lt_i16_e32 0, v9
	s_xor_b32 s79, exec_lo, s79
	s_cbranch_execz .LBB51_1669
; %bb.1668:                             ;   in Loop: Header=BB51_17 Depth=1
	s_wait_loadcnt_dscnt 0x0
	flat_load_i8 v0, v[2:3]
                                        ; implicit-def: $vgpr2_vgpr3
	s_wait_loadcnt_dscnt 0x0
	v_cvt_f32_i32_e32 v0, v0
.LBB51_1669:                            ;   in Loop: Header=BB51_17 Depth=1
	s_wait_xcnt 0x0
	s_and_not1_saveexec_b32 s79, s79
	s_cbranch_execz .LBB51_1671
; %bb.1670:                             ;   in Loop: Header=BB51_17 Depth=1
	s_wait_loadcnt_dscnt 0x0
	flat_load_u8 v0, v[2:3]
	s_wait_loadcnt_dscnt 0x0
	v_cvt_f32_ubyte0_e32 v0, v0
.LBB51_1671:                            ;   in Loop: Header=BB51_17 Depth=1
	s_wait_xcnt 0x0
	s_or_b32 exec_lo, exec_lo, s79
.LBB51_1672:                            ;   in Loop: Header=BB51_17 Depth=1
	s_delay_alu instid0(SALU_CYCLE_1)
	s_or_b32 exec_lo, exec_lo, s77
.LBB51_1673:                            ;   in Loop: Header=BB51_17 Depth=1
	s_delay_alu instid0(SALU_CYCLE_1) | instskip(NEXT) | instid1(SALU_CYCLE_1)
	s_or_b32 exec_lo, exec_lo, s74
	s_or_b32 s78, s78, exec_lo
.LBB51_1674:                            ;   in Loop: Header=BB51_17 Depth=1
	s_or_b32 exec_lo, exec_lo, s73
	s_mov_b32 s73, -1
	s_mov_b32 s79, 0
	s_mov_b32 s74, 0
	s_and_saveexec_b32 s77, s78
	s_cbranch_execz .LBB51_1680
; %bb.1675:                             ;   in Loop: Header=BB51_17 Depth=1
	s_add_co_i32 s73, s33, s1
	s_mov_b32 s78, 0
	s_wait_loadcnt_dscnt 0x0
	scratch_store_b32 off, v0, s73 offset:116
	s_wait_xcnt 0x0
	v_mul_lo_u32 v0, v18, v12
	v_and_b32_e32 v18, 0xff, v10
	s_mov_b32 s74, exec_lo
	s_delay_alu instid0(VALU_DEP_2) | instskip(NEXT) | instid1(VALU_DEP_2)
	v_add_nc_u64_e32 v[2:3], v[6:7], v[0:1]
                                        ; implicit-def: $vgpr0
	v_cmpx_lt_i16_e32 10, v18
	s_xor_b32 s74, exec_lo, s74
	s_cbranch_execnz .LBB51_3362
; %bb.1676:                             ;   in Loop: Header=BB51_17 Depth=1
	s_and_not1_saveexec_b32 s74, s74
	s_cbranch_execnz .LBB51_3421
.LBB51_1677:                            ;   in Loop: Header=BB51_17 Depth=1
	s_or_b32 exec_lo, exec_lo, s74
	s_mov_b32 s79, 0
	s_and_saveexec_b32 s74, s78
	s_cbranch_execz .LBB51_1679
.LBB51_1678:                            ;   in Loop: Header=BB51_17 Depth=1
	v_add_nc_u32_e32 v16, 0x200, v16
	s_mov_b32 s79, exec_lo
	s_wait_loadcnt_dscnt 0x0
	scratch_store_b32 off, v0, s73 offset:112
.LBB51_1679:                            ;   in Loop: Header=BB51_17 Depth=1
	s_wait_xcnt 0x0
	s_or_b32 exec_lo, exec_lo, s74
	s_delay_alu instid0(SALU_CYCLE_1)
	s_mov_b32 s74, exec_lo
	s_xor_b32 s73, exec_lo, -1
	s_and_b32 s79, s79, exec_lo
.LBB51_1680:                            ;   in Loop: Header=BB51_17 Depth=1
	s_or_b32 exec_lo, exec_lo, s77
	s_delay_alu instid0(SALU_CYCLE_1)
	s_or_not1_b32 s77, s79, exec_lo
.LBB51_1681:                            ;   in Loop: Header=BB51_17 Depth=1
	s_or_b32 exec_lo, exec_lo, s75
	s_and_saveexec_b32 s75, s77
	s_cbranch_execz .LBB51_2
; %bb.1682:                             ;   in Loop: Header=BB51_17 Depth=1
	s_mov_b32 s78, -1
	s_mov_b32 s77, exec_lo
                                        ; implicit-def: $sgpr88
                                        ; implicit-def: $sgpr89
	v_cmpx_lt_i32_e64 v16, v8
	s_cbranch_execz .LBB51_1792
; %bb.1683:                             ;   in Loop: Header=BB51_17 Depth=1
	v_add_nc_u32_e32 v18, s3, v16
	s_mov_b32 s79, 0
	s_mov_b32 s78, exec_lo
	s_wait_loadcnt_dscnt 0x0
	s_delay_alu instid0(VALU_DEP_1) | instskip(NEXT) | instid1(VALU_DEP_1)
	v_mul_lo_u32 v0, v18, v11
	v_add_nc_u64_e32 v[2:3], v[4:5], v[0:1]
                                        ; implicit-def: $vgpr0
	v_cmpx_lt_i16_e32 10, v9
	s_xor_b32 s78, exec_lo, s78
	s_cbranch_execz .LBB51_1743
; %bb.1684:                             ;   in Loop: Header=BB51_17 Depth=1
	s_mov_b32 s88, 0
	s_mov_b32 s79, exec_lo
                                        ; implicit-def: $vgpr0
	v_cmpx_lt_i16_e32 25, v9
	s_xor_b32 s79, exec_lo, s79
	s_cbranch_execz .LBB51_1716
; %bb.1685:                             ;   in Loop: Header=BB51_17 Depth=1
	s_mov_b32 s89, exec_lo
                                        ; implicit-def: $vgpr0
	v_cmpx_lt_i16_e32 28, v9
	s_xor_b32 s89, exec_lo, s89
	s_cbranch_execz .LBB51_1701
; %bb.1686:                             ;   in Loop: Header=BB51_17 Depth=1
	s_mov_b32 s90, 0
	s_mov_b32 s88, exec_lo
                                        ; implicit-def: $vgpr0
	v_cmpx_lt_i16_e32 43, v9
	s_xor_b32 s88, exec_lo, s88
	s_cbranch_execz .LBB51_1696
; %bb.1687:                             ;   in Loop: Header=BB51_17 Depth=1
	s_mov_b32 s91, exec_lo
                                        ; implicit-def: $vgpr0
	v_cmpx_lt_i16_e32 45, v9
	s_xor_b32 s91, exec_lo, s91
	s_cbranch_execz .LBB51_1691
; %bb.1688:                             ;   in Loop: Header=BB51_17 Depth=1
	s_mov_b32 s92, exec_lo
                                        ; implicit-def: $vgpr0
	v_cmpx_eq_u16_e32 46, v9
	s_cbranch_execz .LBB51_1690
; %bb.1689:                             ;   in Loop: Header=BB51_17 Depth=1
	flat_load_b32 v0, v[2:3]
	s_mov_b32 s90, exec_lo
	s_wait_loadcnt_dscnt 0x0
	v_lshlrev_b32_e32 v0, 16, v0
.LBB51_1690:                            ;   in Loop: Header=BB51_17 Depth=1
	s_wait_xcnt 0x0
	s_or_b32 exec_lo, exec_lo, s92
	s_delay_alu instid0(SALU_CYCLE_1)
	s_and_b32 s90, s90, exec_lo
                                        ; implicit-def: $vgpr2_vgpr3
.LBB51_1691:                            ;   in Loop: Header=BB51_17 Depth=1
	s_and_not1_saveexec_b32 s91, s91
	s_cbranch_execz .LBB51_1695
; %bb.1692:                             ;   in Loop: Header=BB51_17 Depth=1
	s_mov_b32 s93, s90
	s_mov_b32 s92, exec_lo
                                        ; implicit-def: $vgpr0
	v_cmpx_eq_u16_e32 44, v9
	s_cbranch_execz .LBB51_1694
; %bb.1693:                             ;   in Loop: Header=BB51_17 Depth=1
	flat_load_u8 v0, v[2:3]
	s_or_b32 s93, s90, exec_lo
	s_wait_loadcnt_dscnt 0x0
	v_lshlrev_b32_e32 v2, 23, v0
	v_cmp_ne_u32_e32 vcc_lo, 0xff, v0
	s_delay_alu instid0(VALU_DEP_2) | instskip(SKIP_1) | instid1(VALU_DEP_2)
	v_cndmask_b32_e32 v2, 0x7f800001, v2, vcc_lo
	v_cmp_ne_u32_e32 vcc_lo, 0, v0
	v_cndmask_b32_e32 v0, 0x400000, v2, vcc_lo
.LBB51_1694:                            ;   in Loop: Header=BB51_17 Depth=1
	s_or_b32 exec_lo, exec_lo, s92
	s_delay_alu instid0(SALU_CYCLE_1) | instskip(SKIP_1) | instid1(SALU_CYCLE_1)
	s_and_not1_b32 s90, s90, exec_lo
	s_and_b32 s92, s93, exec_lo
	s_or_b32 s90, s90, s92
.LBB51_1695:                            ;   in Loop: Header=BB51_17 Depth=1
	s_or_b32 exec_lo, exec_lo, s91
	s_delay_alu instid0(SALU_CYCLE_1)
	s_and_b32 s90, s90, exec_lo
                                        ; implicit-def: $vgpr2_vgpr3
.LBB51_1696:                            ;   in Loop: Header=BB51_17 Depth=1
	s_and_not1_saveexec_b32 s88, s88
	s_cbranch_execz .LBB51_1700
; %bb.1697:                             ;   in Loop: Header=BB51_17 Depth=1
	s_mov_b32 s92, s90
	s_mov_b32 s91, exec_lo
                                        ; implicit-def: $vgpr0
	v_cmpx_eq_u16_e32 29, v9
	s_cbranch_execz .LBB51_1699
; %bb.1698:                             ;   in Loop: Header=BB51_17 Depth=1
	flat_load_b64 v[2:3], v[2:3]
	s_or_b32 s92, s90, exec_lo
	s_wait_loadcnt_dscnt 0x0
	v_clz_i32_u32_e32 v0, v3
	s_delay_alu instid0(VALU_DEP_1) | instskip(SKIP_1) | instid1(VALU_DEP_1)
	v_min_u32_e32 v0, 32, v0
	s_wait_xcnt 0x0
	v_lshlrev_b64_e32 v[2:3], v0, v[2:3]
	v_sub_nc_u32_e32 v0, 32, v0
	s_delay_alu instid0(VALU_DEP_2) | instskip(NEXT) | instid1(VALU_DEP_1)
	v_min_u32_e32 v2, 1, v2
	v_or_b32_e32 v2, v3, v2
	s_delay_alu instid0(VALU_DEP_1) | instskip(NEXT) | instid1(VALU_DEP_1)
	v_cvt_f32_u32_e32 v2, v2
	v_ldexp_f32 v0, v2, v0
.LBB51_1699:                            ;   in Loop: Header=BB51_17 Depth=1
	s_or_b32 exec_lo, exec_lo, s91
	s_delay_alu instid0(SALU_CYCLE_1) | instskip(SKIP_1) | instid1(SALU_CYCLE_1)
	s_and_not1_b32 s90, s90, exec_lo
	s_and_b32 s91, s92, exec_lo
	s_or_b32 s90, s90, s91
.LBB51_1700:                            ;   in Loop: Header=BB51_17 Depth=1
	s_or_b32 exec_lo, exec_lo, s88
	s_delay_alu instid0(SALU_CYCLE_1)
	s_and_b32 s88, s90, exec_lo
                                        ; implicit-def: $vgpr2_vgpr3
.LBB51_1701:                            ;   in Loop: Header=BB51_17 Depth=1
	s_and_not1_saveexec_b32 s89, s89
	s_cbranch_execz .LBB51_1715
; %bb.1702:                             ;   in Loop: Header=BB51_17 Depth=1
	s_mov_b32 s90, exec_lo
                                        ; implicit-def: $vgpr0
	v_cmpx_lt_i16_e32 26, v9
	s_xor_b32 s90, exec_lo, s90
	s_cbranch_execz .LBB51_1708
; %bb.1703:                             ;   in Loop: Header=BB51_17 Depth=1
	s_mov_b32 s91, exec_lo
                                        ; implicit-def: $vgpr0
	v_cmpx_lt_i16_e32 27, v9
	s_xor_b32 s91, exec_lo, s91
	s_cbranch_execz .LBB51_1705
; %bb.1704:                             ;   in Loop: Header=BB51_17 Depth=1
	flat_load_b32 v0, v[2:3]
                                        ; implicit-def: $vgpr2_vgpr3
	s_wait_loadcnt_dscnt 0x0
	v_cvt_f32_u32_e32 v0, v0
.LBB51_1705:                            ;   in Loop: Header=BB51_17 Depth=1
	s_wait_xcnt 0x0
	s_and_not1_saveexec_b32 s91, s91
	s_cbranch_execz .LBB51_1707
; %bb.1706:                             ;   in Loop: Header=BB51_17 Depth=1
	flat_load_u16 v0, v[2:3]
	s_wait_loadcnt_dscnt 0x0
	v_cvt_f32_u32_e32 v0, v0
.LBB51_1707:                            ;   in Loop: Header=BB51_17 Depth=1
	s_wait_xcnt 0x0
	s_or_b32 exec_lo, exec_lo, s91
                                        ; implicit-def: $vgpr2_vgpr3
.LBB51_1708:                            ;   in Loop: Header=BB51_17 Depth=1
	s_and_not1_saveexec_b32 s90, s90
	s_cbranch_execz .LBB51_1714
; %bb.1709:                             ;   in Loop: Header=BB51_17 Depth=1
	flat_load_u8 v2, v[2:3]
	s_mov_b32 s91, 0
	s_mov_b32 s92, exec_lo
	s_wait_loadcnt_dscnt 0x0
	v_cmpx_lt_i16_e32 0x7f, v2
	s_xor_b32 s92, exec_lo, s92
	s_cbranch_execnz .LBB51_3622
; %bb.1710:                             ;   in Loop: Header=BB51_17 Depth=1
	s_or_saveexec_b32 s92, s92
	v_mov_b32_e32 v0, 0x7f800001
	s_xor_b32 exec_lo, exec_lo, s92
	s_cbranch_execnz .LBB51_3625
.LBB51_1711:                            ;   in Loop: Header=BB51_17 Depth=1
	s_or_b32 exec_lo, exec_lo, s92
	s_and_saveexec_b32 s92, s91
	s_cbranch_execz .LBB51_1713
.LBB51_1712:                            ;   in Loop: Header=BB51_17 Depth=1
	v_and_b32_e32 v0, 0xffff, v2
	s_delay_alu instid0(VALU_DEP_1) | instskip(SKIP_1) | instid1(VALU_DEP_2)
	v_and_b32_e32 v3, 7, v0
	v_bfe_u32 v21, v0, 3, 4
	v_clz_i32_u32_e32 v19, v3
	s_delay_alu instid0(VALU_DEP_2) | instskip(NEXT) | instid1(VALU_DEP_2)
	v_cmp_eq_u32_e32 vcc_lo, 0, v21
	v_min_u32_e32 v19, 32, v19
	s_delay_alu instid0(VALU_DEP_1) | instskip(NEXT) | instid1(VALU_DEP_1)
	v_subrev_nc_u32_e32 v20, 28, v19
	v_dual_lshlrev_b32 v0, v20, v0 :: v_dual_sub_nc_u32 v19, 29, v19
	s_delay_alu instid0(VALU_DEP_1) | instskip(NEXT) | instid1(VALU_DEP_1)
	v_dual_lshlrev_b32 v2, 24, v2 :: v_dual_bitop2_b32 v0, 7, v0 bitop3:0x40
	v_dual_cndmask_b32 v19, v21, v19 :: v_dual_cndmask_b32 v0, v3, v0
	s_delay_alu instid0(VALU_DEP_2) | instskip(NEXT) | instid1(VALU_DEP_2)
	v_and_b32_e32 v2, 0x80000000, v2
	v_lshl_add_u32 v3, v19, 23, 0x3b800000
	s_delay_alu instid0(VALU_DEP_3) | instskip(NEXT) | instid1(VALU_DEP_1)
	v_lshlrev_b32_e32 v0, 20, v0
	v_or3_b32 v0, v2, v3, v0
.LBB51_1713:                            ;   in Loop: Header=BB51_17 Depth=1
	s_or_b32 exec_lo, exec_lo, s92
.LBB51_1714:                            ;   in Loop: Header=BB51_17 Depth=1
	s_delay_alu instid0(SALU_CYCLE_1) | instskip(NEXT) | instid1(SALU_CYCLE_1)
	s_or_b32 exec_lo, exec_lo, s90
	s_or_b32 s88, s88, exec_lo
.LBB51_1715:                            ;   in Loop: Header=BB51_17 Depth=1
	s_or_b32 exec_lo, exec_lo, s89
	s_delay_alu instid0(SALU_CYCLE_1)
	s_and_b32 s88, s88, exec_lo
                                        ; implicit-def: $vgpr2_vgpr3
.LBB51_1716:                            ;   in Loop: Header=BB51_17 Depth=1
	s_and_not1_saveexec_b32 s79, s79
	s_cbranch_execz .LBB51_1742
; %bb.1717:                             ;   in Loop: Header=BB51_17 Depth=1
	s_mov_b32 s90, s88
	s_mov_b32 s89, exec_lo
                                        ; implicit-def: $vgpr0
	v_cmpx_lt_i16_e32 22, v9
	s_xor_b32 s89, exec_lo, s89
	s_cbranch_execz .LBB51_1731
; %bb.1718:                             ;   in Loop: Header=BB51_17 Depth=1
	s_mov_b32 s90, exec_lo
                                        ; implicit-def: $vgpr0
	v_cmpx_lt_i16_e32 23, v9
	s_xor_b32 s90, exec_lo, s90
	s_cbranch_execz .LBB51_1728
; %bb.1719:                             ;   in Loop: Header=BB51_17 Depth=1
	;; [unrolled: 6-line block ×3, first 2 shown]
	flat_load_u8 v2, v[2:3]
	s_mov_b32 s92, 0
	s_mov_b32 s93, exec_lo
	s_wait_loadcnt_dscnt 0x0
	v_cmpx_lt_i16_e32 0x7f, v2
	s_xor_b32 s93, exec_lo, s93
	s_cbranch_execnz .LBB51_3634
; %bb.1721:                             ;   in Loop: Header=BB51_17 Depth=1
	s_or_saveexec_b32 s93, s93
	v_mov_b32_e32 v0, 0x7f800001
	s_xor_b32 exec_lo, exec_lo, s93
	s_cbranch_execnz .LBB51_3637
.LBB51_1722:                            ;   in Loop: Header=BB51_17 Depth=1
	s_or_b32 exec_lo, exec_lo, s93
	s_and_saveexec_b32 s93, s92
	s_cbranch_execz .LBB51_1724
.LBB51_1723:                            ;   in Loop: Header=BB51_17 Depth=1
	v_and_b32_e32 v0, 0xffff, v2
	s_delay_alu instid0(VALU_DEP_1) | instskip(SKIP_1) | instid1(VALU_DEP_2)
	v_and_b32_e32 v3, 3, v0
	v_bfe_u32 v21, v0, 2, 5
	v_clz_i32_u32_e32 v19, v3
	s_delay_alu instid0(VALU_DEP_2) | instskip(NEXT) | instid1(VALU_DEP_2)
	v_cmp_eq_u32_e32 vcc_lo, 0, v21
	v_min_u32_e32 v19, 32, v19
	s_delay_alu instid0(VALU_DEP_1) | instskip(NEXT) | instid1(VALU_DEP_1)
	v_subrev_nc_u32_e32 v20, 29, v19
	v_dual_lshlrev_b32 v0, v20, v0 :: v_dual_sub_nc_u32 v19, 30, v19
	s_delay_alu instid0(VALU_DEP_1) | instskip(NEXT) | instid1(VALU_DEP_1)
	v_dual_lshlrev_b32 v2, 24, v2 :: v_dual_bitop2_b32 v0, 3, v0 bitop3:0x40
	v_dual_cndmask_b32 v19, v21, v19 :: v_dual_cndmask_b32 v0, v3, v0
	s_delay_alu instid0(VALU_DEP_2) | instskip(NEXT) | instid1(VALU_DEP_2)
	v_and_b32_e32 v2, 0x80000000, v2
	v_lshl_add_u32 v3, v19, 23, 0x37800000
	s_delay_alu instid0(VALU_DEP_3) | instskip(NEXT) | instid1(VALU_DEP_1)
	v_lshlrev_b32_e32 v0, 21, v0
	v_or3_b32 v0, v2, v3, v0
.LBB51_1724:                            ;   in Loop: Header=BB51_17 Depth=1
	s_or_b32 exec_lo, exec_lo, s93
                                        ; implicit-def: $vgpr2_vgpr3
.LBB51_1725:                            ;   in Loop: Header=BB51_17 Depth=1
	s_and_not1_saveexec_b32 s91, s91
	s_cbranch_execz .LBB51_1727
; %bb.1726:                             ;   in Loop: Header=BB51_17 Depth=1
	flat_load_u8 v0, v[2:3]
	s_wait_loadcnt_dscnt 0x0
	v_lshlrev_b32_e32 v0, 24, v0
	s_wait_xcnt 0x0
	s_delay_alu instid0(VALU_DEP_1) | instskip(NEXT) | instid1(VALU_DEP_1)
	v_and_b32_e32 v2, 0x7f000000, v0
	v_clz_i32_u32_e32 v3, v2
	v_add_nc_u32_e32 v20, 0x1000000, v2
	v_cmp_ne_u32_e32 vcc_lo, 0, v2
	s_delay_alu instid0(VALU_DEP_3) | instskip(NEXT) | instid1(VALU_DEP_1)
	v_min_u32_e32 v3, 32, v3
	v_sub_nc_u32_e64 v3, v3, 4 clamp
	s_delay_alu instid0(VALU_DEP_1) | instskip(NEXT) | instid1(VALU_DEP_1)
	v_dual_lshlrev_b32 v19, v3, v2 :: v_dual_lshlrev_b32 v3, 23, v3
	v_lshrrev_b32_e32 v19, 4, v19
	s_delay_alu instid0(VALU_DEP_1) | instskip(NEXT) | instid1(VALU_DEP_1)
	v_dual_sub_nc_u32 v3, v19, v3 :: v_dual_ashrrev_i32 v19, 8, v20
	v_add_nc_u32_e32 v3, 0x3c000000, v3
	s_delay_alu instid0(VALU_DEP_1) | instskip(NEXT) | instid1(VALU_DEP_1)
	v_and_or_b32 v3, 0x7f800000, v19, v3
	v_cndmask_b32_e32 v2, 0, v3, vcc_lo
	s_delay_alu instid0(VALU_DEP_1)
	v_and_or_b32 v0, 0x80000000, v0, v2
.LBB51_1727:                            ;   in Loop: Header=BB51_17 Depth=1
	s_or_b32 exec_lo, exec_lo, s91
                                        ; implicit-def: $vgpr2_vgpr3
.LBB51_1728:                            ;   in Loop: Header=BB51_17 Depth=1
	s_and_not1_saveexec_b32 s90, s90
	s_cbranch_execz .LBB51_1730
; %bb.1729:                             ;   in Loop: Header=BB51_17 Depth=1
	flat_load_u8 v0, v[2:3]
	s_wait_loadcnt_dscnt 0x0
	v_lshlrev_b32_e32 v2, 25, v0
	v_lshlrev_b16 v0, 8, v0
	s_delay_alu instid0(VALU_DEP_1) | instskip(SKIP_1) | instid1(VALU_DEP_2)
	v_and_or_b32 v19, 0x7f00, v0, 0.5
	v_bfe_i32 v0, v0, 0, 16
	v_dual_add_f32 v19, -0.5, v19 :: v_dual_lshrrev_b32 v3, 4, v2
	v_cmp_gt_u32_e32 vcc_lo, 0x8000000, v2
	s_delay_alu instid0(VALU_DEP_2) | instskip(NEXT) | instid1(VALU_DEP_1)
	v_or_b32_e32 v3, 0x70000000, v3
	v_mul_f32_e32 v3, 0x7800000, v3
	s_delay_alu instid0(VALU_DEP_1) | instskip(NEXT) | instid1(VALU_DEP_1)
	v_cndmask_b32_e32 v2, v3, v19, vcc_lo
	v_and_or_b32 v0, 0x80000000, v0, v2
.LBB51_1730:                            ;   in Loop: Header=BB51_17 Depth=1
	s_or_b32 exec_lo, exec_lo, s90
	s_delay_alu instid0(SALU_CYCLE_1)
	s_or_b32 s90, s88, exec_lo
                                        ; implicit-def: $vgpr2_vgpr3
.LBB51_1731:                            ;   in Loop: Header=BB51_17 Depth=1
	s_and_not1_saveexec_b32 s89, s89
	s_cbranch_execz .LBB51_1741
; %bb.1732:                             ;   in Loop: Header=BB51_17 Depth=1
	s_mov_b32 s91, s90
	s_mov_b32 s92, exec_lo
                                        ; implicit-def: $vgpr0
	v_cmpx_lt_i16_e32 14, v9
	s_xor_b32 s92, exec_lo, s92
	s_cbranch_execz .LBB51_1736
; %bb.1733:                             ;   in Loop: Header=BB51_17 Depth=1
	s_mov_b32 s91, s90
	s_mov_b32 s93, exec_lo
                                        ; implicit-def: $vgpr0
	v_cmpx_eq_u16_e32 15, v9
	s_cbranch_execz .LBB51_1735
; %bb.1734:                             ;   in Loop: Header=BB51_17 Depth=1
	flat_load_u16 v0, v[2:3]
	s_or_b32 s91, s90, exec_lo
	s_wait_loadcnt_dscnt 0x0
	v_lshlrev_b32_e32 v0, 16, v0
.LBB51_1735:                            ;   in Loop: Header=BB51_17 Depth=1
	s_wait_xcnt 0x0
	s_or_b32 exec_lo, exec_lo, s93
	s_delay_alu instid0(SALU_CYCLE_1) | instskip(SKIP_1) | instid1(SALU_CYCLE_1)
	s_and_not1_b32 s93, s90, exec_lo
	s_and_b32 s91, s91, exec_lo
                                        ; implicit-def: $vgpr2_vgpr3
	s_or_b32 s91, s93, s91
.LBB51_1736:                            ;   in Loop: Header=BB51_17 Depth=1
	s_and_not1_saveexec_b32 s92, s92
	s_cbranch_execz .LBB51_1740
; %bb.1737:                             ;   in Loop: Header=BB51_17 Depth=1
	s_mov_b32 s93, s91
	s_mov_b32 s94, exec_lo
                                        ; implicit-def: $vgpr0
	v_cmpx_eq_u16_e32 11, v9
	s_cbranch_execz .LBB51_1739
; %bb.1738:                             ;   in Loop: Header=BB51_17 Depth=1
	flat_load_u8 v0, v[2:3]
	s_or_b32 s93, s91, exec_lo
	s_wait_loadcnt_dscnt 0x0
	v_cmp_ne_u16_e32 vcc_lo, 0, v0
	v_cndmask_b32_e64 v0, 0, 1.0, vcc_lo
.LBB51_1739:                            ;   in Loop: Header=BB51_17 Depth=1
	s_wait_xcnt 0x0
	s_or_b32 exec_lo, exec_lo, s94
	s_delay_alu instid0(SALU_CYCLE_1) | instskip(SKIP_1) | instid1(SALU_CYCLE_1)
	s_and_not1_b32 s91, s91, exec_lo
	s_and_b32 s93, s93, exec_lo
	s_or_b32 s91, s91, s93
.LBB51_1740:                            ;   in Loop: Header=BB51_17 Depth=1
	s_or_b32 exec_lo, exec_lo, s92
	s_delay_alu instid0(SALU_CYCLE_1) | instskip(SKIP_1) | instid1(SALU_CYCLE_1)
	s_and_not1_b32 s90, s90, exec_lo
	s_and_b32 s91, s91, exec_lo
	s_or_b32 s90, s90, s91
.LBB51_1741:                            ;   in Loop: Header=BB51_17 Depth=1
	s_or_b32 exec_lo, exec_lo, s89
	s_delay_alu instid0(SALU_CYCLE_1) | instskip(SKIP_1) | instid1(SALU_CYCLE_1)
	s_and_not1_b32 s88, s88, exec_lo
	s_and_b32 s89, s90, exec_lo
	s_or_b32 s88, s88, s89
.LBB51_1742:                            ;   in Loop: Header=BB51_17 Depth=1
	s_or_b32 exec_lo, exec_lo, s79
	s_delay_alu instid0(SALU_CYCLE_1)
	s_and_b32 s79, s88, exec_lo
                                        ; implicit-def: $vgpr2_vgpr3
.LBB51_1743:                            ;   in Loop: Header=BB51_17 Depth=1
	s_and_not1_saveexec_b32 s78, s78
	s_cbranch_execz .LBB51_1785
; %bb.1744:                             ;   in Loop: Header=BB51_17 Depth=1
	s_mov_b32 s88, exec_lo
                                        ; implicit-def: $vgpr0
	v_cmpx_lt_i16_e32 4, v9
	s_xor_b32 s88, exec_lo, s88
	s_cbranch_execz .LBB51_1766
; %bb.1745:                             ;   in Loop: Header=BB51_17 Depth=1
	s_mov_b32 s89, exec_lo
                                        ; implicit-def: $vgpr0
	v_cmpx_lt_i16_e32 7, v9
	s_xor_b32 s89, exec_lo, s89
	;; [unrolled: 6-line block ×4, first 2 shown]
	s_cbranch_execz .LBB51_1749
; %bb.1748:                             ;   in Loop: Header=BB51_17 Depth=1
	flat_load_b64 v[2:3], v[2:3]
	s_wait_loadcnt_dscnt 0x0
	v_cvt_f32_f64_e32 v0, v[2:3]
                                        ; implicit-def: $vgpr2_vgpr3
.LBB51_1749:                            ;   in Loop: Header=BB51_17 Depth=1
	s_wait_xcnt 0x0
	s_and_not1_saveexec_b32 s91, s91
	s_cbranch_execz .LBB51_1751
; %bb.1750:                             ;   in Loop: Header=BB51_17 Depth=1
	flat_load_b32 v0, v[2:3]
.LBB51_1751:                            ;   in Loop: Header=BB51_17 Depth=1
	s_wait_xcnt 0x0
	s_or_b32 exec_lo, exec_lo, s91
                                        ; implicit-def: $vgpr2_vgpr3
.LBB51_1752:                            ;   in Loop: Header=BB51_17 Depth=1
	s_and_not1_saveexec_b32 s90, s90
	s_cbranch_execz .LBB51_1754
; %bb.1753:                             ;   in Loop: Header=BB51_17 Depth=1
	s_wait_loadcnt_dscnt 0x0
	flat_load_b32 v0, v[2:3]
	s_wait_loadcnt_dscnt 0x0
	v_cvt_f32_f16_e32 v0, v0
.LBB51_1754:                            ;   in Loop: Header=BB51_17 Depth=1
	s_wait_xcnt 0x0
	s_or_b32 exec_lo, exec_lo, s90
                                        ; implicit-def: $vgpr2_vgpr3
.LBB51_1755:                            ;   in Loop: Header=BB51_17 Depth=1
	s_and_not1_saveexec_b32 s89, s89
	s_cbranch_execz .LBB51_1765
; %bb.1756:                             ;   in Loop: Header=BB51_17 Depth=1
	s_mov_b32 s90, exec_lo
                                        ; implicit-def: $vgpr0
	v_cmpx_lt_i16_e32 5, v9
	s_xor_b32 s90, exec_lo, s90
	s_cbranch_execz .LBB51_1762
; %bb.1757:                             ;   in Loop: Header=BB51_17 Depth=1
	s_mov_b32 s91, exec_lo
                                        ; implicit-def: $vgpr0
	v_cmpx_lt_i16_e32 6, v9
	s_xor_b32 s91, exec_lo, s91
	s_cbranch_execz .LBB51_1759
; %bb.1758:                             ;   in Loop: Header=BB51_17 Depth=1
	flat_load_b64 v[2:3], v[2:3]
	s_wait_loadcnt_dscnt 0x0
	v_cvt_f32_f64_e32 v0, v[2:3]
                                        ; implicit-def: $vgpr2_vgpr3
.LBB51_1759:                            ;   in Loop: Header=BB51_17 Depth=1
	s_wait_xcnt 0x0
	s_and_not1_saveexec_b32 s91, s91
	s_cbranch_execz .LBB51_1761
; %bb.1760:                             ;   in Loop: Header=BB51_17 Depth=1
	s_wait_loadcnt_dscnt 0x0
	flat_load_b32 v0, v[2:3]
.LBB51_1761:                            ;   in Loop: Header=BB51_17 Depth=1
	s_wait_xcnt 0x0
	s_or_b32 exec_lo, exec_lo, s91
                                        ; implicit-def: $vgpr2_vgpr3
.LBB51_1762:                            ;   in Loop: Header=BB51_17 Depth=1
	s_and_not1_saveexec_b32 s90, s90
	s_cbranch_execz .LBB51_1764
; %bb.1763:                             ;   in Loop: Header=BB51_17 Depth=1
	s_wait_loadcnt_dscnt 0x0
	flat_load_u16 v0, v[2:3]
	s_wait_loadcnt_dscnt 0x0
	v_cvt_f32_f16_e32 v0, v0
.LBB51_1764:                            ;   in Loop: Header=BB51_17 Depth=1
	s_wait_xcnt 0x0
	s_or_b32 exec_lo, exec_lo, s90
.LBB51_1765:                            ;   in Loop: Header=BB51_17 Depth=1
	s_delay_alu instid0(SALU_CYCLE_1)
	s_or_b32 exec_lo, exec_lo, s89
                                        ; implicit-def: $vgpr2_vgpr3
.LBB51_1766:                            ;   in Loop: Header=BB51_17 Depth=1
	s_and_not1_saveexec_b32 s88, s88
	s_cbranch_execz .LBB51_1784
; %bb.1767:                             ;   in Loop: Header=BB51_17 Depth=1
	s_mov_b32 s89, exec_lo
                                        ; implicit-def: $vgpr0
	v_cmpx_lt_i16_e32 1, v9
	s_xor_b32 s89, exec_lo, s89
	s_cbranch_execz .LBB51_1777
; %bb.1768:                             ;   in Loop: Header=BB51_17 Depth=1
	s_mov_b32 s90, exec_lo
                                        ; implicit-def: $vgpr0
	v_cmpx_lt_i16_e32 2, v9
	s_xor_b32 s90, exec_lo, s90
	s_cbranch_execz .LBB51_1774
; %bb.1769:                             ;   in Loop: Header=BB51_17 Depth=1
	s_mov_b32 s91, exec_lo
                                        ; implicit-def: $vgpr0
	v_cmpx_lt_i16_e32 3, v9
	s_xor_b32 s91, exec_lo, s91
	s_cbranch_execz .LBB51_1771
; %bb.1770:                             ;   in Loop: Header=BB51_17 Depth=1
	flat_load_b64 v[2:3], v[2:3]
	s_wait_loadcnt_dscnt 0x0
	v_xor_b32_e32 v0, v2, v3
	v_cls_i32_e32 v19, v3
	s_delay_alu instid0(VALU_DEP_2) | instskip(NEXT) | instid1(VALU_DEP_1)
	v_ashrrev_i32_e32 v0, 31, v0
	v_add_nc_u32_e32 v0, 32, v0
	s_delay_alu instid0(VALU_DEP_1) | instskip(SKIP_1) | instid1(VALU_DEP_1)
	v_add_min_u32_e64 v0, v19, -1, v0
	s_wait_xcnt 0x0
	v_lshlrev_b64_e32 v[2:3], v0, v[2:3]
	v_sub_nc_u32_e32 v0, 32, v0
	s_delay_alu instid0(VALU_DEP_2) | instskip(NEXT) | instid1(VALU_DEP_1)
	v_min_u32_e32 v2, 1, v2
	v_or_b32_e32 v2, v3, v2
	s_delay_alu instid0(VALU_DEP_1) | instskip(NEXT) | instid1(VALU_DEP_1)
	v_cvt_f32_i32_e32 v2, v2
	v_ldexp_f32 v0, v2, v0
                                        ; implicit-def: $vgpr2_vgpr3
.LBB51_1771:                            ;   in Loop: Header=BB51_17 Depth=1
	s_and_not1_saveexec_b32 s91, s91
	s_cbranch_execz .LBB51_1773
; %bb.1772:                             ;   in Loop: Header=BB51_17 Depth=1
	s_wait_loadcnt_dscnt 0x0
	flat_load_b32 v0, v[2:3]
	s_wait_loadcnt_dscnt 0x0
	v_cvt_f32_i32_e32 v0, v0
.LBB51_1773:                            ;   in Loop: Header=BB51_17 Depth=1
	s_wait_xcnt 0x0
	s_or_b32 exec_lo, exec_lo, s91
                                        ; implicit-def: $vgpr2_vgpr3
.LBB51_1774:                            ;   in Loop: Header=BB51_17 Depth=1
	s_and_not1_saveexec_b32 s90, s90
	s_cbranch_execz .LBB51_1776
; %bb.1775:                             ;   in Loop: Header=BB51_17 Depth=1
	s_wait_loadcnt_dscnt 0x0
	flat_load_i16 v0, v[2:3]
	s_wait_loadcnt_dscnt 0x0
	v_cvt_f32_i32_e32 v0, v0
.LBB51_1776:                            ;   in Loop: Header=BB51_17 Depth=1
	s_wait_xcnt 0x0
	s_or_b32 exec_lo, exec_lo, s90
                                        ; implicit-def: $vgpr2_vgpr3
.LBB51_1777:                            ;   in Loop: Header=BB51_17 Depth=1
	s_and_not1_saveexec_b32 s89, s89
	s_cbranch_execz .LBB51_1783
; %bb.1778:                             ;   in Loop: Header=BB51_17 Depth=1
	s_mov_b32 s90, exec_lo
                                        ; implicit-def: $vgpr0
	v_cmpx_lt_i16_e32 0, v9
	s_xor_b32 s90, exec_lo, s90
	s_cbranch_execz .LBB51_1780
; %bb.1779:                             ;   in Loop: Header=BB51_17 Depth=1
	s_wait_loadcnt_dscnt 0x0
	flat_load_i8 v0, v[2:3]
                                        ; implicit-def: $vgpr2_vgpr3
	s_wait_loadcnt_dscnt 0x0
	v_cvt_f32_i32_e32 v0, v0
.LBB51_1780:                            ;   in Loop: Header=BB51_17 Depth=1
	s_wait_xcnt 0x0
	s_and_not1_saveexec_b32 s90, s90
	s_cbranch_execz .LBB51_1782
; %bb.1781:                             ;   in Loop: Header=BB51_17 Depth=1
	s_wait_loadcnt_dscnt 0x0
	flat_load_u8 v0, v[2:3]
	s_wait_loadcnt_dscnt 0x0
	v_cvt_f32_ubyte0_e32 v0, v0
.LBB51_1782:                            ;   in Loop: Header=BB51_17 Depth=1
	s_wait_xcnt 0x0
	s_or_b32 exec_lo, exec_lo, s90
.LBB51_1783:                            ;   in Loop: Header=BB51_17 Depth=1
	s_delay_alu instid0(SALU_CYCLE_1)
	s_or_b32 exec_lo, exec_lo, s89
.LBB51_1784:                            ;   in Loop: Header=BB51_17 Depth=1
	s_delay_alu instid0(SALU_CYCLE_1) | instskip(NEXT) | instid1(SALU_CYCLE_1)
	s_or_b32 exec_lo, exec_lo, s88
	s_or_b32 s79, s79, exec_lo
.LBB51_1785:                            ;   in Loop: Header=BB51_17 Depth=1
	s_or_b32 exec_lo, exec_lo, s78
	s_mov_b32 s88, -1
	s_mov_b32 s90, 0
	s_mov_b32 s89, 0
	s_and_saveexec_b32 s78, s79
	s_cbranch_execz .LBB51_1791
; %bb.1786:                             ;   in Loop: Header=BB51_17 Depth=1
	s_add_co_i32 s79, s33, s1
	s_mov_b32 s88, exec_lo
	s_wait_loadcnt_dscnt 0x0
	scratch_store_b32 off, v0, s79 offset:124
	s_wait_xcnt 0x0
	v_mul_lo_u32 v0, v18, v12
	v_and_b32_e32 v18, 0xff, v10
	s_delay_alu instid0(VALU_DEP_2) | instskip(NEXT) | instid1(VALU_DEP_2)
	v_add_nc_u64_e32 v[2:3], v[6:7], v[0:1]
                                        ; implicit-def: $vgpr0
	v_cmpx_lt_i16_e32 10, v18
	s_xor_b32 s88, exec_lo, s88
	s_cbranch_execnz .LBB51_3478
; %bb.1787:                             ;   in Loop: Header=BB51_17 Depth=1
	s_and_not1_saveexec_b32 s88, s88
	s_cbranch_execnz .LBB51_3537
.LBB51_1788:                            ;   in Loop: Header=BB51_17 Depth=1
	s_or_b32 exec_lo, exec_lo, s88
	s_mov_b32 s90, 0
	s_and_saveexec_b32 s88, s89
	s_cbranch_execz .LBB51_1790
.LBB51_1789:                            ;   in Loop: Header=BB51_17 Depth=1
	v_add_nc_u32_e32 v16, 0x200, v16
	s_mov_b32 s90, exec_lo
	s_wait_loadcnt_dscnt 0x0
	scratch_store_b32 off, v0, s79 offset:120
.LBB51_1790:                            ;   in Loop: Header=BB51_17 Depth=1
	s_wait_xcnt 0x0
	s_or_b32 exec_lo, exec_lo, s88
	s_delay_alu instid0(SALU_CYCLE_1)
	s_mov_b32 s89, exec_lo
	s_xor_b32 s88, exec_lo, -1
	s_and_b32 s90, s90, exec_lo
.LBB51_1791:                            ;   in Loop: Header=BB51_17 Depth=1
	s_or_b32 exec_lo, exec_lo, s78
	s_delay_alu instid0(SALU_CYCLE_1)
	s_or_not1_b32 s78, s90, exec_lo
.LBB51_1792:                            ;   in Loop: Header=BB51_17 Depth=1
	s_or_b32 exec_lo, exec_lo, s77
	s_and_saveexec_b32 s77, s78
	s_cbranch_execz .LBB51_1
; %bb.1793:                             ;   in Loop: Header=BB51_17 Depth=1
	s_addk_co_i32 s1, 0x80
	s_delay_alu instid0(SALU_CYCLE_1)
	s_cmp_eq_u32 s1, 0x100
	s_cselect_b32 s76, -1, 0
	s_and_not1_b32 s89, s89, exec_lo
	s_and_not1_b32 s88, s88, exec_lo
	s_or_not1_b32 s76, s76, exec_lo
	s_branch .LBB51_1
.LBB51_1794:                            ;   in Loop: Header=BB51_17 Depth=1
	s_mov_b32 s11, exec_lo
                                        ; implicit-def: $vgpr0
	v_cmpx_lt_i16_e32 25, v18
	s_xor_b32 s11, exec_lo, s11
	s_cbranch_execz .LBB51_1826
; %bb.1795:                             ;   in Loop: Header=BB51_17 Depth=1
	s_mov_b32 s13, exec_lo
                                        ; implicit-def: $vgpr0
	v_cmpx_lt_i16_e32 28, v18
	s_xor_b32 s13, exec_lo, s13
	s_cbranch_execz .LBB51_1811
; %bb.1796:                             ;   in Loop: Header=BB51_17 Depth=1
	s_mov_b32 s14, 0
	s_mov_b32 s12, exec_lo
                                        ; implicit-def: $vgpr0
	v_cmpx_lt_i16_e32 43, v18
	s_xor_b32 s12, exec_lo, s12
	s_cbranch_execz .LBB51_1806
; %bb.1797:                             ;   in Loop: Header=BB51_17 Depth=1
	s_mov_b32 s15, exec_lo
                                        ; implicit-def: $vgpr0
	v_cmpx_lt_i16_e32 45, v18
	s_xor_b32 s15, exec_lo, s15
	s_cbranch_execz .LBB51_1801
; %bb.1798:                             ;   in Loop: Header=BB51_17 Depth=1
	s_mov_b32 s16, exec_lo
                                        ; implicit-def: $vgpr0
	v_cmpx_eq_u16_e32 46, v18
	s_cbranch_execz .LBB51_1800
; %bb.1799:                             ;   in Loop: Header=BB51_17 Depth=1
	flat_load_b32 v0, v[2:3]
	s_mov_b32 s14, exec_lo
	s_wait_loadcnt_dscnt 0x0
	v_lshlrev_b32_e32 v0, 16, v0
.LBB51_1800:                            ;   in Loop: Header=BB51_17 Depth=1
	s_wait_xcnt 0x0
	s_or_b32 exec_lo, exec_lo, s16
	s_delay_alu instid0(SALU_CYCLE_1)
	s_and_b32 s14, s14, exec_lo
                                        ; implicit-def: $vgpr18
                                        ; implicit-def: $vgpr2_vgpr3
.LBB51_1801:                            ;   in Loop: Header=BB51_17 Depth=1
	s_and_not1_saveexec_b32 s15, s15
	s_cbranch_execz .LBB51_1805
; %bb.1802:                             ;   in Loop: Header=BB51_17 Depth=1
	s_mov_b32 s17, s14
	s_mov_b32 s16, exec_lo
                                        ; implicit-def: $vgpr0
	v_cmpx_eq_u16_e32 44, v18
	s_cbranch_execz .LBB51_1804
; %bb.1803:                             ;   in Loop: Header=BB51_17 Depth=1
	flat_load_u8 v0, v[2:3]
	s_or_b32 s17, s14, exec_lo
	s_wait_loadcnt_dscnt 0x0
	v_lshlrev_b32_e32 v2, 23, v0
	v_cmp_ne_u32_e32 vcc_lo, 0xff, v0
	s_delay_alu instid0(VALU_DEP_2) | instskip(SKIP_1) | instid1(VALU_DEP_2)
	v_cndmask_b32_e32 v2, 0x7f800001, v2, vcc_lo
	v_cmp_ne_u32_e32 vcc_lo, 0, v0
	v_cndmask_b32_e32 v0, 0x400000, v2, vcc_lo
.LBB51_1804:                            ;   in Loop: Header=BB51_17 Depth=1
	s_or_b32 exec_lo, exec_lo, s16
	s_delay_alu instid0(SALU_CYCLE_1) | instskip(SKIP_1) | instid1(SALU_CYCLE_1)
	s_and_not1_b32 s14, s14, exec_lo
	s_and_b32 s16, s17, exec_lo
	s_or_b32 s14, s14, s16
.LBB51_1805:                            ;   in Loop: Header=BB51_17 Depth=1
	s_or_b32 exec_lo, exec_lo, s15
	s_delay_alu instid0(SALU_CYCLE_1)
	s_and_b32 s14, s14, exec_lo
                                        ; implicit-def: $vgpr18
                                        ; implicit-def: $vgpr2_vgpr3
.LBB51_1806:                            ;   in Loop: Header=BB51_17 Depth=1
	s_and_not1_saveexec_b32 s12, s12
	s_cbranch_execz .LBB51_1810
; %bb.1807:                             ;   in Loop: Header=BB51_17 Depth=1
	s_mov_b32 s16, s14
	s_mov_b32 s15, exec_lo
                                        ; implicit-def: $vgpr0
	v_cmpx_eq_u16_e32 29, v18
	s_cbranch_execz .LBB51_1809
; %bb.1808:                             ;   in Loop: Header=BB51_17 Depth=1
	flat_load_b64 v[2:3], v[2:3]
	s_or_b32 s16, s14, exec_lo
	s_wait_loadcnt_dscnt 0x0
	v_clz_i32_u32_e32 v0, v3
	s_delay_alu instid0(VALU_DEP_1) | instskip(SKIP_1) | instid1(VALU_DEP_1)
	v_min_u32_e32 v0, 32, v0
	s_wait_xcnt 0x0
	v_lshlrev_b64_e32 v[2:3], v0, v[2:3]
	v_sub_nc_u32_e32 v0, 32, v0
	s_delay_alu instid0(VALU_DEP_2) | instskip(NEXT) | instid1(VALU_DEP_1)
	v_min_u32_e32 v2, 1, v2
	v_or_b32_e32 v2, v3, v2
	s_delay_alu instid0(VALU_DEP_1) | instskip(NEXT) | instid1(VALU_DEP_1)
	v_cvt_f32_u32_e32 v2, v2
	v_ldexp_f32 v0, v2, v0
.LBB51_1809:                            ;   in Loop: Header=BB51_17 Depth=1
	s_or_b32 exec_lo, exec_lo, s15
	s_delay_alu instid0(SALU_CYCLE_1) | instskip(SKIP_1) | instid1(SALU_CYCLE_1)
	s_and_not1_b32 s14, s14, exec_lo
	s_and_b32 s15, s16, exec_lo
	s_or_b32 s14, s14, s15
.LBB51_1810:                            ;   in Loop: Header=BB51_17 Depth=1
	s_or_b32 exec_lo, exec_lo, s12
	s_delay_alu instid0(SALU_CYCLE_1)
	s_and_b32 s12, s14, exec_lo
                                        ; implicit-def: $vgpr18
                                        ; implicit-def: $vgpr2_vgpr3
.LBB51_1811:                            ;   in Loop: Header=BB51_17 Depth=1
	s_and_not1_saveexec_b32 s13, s13
	s_cbranch_execz .LBB51_1825
; %bb.1812:                             ;   in Loop: Header=BB51_17 Depth=1
	s_mov_b32 s14, exec_lo
                                        ; implicit-def: $vgpr0
	v_cmpx_lt_i16_e32 26, v18
	s_xor_b32 s14, exec_lo, s14
	s_cbranch_execz .LBB51_1818
; %bb.1813:                             ;   in Loop: Header=BB51_17 Depth=1
	s_mov_b32 s15, exec_lo
                                        ; implicit-def: $vgpr0
	v_cmpx_lt_i16_e32 27, v18
	s_xor_b32 s15, exec_lo, s15
	s_cbranch_execz .LBB51_1815
; %bb.1814:                             ;   in Loop: Header=BB51_17 Depth=1
	flat_load_b32 v0, v[2:3]
                                        ; implicit-def: $vgpr2_vgpr3
	s_wait_loadcnt_dscnt 0x0
	v_cvt_f32_u32_e32 v0, v0
.LBB51_1815:                            ;   in Loop: Header=BB51_17 Depth=1
	s_wait_xcnt 0x0
	s_and_not1_saveexec_b32 s15, s15
	s_cbranch_execz .LBB51_1817
; %bb.1816:                             ;   in Loop: Header=BB51_17 Depth=1
	flat_load_u16 v0, v[2:3]
	s_wait_loadcnt_dscnt 0x0
	v_cvt_f32_u32_e32 v0, v0
.LBB51_1817:                            ;   in Loop: Header=BB51_17 Depth=1
	s_wait_xcnt 0x0
	s_or_b32 exec_lo, exec_lo, s15
                                        ; implicit-def: $vgpr2_vgpr3
.LBB51_1818:                            ;   in Loop: Header=BB51_17 Depth=1
	s_and_not1_saveexec_b32 s14, s14
	s_cbranch_execz .LBB51_1824
; %bb.1819:                             ;   in Loop: Header=BB51_17 Depth=1
	flat_load_u8 v2, v[2:3]
	s_mov_b32 s15, 0
	s_mov_b32 s16, exec_lo
	s_wait_loadcnt_dscnt 0x0
	v_cmpx_lt_i16_e32 0x7f, v2
	s_xor_b32 s16, exec_lo, s16
	s_cbranch_execnz .LBB51_2306
; %bb.1820:                             ;   in Loop: Header=BB51_17 Depth=1
	s_or_saveexec_b32 s16, s16
	v_mov_b32_e32 v0, 0x7f800001
	s_xor_b32 exec_lo, exec_lo, s16
	s_cbranch_execnz .LBB51_2309
.LBB51_1821:                            ;   in Loop: Header=BB51_17 Depth=1
	s_or_b32 exec_lo, exec_lo, s16
	s_and_saveexec_b32 s16, s15
	s_cbranch_execz .LBB51_1823
.LBB51_1822:                            ;   in Loop: Header=BB51_17 Depth=1
	v_and_b32_e32 v0, 0xffff, v2
	s_delay_alu instid0(VALU_DEP_1) | instskip(SKIP_1) | instid1(VALU_DEP_2)
	v_and_b32_e32 v3, 7, v0
	v_bfe_u32 v20, v0, 3, 4
	v_clz_i32_u32_e32 v18, v3
	s_delay_alu instid0(VALU_DEP_2) | instskip(NEXT) | instid1(VALU_DEP_2)
	v_cmp_eq_u32_e32 vcc_lo, 0, v20
	v_min_u32_e32 v18, 32, v18
	s_delay_alu instid0(VALU_DEP_1) | instskip(NEXT) | instid1(VALU_DEP_1)
	v_subrev_nc_u32_e32 v19, 28, v18
	v_dual_lshlrev_b32 v0, v19, v0 :: v_dual_sub_nc_u32 v18, 29, v18
	s_delay_alu instid0(VALU_DEP_1) | instskip(NEXT) | instid1(VALU_DEP_1)
	v_dual_lshlrev_b32 v2, 24, v2 :: v_dual_bitop2_b32 v0, 7, v0 bitop3:0x40
	v_dual_cndmask_b32 v0, v3, v0, vcc_lo :: v_dual_cndmask_b32 v18, v20, v18, vcc_lo
	s_delay_alu instid0(VALU_DEP_2) | instskip(NEXT) | instid1(VALU_DEP_2)
	v_and_b32_e32 v2, 0x80000000, v2
	v_lshlrev_b32_e32 v0, 20, v0
	s_delay_alu instid0(VALU_DEP_3) | instskip(NEXT) | instid1(VALU_DEP_1)
	v_lshl_add_u32 v3, v18, 23, 0x3b800000
	v_or3_b32 v0, v2, v3, v0
.LBB51_1823:                            ;   in Loop: Header=BB51_17 Depth=1
	s_or_b32 exec_lo, exec_lo, s16
.LBB51_1824:                            ;   in Loop: Header=BB51_17 Depth=1
	s_delay_alu instid0(SALU_CYCLE_1) | instskip(NEXT) | instid1(SALU_CYCLE_1)
	s_or_b32 exec_lo, exec_lo, s14
	s_or_b32 s12, s12, exec_lo
.LBB51_1825:                            ;   in Loop: Header=BB51_17 Depth=1
	s_or_b32 exec_lo, exec_lo, s13
	s_delay_alu instid0(SALU_CYCLE_1)
	s_and_b32 s12, s12, exec_lo
                                        ; implicit-def: $vgpr18
                                        ; implicit-def: $vgpr2_vgpr3
.LBB51_1826:                            ;   in Loop: Header=BB51_17 Depth=1
	s_and_not1_saveexec_b32 s11, s11
	s_cbranch_execz .LBB51_1852
; %bb.1827:                             ;   in Loop: Header=BB51_17 Depth=1
	s_mov_b32 s14, s12
	s_mov_b32 s13, exec_lo
                                        ; implicit-def: $vgpr0
	v_cmpx_lt_i16_e32 22, v18
	s_xor_b32 s13, exec_lo, s13
	s_cbranch_execz .LBB51_1841
; %bb.1828:                             ;   in Loop: Header=BB51_17 Depth=1
	s_mov_b32 s14, exec_lo
                                        ; implicit-def: $vgpr0
	v_cmpx_lt_i16_e32 23, v18
	s_xor_b32 s14, exec_lo, s14
	s_cbranch_execz .LBB51_1838
; %bb.1829:                             ;   in Loop: Header=BB51_17 Depth=1
	;; [unrolled: 6-line block ×3, first 2 shown]
	flat_load_u8 v2, v[2:3]
	s_mov_b32 s16, 0
	s_mov_b32 s17, exec_lo
	s_wait_loadcnt_dscnt 0x0
	v_cmpx_lt_i16_e32 0x7f, v2
	s_xor_b32 s17, exec_lo, s17
	s_cbranch_execnz .LBB51_2418
; %bb.1831:                             ;   in Loop: Header=BB51_17 Depth=1
	s_or_saveexec_b32 s17, s17
	v_mov_b32_e32 v0, 0x7f800001
	s_xor_b32 exec_lo, exec_lo, s17
	s_cbranch_execnz .LBB51_2421
.LBB51_1832:                            ;   in Loop: Header=BB51_17 Depth=1
	s_or_b32 exec_lo, exec_lo, s17
	s_and_saveexec_b32 s17, s16
	s_cbranch_execz .LBB51_1834
.LBB51_1833:                            ;   in Loop: Header=BB51_17 Depth=1
	v_and_b32_e32 v0, 0xffff, v2
	s_delay_alu instid0(VALU_DEP_1) | instskip(SKIP_1) | instid1(VALU_DEP_2)
	v_and_b32_e32 v3, 3, v0
	v_bfe_u32 v20, v0, 2, 5
	v_clz_i32_u32_e32 v18, v3
	s_delay_alu instid0(VALU_DEP_2) | instskip(NEXT) | instid1(VALU_DEP_2)
	v_cmp_eq_u32_e32 vcc_lo, 0, v20
	v_min_u32_e32 v18, 32, v18
	s_delay_alu instid0(VALU_DEP_1) | instskip(NEXT) | instid1(VALU_DEP_1)
	v_subrev_nc_u32_e32 v19, 29, v18
	v_dual_lshlrev_b32 v0, v19, v0 :: v_dual_sub_nc_u32 v18, 30, v18
	s_delay_alu instid0(VALU_DEP_1) | instskip(NEXT) | instid1(VALU_DEP_1)
	v_dual_lshlrev_b32 v2, 24, v2 :: v_dual_bitop2_b32 v0, 3, v0 bitop3:0x40
	v_dual_cndmask_b32 v0, v3, v0, vcc_lo :: v_dual_cndmask_b32 v18, v20, v18, vcc_lo
	s_delay_alu instid0(VALU_DEP_2) | instskip(NEXT) | instid1(VALU_DEP_2)
	v_and_b32_e32 v2, 0x80000000, v2
	v_lshlrev_b32_e32 v0, 21, v0
	s_delay_alu instid0(VALU_DEP_3) | instskip(NEXT) | instid1(VALU_DEP_1)
	v_lshl_add_u32 v3, v18, 23, 0x37800000
	v_or3_b32 v0, v2, v3, v0
.LBB51_1834:                            ;   in Loop: Header=BB51_17 Depth=1
	s_or_b32 exec_lo, exec_lo, s17
                                        ; implicit-def: $vgpr2_vgpr3
.LBB51_1835:                            ;   in Loop: Header=BB51_17 Depth=1
	s_and_not1_saveexec_b32 s15, s15
	s_cbranch_execz .LBB51_1837
; %bb.1836:                             ;   in Loop: Header=BB51_17 Depth=1
	flat_load_u8 v0, v[2:3]
	s_wait_loadcnt_dscnt 0x0
	v_lshlrev_b32_e32 v0, 24, v0
	s_wait_xcnt 0x0
	s_delay_alu instid0(VALU_DEP_1) | instskip(NEXT) | instid1(VALU_DEP_1)
	v_and_b32_e32 v2, 0x7f000000, v0
	v_clz_i32_u32_e32 v3, v2
	v_cmp_ne_u32_e32 vcc_lo, 0, v2
	v_add_nc_u32_e32 v19, 0x1000000, v2
	s_delay_alu instid0(VALU_DEP_3) | instskip(NEXT) | instid1(VALU_DEP_1)
	v_min_u32_e32 v3, 32, v3
	v_sub_nc_u32_e64 v3, v3, 4 clamp
	s_delay_alu instid0(VALU_DEP_1) | instskip(NEXT) | instid1(VALU_DEP_1)
	v_dual_lshlrev_b32 v18, v3, v2 :: v_dual_lshlrev_b32 v3, 23, v3
	v_lshrrev_b32_e32 v18, 4, v18
	s_delay_alu instid0(VALU_DEP_1) | instskip(SKIP_1) | instid1(VALU_DEP_2)
	v_sub_nc_u32_e32 v3, v18, v3
	v_ashrrev_i32_e32 v18, 8, v19
	v_add_nc_u32_e32 v3, 0x3c000000, v3
	s_delay_alu instid0(VALU_DEP_1) | instskip(NEXT) | instid1(VALU_DEP_1)
	v_and_or_b32 v3, 0x7f800000, v18, v3
	v_cndmask_b32_e32 v2, 0, v3, vcc_lo
	s_delay_alu instid0(VALU_DEP_1)
	v_and_or_b32 v0, 0x80000000, v0, v2
.LBB51_1837:                            ;   in Loop: Header=BB51_17 Depth=1
	s_or_b32 exec_lo, exec_lo, s15
                                        ; implicit-def: $vgpr2_vgpr3
.LBB51_1838:                            ;   in Loop: Header=BB51_17 Depth=1
	s_and_not1_saveexec_b32 s14, s14
	s_cbranch_execz .LBB51_1840
; %bb.1839:                             ;   in Loop: Header=BB51_17 Depth=1
	flat_load_u8 v0, v[2:3]
	s_wait_loadcnt_dscnt 0x0
	v_lshlrev_b32_e32 v2, 25, v0
	v_lshlrev_b16 v0, 8, v0
	s_delay_alu instid0(VALU_DEP_1) | instskip(SKIP_1) | instid1(VALU_DEP_2)
	v_and_or_b32 v18, 0x7f00, v0, 0.5
	v_bfe_i32 v0, v0, 0, 16
	v_add_f32_e32 v18, -0.5, v18
	v_lshrrev_b32_e32 v3, 4, v2
	v_cmp_gt_u32_e32 vcc_lo, 0x8000000, v2
	s_delay_alu instid0(VALU_DEP_2) | instskip(NEXT) | instid1(VALU_DEP_1)
	v_or_b32_e32 v3, 0x70000000, v3
	v_mul_f32_e32 v3, 0x7800000, v3
	s_delay_alu instid0(VALU_DEP_1) | instskip(NEXT) | instid1(VALU_DEP_1)
	v_cndmask_b32_e32 v2, v3, v18, vcc_lo
	v_and_or_b32 v0, 0x80000000, v0, v2
.LBB51_1840:                            ;   in Loop: Header=BB51_17 Depth=1
	s_or_b32 exec_lo, exec_lo, s14
	s_delay_alu instid0(SALU_CYCLE_1)
	s_or_b32 s14, s12, exec_lo
                                        ; implicit-def: $vgpr18
                                        ; implicit-def: $vgpr2_vgpr3
.LBB51_1841:                            ;   in Loop: Header=BB51_17 Depth=1
	s_and_not1_saveexec_b32 s13, s13
	s_cbranch_execz .LBB51_1851
; %bb.1842:                             ;   in Loop: Header=BB51_17 Depth=1
	s_mov_b32 s15, s14
	s_mov_b32 s16, exec_lo
                                        ; implicit-def: $vgpr0
	v_cmpx_lt_i16_e32 14, v18
	s_xor_b32 s16, exec_lo, s16
	s_cbranch_execz .LBB51_1846
; %bb.1843:                             ;   in Loop: Header=BB51_17 Depth=1
	s_mov_b32 s15, s14
	s_mov_b32 s17, exec_lo
                                        ; implicit-def: $vgpr0
	v_cmpx_eq_u16_e32 15, v18
	s_cbranch_execz .LBB51_1845
; %bb.1844:                             ;   in Loop: Header=BB51_17 Depth=1
	flat_load_u16 v0, v[2:3]
	s_or_b32 s15, s14, exec_lo
	s_wait_loadcnt_dscnt 0x0
	v_lshlrev_b32_e32 v0, 16, v0
.LBB51_1845:                            ;   in Loop: Header=BB51_17 Depth=1
	s_wait_xcnt 0x0
	s_or_b32 exec_lo, exec_lo, s17
	s_delay_alu instid0(SALU_CYCLE_1) | instskip(SKIP_1) | instid1(SALU_CYCLE_1)
	s_and_not1_b32 s17, s14, exec_lo
	s_and_b32 s15, s15, exec_lo
                                        ; implicit-def: $vgpr18
                                        ; implicit-def: $vgpr2_vgpr3
	s_or_b32 s15, s17, s15
.LBB51_1846:                            ;   in Loop: Header=BB51_17 Depth=1
	s_and_not1_saveexec_b32 s16, s16
	s_cbranch_execz .LBB51_1850
; %bb.1847:                             ;   in Loop: Header=BB51_17 Depth=1
	s_mov_b32 s17, s15
	s_mov_b32 s18, exec_lo
                                        ; implicit-def: $vgpr0
	v_cmpx_eq_u16_e32 11, v18
	s_cbranch_execz .LBB51_1849
; %bb.1848:                             ;   in Loop: Header=BB51_17 Depth=1
	flat_load_u8 v0, v[2:3]
	s_or_b32 s17, s15, exec_lo
	s_wait_loadcnt_dscnt 0x0
	v_cmp_ne_u16_e32 vcc_lo, 0, v0
	v_cndmask_b32_e64 v0, 0, 1.0, vcc_lo
.LBB51_1849:                            ;   in Loop: Header=BB51_17 Depth=1
	s_wait_xcnt 0x0
	s_or_b32 exec_lo, exec_lo, s18
	s_delay_alu instid0(SALU_CYCLE_1) | instskip(SKIP_1) | instid1(SALU_CYCLE_1)
	s_and_not1_b32 s15, s15, exec_lo
	s_and_b32 s17, s17, exec_lo
	s_or_b32 s15, s15, s17
.LBB51_1850:                            ;   in Loop: Header=BB51_17 Depth=1
	s_or_b32 exec_lo, exec_lo, s16
	s_delay_alu instid0(SALU_CYCLE_1) | instskip(SKIP_1) | instid1(SALU_CYCLE_1)
	s_and_not1_b32 s14, s14, exec_lo
	s_and_b32 s15, s15, exec_lo
	s_or_b32 s14, s14, s15
.LBB51_1851:                            ;   in Loop: Header=BB51_17 Depth=1
	s_or_b32 exec_lo, exec_lo, s13
	s_delay_alu instid0(SALU_CYCLE_1) | instskip(SKIP_1) | instid1(SALU_CYCLE_1)
	s_and_not1_b32 s12, s12, exec_lo
	s_and_b32 s13, s14, exec_lo
	s_or_b32 s12, s12, s13
.LBB51_1852:                            ;   in Loop: Header=BB51_17 Depth=1
	s_or_b32 exec_lo, exec_lo, s11
	s_delay_alu instid0(SALU_CYCLE_1)
	s_and_b32 s11, s12, exec_lo
                                        ; implicit-def: $vgpr18
                                        ; implicit-def: $vgpr2_vgpr3
	s_and_not1_saveexec_b32 s10, s10
	s_cbranch_execz .LBB51_123
.LBB51_1853:                            ;   in Loop: Header=BB51_17 Depth=1
	s_mov_b32 s12, exec_lo
                                        ; implicit-def: $vgpr0
	v_cmpx_lt_i16_e32 4, v18
	s_xor_b32 s12, exec_lo, s12
	s_cbranch_execz .LBB51_1875
; %bb.1854:                             ;   in Loop: Header=BB51_17 Depth=1
	s_mov_b32 s13, exec_lo
                                        ; implicit-def: $vgpr0
	v_cmpx_lt_i16_e32 7, v18
	s_xor_b32 s13, exec_lo, s13
	s_cbranch_execz .LBB51_1864
; %bb.1855:                             ;   in Loop: Header=BB51_17 Depth=1
	;; [unrolled: 6-line block ×4, first 2 shown]
	flat_load_b64 v[2:3], v[2:3]
	s_wait_loadcnt_dscnt 0x0
	v_cvt_f32_f64_e32 v0, v[2:3]
                                        ; implicit-def: $vgpr2_vgpr3
.LBB51_1858:                            ;   in Loop: Header=BB51_17 Depth=1
	s_wait_xcnt 0x0
	s_and_not1_saveexec_b32 s15, s15
	s_cbranch_execz .LBB51_1860
; %bb.1859:                             ;   in Loop: Header=BB51_17 Depth=1
	flat_load_b32 v0, v[2:3]
.LBB51_1860:                            ;   in Loop: Header=BB51_17 Depth=1
	s_wait_xcnt 0x0
	s_or_b32 exec_lo, exec_lo, s15
                                        ; implicit-def: $vgpr2_vgpr3
.LBB51_1861:                            ;   in Loop: Header=BB51_17 Depth=1
	s_and_not1_saveexec_b32 s14, s14
	s_cbranch_execz .LBB51_1863
; %bb.1862:                             ;   in Loop: Header=BB51_17 Depth=1
	s_wait_loadcnt_dscnt 0x0
	flat_load_b32 v0, v[2:3]
	s_wait_loadcnt_dscnt 0x0
	v_cvt_f32_f16_e32 v0, v0
.LBB51_1863:                            ;   in Loop: Header=BB51_17 Depth=1
	s_wait_xcnt 0x0
	s_or_b32 exec_lo, exec_lo, s14
                                        ; implicit-def: $vgpr2_vgpr3
                                        ; implicit-def: $vgpr18
.LBB51_1864:                            ;   in Loop: Header=BB51_17 Depth=1
	s_and_not1_saveexec_b32 s13, s13
	s_cbranch_execz .LBB51_1874
; %bb.1865:                             ;   in Loop: Header=BB51_17 Depth=1
	s_mov_b32 s14, exec_lo
                                        ; implicit-def: $vgpr0
	v_cmpx_lt_i16_e32 5, v18
	s_xor_b32 s14, exec_lo, s14
	s_cbranch_execz .LBB51_1871
; %bb.1866:                             ;   in Loop: Header=BB51_17 Depth=1
	s_mov_b32 s15, exec_lo
                                        ; implicit-def: $vgpr0
	v_cmpx_lt_i16_e32 6, v18
	s_xor_b32 s15, exec_lo, s15
	s_cbranch_execz .LBB51_1868
; %bb.1867:                             ;   in Loop: Header=BB51_17 Depth=1
	flat_load_b64 v[2:3], v[2:3]
	s_wait_loadcnt_dscnt 0x0
	v_cvt_f32_f64_e32 v0, v[2:3]
                                        ; implicit-def: $vgpr2_vgpr3
.LBB51_1868:                            ;   in Loop: Header=BB51_17 Depth=1
	s_wait_xcnt 0x0
	s_and_not1_saveexec_b32 s15, s15
	s_cbranch_execz .LBB51_1870
; %bb.1869:                             ;   in Loop: Header=BB51_17 Depth=1
	s_wait_loadcnt_dscnt 0x0
	flat_load_b32 v0, v[2:3]
.LBB51_1870:                            ;   in Loop: Header=BB51_17 Depth=1
	s_wait_xcnt 0x0
	s_or_b32 exec_lo, exec_lo, s15
                                        ; implicit-def: $vgpr2_vgpr3
.LBB51_1871:                            ;   in Loop: Header=BB51_17 Depth=1
	s_and_not1_saveexec_b32 s14, s14
	s_cbranch_execz .LBB51_1873
; %bb.1872:                             ;   in Loop: Header=BB51_17 Depth=1
	s_wait_loadcnt_dscnt 0x0
	flat_load_u16 v0, v[2:3]
	s_wait_loadcnt_dscnt 0x0
	v_cvt_f32_f16_e32 v0, v0
.LBB51_1873:                            ;   in Loop: Header=BB51_17 Depth=1
	s_wait_xcnt 0x0
	s_or_b32 exec_lo, exec_lo, s14
.LBB51_1874:                            ;   in Loop: Header=BB51_17 Depth=1
	s_delay_alu instid0(SALU_CYCLE_1)
	s_or_b32 exec_lo, exec_lo, s13
                                        ; implicit-def: $vgpr18
                                        ; implicit-def: $vgpr2_vgpr3
.LBB51_1875:                            ;   in Loop: Header=BB51_17 Depth=1
	s_and_not1_saveexec_b32 s12, s12
	s_cbranch_execz .LBB51_1893
; %bb.1876:                             ;   in Loop: Header=BB51_17 Depth=1
	s_mov_b32 s13, exec_lo
                                        ; implicit-def: $vgpr0
	v_cmpx_lt_i16_e32 1, v18
	s_xor_b32 s13, exec_lo, s13
	s_cbranch_execz .LBB51_1886
; %bb.1877:                             ;   in Loop: Header=BB51_17 Depth=1
	s_mov_b32 s14, exec_lo
                                        ; implicit-def: $vgpr0
	v_cmpx_lt_i16_e32 2, v18
	s_xor_b32 s14, exec_lo, s14
	;; [unrolled: 6-line block ×3, first 2 shown]
	s_cbranch_execz .LBB51_1880
; %bb.1879:                             ;   in Loop: Header=BB51_17 Depth=1
	flat_load_b64 v[2:3], v[2:3]
	s_wait_loadcnt_dscnt 0x0
	v_xor_b32_e32 v0, v2, v3
	v_cls_i32_e32 v18, v3
	s_delay_alu instid0(VALU_DEP_2) | instskip(NEXT) | instid1(VALU_DEP_1)
	v_ashrrev_i32_e32 v0, 31, v0
	v_add_nc_u32_e32 v0, 32, v0
	s_delay_alu instid0(VALU_DEP_1) | instskip(SKIP_1) | instid1(VALU_DEP_1)
	v_add_min_u32_e64 v0, v18, -1, v0
	s_wait_xcnt 0x0
	v_lshlrev_b64_e32 v[2:3], v0, v[2:3]
	v_sub_nc_u32_e32 v0, 32, v0
	s_delay_alu instid0(VALU_DEP_2) | instskip(NEXT) | instid1(VALU_DEP_1)
	v_min_u32_e32 v2, 1, v2
	v_or_b32_e32 v2, v3, v2
	s_delay_alu instid0(VALU_DEP_1) | instskip(NEXT) | instid1(VALU_DEP_1)
	v_cvt_f32_i32_e32 v2, v2
	v_ldexp_f32 v0, v2, v0
                                        ; implicit-def: $vgpr2_vgpr3
.LBB51_1880:                            ;   in Loop: Header=BB51_17 Depth=1
	s_and_not1_saveexec_b32 s15, s15
	s_cbranch_execz .LBB51_1882
; %bb.1881:                             ;   in Loop: Header=BB51_17 Depth=1
	s_wait_loadcnt_dscnt 0x0
	flat_load_b32 v0, v[2:3]
	s_wait_loadcnt_dscnt 0x0
	v_cvt_f32_i32_e32 v0, v0
.LBB51_1882:                            ;   in Loop: Header=BB51_17 Depth=1
	s_wait_xcnt 0x0
	s_or_b32 exec_lo, exec_lo, s15
                                        ; implicit-def: $vgpr2_vgpr3
.LBB51_1883:                            ;   in Loop: Header=BB51_17 Depth=1
	s_and_not1_saveexec_b32 s14, s14
	s_cbranch_execz .LBB51_1885
; %bb.1884:                             ;   in Loop: Header=BB51_17 Depth=1
	s_wait_loadcnt_dscnt 0x0
	flat_load_i16 v0, v[2:3]
	s_wait_loadcnt_dscnt 0x0
	v_cvt_f32_i32_e32 v0, v0
.LBB51_1885:                            ;   in Loop: Header=BB51_17 Depth=1
	s_wait_xcnt 0x0
	s_or_b32 exec_lo, exec_lo, s14
                                        ; implicit-def: $vgpr2_vgpr3
                                        ; implicit-def: $vgpr18
.LBB51_1886:                            ;   in Loop: Header=BB51_17 Depth=1
	s_and_not1_saveexec_b32 s13, s13
	s_cbranch_execz .LBB51_1892
; %bb.1887:                             ;   in Loop: Header=BB51_17 Depth=1
	s_mov_b32 s14, exec_lo
                                        ; implicit-def: $vgpr0
	v_cmpx_lt_i16_e32 0, v18
	s_xor_b32 s14, exec_lo, s14
	s_cbranch_execz .LBB51_1889
; %bb.1888:                             ;   in Loop: Header=BB51_17 Depth=1
	s_wait_loadcnt_dscnt 0x0
	flat_load_i8 v0, v[2:3]
                                        ; implicit-def: $vgpr2_vgpr3
	s_wait_loadcnt_dscnt 0x0
	v_cvt_f32_i32_e32 v0, v0
.LBB51_1889:                            ;   in Loop: Header=BB51_17 Depth=1
	s_wait_xcnt 0x0
	s_and_not1_saveexec_b32 s14, s14
	s_cbranch_execz .LBB51_1891
; %bb.1890:                             ;   in Loop: Header=BB51_17 Depth=1
	s_wait_loadcnt_dscnt 0x0
	flat_load_u8 v0, v[2:3]
	s_wait_loadcnt_dscnt 0x0
	v_cvt_f32_ubyte0_e32 v0, v0
.LBB51_1891:                            ;   in Loop: Header=BB51_17 Depth=1
	s_wait_xcnt 0x0
	s_or_b32 exec_lo, exec_lo, s14
.LBB51_1892:                            ;   in Loop: Header=BB51_17 Depth=1
	s_delay_alu instid0(SALU_CYCLE_1)
	s_or_b32 exec_lo, exec_lo, s13
.LBB51_1893:                            ;   in Loop: Header=BB51_17 Depth=1
	s_delay_alu instid0(SALU_CYCLE_1) | instskip(NEXT) | instid1(SALU_CYCLE_1)
	s_or_b32 exec_lo, exec_lo, s12
	s_or_b32 s11, s11, exec_lo
	s_or_b32 exec_lo, exec_lo, s10
	s_mov_b32 s12, 0
	s_and_saveexec_b32 s10, s11
	s_cbranch_execnz .LBB51_124
	s_branch .LBB51_125
.LBB51_1894:                            ;   in Loop: Header=BB51_17 Depth=1
	s_mov_b32 s13, exec_lo
                                        ; implicit-def: $vgpr0
	v_cmpx_lt_i16_e32 25, v18
	s_xor_b32 s13, exec_lo, s13
	s_cbranch_execz .LBB51_1926
; %bb.1895:                             ;   in Loop: Header=BB51_17 Depth=1
	s_mov_b32 s15, exec_lo
                                        ; implicit-def: $vgpr0
	v_cmpx_lt_i16_e32 28, v18
	s_xor_b32 s15, exec_lo, s15
	s_cbranch_execz .LBB51_1911
; %bb.1896:                             ;   in Loop: Header=BB51_17 Depth=1
	s_mov_b32 s16, 0
	s_mov_b32 s14, exec_lo
                                        ; implicit-def: $vgpr0
	v_cmpx_lt_i16_e32 43, v18
	s_xor_b32 s14, exec_lo, s14
	s_cbranch_execz .LBB51_1906
; %bb.1897:                             ;   in Loop: Header=BB51_17 Depth=1
	s_mov_b32 s17, exec_lo
                                        ; implicit-def: $vgpr0
	v_cmpx_lt_i16_e32 45, v18
	s_xor_b32 s17, exec_lo, s17
	s_cbranch_execz .LBB51_1901
; %bb.1898:                             ;   in Loop: Header=BB51_17 Depth=1
	s_mov_b32 s18, exec_lo
                                        ; implicit-def: $vgpr0
	v_cmpx_eq_u16_e32 46, v18
	s_cbranch_execz .LBB51_1900
; %bb.1899:                             ;   in Loop: Header=BB51_17 Depth=1
	flat_load_b32 v0, v[2:3]
	s_mov_b32 s16, exec_lo
	s_wait_loadcnt_dscnt 0x0
	v_lshlrev_b32_e32 v0, 16, v0
.LBB51_1900:                            ;   in Loop: Header=BB51_17 Depth=1
	s_wait_xcnt 0x0
	s_or_b32 exec_lo, exec_lo, s18
	s_delay_alu instid0(SALU_CYCLE_1)
	s_and_b32 s16, s16, exec_lo
                                        ; implicit-def: $vgpr18
                                        ; implicit-def: $vgpr2_vgpr3
.LBB51_1901:                            ;   in Loop: Header=BB51_17 Depth=1
	s_and_not1_saveexec_b32 s17, s17
	s_cbranch_execz .LBB51_1905
; %bb.1902:                             ;   in Loop: Header=BB51_17 Depth=1
	s_mov_b32 s19, s16
	s_mov_b32 s18, exec_lo
                                        ; implicit-def: $vgpr0
	v_cmpx_eq_u16_e32 44, v18
	s_cbranch_execz .LBB51_1904
; %bb.1903:                             ;   in Loop: Header=BB51_17 Depth=1
	flat_load_u8 v0, v[2:3]
	s_or_b32 s19, s16, exec_lo
	s_wait_loadcnt_dscnt 0x0
	v_lshlrev_b32_e32 v2, 23, v0
	v_cmp_ne_u32_e32 vcc_lo, 0xff, v0
	s_delay_alu instid0(VALU_DEP_2) | instskip(SKIP_1) | instid1(VALU_DEP_2)
	v_cndmask_b32_e32 v2, 0x7f800001, v2, vcc_lo
	v_cmp_ne_u32_e32 vcc_lo, 0, v0
	v_cndmask_b32_e32 v0, 0x400000, v2, vcc_lo
.LBB51_1904:                            ;   in Loop: Header=BB51_17 Depth=1
	s_or_b32 exec_lo, exec_lo, s18
	s_delay_alu instid0(SALU_CYCLE_1) | instskip(SKIP_1) | instid1(SALU_CYCLE_1)
	s_and_not1_b32 s16, s16, exec_lo
	s_and_b32 s18, s19, exec_lo
	s_or_b32 s16, s16, s18
.LBB51_1905:                            ;   in Loop: Header=BB51_17 Depth=1
	s_or_b32 exec_lo, exec_lo, s17
	s_delay_alu instid0(SALU_CYCLE_1)
	s_and_b32 s16, s16, exec_lo
                                        ; implicit-def: $vgpr18
                                        ; implicit-def: $vgpr2_vgpr3
.LBB51_1906:                            ;   in Loop: Header=BB51_17 Depth=1
	s_and_not1_saveexec_b32 s14, s14
	s_cbranch_execz .LBB51_1910
; %bb.1907:                             ;   in Loop: Header=BB51_17 Depth=1
	s_mov_b32 s18, s16
	s_mov_b32 s17, exec_lo
                                        ; implicit-def: $vgpr0
	v_cmpx_eq_u16_e32 29, v18
	s_cbranch_execz .LBB51_1909
; %bb.1908:                             ;   in Loop: Header=BB51_17 Depth=1
	flat_load_b64 v[2:3], v[2:3]
	s_or_b32 s18, s16, exec_lo
	s_wait_loadcnt_dscnt 0x0
	v_clz_i32_u32_e32 v0, v3
	s_delay_alu instid0(VALU_DEP_1) | instskip(SKIP_1) | instid1(VALU_DEP_1)
	v_min_u32_e32 v0, 32, v0
	s_wait_xcnt 0x0
	v_lshlrev_b64_e32 v[2:3], v0, v[2:3]
	v_sub_nc_u32_e32 v0, 32, v0
	s_delay_alu instid0(VALU_DEP_2) | instskip(NEXT) | instid1(VALU_DEP_1)
	v_min_u32_e32 v2, 1, v2
	v_or_b32_e32 v2, v3, v2
	s_delay_alu instid0(VALU_DEP_1) | instskip(NEXT) | instid1(VALU_DEP_1)
	v_cvt_f32_u32_e32 v2, v2
	v_ldexp_f32 v0, v2, v0
.LBB51_1909:                            ;   in Loop: Header=BB51_17 Depth=1
	s_or_b32 exec_lo, exec_lo, s17
	s_delay_alu instid0(SALU_CYCLE_1) | instskip(SKIP_1) | instid1(SALU_CYCLE_1)
	s_and_not1_b32 s16, s16, exec_lo
	s_and_b32 s17, s18, exec_lo
	s_or_b32 s16, s16, s17
.LBB51_1910:                            ;   in Loop: Header=BB51_17 Depth=1
	s_or_b32 exec_lo, exec_lo, s14
	s_delay_alu instid0(SALU_CYCLE_1)
	s_and_b32 s14, s16, exec_lo
                                        ; implicit-def: $vgpr18
                                        ; implicit-def: $vgpr2_vgpr3
.LBB51_1911:                            ;   in Loop: Header=BB51_17 Depth=1
	s_and_not1_saveexec_b32 s15, s15
	s_cbranch_execz .LBB51_1925
; %bb.1912:                             ;   in Loop: Header=BB51_17 Depth=1
	s_mov_b32 s16, exec_lo
                                        ; implicit-def: $vgpr0
	v_cmpx_lt_i16_e32 26, v18
	s_xor_b32 s16, exec_lo, s16
	s_cbranch_execz .LBB51_1918
; %bb.1913:                             ;   in Loop: Header=BB51_17 Depth=1
	s_mov_b32 s17, exec_lo
                                        ; implicit-def: $vgpr0
	v_cmpx_lt_i16_e32 27, v18
	s_xor_b32 s17, exec_lo, s17
	s_cbranch_execz .LBB51_1915
; %bb.1914:                             ;   in Loop: Header=BB51_17 Depth=1
	flat_load_b32 v0, v[2:3]
                                        ; implicit-def: $vgpr2_vgpr3
	s_wait_loadcnt_dscnt 0x0
	v_cvt_f32_u32_e32 v0, v0
.LBB51_1915:                            ;   in Loop: Header=BB51_17 Depth=1
	s_wait_xcnt 0x0
	s_and_not1_saveexec_b32 s17, s17
	s_cbranch_execz .LBB51_1917
; %bb.1916:                             ;   in Loop: Header=BB51_17 Depth=1
	flat_load_u16 v0, v[2:3]
	s_wait_loadcnt_dscnt 0x0
	v_cvt_f32_u32_e32 v0, v0
.LBB51_1917:                            ;   in Loop: Header=BB51_17 Depth=1
	s_wait_xcnt 0x0
	s_or_b32 exec_lo, exec_lo, s17
                                        ; implicit-def: $vgpr2_vgpr3
.LBB51_1918:                            ;   in Loop: Header=BB51_17 Depth=1
	s_and_not1_saveexec_b32 s16, s16
	s_cbranch_execz .LBB51_1924
; %bb.1919:                             ;   in Loop: Header=BB51_17 Depth=1
	flat_load_u8 v2, v[2:3]
	s_mov_b32 s17, 0
	s_mov_b32 s18, exec_lo
	s_wait_loadcnt_dscnt 0x0
	v_cmpx_lt_i16_e32 0x7f, v2
	s_xor_b32 s18, exec_lo, s18
	s_cbranch_execnz .LBB51_2422
; %bb.1920:                             ;   in Loop: Header=BB51_17 Depth=1
	s_or_saveexec_b32 s18, s18
	v_mov_b32_e32 v0, 0x7f800001
	s_xor_b32 exec_lo, exec_lo, s18
	s_cbranch_execnz .LBB51_2425
.LBB51_1921:                            ;   in Loop: Header=BB51_17 Depth=1
	s_or_b32 exec_lo, exec_lo, s18
	s_and_saveexec_b32 s18, s17
	s_cbranch_execz .LBB51_1923
.LBB51_1922:                            ;   in Loop: Header=BB51_17 Depth=1
	v_and_b32_e32 v0, 0xffff, v2
	s_delay_alu instid0(VALU_DEP_1) | instskip(SKIP_1) | instid1(VALU_DEP_2)
	v_and_b32_e32 v3, 7, v0
	v_bfe_u32 v20, v0, 3, 4
	v_clz_i32_u32_e32 v18, v3
	s_delay_alu instid0(VALU_DEP_2) | instskip(NEXT) | instid1(VALU_DEP_2)
	v_cmp_eq_u32_e32 vcc_lo, 0, v20
	v_min_u32_e32 v18, 32, v18
	s_delay_alu instid0(VALU_DEP_1) | instskip(NEXT) | instid1(VALU_DEP_1)
	v_subrev_nc_u32_e32 v19, 28, v18
	v_dual_lshlrev_b32 v0, v19, v0 :: v_dual_sub_nc_u32 v18, 29, v18
	s_delay_alu instid0(VALU_DEP_1) | instskip(NEXT) | instid1(VALU_DEP_1)
	v_dual_lshlrev_b32 v2, 24, v2 :: v_dual_bitop2_b32 v0, 7, v0 bitop3:0x40
	v_dual_cndmask_b32 v0, v3, v0, vcc_lo :: v_dual_cndmask_b32 v18, v20, v18, vcc_lo
	s_delay_alu instid0(VALU_DEP_2) | instskip(NEXT) | instid1(VALU_DEP_2)
	v_and_b32_e32 v2, 0x80000000, v2
	v_lshlrev_b32_e32 v0, 20, v0
	s_delay_alu instid0(VALU_DEP_3) | instskip(NEXT) | instid1(VALU_DEP_1)
	v_lshl_add_u32 v3, v18, 23, 0x3b800000
	v_or3_b32 v0, v2, v3, v0
.LBB51_1923:                            ;   in Loop: Header=BB51_17 Depth=1
	s_or_b32 exec_lo, exec_lo, s18
.LBB51_1924:                            ;   in Loop: Header=BB51_17 Depth=1
	s_delay_alu instid0(SALU_CYCLE_1) | instskip(NEXT) | instid1(SALU_CYCLE_1)
	s_or_b32 exec_lo, exec_lo, s16
	s_or_b32 s14, s14, exec_lo
.LBB51_1925:                            ;   in Loop: Header=BB51_17 Depth=1
	s_or_b32 exec_lo, exec_lo, s15
	s_delay_alu instid0(SALU_CYCLE_1)
	s_and_b32 s14, s14, exec_lo
                                        ; implicit-def: $vgpr18
                                        ; implicit-def: $vgpr2_vgpr3
.LBB51_1926:                            ;   in Loop: Header=BB51_17 Depth=1
	s_and_not1_saveexec_b32 s13, s13
	s_cbranch_execz .LBB51_1952
; %bb.1927:                             ;   in Loop: Header=BB51_17 Depth=1
	s_mov_b32 s16, s14
	s_mov_b32 s15, exec_lo
                                        ; implicit-def: $vgpr0
	v_cmpx_lt_i16_e32 22, v18
	s_xor_b32 s15, exec_lo, s15
	s_cbranch_execz .LBB51_1941
; %bb.1928:                             ;   in Loop: Header=BB51_17 Depth=1
	s_mov_b32 s16, exec_lo
                                        ; implicit-def: $vgpr0
	v_cmpx_lt_i16_e32 23, v18
	s_xor_b32 s16, exec_lo, s16
	s_cbranch_execz .LBB51_1938
; %bb.1929:                             ;   in Loop: Header=BB51_17 Depth=1
	;; [unrolled: 6-line block ×3, first 2 shown]
	flat_load_u8 v2, v[2:3]
	s_mov_b32 s18, 0
	s_mov_b32 s19, exec_lo
	s_wait_loadcnt_dscnt 0x0
	v_cmpx_lt_i16_e32 0x7f, v2
	s_xor_b32 s19, exec_lo, s19
	s_cbranch_execnz .LBB51_2534
; %bb.1931:                             ;   in Loop: Header=BB51_17 Depth=1
	s_or_saveexec_b32 s19, s19
	v_mov_b32_e32 v0, 0x7f800001
	s_xor_b32 exec_lo, exec_lo, s19
	s_cbranch_execnz .LBB51_2537
.LBB51_1932:                            ;   in Loop: Header=BB51_17 Depth=1
	s_or_b32 exec_lo, exec_lo, s19
	s_and_saveexec_b32 s19, s18
	s_cbranch_execz .LBB51_1934
.LBB51_1933:                            ;   in Loop: Header=BB51_17 Depth=1
	v_and_b32_e32 v0, 0xffff, v2
	s_delay_alu instid0(VALU_DEP_1) | instskip(SKIP_1) | instid1(VALU_DEP_2)
	v_and_b32_e32 v3, 3, v0
	v_bfe_u32 v20, v0, 2, 5
	v_clz_i32_u32_e32 v18, v3
	s_delay_alu instid0(VALU_DEP_2) | instskip(NEXT) | instid1(VALU_DEP_2)
	v_cmp_eq_u32_e32 vcc_lo, 0, v20
	v_min_u32_e32 v18, 32, v18
	s_delay_alu instid0(VALU_DEP_1) | instskip(NEXT) | instid1(VALU_DEP_1)
	v_subrev_nc_u32_e32 v19, 29, v18
	v_dual_lshlrev_b32 v0, v19, v0 :: v_dual_sub_nc_u32 v18, 30, v18
	s_delay_alu instid0(VALU_DEP_1) | instskip(NEXT) | instid1(VALU_DEP_1)
	v_dual_lshlrev_b32 v2, 24, v2 :: v_dual_bitop2_b32 v0, 3, v0 bitop3:0x40
	v_dual_cndmask_b32 v0, v3, v0, vcc_lo :: v_dual_cndmask_b32 v18, v20, v18, vcc_lo
	s_delay_alu instid0(VALU_DEP_2) | instskip(NEXT) | instid1(VALU_DEP_2)
	v_and_b32_e32 v2, 0x80000000, v2
	v_lshlrev_b32_e32 v0, 21, v0
	s_delay_alu instid0(VALU_DEP_3) | instskip(NEXT) | instid1(VALU_DEP_1)
	v_lshl_add_u32 v3, v18, 23, 0x37800000
	v_or3_b32 v0, v2, v3, v0
.LBB51_1934:                            ;   in Loop: Header=BB51_17 Depth=1
	s_or_b32 exec_lo, exec_lo, s19
                                        ; implicit-def: $vgpr2_vgpr3
.LBB51_1935:                            ;   in Loop: Header=BB51_17 Depth=1
	s_and_not1_saveexec_b32 s17, s17
	s_cbranch_execz .LBB51_1937
; %bb.1936:                             ;   in Loop: Header=BB51_17 Depth=1
	flat_load_u8 v0, v[2:3]
	s_wait_loadcnt_dscnt 0x0
	v_lshlrev_b32_e32 v0, 24, v0
	s_wait_xcnt 0x0
	s_delay_alu instid0(VALU_DEP_1) | instskip(NEXT) | instid1(VALU_DEP_1)
	v_and_b32_e32 v2, 0x7f000000, v0
	v_clz_i32_u32_e32 v3, v2
	v_cmp_ne_u32_e32 vcc_lo, 0, v2
	v_add_nc_u32_e32 v19, 0x1000000, v2
	s_delay_alu instid0(VALU_DEP_3) | instskip(NEXT) | instid1(VALU_DEP_1)
	v_min_u32_e32 v3, 32, v3
	v_sub_nc_u32_e64 v3, v3, 4 clamp
	s_delay_alu instid0(VALU_DEP_1) | instskip(NEXT) | instid1(VALU_DEP_1)
	v_dual_lshlrev_b32 v18, v3, v2 :: v_dual_lshlrev_b32 v3, 23, v3
	v_lshrrev_b32_e32 v18, 4, v18
	s_delay_alu instid0(VALU_DEP_1) | instskip(SKIP_1) | instid1(VALU_DEP_2)
	v_sub_nc_u32_e32 v3, v18, v3
	v_ashrrev_i32_e32 v18, 8, v19
	v_add_nc_u32_e32 v3, 0x3c000000, v3
	s_delay_alu instid0(VALU_DEP_1) | instskip(NEXT) | instid1(VALU_DEP_1)
	v_and_or_b32 v3, 0x7f800000, v18, v3
	v_cndmask_b32_e32 v2, 0, v3, vcc_lo
	s_delay_alu instid0(VALU_DEP_1)
	v_and_or_b32 v0, 0x80000000, v0, v2
.LBB51_1937:                            ;   in Loop: Header=BB51_17 Depth=1
	s_or_b32 exec_lo, exec_lo, s17
                                        ; implicit-def: $vgpr2_vgpr3
.LBB51_1938:                            ;   in Loop: Header=BB51_17 Depth=1
	s_and_not1_saveexec_b32 s16, s16
	s_cbranch_execz .LBB51_1940
; %bb.1939:                             ;   in Loop: Header=BB51_17 Depth=1
	flat_load_u8 v0, v[2:3]
	s_wait_loadcnt_dscnt 0x0
	v_lshlrev_b32_e32 v2, 25, v0
	v_lshlrev_b16 v0, 8, v0
	s_delay_alu instid0(VALU_DEP_1) | instskip(SKIP_1) | instid1(VALU_DEP_2)
	v_and_or_b32 v18, 0x7f00, v0, 0.5
	v_bfe_i32 v0, v0, 0, 16
	v_add_f32_e32 v18, -0.5, v18
	v_lshrrev_b32_e32 v3, 4, v2
	v_cmp_gt_u32_e32 vcc_lo, 0x8000000, v2
	s_delay_alu instid0(VALU_DEP_2) | instskip(NEXT) | instid1(VALU_DEP_1)
	v_or_b32_e32 v3, 0x70000000, v3
	v_mul_f32_e32 v3, 0x7800000, v3
	s_delay_alu instid0(VALU_DEP_1) | instskip(NEXT) | instid1(VALU_DEP_1)
	v_cndmask_b32_e32 v2, v3, v18, vcc_lo
	v_and_or_b32 v0, 0x80000000, v0, v2
.LBB51_1940:                            ;   in Loop: Header=BB51_17 Depth=1
	s_or_b32 exec_lo, exec_lo, s16
	s_delay_alu instid0(SALU_CYCLE_1)
	s_or_b32 s16, s14, exec_lo
                                        ; implicit-def: $vgpr18
                                        ; implicit-def: $vgpr2_vgpr3
.LBB51_1941:                            ;   in Loop: Header=BB51_17 Depth=1
	s_and_not1_saveexec_b32 s15, s15
	s_cbranch_execz .LBB51_1951
; %bb.1942:                             ;   in Loop: Header=BB51_17 Depth=1
	s_mov_b32 s17, s16
	s_mov_b32 s18, exec_lo
                                        ; implicit-def: $vgpr0
	v_cmpx_lt_i16_e32 14, v18
	s_xor_b32 s18, exec_lo, s18
	s_cbranch_execz .LBB51_1946
; %bb.1943:                             ;   in Loop: Header=BB51_17 Depth=1
	s_mov_b32 s17, s16
	s_mov_b32 s19, exec_lo
                                        ; implicit-def: $vgpr0
	v_cmpx_eq_u16_e32 15, v18
	s_cbranch_execz .LBB51_1945
; %bb.1944:                             ;   in Loop: Header=BB51_17 Depth=1
	flat_load_u16 v0, v[2:3]
	s_or_b32 s17, s16, exec_lo
	s_wait_loadcnt_dscnt 0x0
	v_lshlrev_b32_e32 v0, 16, v0
.LBB51_1945:                            ;   in Loop: Header=BB51_17 Depth=1
	s_wait_xcnt 0x0
	s_or_b32 exec_lo, exec_lo, s19
	s_delay_alu instid0(SALU_CYCLE_1) | instskip(SKIP_1) | instid1(SALU_CYCLE_1)
	s_and_not1_b32 s19, s16, exec_lo
	s_and_b32 s17, s17, exec_lo
                                        ; implicit-def: $vgpr18
                                        ; implicit-def: $vgpr2_vgpr3
	s_or_b32 s17, s19, s17
.LBB51_1946:                            ;   in Loop: Header=BB51_17 Depth=1
	s_and_not1_saveexec_b32 s18, s18
	s_cbranch_execz .LBB51_1950
; %bb.1947:                             ;   in Loop: Header=BB51_17 Depth=1
	s_mov_b32 s19, s17
	s_mov_b32 s20, exec_lo
                                        ; implicit-def: $vgpr0
	v_cmpx_eq_u16_e32 11, v18
	s_cbranch_execz .LBB51_1949
; %bb.1948:                             ;   in Loop: Header=BB51_17 Depth=1
	flat_load_u8 v0, v[2:3]
	s_or_b32 s19, s17, exec_lo
	s_wait_loadcnt_dscnt 0x0
	v_cmp_ne_u16_e32 vcc_lo, 0, v0
	v_cndmask_b32_e64 v0, 0, 1.0, vcc_lo
.LBB51_1949:                            ;   in Loop: Header=BB51_17 Depth=1
	s_wait_xcnt 0x0
	s_or_b32 exec_lo, exec_lo, s20
	s_delay_alu instid0(SALU_CYCLE_1) | instskip(SKIP_1) | instid1(SALU_CYCLE_1)
	s_and_not1_b32 s17, s17, exec_lo
	s_and_b32 s19, s19, exec_lo
	s_or_b32 s17, s17, s19
.LBB51_1950:                            ;   in Loop: Header=BB51_17 Depth=1
	s_or_b32 exec_lo, exec_lo, s18
	s_delay_alu instid0(SALU_CYCLE_1) | instskip(SKIP_1) | instid1(SALU_CYCLE_1)
	s_and_not1_b32 s16, s16, exec_lo
	s_and_b32 s17, s17, exec_lo
	s_or_b32 s16, s16, s17
.LBB51_1951:                            ;   in Loop: Header=BB51_17 Depth=1
	s_or_b32 exec_lo, exec_lo, s15
	s_delay_alu instid0(SALU_CYCLE_1) | instskip(SKIP_1) | instid1(SALU_CYCLE_1)
	s_and_not1_b32 s14, s14, exec_lo
	s_and_b32 s15, s16, exec_lo
	s_or_b32 s14, s14, s15
.LBB51_1952:                            ;   in Loop: Header=BB51_17 Depth=1
	s_or_b32 exec_lo, exec_lo, s13
	s_delay_alu instid0(SALU_CYCLE_1)
	s_and_b32 s13, s14, exec_lo
                                        ; implicit-def: $vgpr18
                                        ; implicit-def: $vgpr2_vgpr3
	s_and_not1_saveexec_b32 s9, s9
	s_cbranch_execz .LBB51_234
.LBB51_1953:                            ;   in Loop: Header=BB51_17 Depth=1
	s_mov_b32 s14, exec_lo
                                        ; implicit-def: $vgpr0
	v_cmpx_lt_i16_e32 4, v18
	s_xor_b32 s14, exec_lo, s14
	s_cbranch_execz .LBB51_1975
; %bb.1954:                             ;   in Loop: Header=BB51_17 Depth=1
	s_mov_b32 s15, exec_lo
                                        ; implicit-def: $vgpr0
	v_cmpx_lt_i16_e32 7, v18
	s_xor_b32 s15, exec_lo, s15
	s_cbranch_execz .LBB51_1964
; %bb.1955:                             ;   in Loop: Header=BB51_17 Depth=1
	;; [unrolled: 6-line block ×4, first 2 shown]
	flat_load_b64 v[2:3], v[2:3]
	s_wait_loadcnt_dscnt 0x0
	v_cvt_f32_f64_e32 v0, v[2:3]
                                        ; implicit-def: $vgpr2_vgpr3
.LBB51_1958:                            ;   in Loop: Header=BB51_17 Depth=1
	s_wait_xcnt 0x0
	s_and_not1_saveexec_b32 s17, s17
	s_cbranch_execz .LBB51_1960
; %bb.1959:                             ;   in Loop: Header=BB51_17 Depth=1
	flat_load_b32 v0, v[2:3]
.LBB51_1960:                            ;   in Loop: Header=BB51_17 Depth=1
	s_wait_xcnt 0x0
	s_or_b32 exec_lo, exec_lo, s17
                                        ; implicit-def: $vgpr2_vgpr3
.LBB51_1961:                            ;   in Loop: Header=BB51_17 Depth=1
	s_and_not1_saveexec_b32 s16, s16
	s_cbranch_execz .LBB51_1963
; %bb.1962:                             ;   in Loop: Header=BB51_17 Depth=1
	s_wait_loadcnt_dscnt 0x0
	flat_load_b32 v0, v[2:3]
	s_wait_loadcnt_dscnt 0x0
	v_cvt_f32_f16_e32 v0, v0
.LBB51_1963:                            ;   in Loop: Header=BB51_17 Depth=1
	s_wait_xcnt 0x0
	s_or_b32 exec_lo, exec_lo, s16
                                        ; implicit-def: $vgpr2_vgpr3
                                        ; implicit-def: $vgpr18
.LBB51_1964:                            ;   in Loop: Header=BB51_17 Depth=1
	s_and_not1_saveexec_b32 s15, s15
	s_cbranch_execz .LBB51_1974
; %bb.1965:                             ;   in Loop: Header=BB51_17 Depth=1
	s_mov_b32 s16, exec_lo
                                        ; implicit-def: $vgpr0
	v_cmpx_lt_i16_e32 5, v18
	s_xor_b32 s16, exec_lo, s16
	s_cbranch_execz .LBB51_1971
; %bb.1966:                             ;   in Loop: Header=BB51_17 Depth=1
	s_mov_b32 s17, exec_lo
                                        ; implicit-def: $vgpr0
	v_cmpx_lt_i16_e32 6, v18
	s_xor_b32 s17, exec_lo, s17
	s_cbranch_execz .LBB51_1968
; %bb.1967:                             ;   in Loop: Header=BB51_17 Depth=1
	flat_load_b64 v[2:3], v[2:3]
	s_wait_loadcnt_dscnt 0x0
	v_cvt_f32_f64_e32 v0, v[2:3]
                                        ; implicit-def: $vgpr2_vgpr3
.LBB51_1968:                            ;   in Loop: Header=BB51_17 Depth=1
	s_wait_xcnt 0x0
	s_and_not1_saveexec_b32 s17, s17
	s_cbranch_execz .LBB51_1970
; %bb.1969:                             ;   in Loop: Header=BB51_17 Depth=1
	s_wait_loadcnt_dscnt 0x0
	flat_load_b32 v0, v[2:3]
.LBB51_1970:                            ;   in Loop: Header=BB51_17 Depth=1
	s_wait_xcnt 0x0
	s_or_b32 exec_lo, exec_lo, s17
                                        ; implicit-def: $vgpr2_vgpr3
.LBB51_1971:                            ;   in Loop: Header=BB51_17 Depth=1
	s_and_not1_saveexec_b32 s16, s16
	s_cbranch_execz .LBB51_1973
; %bb.1972:                             ;   in Loop: Header=BB51_17 Depth=1
	s_wait_loadcnt_dscnt 0x0
	flat_load_u16 v0, v[2:3]
	s_wait_loadcnt_dscnt 0x0
	v_cvt_f32_f16_e32 v0, v0
.LBB51_1973:                            ;   in Loop: Header=BB51_17 Depth=1
	s_wait_xcnt 0x0
	s_or_b32 exec_lo, exec_lo, s16
.LBB51_1974:                            ;   in Loop: Header=BB51_17 Depth=1
	s_delay_alu instid0(SALU_CYCLE_1)
	s_or_b32 exec_lo, exec_lo, s15
                                        ; implicit-def: $vgpr18
                                        ; implicit-def: $vgpr2_vgpr3
.LBB51_1975:                            ;   in Loop: Header=BB51_17 Depth=1
	s_and_not1_saveexec_b32 s14, s14
	s_cbranch_execz .LBB51_1993
; %bb.1976:                             ;   in Loop: Header=BB51_17 Depth=1
	s_mov_b32 s15, exec_lo
                                        ; implicit-def: $vgpr0
	v_cmpx_lt_i16_e32 1, v18
	s_xor_b32 s15, exec_lo, s15
	s_cbranch_execz .LBB51_1986
; %bb.1977:                             ;   in Loop: Header=BB51_17 Depth=1
	s_mov_b32 s16, exec_lo
                                        ; implicit-def: $vgpr0
	v_cmpx_lt_i16_e32 2, v18
	s_xor_b32 s16, exec_lo, s16
	;; [unrolled: 6-line block ×3, first 2 shown]
	s_cbranch_execz .LBB51_1980
; %bb.1979:                             ;   in Loop: Header=BB51_17 Depth=1
	flat_load_b64 v[2:3], v[2:3]
	s_wait_loadcnt_dscnt 0x0
	v_xor_b32_e32 v0, v2, v3
	v_cls_i32_e32 v18, v3
	s_delay_alu instid0(VALU_DEP_2) | instskip(NEXT) | instid1(VALU_DEP_1)
	v_ashrrev_i32_e32 v0, 31, v0
	v_add_nc_u32_e32 v0, 32, v0
	s_delay_alu instid0(VALU_DEP_1) | instskip(SKIP_1) | instid1(VALU_DEP_1)
	v_add_min_u32_e64 v0, v18, -1, v0
	s_wait_xcnt 0x0
	v_lshlrev_b64_e32 v[2:3], v0, v[2:3]
	v_sub_nc_u32_e32 v0, 32, v0
	s_delay_alu instid0(VALU_DEP_2) | instskip(NEXT) | instid1(VALU_DEP_1)
	v_min_u32_e32 v2, 1, v2
	v_or_b32_e32 v2, v3, v2
	s_delay_alu instid0(VALU_DEP_1) | instskip(NEXT) | instid1(VALU_DEP_1)
	v_cvt_f32_i32_e32 v2, v2
	v_ldexp_f32 v0, v2, v0
                                        ; implicit-def: $vgpr2_vgpr3
.LBB51_1980:                            ;   in Loop: Header=BB51_17 Depth=1
	s_and_not1_saveexec_b32 s17, s17
	s_cbranch_execz .LBB51_1982
; %bb.1981:                             ;   in Loop: Header=BB51_17 Depth=1
	s_wait_loadcnt_dscnt 0x0
	flat_load_b32 v0, v[2:3]
	s_wait_loadcnt_dscnt 0x0
	v_cvt_f32_i32_e32 v0, v0
.LBB51_1982:                            ;   in Loop: Header=BB51_17 Depth=1
	s_wait_xcnt 0x0
	s_or_b32 exec_lo, exec_lo, s17
                                        ; implicit-def: $vgpr2_vgpr3
.LBB51_1983:                            ;   in Loop: Header=BB51_17 Depth=1
	s_and_not1_saveexec_b32 s16, s16
	s_cbranch_execz .LBB51_1985
; %bb.1984:                             ;   in Loop: Header=BB51_17 Depth=1
	s_wait_loadcnt_dscnt 0x0
	flat_load_i16 v0, v[2:3]
	s_wait_loadcnt_dscnt 0x0
	v_cvt_f32_i32_e32 v0, v0
.LBB51_1985:                            ;   in Loop: Header=BB51_17 Depth=1
	s_wait_xcnt 0x0
	s_or_b32 exec_lo, exec_lo, s16
                                        ; implicit-def: $vgpr2_vgpr3
                                        ; implicit-def: $vgpr18
.LBB51_1986:                            ;   in Loop: Header=BB51_17 Depth=1
	s_and_not1_saveexec_b32 s15, s15
	s_cbranch_execz .LBB51_1992
; %bb.1987:                             ;   in Loop: Header=BB51_17 Depth=1
	s_mov_b32 s16, exec_lo
                                        ; implicit-def: $vgpr0
	v_cmpx_lt_i16_e32 0, v18
	s_xor_b32 s16, exec_lo, s16
	s_cbranch_execz .LBB51_1989
; %bb.1988:                             ;   in Loop: Header=BB51_17 Depth=1
	s_wait_loadcnt_dscnt 0x0
	flat_load_i8 v0, v[2:3]
                                        ; implicit-def: $vgpr2_vgpr3
	s_wait_loadcnt_dscnt 0x0
	v_cvt_f32_i32_e32 v0, v0
.LBB51_1989:                            ;   in Loop: Header=BB51_17 Depth=1
	s_wait_xcnt 0x0
	s_and_not1_saveexec_b32 s16, s16
	s_cbranch_execz .LBB51_1991
; %bb.1990:                             ;   in Loop: Header=BB51_17 Depth=1
	s_wait_loadcnt_dscnt 0x0
	flat_load_u8 v0, v[2:3]
	s_wait_loadcnt_dscnt 0x0
	v_cvt_f32_ubyte0_e32 v0, v0
.LBB51_1991:                            ;   in Loop: Header=BB51_17 Depth=1
	s_wait_xcnt 0x0
	s_or_b32 exec_lo, exec_lo, s16
.LBB51_1992:                            ;   in Loop: Header=BB51_17 Depth=1
	s_delay_alu instid0(SALU_CYCLE_1)
	s_or_b32 exec_lo, exec_lo, s15
.LBB51_1993:                            ;   in Loop: Header=BB51_17 Depth=1
	s_delay_alu instid0(SALU_CYCLE_1) | instskip(NEXT) | instid1(SALU_CYCLE_1)
	s_or_b32 exec_lo, exec_lo, s14
	s_or_b32 s13, s13, exec_lo
	s_or_b32 exec_lo, exec_lo, s9
	s_mov_b32 s14, 0
	s_and_saveexec_b32 s9, s13
	s_cbranch_execnz .LBB51_235
	s_branch .LBB51_236
.LBB51_1994:                            ;   in Loop: Header=BB51_17 Depth=1
	s_mov_b32 s16, exec_lo
                                        ; implicit-def: $vgpr0
	v_cmpx_lt_i16_e32 25, v18
	s_xor_b32 s16, exec_lo, s16
	s_cbranch_execz .LBB51_2026
; %bb.1995:                             ;   in Loop: Header=BB51_17 Depth=1
	s_mov_b32 s18, exec_lo
                                        ; implicit-def: $vgpr0
	v_cmpx_lt_i16_e32 28, v18
	s_xor_b32 s18, exec_lo, s18
	s_cbranch_execz .LBB51_2011
; %bb.1996:                             ;   in Loop: Header=BB51_17 Depth=1
	s_mov_b32 s19, 0
	s_mov_b32 s17, exec_lo
                                        ; implicit-def: $vgpr0
	v_cmpx_lt_i16_e32 43, v18
	s_xor_b32 s17, exec_lo, s17
	s_cbranch_execz .LBB51_2006
; %bb.1997:                             ;   in Loop: Header=BB51_17 Depth=1
	s_mov_b32 s20, exec_lo
                                        ; implicit-def: $vgpr0
	v_cmpx_lt_i16_e32 45, v18
	s_xor_b32 s20, exec_lo, s20
	s_cbranch_execz .LBB51_2001
; %bb.1998:                             ;   in Loop: Header=BB51_17 Depth=1
	s_mov_b32 s21, exec_lo
                                        ; implicit-def: $vgpr0
	v_cmpx_eq_u16_e32 46, v18
	s_cbranch_execz .LBB51_2000
; %bb.1999:                             ;   in Loop: Header=BB51_17 Depth=1
	flat_load_b32 v0, v[2:3]
	s_mov_b32 s19, exec_lo
	s_wait_loadcnt_dscnt 0x0
	v_lshlrev_b32_e32 v0, 16, v0
.LBB51_2000:                            ;   in Loop: Header=BB51_17 Depth=1
	s_wait_xcnt 0x0
	s_or_b32 exec_lo, exec_lo, s21
	s_delay_alu instid0(SALU_CYCLE_1)
	s_and_b32 s19, s19, exec_lo
                                        ; implicit-def: $vgpr18
                                        ; implicit-def: $vgpr2_vgpr3
.LBB51_2001:                            ;   in Loop: Header=BB51_17 Depth=1
	s_and_not1_saveexec_b32 s20, s20
	s_cbranch_execz .LBB51_2005
; %bb.2002:                             ;   in Loop: Header=BB51_17 Depth=1
	s_mov_b32 s22, s19
	s_mov_b32 s21, exec_lo
                                        ; implicit-def: $vgpr0
	v_cmpx_eq_u16_e32 44, v18
	s_cbranch_execz .LBB51_2004
; %bb.2003:                             ;   in Loop: Header=BB51_17 Depth=1
	flat_load_u8 v0, v[2:3]
	s_or_b32 s22, s19, exec_lo
	s_wait_loadcnt_dscnt 0x0
	v_lshlrev_b32_e32 v2, 23, v0
	v_cmp_ne_u32_e32 vcc_lo, 0xff, v0
	s_delay_alu instid0(VALU_DEP_2) | instskip(SKIP_1) | instid1(VALU_DEP_2)
	v_cndmask_b32_e32 v2, 0x7f800001, v2, vcc_lo
	v_cmp_ne_u32_e32 vcc_lo, 0, v0
	v_cndmask_b32_e32 v0, 0x400000, v2, vcc_lo
.LBB51_2004:                            ;   in Loop: Header=BB51_17 Depth=1
	s_or_b32 exec_lo, exec_lo, s21
	s_delay_alu instid0(SALU_CYCLE_1) | instskip(SKIP_1) | instid1(SALU_CYCLE_1)
	s_and_not1_b32 s19, s19, exec_lo
	s_and_b32 s21, s22, exec_lo
	s_or_b32 s19, s19, s21
.LBB51_2005:                            ;   in Loop: Header=BB51_17 Depth=1
	s_or_b32 exec_lo, exec_lo, s20
	s_delay_alu instid0(SALU_CYCLE_1)
	s_and_b32 s19, s19, exec_lo
                                        ; implicit-def: $vgpr18
                                        ; implicit-def: $vgpr2_vgpr3
.LBB51_2006:                            ;   in Loop: Header=BB51_17 Depth=1
	s_and_not1_saveexec_b32 s17, s17
	s_cbranch_execz .LBB51_2010
; %bb.2007:                             ;   in Loop: Header=BB51_17 Depth=1
	s_mov_b32 s21, s19
	s_mov_b32 s20, exec_lo
                                        ; implicit-def: $vgpr0
	v_cmpx_eq_u16_e32 29, v18
	s_cbranch_execz .LBB51_2009
; %bb.2008:                             ;   in Loop: Header=BB51_17 Depth=1
	flat_load_b64 v[2:3], v[2:3]
	s_or_b32 s21, s19, exec_lo
	s_wait_loadcnt_dscnt 0x0
	v_clz_i32_u32_e32 v0, v3
	s_delay_alu instid0(VALU_DEP_1) | instskip(SKIP_1) | instid1(VALU_DEP_1)
	v_min_u32_e32 v0, 32, v0
	s_wait_xcnt 0x0
	v_lshlrev_b64_e32 v[2:3], v0, v[2:3]
	v_sub_nc_u32_e32 v0, 32, v0
	s_delay_alu instid0(VALU_DEP_2) | instskip(NEXT) | instid1(VALU_DEP_1)
	v_min_u32_e32 v2, 1, v2
	v_or_b32_e32 v2, v3, v2
	s_delay_alu instid0(VALU_DEP_1) | instskip(NEXT) | instid1(VALU_DEP_1)
	v_cvt_f32_u32_e32 v2, v2
	v_ldexp_f32 v0, v2, v0
.LBB51_2009:                            ;   in Loop: Header=BB51_17 Depth=1
	s_or_b32 exec_lo, exec_lo, s20
	s_delay_alu instid0(SALU_CYCLE_1) | instskip(SKIP_1) | instid1(SALU_CYCLE_1)
	s_and_not1_b32 s19, s19, exec_lo
	s_and_b32 s20, s21, exec_lo
	s_or_b32 s19, s19, s20
.LBB51_2010:                            ;   in Loop: Header=BB51_17 Depth=1
	s_or_b32 exec_lo, exec_lo, s17
	s_delay_alu instid0(SALU_CYCLE_1)
	s_and_b32 s17, s19, exec_lo
                                        ; implicit-def: $vgpr18
                                        ; implicit-def: $vgpr2_vgpr3
.LBB51_2011:                            ;   in Loop: Header=BB51_17 Depth=1
	s_and_not1_saveexec_b32 s18, s18
	s_cbranch_execz .LBB51_2025
; %bb.2012:                             ;   in Loop: Header=BB51_17 Depth=1
	s_mov_b32 s19, exec_lo
                                        ; implicit-def: $vgpr0
	v_cmpx_lt_i16_e32 26, v18
	s_xor_b32 s19, exec_lo, s19
	s_cbranch_execz .LBB51_2018
; %bb.2013:                             ;   in Loop: Header=BB51_17 Depth=1
	s_mov_b32 s20, exec_lo
                                        ; implicit-def: $vgpr0
	v_cmpx_lt_i16_e32 27, v18
	s_xor_b32 s20, exec_lo, s20
	s_cbranch_execz .LBB51_2015
; %bb.2014:                             ;   in Loop: Header=BB51_17 Depth=1
	flat_load_b32 v0, v[2:3]
                                        ; implicit-def: $vgpr2_vgpr3
	s_wait_loadcnt_dscnt 0x0
	v_cvt_f32_u32_e32 v0, v0
.LBB51_2015:                            ;   in Loop: Header=BB51_17 Depth=1
	s_wait_xcnt 0x0
	s_and_not1_saveexec_b32 s20, s20
	s_cbranch_execz .LBB51_2017
; %bb.2016:                             ;   in Loop: Header=BB51_17 Depth=1
	flat_load_u16 v0, v[2:3]
	s_wait_loadcnt_dscnt 0x0
	v_cvt_f32_u32_e32 v0, v0
.LBB51_2017:                            ;   in Loop: Header=BB51_17 Depth=1
	s_wait_xcnt 0x0
	s_or_b32 exec_lo, exec_lo, s20
                                        ; implicit-def: $vgpr2_vgpr3
.LBB51_2018:                            ;   in Loop: Header=BB51_17 Depth=1
	s_and_not1_saveexec_b32 s19, s19
	s_cbranch_execz .LBB51_2024
; %bb.2019:                             ;   in Loop: Header=BB51_17 Depth=1
	flat_load_u8 v2, v[2:3]
	s_mov_b32 s20, 0
	s_mov_b32 s21, exec_lo
	s_wait_loadcnt_dscnt 0x0
	v_cmpx_lt_i16_e32 0x7f, v2
	s_xor_b32 s21, exec_lo, s21
	s_cbranch_execnz .LBB51_2538
; %bb.2020:                             ;   in Loop: Header=BB51_17 Depth=1
	s_or_saveexec_b32 s21, s21
	v_mov_b32_e32 v0, 0x7f800001
	s_xor_b32 exec_lo, exec_lo, s21
	s_cbranch_execnz .LBB51_2541
.LBB51_2021:                            ;   in Loop: Header=BB51_17 Depth=1
	s_or_b32 exec_lo, exec_lo, s21
	s_and_saveexec_b32 s21, s20
	s_cbranch_execz .LBB51_2023
.LBB51_2022:                            ;   in Loop: Header=BB51_17 Depth=1
	v_and_b32_e32 v0, 0xffff, v2
	s_delay_alu instid0(VALU_DEP_1) | instskip(SKIP_1) | instid1(VALU_DEP_2)
	v_and_b32_e32 v3, 7, v0
	v_bfe_u32 v20, v0, 3, 4
	v_clz_i32_u32_e32 v18, v3
	s_delay_alu instid0(VALU_DEP_2) | instskip(NEXT) | instid1(VALU_DEP_2)
	v_cmp_eq_u32_e32 vcc_lo, 0, v20
	v_min_u32_e32 v18, 32, v18
	s_delay_alu instid0(VALU_DEP_1) | instskip(NEXT) | instid1(VALU_DEP_1)
	v_subrev_nc_u32_e32 v19, 28, v18
	v_dual_lshlrev_b32 v0, v19, v0 :: v_dual_sub_nc_u32 v18, 29, v18
	s_delay_alu instid0(VALU_DEP_1) | instskip(NEXT) | instid1(VALU_DEP_1)
	v_dual_lshlrev_b32 v2, 24, v2 :: v_dual_bitop2_b32 v0, 7, v0 bitop3:0x40
	v_dual_cndmask_b32 v0, v3, v0, vcc_lo :: v_dual_cndmask_b32 v18, v20, v18, vcc_lo
	s_delay_alu instid0(VALU_DEP_2) | instskip(NEXT) | instid1(VALU_DEP_2)
	v_and_b32_e32 v2, 0x80000000, v2
	v_lshlrev_b32_e32 v0, 20, v0
	s_delay_alu instid0(VALU_DEP_3) | instskip(NEXT) | instid1(VALU_DEP_1)
	v_lshl_add_u32 v3, v18, 23, 0x3b800000
	v_or3_b32 v0, v2, v3, v0
.LBB51_2023:                            ;   in Loop: Header=BB51_17 Depth=1
	s_or_b32 exec_lo, exec_lo, s21
.LBB51_2024:                            ;   in Loop: Header=BB51_17 Depth=1
	s_delay_alu instid0(SALU_CYCLE_1) | instskip(NEXT) | instid1(SALU_CYCLE_1)
	s_or_b32 exec_lo, exec_lo, s19
	s_or_b32 s17, s17, exec_lo
.LBB51_2025:                            ;   in Loop: Header=BB51_17 Depth=1
	s_or_b32 exec_lo, exec_lo, s18
	s_delay_alu instid0(SALU_CYCLE_1)
	s_and_b32 s17, s17, exec_lo
                                        ; implicit-def: $vgpr18
                                        ; implicit-def: $vgpr2_vgpr3
.LBB51_2026:                            ;   in Loop: Header=BB51_17 Depth=1
	s_and_not1_saveexec_b32 s16, s16
	s_cbranch_execz .LBB51_2052
; %bb.2027:                             ;   in Loop: Header=BB51_17 Depth=1
	s_mov_b32 s19, s17
	s_mov_b32 s18, exec_lo
                                        ; implicit-def: $vgpr0
	v_cmpx_lt_i16_e32 22, v18
	s_xor_b32 s18, exec_lo, s18
	s_cbranch_execz .LBB51_2041
; %bb.2028:                             ;   in Loop: Header=BB51_17 Depth=1
	s_mov_b32 s19, exec_lo
                                        ; implicit-def: $vgpr0
	v_cmpx_lt_i16_e32 23, v18
	s_xor_b32 s19, exec_lo, s19
	s_cbranch_execz .LBB51_2038
; %bb.2029:                             ;   in Loop: Header=BB51_17 Depth=1
	;; [unrolled: 6-line block ×3, first 2 shown]
	flat_load_u8 v2, v[2:3]
	s_mov_b32 s21, 0
	s_mov_b32 s22, exec_lo
	s_wait_loadcnt_dscnt 0x0
	v_cmpx_lt_i16_e32 0x7f, v2
	s_xor_b32 s22, exec_lo, s22
	s_cbranch_execnz .LBB51_2650
; %bb.2031:                             ;   in Loop: Header=BB51_17 Depth=1
	s_or_saveexec_b32 s22, s22
	v_mov_b32_e32 v0, 0x7f800001
	s_xor_b32 exec_lo, exec_lo, s22
	s_cbranch_execnz .LBB51_2653
.LBB51_2032:                            ;   in Loop: Header=BB51_17 Depth=1
	s_or_b32 exec_lo, exec_lo, s22
	s_and_saveexec_b32 s22, s21
	s_cbranch_execz .LBB51_2034
.LBB51_2033:                            ;   in Loop: Header=BB51_17 Depth=1
	v_and_b32_e32 v0, 0xffff, v2
	s_delay_alu instid0(VALU_DEP_1) | instskip(SKIP_1) | instid1(VALU_DEP_2)
	v_and_b32_e32 v3, 3, v0
	v_bfe_u32 v20, v0, 2, 5
	v_clz_i32_u32_e32 v18, v3
	s_delay_alu instid0(VALU_DEP_2) | instskip(NEXT) | instid1(VALU_DEP_2)
	v_cmp_eq_u32_e32 vcc_lo, 0, v20
	v_min_u32_e32 v18, 32, v18
	s_delay_alu instid0(VALU_DEP_1) | instskip(NEXT) | instid1(VALU_DEP_1)
	v_subrev_nc_u32_e32 v19, 29, v18
	v_dual_lshlrev_b32 v0, v19, v0 :: v_dual_sub_nc_u32 v18, 30, v18
	s_delay_alu instid0(VALU_DEP_1) | instskip(NEXT) | instid1(VALU_DEP_1)
	v_dual_lshlrev_b32 v2, 24, v2 :: v_dual_bitop2_b32 v0, 3, v0 bitop3:0x40
	v_dual_cndmask_b32 v0, v3, v0, vcc_lo :: v_dual_cndmask_b32 v18, v20, v18, vcc_lo
	s_delay_alu instid0(VALU_DEP_2) | instskip(NEXT) | instid1(VALU_DEP_2)
	v_and_b32_e32 v2, 0x80000000, v2
	v_lshlrev_b32_e32 v0, 21, v0
	s_delay_alu instid0(VALU_DEP_3) | instskip(NEXT) | instid1(VALU_DEP_1)
	v_lshl_add_u32 v3, v18, 23, 0x37800000
	v_or3_b32 v0, v2, v3, v0
.LBB51_2034:                            ;   in Loop: Header=BB51_17 Depth=1
	s_or_b32 exec_lo, exec_lo, s22
                                        ; implicit-def: $vgpr2_vgpr3
.LBB51_2035:                            ;   in Loop: Header=BB51_17 Depth=1
	s_and_not1_saveexec_b32 s20, s20
	s_cbranch_execz .LBB51_2037
; %bb.2036:                             ;   in Loop: Header=BB51_17 Depth=1
	flat_load_u8 v0, v[2:3]
	s_wait_loadcnt_dscnt 0x0
	v_lshlrev_b32_e32 v0, 24, v0
	s_wait_xcnt 0x0
	s_delay_alu instid0(VALU_DEP_1) | instskip(NEXT) | instid1(VALU_DEP_1)
	v_and_b32_e32 v2, 0x7f000000, v0
	v_clz_i32_u32_e32 v3, v2
	v_cmp_ne_u32_e32 vcc_lo, 0, v2
	v_add_nc_u32_e32 v19, 0x1000000, v2
	s_delay_alu instid0(VALU_DEP_3) | instskip(NEXT) | instid1(VALU_DEP_1)
	v_min_u32_e32 v3, 32, v3
	v_sub_nc_u32_e64 v3, v3, 4 clamp
	s_delay_alu instid0(VALU_DEP_1) | instskip(NEXT) | instid1(VALU_DEP_1)
	v_dual_lshlrev_b32 v18, v3, v2 :: v_dual_lshlrev_b32 v3, 23, v3
	v_lshrrev_b32_e32 v18, 4, v18
	s_delay_alu instid0(VALU_DEP_1) | instskip(SKIP_1) | instid1(VALU_DEP_2)
	v_sub_nc_u32_e32 v3, v18, v3
	v_ashrrev_i32_e32 v18, 8, v19
	v_add_nc_u32_e32 v3, 0x3c000000, v3
	s_delay_alu instid0(VALU_DEP_1) | instskip(NEXT) | instid1(VALU_DEP_1)
	v_and_or_b32 v3, 0x7f800000, v18, v3
	v_cndmask_b32_e32 v2, 0, v3, vcc_lo
	s_delay_alu instid0(VALU_DEP_1)
	v_and_or_b32 v0, 0x80000000, v0, v2
.LBB51_2037:                            ;   in Loop: Header=BB51_17 Depth=1
	s_or_b32 exec_lo, exec_lo, s20
                                        ; implicit-def: $vgpr2_vgpr3
.LBB51_2038:                            ;   in Loop: Header=BB51_17 Depth=1
	s_and_not1_saveexec_b32 s19, s19
	s_cbranch_execz .LBB51_2040
; %bb.2039:                             ;   in Loop: Header=BB51_17 Depth=1
	flat_load_u8 v0, v[2:3]
	s_wait_loadcnt_dscnt 0x0
	v_lshlrev_b32_e32 v2, 25, v0
	v_lshlrev_b16 v0, 8, v0
	s_delay_alu instid0(VALU_DEP_1) | instskip(SKIP_1) | instid1(VALU_DEP_2)
	v_and_or_b32 v18, 0x7f00, v0, 0.5
	v_bfe_i32 v0, v0, 0, 16
	v_add_f32_e32 v18, -0.5, v18
	v_lshrrev_b32_e32 v3, 4, v2
	v_cmp_gt_u32_e32 vcc_lo, 0x8000000, v2
	s_delay_alu instid0(VALU_DEP_2) | instskip(NEXT) | instid1(VALU_DEP_1)
	v_or_b32_e32 v3, 0x70000000, v3
	v_mul_f32_e32 v3, 0x7800000, v3
	s_delay_alu instid0(VALU_DEP_1) | instskip(NEXT) | instid1(VALU_DEP_1)
	v_cndmask_b32_e32 v2, v3, v18, vcc_lo
	v_and_or_b32 v0, 0x80000000, v0, v2
.LBB51_2040:                            ;   in Loop: Header=BB51_17 Depth=1
	s_or_b32 exec_lo, exec_lo, s19
	s_delay_alu instid0(SALU_CYCLE_1)
	s_or_b32 s19, s17, exec_lo
                                        ; implicit-def: $vgpr18
                                        ; implicit-def: $vgpr2_vgpr3
.LBB51_2041:                            ;   in Loop: Header=BB51_17 Depth=1
	s_and_not1_saveexec_b32 s18, s18
	s_cbranch_execz .LBB51_2051
; %bb.2042:                             ;   in Loop: Header=BB51_17 Depth=1
	s_mov_b32 s20, s19
	s_mov_b32 s21, exec_lo
                                        ; implicit-def: $vgpr0
	v_cmpx_lt_i16_e32 14, v18
	s_xor_b32 s21, exec_lo, s21
	s_cbranch_execz .LBB51_2046
; %bb.2043:                             ;   in Loop: Header=BB51_17 Depth=1
	s_mov_b32 s20, s19
	s_mov_b32 s22, exec_lo
                                        ; implicit-def: $vgpr0
	v_cmpx_eq_u16_e32 15, v18
	s_cbranch_execz .LBB51_2045
; %bb.2044:                             ;   in Loop: Header=BB51_17 Depth=1
	flat_load_u16 v0, v[2:3]
	s_or_b32 s20, s19, exec_lo
	s_wait_loadcnt_dscnt 0x0
	v_lshlrev_b32_e32 v0, 16, v0
.LBB51_2045:                            ;   in Loop: Header=BB51_17 Depth=1
	s_wait_xcnt 0x0
	s_or_b32 exec_lo, exec_lo, s22
	s_delay_alu instid0(SALU_CYCLE_1) | instskip(SKIP_1) | instid1(SALU_CYCLE_1)
	s_and_not1_b32 s22, s19, exec_lo
	s_and_b32 s20, s20, exec_lo
                                        ; implicit-def: $vgpr18
                                        ; implicit-def: $vgpr2_vgpr3
	s_or_b32 s20, s22, s20
.LBB51_2046:                            ;   in Loop: Header=BB51_17 Depth=1
	s_and_not1_saveexec_b32 s21, s21
	s_cbranch_execz .LBB51_2050
; %bb.2047:                             ;   in Loop: Header=BB51_17 Depth=1
	s_mov_b32 s22, s20
	s_mov_b32 s23, exec_lo
                                        ; implicit-def: $vgpr0
	v_cmpx_eq_u16_e32 11, v18
	s_cbranch_execz .LBB51_2049
; %bb.2048:                             ;   in Loop: Header=BB51_17 Depth=1
	flat_load_u8 v0, v[2:3]
	s_or_b32 s22, s20, exec_lo
	s_wait_loadcnt_dscnt 0x0
	v_cmp_ne_u16_e32 vcc_lo, 0, v0
	v_cndmask_b32_e64 v0, 0, 1.0, vcc_lo
.LBB51_2049:                            ;   in Loop: Header=BB51_17 Depth=1
	s_wait_xcnt 0x0
	s_or_b32 exec_lo, exec_lo, s23
	s_delay_alu instid0(SALU_CYCLE_1) | instskip(SKIP_1) | instid1(SALU_CYCLE_1)
	s_and_not1_b32 s20, s20, exec_lo
	s_and_b32 s22, s22, exec_lo
	s_or_b32 s20, s20, s22
.LBB51_2050:                            ;   in Loop: Header=BB51_17 Depth=1
	s_or_b32 exec_lo, exec_lo, s21
	s_delay_alu instid0(SALU_CYCLE_1) | instskip(SKIP_1) | instid1(SALU_CYCLE_1)
	s_and_not1_b32 s19, s19, exec_lo
	s_and_b32 s20, s20, exec_lo
	s_or_b32 s19, s19, s20
.LBB51_2051:                            ;   in Loop: Header=BB51_17 Depth=1
	s_or_b32 exec_lo, exec_lo, s18
	s_delay_alu instid0(SALU_CYCLE_1) | instskip(SKIP_1) | instid1(SALU_CYCLE_1)
	s_and_not1_b32 s17, s17, exec_lo
	s_and_b32 s18, s19, exec_lo
	s_or_b32 s17, s17, s18
.LBB51_2052:                            ;   in Loop: Header=BB51_17 Depth=1
	s_or_b32 exec_lo, exec_lo, s16
	s_delay_alu instid0(SALU_CYCLE_1)
	s_and_b32 s16, s17, exec_lo
                                        ; implicit-def: $vgpr18
                                        ; implicit-def: $vgpr2_vgpr3
	s_and_not1_saveexec_b32 s12, s12
	s_cbranch_execz .LBB51_345
.LBB51_2053:                            ;   in Loop: Header=BB51_17 Depth=1
	s_mov_b32 s17, exec_lo
                                        ; implicit-def: $vgpr0
	v_cmpx_lt_i16_e32 4, v18
	s_xor_b32 s17, exec_lo, s17
	s_cbranch_execz .LBB51_2075
; %bb.2054:                             ;   in Loop: Header=BB51_17 Depth=1
	s_mov_b32 s18, exec_lo
                                        ; implicit-def: $vgpr0
	v_cmpx_lt_i16_e32 7, v18
	s_xor_b32 s18, exec_lo, s18
	s_cbranch_execz .LBB51_2064
; %bb.2055:                             ;   in Loop: Header=BB51_17 Depth=1
	;; [unrolled: 6-line block ×4, first 2 shown]
	flat_load_b64 v[2:3], v[2:3]
	s_wait_loadcnt_dscnt 0x0
	v_cvt_f32_f64_e32 v0, v[2:3]
                                        ; implicit-def: $vgpr2_vgpr3
.LBB51_2058:                            ;   in Loop: Header=BB51_17 Depth=1
	s_wait_xcnt 0x0
	s_and_not1_saveexec_b32 s20, s20
	s_cbranch_execz .LBB51_2060
; %bb.2059:                             ;   in Loop: Header=BB51_17 Depth=1
	flat_load_b32 v0, v[2:3]
.LBB51_2060:                            ;   in Loop: Header=BB51_17 Depth=1
	s_wait_xcnt 0x0
	s_or_b32 exec_lo, exec_lo, s20
                                        ; implicit-def: $vgpr2_vgpr3
.LBB51_2061:                            ;   in Loop: Header=BB51_17 Depth=1
	s_and_not1_saveexec_b32 s19, s19
	s_cbranch_execz .LBB51_2063
; %bb.2062:                             ;   in Loop: Header=BB51_17 Depth=1
	s_wait_loadcnt_dscnt 0x0
	flat_load_b32 v0, v[2:3]
	s_wait_loadcnt_dscnt 0x0
	v_cvt_f32_f16_e32 v0, v0
.LBB51_2063:                            ;   in Loop: Header=BB51_17 Depth=1
	s_wait_xcnt 0x0
	s_or_b32 exec_lo, exec_lo, s19
                                        ; implicit-def: $vgpr2_vgpr3
                                        ; implicit-def: $vgpr18
.LBB51_2064:                            ;   in Loop: Header=BB51_17 Depth=1
	s_and_not1_saveexec_b32 s18, s18
	s_cbranch_execz .LBB51_2074
; %bb.2065:                             ;   in Loop: Header=BB51_17 Depth=1
	s_mov_b32 s19, exec_lo
                                        ; implicit-def: $vgpr0
	v_cmpx_lt_i16_e32 5, v18
	s_xor_b32 s19, exec_lo, s19
	s_cbranch_execz .LBB51_2071
; %bb.2066:                             ;   in Loop: Header=BB51_17 Depth=1
	s_mov_b32 s20, exec_lo
                                        ; implicit-def: $vgpr0
	v_cmpx_lt_i16_e32 6, v18
	s_xor_b32 s20, exec_lo, s20
	s_cbranch_execz .LBB51_2068
; %bb.2067:                             ;   in Loop: Header=BB51_17 Depth=1
	flat_load_b64 v[2:3], v[2:3]
	s_wait_loadcnt_dscnt 0x0
	v_cvt_f32_f64_e32 v0, v[2:3]
                                        ; implicit-def: $vgpr2_vgpr3
.LBB51_2068:                            ;   in Loop: Header=BB51_17 Depth=1
	s_wait_xcnt 0x0
	s_and_not1_saveexec_b32 s20, s20
	s_cbranch_execz .LBB51_2070
; %bb.2069:                             ;   in Loop: Header=BB51_17 Depth=1
	s_wait_loadcnt_dscnt 0x0
	flat_load_b32 v0, v[2:3]
.LBB51_2070:                            ;   in Loop: Header=BB51_17 Depth=1
	s_wait_xcnt 0x0
	s_or_b32 exec_lo, exec_lo, s20
                                        ; implicit-def: $vgpr2_vgpr3
.LBB51_2071:                            ;   in Loop: Header=BB51_17 Depth=1
	s_and_not1_saveexec_b32 s19, s19
	s_cbranch_execz .LBB51_2073
; %bb.2072:                             ;   in Loop: Header=BB51_17 Depth=1
	s_wait_loadcnt_dscnt 0x0
	flat_load_u16 v0, v[2:3]
	s_wait_loadcnt_dscnt 0x0
	v_cvt_f32_f16_e32 v0, v0
.LBB51_2073:                            ;   in Loop: Header=BB51_17 Depth=1
	s_wait_xcnt 0x0
	s_or_b32 exec_lo, exec_lo, s19
.LBB51_2074:                            ;   in Loop: Header=BB51_17 Depth=1
	s_delay_alu instid0(SALU_CYCLE_1)
	s_or_b32 exec_lo, exec_lo, s18
                                        ; implicit-def: $vgpr18
                                        ; implicit-def: $vgpr2_vgpr3
.LBB51_2075:                            ;   in Loop: Header=BB51_17 Depth=1
	s_and_not1_saveexec_b32 s17, s17
	s_cbranch_execz .LBB51_2093
; %bb.2076:                             ;   in Loop: Header=BB51_17 Depth=1
	s_mov_b32 s18, exec_lo
                                        ; implicit-def: $vgpr0
	v_cmpx_lt_i16_e32 1, v18
	s_xor_b32 s18, exec_lo, s18
	s_cbranch_execz .LBB51_2086
; %bb.2077:                             ;   in Loop: Header=BB51_17 Depth=1
	s_mov_b32 s19, exec_lo
                                        ; implicit-def: $vgpr0
	v_cmpx_lt_i16_e32 2, v18
	s_xor_b32 s19, exec_lo, s19
	;; [unrolled: 6-line block ×3, first 2 shown]
	s_cbranch_execz .LBB51_2080
; %bb.2079:                             ;   in Loop: Header=BB51_17 Depth=1
	flat_load_b64 v[2:3], v[2:3]
	s_wait_loadcnt_dscnt 0x0
	v_xor_b32_e32 v0, v2, v3
	v_cls_i32_e32 v18, v3
	s_delay_alu instid0(VALU_DEP_2) | instskip(NEXT) | instid1(VALU_DEP_1)
	v_ashrrev_i32_e32 v0, 31, v0
	v_add_nc_u32_e32 v0, 32, v0
	s_delay_alu instid0(VALU_DEP_1) | instskip(SKIP_1) | instid1(VALU_DEP_1)
	v_add_min_u32_e64 v0, v18, -1, v0
	s_wait_xcnt 0x0
	v_lshlrev_b64_e32 v[2:3], v0, v[2:3]
	v_sub_nc_u32_e32 v0, 32, v0
	s_delay_alu instid0(VALU_DEP_2) | instskip(NEXT) | instid1(VALU_DEP_1)
	v_min_u32_e32 v2, 1, v2
	v_or_b32_e32 v2, v3, v2
	s_delay_alu instid0(VALU_DEP_1) | instskip(NEXT) | instid1(VALU_DEP_1)
	v_cvt_f32_i32_e32 v2, v2
	v_ldexp_f32 v0, v2, v0
                                        ; implicit-def: $vgpr2_vgpr3
.LBB51_2080:                            ;   in Loop: Header=BB51_17 Depth=1
	s_and_not1_saveexec_b32 s20, s20
	s_cbranch_execz .LBB51_2082
; %bb.2081:                             ;   in Loop: Header=BB51_17 Depth=1
	s_wait_loadcnt_dscnt 0x0
	flat_load_b32 v0, v[2:3]
	s_wait_loadcnt_dscnt 0x0
	v_cvt_f32_i32_e32 v0, v0
.LBB51_2082:                            ;   in Loop: Header=BB51_17 Depth=1
	s_wait_xcnt 0x0
	s_or_b32 exec_lo, exec_lo, s20
                                        ; implicit-def: $vgpr2_vgpr3
.LBB51_2083:                            ;   in Loop: Header=BB51_17 Depth=1
	s_and_not1_saveexec_b32 s19, s19
	s_cbranch_execz .LBB51_2085
; %bb.2084:                             ;   in Loop: Header=BB51_17 Depth=1
	s_wait_loadcnt_dscnt 0x0
	flat_load_i16 v0, v[2:3]
	s_wait_loadcnt_dscnt 0x0
	v_cvt_f32_i32_e32 v0, v0
.LBB51_2085:                            ;   in Loop: Header=BB51_17 Depth=1
	s_wait_xcnt 0x0
	s_or_b32 exec_lo, exec_lo, s19
                                        ; implicit-def: $vgpr2_vgpr3
                                        ; implicit-def: $vgpr18
.LBB51_2086:                            ;   in Loop: Header=BB51_17 Depth=1
	s_and_not1_saveexec_b32 s18, s18
	s_cbranch_execz .LBB51_2092
; %bb.2087:                             ;   in Loop: Header=BB51_17 Depth=1
	s_mov_b32 s19, exec_lo
                                        ; implicit-def: $vgpr0
	v_cmpx_lt_i16_e32 0, v18
	s_xor_b32 s19, exec_lo, s19
	s_cbranch_execz .LBB51_2089
; %bb.2088:                             ;   in Loop: Header=BB51_17 Depth=1
	s_wait_loadcnt_dscnt 0x0
	flat_load_i8 v0, v[2:3]
                                        ; implicit-def: $vgpr2_vgpr3
	s_wait_loadcnt_dscnt 0x0
	v_cvt_f32_i32_e32 v0, v0
.LBB51_2089:                            ;   in Loop: Header=BB51_17 Depth=1
	s_wait_xcnt 0x0
	s_and_not1_saveexec_b32 s19, s19
	s_cbranch_execz .LBB51_2091
; %bb.2090:                             ;   in Loop: Header=BB51_17 Depth=1
	s_wait_loadcnt_dscnt 0x0
	flat_load_u8 v0, v[2:3]
	s_wait_loadcnt_dscnt 0x0
	v_cvt_f32_ubyte0_e32 v0, v0
.LBB51_2091:                            ;   in Loop: Header=BB51_17 Depth=1
	s_wait_xcnt 0x0
	s_or_b32 exec_lo, exec_lo, s19
.LBB51_2092:                            ;   in Loop: Header=BB51_17 Depth=1
	s_delay_alu instid0(SALU_CYCLE_1)
	s_or_b32 exec_lo, exec_lo, s18
.LBB51_2093:                            ;   in Loop: Header=BB51_17 Depth=1
	s_delay_alu instid0(SALU_CYCLE_1) | instskip(NEXT) | instid1(SALU_CYCLE_1)
	s_or_b32 exec_lo, exec_lo, s17
	s_or_b32 s16, s16, exec_lo
	s_or_b32 exec_lo, exec_lo, s12
	s_mov_b32 s17, 0
	s_and_saveexec_b32 s12, s16
	s_cbranch_execnz .LBB51_346
	s_branch .LBB51_347
.LBB51_2094:                            ;   in Loop: Header=BB51_17 Depth=1
	s_mov_b32 s13, -1
	s_mov_b32 s15, exec_lo
	v_cmpx_eq_u16_e32 0x80, v2
; %bb.2095:                             ;   in Loop: Header=BB51_17 Depth=1
	s_xor_b32 s13, exec_lo, -1
; %bb.2096:                             ;   in Loop: Header=BB51_17 Depth=1
	s_or_b32 exec_lo, exec_lo, s15
	s_delay_alu instid0(SALU_CYCLE_1)
	s_and_b32 s13, s13, exec_lo
	s_or_saveexec_b32 s14, s14
	v_mov_b32_e32 v0, 0x7f800001
	s_xor_b32 exec_lo, exec_lo, s14
	s_cbranch_execz .LBB51_46
.LBB51_2097:                            ;   in Loop: Header=BB51_17 Depth=1
	v_cmp_ne_u16_e32 vcc_lo, 0, v2
	v_mov_b32_e32 v0, 0
	s_and_not1_b32 s13, s13, exec_lo
	s_and_b32 s15, vcc_lo, exec_lo
	s_delay_alu instid0(SALU_CYCLE_1)
	s_or_b32 s13, s13, s15
	s_or_b32 exec_lo, exec_lo, s14
	s_and_saveexec_b32 s14, s13
	s_cbranch_execnz .LBB51_47
	s_branch .LBB51_48
.LBB51_2098:                            ;   in Loop: Header=BB51_17 Depth=1
	s_mov_b32 s19, exec_lo
                                        ; implicit-def: $vgpr0
	v_cmpx_lt_i16_e32 25, v18
	s_xor_b32 s19, exec_lo, s19
	s_cbranch_execz .LBB51_2130
; %bb.2099:                             ;   in Loop: Header=BB51_17 Depth=1
	s_mov_b32 s21, exec_lo
                                        ; implicit-def: $vgpr0
	v_cmpx_lt_i16_e32 28, v18
	s_xor_b32 s21, exec_lo, s21
	s_cbranch_execz .LBB51_2115
; %bb.2100:                             ;   in Loop: Header=BB51_17 Depth=1
	s_mov_b32 s22, 0
	s_mov_b32 s20, exec_lo
                                        ; implicit-def: $vgpr0
	v_cmpx_lt_i16_e32 43, v18
	s_xor_b32 s20, exec_lo, s20
	s_cbranch_execz .LBB51_2110
; %bb.2101:                             ;   in Loop: Header=BB51_17 Depth=1
	s_mov_b32 s23, exec_lo
                                        ; implicit-def: $vgpr0
	v_cmpx_lt_i16_e32 45, v18
	s_xor_b32 s23, exec_lo, s23
	s_cbranch_execz .LBB51_2105
; %bb.2102:                             ;   in Loop: Header=BB51_17 Depth=1
	s_mov_b32 s24, exec_lo
                                        ; implicit-def: $vgpr0
	v_cmpx_eq_u16_e32 46, v18
	s_cbranch_execz .LBB51_2104
; %bb.2103:                             ;   in Loop: Header=BB51_17 Depth=1
	flat_load_b32 v0, v[2:3]
	s_mov_b32 s22, exec_lo
	s_wait_loadcnt_dscnt 0x0
	v_lshlrev_b32_e32 v0, 16, v0
.LBB51_2104:                            ;   in Loop: Header=BB51_17 Depth=1
	s_wait_xcnt 0x0
	s_or_b32 exec_lo, exec_lo, s24
	s_delay_alu instid0(SALU_CYCLE_1)
	s_and_b32 s22, s22, exec_lo
                                        ; implicit-def: $vgpr18
                                        ; implicit-def: $vgpr2_vgpr3
.LBB51_2105:                            ;   in Loop: Header=BB51_17 Depth=1
	s_and_not1_saveexec_b32 s23, s23
	s_cbranch_execz .LBB51_2109
; %bb.2106:                             ;   in Loop: Header=BB51_17 Depth=1
	s_mov_b32 s25, s22
	s_mov_b32 s24, exec_lo
                                        ; implicit-def: $vgpr0
	v_cmpx_eq_u16_e32 44, v18
	s_cbranch_execz .LBB51_2108
; %bb.2107:                             ;   in Loop: Header=BB51_17 Depth=1
	flat_load_u8 v0, v[2:3]
	s_or_b32 s25, s22, exec_lo
	s_wait_loadcnt_dscnt 0x0
	v_lshlrev_b32_e32 v2, 23, v0
	v_cmp_ne_u32_e32 vcc_lo, 0xff, v0
	s_delay_alu instid0(VALU_DEP_2) | instskip(SKIP_1) | instid1(VALU_DEP_2)
	v_cndmask_b32_e32 v2, 0x7f800001, v2, vcc_lo
	v_cmp_ne_u32_e32 vcc_lo, 0, v0
	v_cndmask_b32_e32 v0, 0x400000, v2, vcc_lo
.LBB51_2108:                            ;   in Loop: Header=BB51_17 Depth=1
	s_or_b32 exec_lo, exec_lo, s24
	s_delay_alu instid0(SALU_CYCLE_1) | instskip(SKIP_1) | instid1(SALU_CYCLE_1)
	s_and_not1_b32 s22, s22, exec_lo
	s_and_b32 s24, s25, exec_lo
	s_or_b32 s22, s22, s24
.LBB51_2109:                            ;   in Loop: Header=BB51_17 Depth=1
	s_or_b32 exec_lo, exec_lo, s23
	s_delay_alu instid0(SALU_CYCLE_1)
	s_and_b32 s22, s22, exec_lo
                                        ; implicit-def: $vgpr18
                                        ; implicit-def: $vgpr2_vgpr3
.LBB51_2110:                            ;   in Loop: Header=BB51_17 Depth=1
	s_and_not1_saveexec_b32 s20, s20
	s_cbranch_execz .LBB51_2114
; %bb.2111:                             ;   in Loop: Header=BB51_17 Depth=1
	s_mov_b32 s24, s22
	s_mov_b32 s23, exec_lo
                                        ; implicit-def: $vgpr0
	v_cmpx_eq_u16_e32 29, v18
	s_cbranch_execz .LBB51_2113
; %bb.2112:                             ;   in Loop: Header=BB51_17 Depth=1
	flat_load_b64 v[2:3], v[2:3]
	s_or_b32 s24, s22, exec_lo
	s_wait_loadcnt_dscnt 0x0
	v_clz_i32_u32_e32 v0, v3
	s_delay_alu instid0(VALU_DEP_1) | instskip(SKIP_1) | instid1(VALU_DEP_1)
	v_min_u32_e32 v0, 32, v0
	s_wait_xcnt 0x0
	v_lshlrev_b64_e32 v[2:3], v0, v[2:3]
	v_sub_nc_u32_e32 v0, 32, v0
	s_delay_alu instid0(VALU_DEP_2) | instskip(NEXT) | instid1(VALU_DEP_1)
	v_min_u32_e32 v2, 1, v2
	v_or_b32_e32 v2, v3, v2
	s_delay_alu instid0(VALU_DEP_1) | instskip(NEXT) | instid1(VALU_DEP_1)
	v_cvt_f32_u32_e32 v2, v2
	v_ldexp_f32 v0, v2, v0
.LBB51_2113:                            ;   in Loop: Header=BB51_17 Depth=1
	s_or_b32 exec_lo, exec_lo, s23
	s_delay_alu instid0(SALU_CYCLE_1) | instskip(SKIP_1) | instid1(SALU_CYCLE_1)
	s_and_not1_b32 s22, s22, exec_lo
	s_and_b32 s23, s24, exec_lo
	s_or_b32 s22, s22, s23
.LBB51_2114:                            ;   in Loop: Header=BB51_17 Depth=1
	s_or_b32 exec_lo, exec_lo, s20
	s_delay_alu instid0(SALU_CYCLE_1)
	s_and_b32 s20, s22, exec_lo
                                        ; implicit-def: $vgpr18
                                        ; implicit-def: $vgpr2_vgpr3
.LBB51_2115:                            ;   in Loop: Header=BB51_17 Depth=1
	s_and_not1_saveexec_b32 s21, s21
	s_cbranch_execz .LBB51_2129
; %bb.2116:                             ;   in Loop: Header=BB51_17 Depth=1
	s_mov_b32 s22, exec_lo
                                        ; implicit-def: $vgpr0
	v_cmpx_lt_i16_e32 26, v18
	s_xor_b32 s22, exec_lo, s22
	s_cbranch_execz .LBB51_2122
; %bb.2117:                             ;   in Loop: Header=BB51_17 Depth=1
	s_mov_b32 s23, exec_lo
                                        ; implicit-def: $vgpr0
	v_cmpx_lt_i16_e32 27, v18
	s_xor_b32 s23, exec_lo, s23
	s_cbranch_execz .LBB51_2119
; %bb.2118:                             ;   in Loop: Header=BB51_17 Depth=1
	flat_load_b32 v0, v[2:3]
                                        ; implicit-def: $vgpr2_vgpr3
	s_wait_loadcnt_dscnt 0x0
	v_cvt_f32_u32_e32 v0, v0
.LBB51_2119:                            ;   in Loop: Header=BB51_17 Depth=1
	s_wait_xcnt 0x0
	s_and_not1_saveexec_b32 s23, s23
	s_cbranch_execz .LBB51_2121
; %bb.2120:                             ;   in Loop: Header=BB51_17 Depth=1
	flat_load_u16 v0, v[2:3]
	s_wait_loadcnt_dscnt 0x0
	v_cvt_f32_u32_e32 v0, v0
.LBB51_2121:                            ;   in Loop: Header=BB51_17 Depth=1
	s_wait_xcnt 0x0
	s_or_b32 exec_lo, exec_lo, s23
                                        ; implicit-def: $vgpr2_vgpr3
.LBB51_2122:                            ;   in Loop: Header=BB51_17 Depth=1
	s_and_not1_saveexec_b32 s22, s22
	s_cbranch_execz .LBB51_2128
; %bb.2123:                             ;   in Loop: Header=BB51_17 Depth=1
	flat_load_u8 v2, v[2:3]
	s_mov_b32 s23, 0
	s_mov_b32 s24, exec_lo
	s_wait_loadcnt_dscnt 0x0
	v_cmpx_lt_i16_e32 0x7f, v2
	s_xor_b32 s24, exec_lo, s24
	s_cbranch_execnz .LBB51_2654
; %bb.2124:                             ;   in Loop: Header=BB51_17 Depth=1
	s_or_saveexec_b32 s24, s24
	v_mov_b32_e32 v0, 0x7f800001
	s_xor_b32 exec_lo, exec_lo, s24
	s_cbranch_execnz .LBB51_2657
.LBB51_2125:                            ;   in Loop: Header=BB51_17 Depth=1
	s_or_b32 exec_lo, exec_lo, s24
	s_and_saveexec_b32 s24, s23
	s_cbranch_execz .LBB51_2127
.LBB51_2126:                            ;   in Loop: Header=BB51_17 Depth=1
	v_and_b32_e32 v0, 0xffff, v2
	s_delay_alu instid0(VALU_DEP_1) | instskip(SKIP_1) | instid1(VALU_DEP_2)
	v_and_b32_e32 v3, 7, v0
	v_bfe_u32 v20, v0, 3, 4
	v_clz_i32_u32_e32 v18, v3
	s_delay_alu instid0(VALU_DEP_2) | instskip(NEXT) | instid1(VALU_DEP_2)
	v_cmp_eq_u32_e32 vcc_lo, 0, v20
	v_min_u32_e32 v18, 32, v18
	s_delay_alu instid0(VALU_DEP_1) | instskip(NEXT) | instid1(VALU_DEP_1)
	v_subrev_nc_u32_e32 v19, 28, v18
	v_dual_lshlrev_b32 v0, v19, v0 :: v_dual_sub_nc_u32 v18, 29, v18
	s_delay_alu instid0(VALU_DEP_1) | instskip(NEXT) | instid1(VALU_DEP_1)
	v_dual_lshlrev_b32 v2, 24, v2 :: v_dual_bitop2_b32 v0, 7, v0 bitop3:0x40
	v_dual_cndmask_b32 v0, v3, v0, vcc_lo :: v_dual_cndmask_b32 v18, v20, v18, vcc_lo
	s_delay_alu instid0(VALU_DEP_2) | instskip(NEXT) | instid1(VALU_DEP_2)
	v_and_b32_e32 v2, 0x80000000, v2
	v_lshlrev_b32_e32 v0, 20, v0
	s_delay_alu instid0(VALU_DEP_3) | instskip(NEXT) | instid1(VALU_DEP_1)
	v_lshl_add_u32 v3, v18, 23, 0x3b800000
	v_or3_b32 v0, v2, v3, v0
.LBB51_2127:                            ;   in Loop: Header=BB51_17 Depth=1
	s_or_b32 exec_lo, exec_lo, s24
.LBB51_2128:                            ;   in Loop: Header=BB51_17 Depth=1
	s_delay_alu instid0(SALU_CYCLE_1) | instskip(NEXT) | instid1(SALU_CYCLE_1)
	s_or_b32 exec_lo, exec_lo, s22
	s_or_b32 s20, s20, exec_lo
.LBB51_2129:                            ;   in Loop: Header=BB51_17 Depth=1
	s_or_b32 exec_lo, exec_lo, s21
	s_delay_alu instid0(SALU_CYCLE_1)
	s_and_b32 s20, s20, exec_lo
                                        ; implicit-def: $vgpr18
                                        ; implicit-def: $vgpr2_vgpr3
.LBB51_2130:                            ;   in Loop: Header=BB51_17 Depth=1
	s_and_not1_saveexec_b32 s19, s19
	s_cbranch_execz .LBB51_2156
; %bb.2131:                             ;   in Loop: Header=BB51_17 Depth=1
	s_mov_b32 s22, s20
	s_mov_b32 s21, exec_lo
                                        ; implicit-def: $vgpr0
	v_cmpx_lt_i16_e32 22, v18
	s_xor_b32 s21, exec_lo, s21
	s_cbranch_execz .LBB51_2145
; %bb.2132:                             ;   in Loop: Header=BB51_17 Depth=1
	s_mov_b32 s22, exec_lo
                                        ; implicit-def: $vgpr0
	v_cmpx_lt_i16_e32 23, v18
	s_xor_b32 s22, exec_lo, s22
	s_cbranch_execz .LBB51_2142
; %bb.2133:                             ;   in Loop: Header=BB51_17 Depth=1
	;; [unrolled: 6-line block ×3, first 2 shown]
	flat_load_u8 v2, v[2:3]
	s_mov_b32 s24, 0
	s_mov_b32 s25, exec_lo
	s_wait_loadcnt_dscnt 0x0
	v_cmpx_lt_i16_e32 0x7f, v2
	s_xor_b32 s25, exec_lo, s25
	s_cbranch_execnz .LBB51_2766
; %bb.2135:                             ;   in Loop: Header=BB51_17 Depth=1
	s_or_saveexec_b32 s25, s25
	v_mov_b32_e32 v0, 0x7f800001
	s_xor_b32 exec_lo, exec_lo, s25
	s_cbranch_execnz .LBB51_2769
.LBB51_2136:                            ;   in Loop: Header=BB51_17 Depth=1
	s_or_b32 exec_lo, exec_lo, s25
	s_and_saveexec_b32 s25, s24
	s_cbranch_execz .LBB51_2138
.LBB51_2137:                            ;   in Loop: Header=BB51_17 Depth=1
	v_and_b32_e32 v0, 0xffff, v2
	s_delay_alu instid0(VALU_DEP_1) | instskip(SKIP_1) | instid1(VALU_DEP_2)
	v_and_b32_e32 v3, 3, v0
	v_bfe_u32 v20, v0, 2, 5
	v_clz_i32_u32_e32 v18, v3
	s_delay_alu instid0(VALU_DEP_2) | instskip(NEXT) | instid1(VALU_DEP_2)
	v_cmp_eq_u32_e32 vcc_lo, 0, v20
	v_min_u32_e32 v18, 32, v18
	s_delay_alu instid0(VALU_DEP_1) | instskip(NEXT) | instid1(VALU_DEP_1)
	v_subrev_nc_u32_e32 v19, 29, v18
	v_dual_lshlrev_b32 v0, v19, v0 :: v_dual_sub_nc_u32 v18, 30, v18
	s_delay_alu instid0(VALU_DEP_1) | instskip(NEXT) | instid1(VALU_DEP_1)
	v_dual_lshlrev_b32 v2, 24, v2 :: v_dual_bitop2_b32 v0, 3, v0 bitop3:0x40
	v_dual_cndmask_b32 v0, v3, v0, vcc_lo :: v_dual_cndmask_b32 v18, v20, v18, vcc_lo
	s_delay_alu instid0(VALU_DEP_2) | instskip(NEXT) | instid1(VALU_DEP_2)
	v_and_b32_e32 v2, 0x80000000, v2
	v_lshlrev_b32_e32 v0, 21, v0
	s_delay_alu instid0(VALU_DEP_3) | instskip(NEXT) | instid1(VALU_DEP_1)
	v_lshl_add_u32 v3, v18, 23, 0x37800000
	v_or3_b32 v0, v2, v3, v0
.LBB51_2138:                            ;   in Loop: Header=BB51_17 Depth=1
	s_or_b32 exec_lo, exec_lo, s25
                                        ; implicit-def: $vgpr2_vgpr3
.LBB51_2139:                            ;   in Loop: Header=BB51_17 Depth=1
	s_and_not1_saveexec_b32 s23, s23
	s_cbranch_execz .LBB51_2141
; %bb.2140:                             ;   in Loop: Header=BB51_17 Depth=1
	flat_load_u8 v0, v[2:3]
	s_wait_loadcnt_dscnt 0x0
	v_lshlrev_b32_e32 v0, 24, v0
	s_wait_xcnt 0x0
	s_delay_alu instid0(VALU_DEP_1) | instskip(NEXT) | instid1(VALU_DEP_1)
	v_and_b32_e32 v2, 0x7f000000, v0
	v_clz_i32_u32_e32 v3, v2
	v_cmp_ne_u32_e32 vcc_lo, 0, v2
	v_add_nc_u32_e32 v19, 0x1000000, v2
	s_delay_alu instid0(VALU_DEP_3) | instskip(NEXT) | instid1(VALU_DEP_1)
	v_min_u32_e32 v3, 32, v3
	v_sub_nc_u32_e64 v3, v3, 4 clamp
	s_delay_alu instid0(VALU_DEP_1) | instskip(NEXT) | instid1(VALU_DEP_1)
	v_dual_lshlrev_b32 v18, v3, v2 :: v_dual_lshlrev_b32 v3, 23, v3
	v_lshrrev_b32_e32 v18, 4, v18
	s_delay_alu instid0(VALU_DEP_1) | instskip(SKIP_1) | instid1(VALU_DEP_2)
	v_sub_nc_u32_e32 v3, v18, v3
	v_ashrrev_i32_e32 v18, 8, v19
	v_add_nc_u32_e32 v3, 0x3c000000, v3
	s_delay_alu instid0(VALU_DEP_1) | instskip(NEXT) | instid1(VALU_DEP_1)
	v_and_or_b32 v3, 0x7f800000, v18, v3
	v_cndmask_b32_e32 v2, 0, v3, vcc_lo
	s_delay_alu instid0(VALU_DEP_1)
	v_and_or_b32 v0, 0x80000000, v0, v2
.LBB51_2141:                            ;   in Loop: Header=BB51_17 Depth=1
	s_or_b32 exec_lo, exec_lo, s23
                                        ; implicit-def: $vgpr2_vgpr3
.LBB51_2142:                            ;   in Loop: Header=BB51_17 Depth=1
	s_and_not1_saveexec_b32 s22, s22
	s_cbranch_execz .LBB51_2144
; %bb.2143:                             ;   in Loop: Header=BB51_17 Depth=1
	flat_load_u8 v0, v[2:3]
	s_wait_loadcnt_dscnt 0x0
	v_lshlrev_b32_e32 v2, 25, v0
	v_lshlrev_b16 v0, 8, v0
	s_delay_alu instid0(VALU_DEP_1) | instskip(SKIP_1) | instid1(VALU_DEP_2)
	v_and_or_b32 v18, 0x7f00, v0, 0.5
	v_bfe_i32 v0, v0, 0, 16
	v_add_f32_e32 v18, -0.5, v18
	v_lshrrev_b32_e32 v3, 4, v2
	v_cmp_gt_u32_e32 vcc_lo, 0x8000000, v2
	s_delay_alu instid0(VALU_DEP_2) | instskip(NEXT) | instid1(VALU_DEP_1)
	v_or_b32_e32 v3, 0x70000000, v3
	v_mul_f32_e32 v3, 0x7800000, v3
	s_delay_alu instid0(VALU_DEP_1) | instskip(NEXT) | instid1(VALU_DEP_1)
	v_cndmask_b32_e32 v2, v3, v18, vcc_lo
	v_and_or_b32 v0, 0x80000000, v0, v2
.LBB51_2144:                            ;   in Loop: Header=BB51_17 Depth=1
	s_or_b32 exec_lo, exec_lo, s22
	s_delay_alu instid0(SALU_CYCLE_1)
	s_or_b32 s22, s20, exec_lo
                                        ; implicit-def: $vgpr18
                                        ; implicit-def: $vgpr2_vgpr3
.LBB51_2145:                            ;   in Loop: Header=BB51_17 Depth=1
	s_and_not1_saveexec_b32 s21, s21
	s_cbranch_execz .LBB51_2155
; %bb.2146:                             ;   in Loop: Header=BB51_17 Depth=1
	s_mov_b32 s23, s22
	s_mov_b32 s24, exec_lo
                                        ; implicit-def: $vgpr0
	v_cmpx_lt_i16_e32 14, v18
	s_xor_b32 s24, exec_lo, s24
	s_cbranch_execz .LBB51_2150
; %bb.2147:                             ;   in Loop: Header=BB51_17 Depth=1
	s_mov_b32 s23, s22
	s_mov_b32 s25, exec_lo
                                        ; implicit-def: $vgpr0
	v_cmpx_eq_u16_e32 15, v18
	s_cbranch_execz .LBB51_2149
; %bb.2148:                             ;   in Loop: Header=BB51_17 Depth=1
	flat_load_u16 v0, v[2:3]
	s_or_b32 s23, s22, exec_lo
	s_wait_loadcnt_dscnt 0x0
	v_lshlrev_b32_e32 v0, 16, v0
.LBB51_2149:                            ;   in Loop: Header=BB51_17 Depth=1
	s_wait_xcnt 0x0
	s_or_b32 exec_lo, exec_lo, s25
	s_delay_alu instid0(SALU_CYCLE_1) | instskip(SKIP_1) | instid1(SALU_CYCLE_1)
	s_and_not1_b32 s25, s22, exec_lo
	s_and_b32 s23, s23, exec_lo
                                        ; implicit-def: $vgpr18
                                        ; implicit-def: $vgpr2_vgpr3
	s_or_b32 s23, s25, s23
.LBB51_2150:                            ;   in Loop: Header=BB51_17 Depth=1
	s_and_not1_saveexec_b32 s24, s24
	s_cbranch_execz .LBB51_2154
; %bb.2151:                             ;   in Loop: Header=BB51_17 Depth=1
	s_mov_b32 s25, s23
	s_mov_b32 s26, exec_lo
                                        ; implicit-def: $vgpr0
	v_cmpx_eq_u16_e32 11, v18
	s_cbranch_execz .LBB51_2153
; %bb.2152:                             ;   in Loop: Header=BB51_17 Depth=1
	flat_load_u8 v0, v[2:3]
	s_or_b32 s25, s23, exec_lo
	s_wait_loadcnt_dscnt 0x0
	v_cmp_ne_u16_e32 vcc_lo, 0, v0
	v_cndmask_b32_e64 v0, 0, 1.0, vcc_lo
.LBB51_2153:                            ;   in Loop: Header=BB51_17 Depth=1
	s_wait_xcnt 0x0
	s_or_b32 exec_lo, exec_lo, s26
	s_delay_alu instid0(SALU_CYCLE_1) | instskip(SKIP_1) | instid1(SALU_CYCLE_1)
	s_and_not1_b32 s23, s23, exec_lo
	s_and_b32 s25, s25, exec_lo
	s_or_b32 s23, s23, s25
.LBB51_2154:                            ;   in Loop: Header=BB51_17 Depth=1
	s_or_b32 exec_lo, exec_lo, s24
	s_delay_alu instid0(SALU_CYCLE_1) | instskip(SKIP_1) | instid1(SALU_CYCLE_1)
	s_and_not1_b32 s22, s22, exec_lo
	s_and_b32 s23, s23, exec_lo
	s_or_b32 s22, s22, s23
.LBB51_2155:                            ;   in Loop: Header=BB51_17 Depth=1
	s_or_b32 exec_lo, exec_lo, s21
	s_delay_alu instid0(SALU_CYCLE_1) | instskip(SKIP_1) | instid1(SALU_CYCLE_1)
	s_and_not1_b32 s20, s20, exec_lo
	s_and_b32 s21, s22, exec_lo
	s_or_b32 s20, s20, s21
.LBB51_2156:                            ;   in Loop: Header=BB51_17 Depth=1
	s_or_b32 exec_lo, exec_lo, s19
	s_delay_alu instid0(SALU_CYCLE_1)
	s_and_b32 s19, s20, exec_lo
                                        ; implicit-def: $vgpr18
                                        ; implicit-def: $vgpr2_vgpr3
	s_and_not1_saveexec_b32 s15, s15
	s_cbranch_execz .LBB51_456
.LBB51_2157:                            ;   in Loop: Header=BB51_17 Depth=1
	s_mov_b32 s20, exec_lo
                                        ; implicit-def: $vgpr0
	v_cmpx_lt_i16_e32 4, v18
	s_xor_b32 s20, exec_lo, s20
	s_cbranch_execz .LBB51_2179
; %bb.2158:                             ;   in Loop: Header=BB51_17 Depth=1
	s_mov_b32 s21, exec_lo
                                        ; implicit-def: $vgpr0
	v_cmpx_lt_i16_e32 7, v18
	s_xor_b32 s21, exec_lo, s21
	s_cbranch_execz .LBB51_2168
; %bb.2159:                             ;   in Loop: Header=BB51_17 Depth=1
	;; [unrolled: 6-line block ×4, first 2 shown]
	flat_load_b64 v[2:3], v[2:3]
	s_wait_loadcnt_dscnt 0x0
	v_cvt_f32_f64_e32 v0, v[2:3]
                                        ; implicit-def: $vgpr2_vgpr3
.LBB51_2162:                            ;   in Loop: Header=BB51_17 Depth=1
	s_wait_xcnt 0x0
	s_and_not1_saveexec_b32 s23, s23
	s_cbranch_execz .LBB51_2164
; %bb.2163:                             ;   in Loop: Header=BB51_17 Depth=1
	flat_load_b32 v0, v[2:3]
.LBB51_2164:                            ;   in Loop: Header=BB51_17 Depth=1
	s_wait_xcnt 0x0
	s_or_b32 exec_lo, exec_lo, s23
                                        ; implicit-def: $vgpr2_vgpr3
.LBB51_2165:                            ;   in Loop: Header=BB51_17 Depth=1
	s_and_not1_saveexec_b32 s22, s22
	s_cbranch_execz .LBB51_2167
; %bb.2166:                             ;   in Loop: Header=BB51_17 Depth=1
	s_wait_loadcnt_dscnt 0x0
	flat_load_b32 v0, v[2:3]
	s_wait_loadcnt_dscnt 0x0
	v_cvt_f32_f16_e32 v0, v0
.LBB51_2167:                            ;   in Loop: Header=BB51_17 Depth=1
	s_wait_xcnt 0x0
	s_or_b32 exec_lo, exec_lo, s22
                                        ; implicit-def: $vgpr2_vgpr3
                                        ; implicit-def: $vgpr18
.LBB51_2168:                            ;   in Loop: Header=BB51_17 Depth=1
	s_and_not1_saveexec_b32 s21, s21
	s_cbranch_execz .LBB51_2178
; %bb.2169:                             ;   in Loop: Header=BB51_17 Depth=1
	s_mov_b32 s22, exec_lo
                                        ; implicit-def: $vgpr0
	v_cmpx_lt_i16_e32 5, v18
	s_xor_b32 s22, exec_lo, s22
	s_cbranch_execz .LBB51_2175
; %bb.2170:                             ;   in Loop: Header=BB51_17 Depth=1
	s_mov_b32 s23, exec_lo
                                        ; implicit-def: $vgpr0
	v_cmpx_lt_i16_e32 6, v18
	s_xor_b32 s23, exec_lo, s23
	s_cbranch_execz .LBB51_2172
; %bb.2171:                             ;   in Loop: Header=BB51_17 Depth=1
	flat_load_b64 v[2:3], v[2:3]
	s_wait_loadcnt_dscnt 0x0
	v_cvt_f32_f64_e32 v0, v[2:3]
                                        ; implicit-def: $vgpr2_vgpr3
.LBB51_2172:                            ;   in Loop: Header=BB51_17 Depth=1
	s_wait_xcnt 0x0
	s_and_not1_saveexec_b32 s23, s23
	s_cbranch_execz .LBB51_2174
; %bb.2173:                             ;   in Loop: Header=BB51_17 Depth=1
	s_wait_loadcnt_dscnt 0x0
	flat_load_b32 v0, v[2:3]
.LBB51_2174:                            ;   in Loop: Header=BB51_17 Depth=1
	s_wait_xcnt 0x0
	s_or_b32 exec_lo, exec_lo, s23
                                        ; implicit-def: $vgpr2_vgpr3
.LBB51_2175:                            ;   in Loop: Header=BB51_17 Depth=1
	s_and_not1_saveexec_b32 s22, s22
	s_cbranch_execz .LBB51_2177
; %bb.2176:                             ;   in Loop: Header=BB51_17 Depth=1
	s_wait_loadcnt_dscnt 0x0
	flat_load_u16 v0, v[2:3]
	s_wait_loadcnt_dscnt 0x0
	v_cvt_f32_f16_e32 v0, v0
.LBB51_2177:                            ;   in Loop: Header=BB51_17 Depth=1
	s_wait_xcnt 0x0
	s_or_b32 exec_lo, exec_lo, s22
.LBB51_2178:                            ;   in Loop: Header=BB51_17 Depth=1
	s_delay_alu instid0(SALU_CYCLE_1)
	s_or_b32 exec_lo, exec_lo, s21
                                        ; implicit-def: $vgpr18
                                        ; implicit-def: $vgpr2_vgpr3
.LBB51_2179:                            ;   in Loop: Header=BB51_17 Depth=1
	s_and_not1_saveexec_b32 s20, s20
	s_cbranch_execz .LBB51_2197
; %bb.2180:                             ;   in Loop: Header=BB51_17 Depth=1
	s_mov_b32 s21, exec_lo
                                        ; implicit-def: $vgpr0
	v_cmpx_lt_i16_e32 1, v18
	s_xor_b32 s21, exec_lo, s21
	s_cbranch_execz .LBB51_2190
; %bb.2181:                             ;   in Loop: Header=BB51_17 Depth=1
	s_mov_b32 s22, exec_lo
                                        ; implicit-def: $vgpr0
	v_cmpx_lt_i16_e32 2, v18
	s_xor_b32 s22, exec_lo, s22
	;; [unrolled: 6-line block ×3, first 2 shown]
	s_cbranch_execz .LBB51_2184
; %bb.2183:                             ;   in Loop: Header=BB51_17 Depth=1
	flat_load_b64 v[2:3], v[2:3]
	s_wait_loadcnt_dscnt 0x0
	v_xor_b32_e32 v0, v2, v3
	v_cls_i32_e32 v18, v3
	s_delay_alu instid0(VALU_DEP_2) | instskip(NEXT) | instid1(VALU_DEP_1)
	v_ashrrev_i32_e32 v0, 31, v0
	v_add_nc_u32_e32 v0, 32, v0
	s_delay_alu instid0(VALU_DEP_1) | instskip(SKIP_1) | instid1(VALU_DEP_1)
	v_add_min_u32_e64 v0, v18, -1, v0
	s_wait_xcnt 0x0
	v_lshlrev_b64_e32 v[2:3], v0, v[2:3]
	v_sub_nc_u32_e32 v0, 32, v0
	s_delay_alu instid0(VALU_DEP_2) | instskip(NEXT) | instid1(VALU_DEP_1)
	v_min_u32_e32 v2, 1, v2
	v_or_b32_e32 v2, v3, v2
	s_delay_alu instid0(VALU_DEP_1) | instskip(NEXT) | instid1(VALU_DEP_1)
	v_cvt_f32_i32_e32 v2, v2
	v_ldexp_f32 v0, v2, v0
                                        ; implicit-def: $vgpr2_vgpr3
.LBB51_2184:                            ;   in Loop: Header=BB51_17 Depth=1
	s_and_not1_saveexec_b32 s23, s23
	s_cbranch_execz .LBB51_2186
; %bb.2185:                             ;   in Loop: Header=BB51_17 Depth=1
	s_wait_loadcnt_dscnt 0x0
	flat_load_b32 v0, v[2:3]
	s_wait_loadcnt_dscnt 0x0
	v_cvt_f32_i32_e32 v0, v0
.LBB51_2186:                            ;   in Loop: Header=BB51_17 Depth=1
	s_wait_xcnt 0x0
	s_or_b32 exec_lo, exec_lo, s23
                                        ; implicit-def: $vgpr2_vgpr3
.LBB51_2187:                            ;   in Loop: Header=BB51_17 Depth=1
	s_and_not1_saveexec_b32 s22, s22
	s_cbranch_execz .LBB51_2189
; %bb.2188:                             ;   in Loop: Header=BB51_17 Depth=1
	s_wait_loadcnt_dscnt 0x0
	flat_load_i16 v0, v[2:3]
	s_wait_loadcnt_dscnt 0x0
	v_cvt_f32_i32_e32 v0, v0
.LBB51_2189:                            ;   in Loop: Header=BB51_17 Depth=1
	s_wait_xcnt 0x0
	s_or_b32 exec_lo, exec_lo, s22
                                        ; implicit-def: $vgpr2_vgpr3
                                        ; implicit-def: $vgpr18
.LBB51_2190:                            ;   in Loop: Header=BB51_17 Depth=1
	s_and_not1_saveexec_b32 s21, s21
	s_cbranch_execz .LBB51_2196
; %bb.2191:                             ;   in Loop: Header=BB51_17 Depth=1
	s_mov_b32 s22, exec_lo
                                        ; implicit-def: $vgpr0
	v_cmpx_lt_i16_e32 0, v18
	s_xor_b32 s22, exec_lo, s22
	s_cbranch_execz .LBB51_2193
; %bb.2192:                             ;   in Loop: Header=BB51_17 Depth=1
	s_wait_loadcnt_dscnt 0x0
	flat_load_i8 v0, v[2:3]
                                        ; implicit-def: $vgpr2_vgpr3
	s_wait_loadcnt_dscnt 0x0
	v_cvt_f32_i32_e32 v0, v0
.LBB51_2193:                            ;   in Loop: Header=BB51_17 Depth=1
	s_wait_xcnt 0x0
	s_and_not1_saveexec_b32 s22, s22
	s_cbranch_execz .LBB51_2195
; %bb.2194:                             ;   in Loop: Header=BB51_17 Depth=1
	s_wait_loadcnt_dscnt 0x0
	flat_load_u8 v0, v[2:3]
	s_wait_loadcnt_dscnt 0x0
	v_cvt_f32_ubyte0_e32 v0, v0
.LBB51_2195:                            ;   in Loop: Header=BB51_17 Depth=1
	s_wait_xcnt 0x0
	s_or_b32 exec_lo, exec_lo, s22
.LBB51_2196:                            ;   in Loop: Header=BB51_17 Depth=1
	s_delay_alu instid0(SALU_CYCLE_1)
	s_or_b32 exec_lo, exec_lo, s21
.LBB51_2197:                            ;   in Loop: Header=BB51_17 Depth=1
	s_delay_alu instid0(SALU_CYCLE_1) | instskip(NEXT) | instid1(SALU_CYCLE_1)
	s_or_b32 exec_lo, exec_lo, s20
	s_or_b32 s19, s19, exec_lo
	s_or_b32 exec_lo, exec_lo, s15
	s_mov_b32 s20, 0
	s_and_saveexec_b32 s15, s19
	s_cbranch_execnz .LBB51_457
	s_branch .LBB51_458
.LBB51_2198:                            ;   in Loop: Header=BB51_17 Depth=1
	s_mov_b32 s14, -1
	s_mov_b32 s16, exec_lo
	v_cmpx_eq_u16_e32 0x80, v2
; %bb.2199:                             ;   in Loop: Header=BB51_17 Depth=1
	s_xor_b32 s14, exec_lo, -1
; %bb.2200:                             ;   in Loop: Header=BB51_17 Depth=1
	s_or_b32 exec_lo, exec_lo, s16
	s_delay_alu instid0(SALU_CYCLE_1)
	s_and_b32 s14, s14, exec_lo
	s_or_saveexec_b32 s15, s15
	v_mov_b32_e32 v0, 0x7f800001
	s_xor_b32 exec_lo, exec_lo, s15
	s_cbranch_execz .LBB51_57
.LBB51_2201:                            ;   in Loop: Header=BB51_17 Depth=1
	v_cmp_ne_u16_e32 vcc_lo, 0, v2
	v_mov_b32_e32 v0, 0
	s_and_not1_b32 s14, s14, exec_lo
	s_and_b32 s16, vcc_lo, exec_lo
	s_delay_alu instid0(SALU_CYCLE_1)
	s_or_b32 s14, s14, s16
	s_or_b32 exec_lo, exec_lo, s15
	s_and_saveexec_b32 s15, s14
	s_cbranch_execnz .LBB51_58
	s_branch .LBB51_59
.LBB51_2202:                            ;   in Loop: Header=BB51_17 Depth=1
	s_mov_b32 s15, -1
	s_mov_b32 s17, exec_lo
	v_cmpx_eq_u16_e32 0x80, v2
; %bb.2203:                             ;   in Loop: Header=BB51_17 Depth=1
	s_xor_b32 s15, exec_lo, -1
; %bb.2204:                             ;   in Loop: Header=BB51_17 Depth=1
	s_or_b32 exec_lo, exec_lo, s17
	s_delay_alu instid0(SALU_CYCLE_1)
	s_and_b32 s15, s15, exec_lo
	s_or_saveexec_b32 s16, s16
	v_mov_b32_e32 v0, 0x7f800001
	s_xor_b32 exec_lo, exec_lo, s16
	s_cbranch_execz .LBB51_157
.LBB51_2205:                            ;   in Loop: Header=BB51_17 Depth=1
	v_cmp_ne_u16_e32 vcc_lo, 0, v2
	v_mov_b32_e32 v0, 0
	s_and_not1_b32 s15, s15, exec_lo
	s_and_b32 s17, vcc_lo, exec_lo
	s_delay_alu instid0(SALU_CYCLE_1)
	s_or_b32 s15, s15, s17
	s_or_b32 exec_lo, exec_lo, s16
	s_and_saveexec_b32 s16, s15
	s_cbranch_execnz .LBB51_158
	s_branch .LBB51_159
.LBB51_2206:                            ;   in Loop: Header=BB51_17 Depth=1
	s_mov_b32 s22, exec_lo
                                        ; implicit-def: $vgpr0
	v_cmpx_lt_i16_e32 25, v18
	s_xor_b32 s22, exec_lo, s22
	s_cbranch_execz .LBB51_2238
; %bb.2207:                             ;   in Loop: Header=BB51_17 Depth=1
	s_mov_b32 s24, exec_lo
                                        ; implicit-def: $vgpr0
	v_cmpx_lt_i16_e32 28, v18
	s_xor_b32 s24, exec_lo, s24
	s_cbranch_execz .LBB51_2223
; %bb.2208:                             ;   in Loop: Header=BB51_17 Depth=1
	s_mov_b32 s25, 0
	s_mov_b32 s23, exec_lo
                                        ; implicit-def: $vgpr0
	v_cmpx_lt_i16_e32 43, v18
	s_xor_b32 s23, exec_lo, s23
	s_cbranch_execz .LBB51_2218
; %bb.2209:                             ;   in Loop: Header=BB51_17 Depth=1
	s_mov_b32 s26, exec_lo
                                        ; implicit-def: $vgpr0
	v_cmpx_lt_i16_e32 45, v18
	s_xor_b32 s26, exec_lo, s26
	s_cbranch_execz .LBB51_2213
; %bb.2210:                             ;   in Loop: Header=BB51_17 Depth=1
	s_mov_b32 s27, exec_lo
                                        ; implicit-def: $vgpr0
	v_cmpx_eq_u16_e32 46, v18
	s_cbranch_execz .LBB51_2212
; %bb.2211:                             ;   in Loop: Header=BB51_17 Depth=1
	flat_load_b32 v0, v[2:3]
	s_mov_b32 s25, exec_lo
	s_wait_loadcnt_dscnt 0x0
	v_lshlrev_b32_e32 v0, 16, v0
.LBB51_2212:                            ;   in Loop: Header=BB51_17 Depth=1
	s_wait_xcnt 0x0
	s_or_b32 exec_lo, exec_lo, s27
	s_delay_alu instid0(SALU_CYCLE_1)
	s_and_b32 s25, s25, exec_lo
                                        ; implicit-def: $vgpr18
                                        ; implicit-def: $vgpr2_vgpr3
.LBB51_2213:                            ;   in Loop: Header=BB51_17 Depth=1
	s_and_not1_saveexec_b32 s26, s26
	s_cbranch_execz .LBB51_2217
; %bb.2214:                             ;   in Loop: Header=BB51_17 Depth=1
	s_mov_b32 s28, s25
	s_mov_b32 s27, exec_lo
                                        ; implicit-def: $vgpr0
	v_cmpx_eq_u16_e32 44, v18
	s_cbranch_execz .LBB51_2216
; %bb.2215:                             ;   in Loop: Header=BB51_17 Depth=1
	flat_load_u8 v0, v[2:3]
	s_or_b32 s28, s25, exec_lo
	s_wait_loadcnt_dscnt 0x0
	v_lshlrev_b32_e32 v2, 23, v0
	v_cmp_ne_u32_e32 vcc_lo, 0xff, v0
	s_delay_alu instid0(VALU_DEP_2) | instskip(SKIP_1) | instid1(VALU_DEP_2)
	v_cndmask_b32_e32 v2, 0x7f800001, v2, vcc_lo
	v_cmp_ne_u32_e32 vcc_lo, 0, v0
	v_cndmask_b32_e32 v0, 0x400000, v2, vcc_lo
.LBB51_2216:                            ;   in Loop: Header=BB51_17 Depth=1
	s_or_b32 exec_lo, exec_lo, s27
	s_delay_alu instid0(SALU_CYCLE_1) | instskip(SKIP_1) | instid1(SALU_CYCLE_1)
	s_and_not1_b32 s25, s25, exec_lo
	s_and_b32 s27, s28, exec_lo
	s_or_b32 s25, s25, s27
.LBB51_2217:                            ;   in Loop: Header=BB51_17 Depth=1
	s_or_b32 exec_lo, exec_lo, s26
	s_delay_alu instid0(SALU_CYCLE_1)
	s_and_b32 s25, s25, exec_lo
                                        ; implicit-def: $vgpr18
                                        ; implicit-def: $vgpr2_vgpr3
.LBB51_2218:                            ;   in Loop: Header=BB51_17 Depth=1
	s_and_not1_saveexec_b32 s23, s23
	s_cbranch_execz .LBB51_2222
; %bb.2219:                             ;   in Loop: Header=BB51_17 Depth=1
	s_mov_b32 s27, s25
	s_mov_b32 s26, exec_lo
                                        ; implicit-def: $vgpr0
	v_cmpx_eq_u16_e32 29, v18
	s_cbranch_execz .LBB51_2221
; %bb.2220:                             ;   in Loop: Header=BB51_17 Depth=1
	flat_load_b64 v[2:3], v[2:3]
	s_or_b32 s27, s25, exec_lo
	s_wait_loadcnt_dscnt 0x0
	v_clz_i32_u32_e32 v0, v3
	s_delay_alu instid0(VALU_DEP_1) | instskip(SKIP_1) | instid1(VALU_DEP_1)
	v_min_u32_e32 v0, 32, v0
	s_wait_xcnt 0x0
	v_lshlrev_b64_e32 v[2:3], v0, v[2:3]
	v_sub_nc_u32_e32 v0, 32, v0
	s_delay_alu instid0(VALU_DEP_2) | instskip(NEXT) | instid1(VALU_DEP_1)
	v_min_u32_e32 v2, 1, v2
	v_or_b32_e32 v2, v3, v2
	s_delay_alu instid0(VALU_DEP_1) | instskip(NEXT) | instid1(VALU_DEP_1)
	v_cvt_f32_u32_e32 v2, v2
	v_ldexp_f32 v0, v2, v0
.LBB51_2221:                            ;   in Loop: Header=BB51_17 Depth=1
	s_or_b32 exec_lo, exec_lo, s26
	s_delay_alu instid0(SALU_CYCLE_1) | instskip(SKIP_1) | instid1(SALU_CYCLE_1)
	s_and_not1_b32 s25, s25, exec_lo
	s_and_b32 s26, s27, exec_lo
	s_or_b32 s25, s25, s26
.LBB51_2222:                            ;   in Loop: Header=BB51_17 Depth=1
	s_or_b32 exec_lo, exec_lo, s23
	s_delay_alu instid0(SALU_CYCLE_1)
	s_and_b32 s23, s25, exec_lo
                                        ; implicit-def: $vgpr18
                                        ; implicit-def: $vgpr2_vgpr3
.LBB51_2223:                            ;   in Loop: Header=BB51_17 Depth=1
	s_and_not1_saveexec_b32 s24, s24
	s_cbranch_execz .LBB51_2237
; %bb.2224:                             ;   in Loop: Header=BB51_17 Depth=1
	s_mov_b32 s25, exec_lo
                                        ; implicit-def: $vgpr0
	v_cmpx_lt_i16_e32 26, v18
	s_xor_b32 s25, exec_lo, s25
	s_cbranch_execz .LBB51_2230
; %bb.2225:                             ;   in Loop: Header=BB51_17 Depth=1
	s_mov_b32 s26, exec_lo
                                        ; implicit-def: $vgpr0
	v_cmpx_lt_i16_e32 27, v18
	s_xor_b32 s26, exec_lo, s26
	s_cbranch_execz .LBB51_2227
; %bb.2226:                             ;   in Loop: Header=BB51_17 Depth=1
	flat_load_b32 v0, v[2:3]
                                        ; implicit-def: $vgpr2_vgpr3
	s_wait_loadcnt_dscnt 0x0
	v_cvt_f32_u32_e32 v0, v0
.LBB51_2227:                            ;   in Loop: Header=BB51_17 Depth=1
	s_wait_xcnt 0x0
	s_and_not1_saveexec_b32 s26, s26
	s_cbranch_execz .LBB51_2229
; %bb.2228:                             ;   in Loop: Header=BB51_17 Depth=1
	flat_load_u16 v0, v[2:3]
	s_wait_loadcnt_dscnt 0x0
	v_cvt_f32_u32_e32 v0, v0
.LBB51_2229:                            ;   in Loop: Header=BB51_17 Depth=1
	s_wait_xcnt 0x0
	s_or_b32 exec_lo, exec_lo, s26
                                        ; implicit-def: $vgpr2_vgpr3
.LBB51_2230:                            ;   in Loop: Header=BB51_17 Depth=1
	s_and_not1_saveexec_b32 s25, s25
	s_cbranch_execz .LBB51_2236
; %bb.2231:                             ;   in Loop: Header=BB51_17 Depth=1
	flat_load_u8 v2, v[2:3]
	s_mov_b32 s26, 0
	s_mov_b32 s27, exec_lo
	s_wait_loadcnt_dscnt 0x0
	v_cmpx_lt_i16_e32 0x7f, v2
	s_xor_b32 s27, exec_lo, s27
	s_cbranch_execnz .LBB51_2770
; %bb.2232:                             ;   in Loop: Header=BB51_17 Depth=1
	s_or_saveexec_b32 s27, s27
	v_mov_b32_e32 v0, 0x7f800001
	s_xor_b32 exec_lo, exec_lo, s27
	s_cbranch_execnz .LBB51_2773
.LBB51_2233:                            ;   in Loop: Header=BB51_17 Depth=1
	s_or_b32 exec_lo, exec_lo, s27
	s_and_saveexec_b32 s27, s26
	s_cbranch_execz .LBB51_2235
.LBB51_2234:                            ;   in Loop: Header=BB51_17 Depth=1
	v_and_b32_e32 v0, 0xffff, v2
	s_delay_alu instid0(VALU_DEP_1) | instskip(SKIP_1) | instid1(VALU_DEP_2)
	v_and_b32_e32 v3, 7, v0
	v_bfe_u32 v20, v0, 3, 4
	v_clz_i32_u32_e32 v18, v3
	s_delay_alu instid0(VALU_DEP_2) | instskip(NEXT) | instid1(VALU_DEP_2)
	v_cmp_eq_u32_e32 vcc_lo, 0, v20
	v_min_u32_e32 v18, 32, v18
	s_delay_alu instid0(VALU_DEP_1) | instskip(NEXT) | instid1(VALU_DEP_1)
	v_subrev_nc_u32_e32 v19, 28, v18
	v_dual_lshlrev_b32 v0, v19, v0 :: v_dual_sub_nc_u32 v18, 29, v18
	s_delay_alu instid0(VALU_DEP_1) | instskip(NEXT) | instid1(VALU_DEP_1)
	v_dual_lshlrev_b32 v2, 24, v2 :: v_dual_bitop2_b32 v0, 7, v0 bitop3:0x40
	v_dual_cndmask_b32 v0, v3, v0, vcc_lo :: v_dual_cndmask_b32 v18, v20, v18, vcc_lo
	s_delay_alu instid0(VALU_DEP_2) | instskip(NEXT) | instid1(VALU_DEP_2)
	v_and_b32_e32 v2, 0x80000000, v2
	v_lshlrev_b32_e32 v0, 20, v0
	s_delay_alu instid0(VALU_DEP_3) | instskip(NEXT) | instid1(VALU_DEP_1)
	v_lshl_add_u32 v3, v18, 23, 0x3b800000
	v_or3_b32 v0, v2, v3, v0
.LBB51_2235:                            ;   in Loop: Header=BB51_17 Depth=1
	s_or_b32 exec_lo, exec_lo, s27
.LBB51_2236:                            ;   in Loop: Header=BB51_17 Depth=1
	s_delay_alu instid0(SALU_CYCLE_1) | instskip(NEXT) | instid1(SALU_CYCLE_1)
	s_or_b32 exec_lo, exec_lo, s25
	s_or_b32 s23, s23, exec_lo
.LBB51_2237:                            ;   in Loop: Header=BB51_17 Depth=1
	s_or_b32 exec_lo, exec_lo, s24
	s_delay_alu instid0(SALU_CYCLE_1)
	s_and_b32 s23, s23, exec_lo
                                        ; implicit-def: $vgpr18
                                        ; implicit-def: $vgpr2_vgpr3
.LBB51_2238:                            ;   in Loop: Header=BB51_17 Depth=1
	s_and_not1_saveexec_b32 s22, s22
	s_cbranch_execz .LBB51_2264
; %bb.2239:                             ;   in Loop: Header=BB51_17 Depth=1
	s_mov_b32 s25, s23
	s_mov_b32 s24, exec_lo
                                        ; implicit-def: $vgpr0
	v_cmpx_lt_i16_e32 22, v18
	s_xor_b32 s24, exec_lo, s24
	s_cbranch_execz .LBB51_2253
; %bb.2240:                             ;   in Loop: Header=BB51_17 Depth=1
	s_mov_b32 s25, exec_lo
                                        ; implicit-def: $vgpr0
	v_cmpx_lt_i16_e32 23, v18
	s_xor_b32 s25, exec_lo, s25
	s_cbranch_execz .LBB51_2250
; %bb.2241:                             ;   in Loop: Header=BB51_17 Depth=1
	;; [unrolled: 6-line block ×3, first 2 shown]
	flat_load_u8 v2, v[2:3]
	s_mov_b32 s27, 0
	s_mov_b32 s28, exec_lo
	s_wait_loadcnt_dscnt 0x0
	v_cmpx_lt_i16_e32 0x7f, v2
	s_xor_b32 s28, exec_lo, s28
	s_cbranch_execnz .LBB51_2882
; %bb.2243:                             ;   in Loop: Header=BB51_17 Depth=1
	s_or_saveexec_b32 s28, s28
	v_mov_b32_e32 v0, 0x7f800001
	s_xor_b32 exec_lo, exec_lo, s28
	s_cbranch_execnz .LBB51_2885
.LBB51_2244:                            ;   in Loop: Header=BB51_17 Depth=1
	s_or_b32 exec_lo, exec_lo, s28
	s_and_saveexec_b32 s28, s27
	s_cbranch_execz .LBB51_2246
.LBB51_2245:                            ;   in Loop: Header=BB51_17 Depth=1
	v_and_b32_e32 v0, 0xffff, v2
	s_delay_alu instid0(VALU_DEP_1) | instskip(SKIP_1) | instid1(VALU_DEP_2)
	v_and_b32_e32 v3, 3, v0
	v_bfe_u32 v20, v0, 2, 5
	v_clz_i32_u32_e32 v18, v3
	s_delay_alu instid0(VALU_DEP_2) | instskip(NEXT) | instid1(VALU_DEP_2)
	v_cmp_eq_u32_e32 vcc_lo, 0, v20
	v_min_u32_e32 v18, 32, v18
	s_delay_alu instid0(VALU_DEP_1) | instskip(NEXT) | instid1(VALU_DEP_1)
	v_subrev_nc_u32_e32 v19, 29, v18
	v_dual_lshlrev_b32 v0, v19, v0 :: v_dual_sub_nc_u32 v18, 30, v18
	s_delay_alu instid0(VALU_DEP_1) | instskip(NEXT) | instid1(VALU_DEP_1)
	v_dual_lshlrev_b32 v2, 24, v2 :: v_dual_bitop2_b32 v0, 3, v0 bitop3:0x40
	v_dual_cndmask_b32 v0, v3, v0, vcc_lo :: v_dual_cndmask_b32 v18, v20, v18, vcc_lo
	s_delay_alu instid0(VALU_DEP_2) | instskip(NEXT) | instid1(VALU_DEP_2)
	v_and_b32_e32 v2, 0x80000000, v2
	v_lshlrev_b32_e32 v0, 21, v0
	s_delay_alu instid0(VALU_DEP_3) | instskip(NEXT) | instid1(VALU_DEP_1)
	v_lshl_add_u32 v3, v18, 23, 0x37800000
	v_or3_b32 v0, v2, v3, v0
.LBB51_2246:                            ;   in Loop: Header=BB51_17 Depth=1
	s_or_b32 exec_lo, exec_lo, s28
                                        ; implicit-def: $vgpr2_vgpr3
.LBB51_2247:                            ;   in Loop: Header=BB51_17 Depth=1
	s_and_not1_saveexec_b32 s26, s26
	s_cbranch_execz .LBB51_2249
; %bb.2248:                             ;   in Loop: Header=BB51_17 Depth=1
	flat_load_u8 v0, v[2:3]
	s_wait_loadcnt_dscnt 0x0
	v_lshlrev_b32_e32 v0, 24, v0
	s_wait_xcnt 0x0
	s_delay_alu instid0(VALU_DEP_1) | instskip(NEXT) | instid1(VALU_DEP_1)
	v_and_b32_e32 v2, 0x7f000000, v0
	v_clz_i32_u32_e32 v3, v2
	v_cmp_ne_u32_e32 vcc_lo, 0, v2
	v_add_nc_u32_e32 v19, 0x1000000, v2
	s_delay_alu instid0(VALU_DEP_3) | instskip(NEXT) | instid1(VALU_DEP_1)
	v_min_u32_e32 v3, 32, v3
	v_sub_nc_u32_e64 v3, v3, 4 clamp
	s_delay_alu instid0(VALU_DEP_1) | instskip(NEXT) | instid1(VALU_DEP_1)
	v_dual_lshlrev_b32 v18, v3, v2 :: v_dual_lshlrev_b32 v3, 23, v3
	v_lshrrev_b32_e32 v18, 4, v18
	s_delay_alu instid0(VALU_DEP_1) | instskip(SKIP_1) | instid1(VALU_DEP_2)
	v_sub_nc_u32_e32 v3, v18, v3
	v_ashrrev_i32_e32 v18, 8, v19
	v_add_nc_u32_e32 v3, 0x3c000000, v3
	s_delay_alu instid0(VALU_DEP_1) | instskip(NEXT) | instid1(VALU_DEP_1)
	v_and_or_b32 v3, 0x7f800000, v18, v3
	v_cndmask_b32_e32 v2, 0, v3, vcc_lo
	s_delay_alu instid0(VALU_DEP_1)
	v_and_or_b32 v0, 0x80000000, v0, v2
.LBB51_2249:                            ;   in Loop: Header=BB51_17 Depth=1
	s_or_b32 exec_lo, exec_lo, s26
                                        ; implicit-def: $vgpr2_vgpr3
.LBB51_2250:                            ;   in Loop: Header=BB51_17 Depth=1
	s_and_not1_saveexec_b32 s25, s25
	s_cbranch_execz .LBB51_2252
; %bb.2251:                             ;   in Loop: Header=BB51_17 Depth=1
	flat_load_u8 v0, v[2:3]
	s_wait_loadcnt_dscnt 0x0
	v_lshlrev_b32_e32 v2, 25, v0
	v_lshlrev_b16 v0, 8, v0
	s_delay_alu instid0(VALU_DEP_1) | instskip(SKIP_1) | instid1(VALU_DEP_2)
	v_and_or_b32 v18, 0x7f00, v0, 0.5
	v_bfe_i32 v0, v0, 0, 16
	v_add_f32_e32 v18, -0.5, v18
	v_lshrrev_b32_e32 v3, 4, v2
	v_cmp_gt_u32_e32 vcc_lo, 0x8000000, v2
	s_delay_alu instid0(VALU_DEP_2) | instskip(NEXT) | instid1(VALU_DEP_1)
	v_or_b32_e32 v3, 0x70000000, v3
	v_mul_f32_e32 v3, 0x7800000, v3
	s_delay_alu instid0(VALU_DEP_1) | instskip(NEXT) | instid1(VALU_DEP_1)
	v_cndmask_b32_e32 v2, v3, v18, vcc_lo
	v_and_or_b32 v0, 0x80000000, v0, v2
.LBB51_2252:                            ;   in Loop: Header=BB51_17 Depth=1
	s_or_b32 exec_lo, exec_lo, s25
	s_delay_alu instid0(SALU_CYCLE_1)
	s_or_b32 s25, s23, exec_lo
                                        ; implicit-def: $vgpr18
                                        ; implicit-def: $vgpr2_vgpr3
.LBB51_2253:                            ;   in Loop: Header=BB51_17 Depth=1
	s_and_not1_saveexec_b32 s24, s24
	s_cbranch_execz .LBB51_2263
; %bb.2254:                             ;   in Loop: Header=BB51_17 Depth=1
	s_mov_b32 s26, s25
	s_mov_b32 s27, exec_lo
                                        ; implicit-def: $vgpr0
	v_cmpx_lt_i16_e32 14, v18
	s_xor_b32 s27, exec_lo, s27
	s_cbranch_execz .LBB51_2258
; %bb.2255:                             ;   in Loop: Header=BB51_17 Depth=1
	s_mov_b32 s26, s25
	s_mov_b32 s28, exec_lo
                                        ; implicit-def: $vgpr0
	v_cmpx_eq_u16_e32 15, v18
	s_cbranch_execz .LBB51_2257
; %bb.2256:                             ;   in Loop: Header=BB51_17 Depth=1
	flat_load_u16 v0, v[2:3]
	s_or_b32 s26, s25, exec_lo
	s_wait_loadcnt_dscnt 0x0
	v_lshlrev_b32_e32 v0, 16, v0
.LBB51_2257:                            ;   in Loop: Header=BB51_17 Depth=1
	s_wait_xcnt 0x0
	s_or_b32 exec_lo, exec_lo, s28
	s_delay_alu instid0(SALU_CYCLE_1) | instskip(SKIP_1) | instid1(SALU_CYCLE_1)
	s_and_not1_b32 s28, s25, exec_lo
	s_and_b32 s26, s26, exec_lo
                                        ; implicit-def: $vgpr18
                                        ; implicit-def: $vgpr2_vgpr3
	s_or_b32 s26, s28, s26
.LBB51_2258:                            ;   in Loop: Header=BB51_17 Depth=1
	s_and_not1_saveexec_b32 s27, s27
	s_cbranch_execz .LBB51_2262
; %bb.2259:                             ;   in Loop: Header=BB51_17 Depth=1
	s_mov_b32 s28, s26
	s_mov_b32 s29, exec_lo
                                        ; implicit-def: $vgpr0
	v_cmpx_eq_u16_e32 11, v18
	s_cbranch_execz .LBB51_2261
; %bb.2260:                             ;   in Loop: Header=BB51_17 Depth=1
	flat_load_u8 v0, v[2:3]
	s_or_b32 s28, s26, exec_lo
	s_wait_loadcnt_dscnt 0x0
	v_cmp_ne_u16_e32 vcc_lo, 0, v0
	v_cndmask_b32_e64 v0, 0, 1.0, vcc_lo
.LBB51_2261:                            ;   in Loop: Header=BB51_17 Depth=1
	s_wait_xcnt 0x0
	s_or_b32 exec_lo, exec_lo, s29
	s_delay_alu instid0(SALU_CYCLE_1) | instskip(SKIP_1) | instid1(SALU_CYCLE_1)
	s_and_not1_b32 s26, s26, exec_lo
	s_and_b32 s28, s28, exec_lo
	s_or_b32 s26, s26, s28
.LBB51_2262:                            ;   in Loop: Header=BB51_17 Depth=1
	s_or_b32 exec_lo, exec_lo, s27
	s_delay_alu instid0(SALU_CYCLE_1) | instskip(SKIP_1) | instid1(SALU_CYCLE_1)
	s_and_not1_b32 s25, s25, exec_lo
	s_and_b32 s26, s26, exec_lo
	s_or_b32 s25, s25, s26
.LBB51_2263:                            ;   in Loop: Header=BB51_17 Depth=1
	s_or_b32 exec_lo, exec_lo, s24
	s_delay_alu instid0(SALU_CYCLE_1) | instskip(SKIP_1) | instid1(SALU_CYCLE_1)
	s_and_not1_b32 s23, s23, exec_lo
	s_and_b32 s24, s25, exec_lo
	s_or_b32 s23, s23, s24
.LBB51_2264:                            ;   in Loop: Header=BB51_17 Depth=1
	s_or_b32 exec_lo, exec_lo, s22
	s_delay_alu instid0(SALU_CYCLE_1)
	s_and_b32 s22, s23, exec_lo
                                        ; implicit-def: $vgpr18
                                        ; implicit-def: $vgpr2_vgpr3
	s_and_not1_saveexec_b32 s18, s18
	s_cbranch_execz .LBB51_567
.LBB51_2265:                            ;   in Loop: Header=BB51_17 Depth=1
	s_mov_b32 s23, exec_lo
                                        ; implicit-def: $vgpr0
	v_cmpx_lt_i16_e32 4, v18
	s_xor_b32 s23, exec_lo, s23
	s_cbranch_execz .LBB51_2287
; %bb.2266:                             ;   in Loop: Header=BB51_17 Depth=1
	s_mov_b32 s24, exec_lo
                                        ; implicit-def: $vgpr0
	v_cmpx_lt_i16_e32 7, v18
	s_xor_b32 s24, exec_lo, s24
	s_cbranch_execz .LBB51_2276
; %bb.2267:                             ;   in Loop: Header=BB51_17 Depth=1
	;; [unrolled: 6-line block ×4, first 2 shown]
	flat_load_b64 v[2:3], v[2:3]
	s_wait_loadcnt_dscnt 0x0
	v_cvt_f32_f64_e32 v0, v[2:3]
                                        ; implicit-def: $vgpr2_vgpr3
.LBB51_2270:                            ;   in Loop: Header=BB51_17 Depth=1
	s_wait_xcnt 0x0
	s_and_not1_saveexec_b32 s26, s26
	s_cbranch_execz .LBB51_2272
; %bb.2271:                             ;   in Loop: Header=BB51_17 Depth=1
	flat_load_b32 v0, v[2:3]
.LBB51_2272:                            ;   in Loop: Header=BB51_17 Depth=1
	s_wait_xcnt 0x0
	s_or_b32 exec_lo, exec_lo, s26
                                        ; implicit-def: $vgpr2_vgpr3
.LBB51_2273:                            ;   in Loop: Header=BB51_17 Depth=1
	s_and_not1_saveexec_b32 s25, s25
	s_cbranch_execz .LBB51_2275
; %bb.2274:                             ;   in Loop: Header=BB51_17 Depth=1
	s_wait_loadcnt_dscnt 0x0
	flat_load_b32 v0, v[2:3]
	s_wait_loadcnt_dscnt 0x0
	v_cvt_f32_f16_e32 v0, v0
.LBB51_2275:                            ;   in Loop: Header=BB51_17 Depth=1
	s_wait_xcnt 0x0
	s_or_b32 exec_lo, exec_lo, s25
                                        ; implicit-def: $vgpr2_vgpr3
                                        ; implicit-def: $vgpr18
.LBB51_2276:                            ;   in Loop: Header=BB51_17 Depth=1
	s_and_not1_saveexec_b32 s24, s24
	s_cbranch_execz .LBB51_2286
; %bb.2277:                             ;   in Loop: Header=BB51_17 Depth=1
	s_mov_b32 s25, exec_lo
                                        ; implicit-def: $vgpr0
	v_cmpx_lt_i16_e32 5, v18
	s_xor_b32 s25, exec_lo, s25
	s_cbranch_execz .LBB51_2283
; %bb.2278:                             ;   in Loop: Header=BB51_17 Depth=1
	s_mov_b32 s26, exec_lo
                                        ; implicit-def: $vgpr0
	v_cmpx_lt_i16_e32 6, v18
	s_xor_b32 s26, exec_lo, s26
	s_cbranch_execz .LBB51_2280
; %bb.2279:                             ;   in Loop: Header=BB51_17 Depth=1
	flat_load_b64 v[2:3], v[2:3]
	s_wait_loadcnt_dscnt 0x0
	v_cvt_f32_f64_e32 v0, v[2:3]
                                        ; implicit-def: $vgpr2_vgpr3
.LBB51_2280:                            ;   in Loop: Header=BB51_17 Depth=1
	s_wait_xcnt 0x0
	s_and_not1_saveexec_b32 s26, s26
	s_cbranch_execz .LBB51_2282
; %bb.2281:                             ;   in Loop: Header=BB51_17 Depth=1
	s_wait_loadcnt_dscnt 0x0
	flat_load_b32 v0, v[2:3]
.LBB51_2282:                            ;   in Loop: Header=BB51_17 Depth=1
	s_wait_xcnt 0x0
	s_or_b32 exec_lo, exec_lo, s26
                                        ; implicit-def: $vgpr2_vgpr3
.LBB51_2283:                            ;   in Loop: Header=BB51_17 Depth=1
	s_and_not1_saveexec_b32 s25, s25
	s_cbranch_execz .LBB51_2285
; %bb.2284:                             ;   in Loop: Header=BB51_17 Depth=1
	s_wait_loadcnt_dscnt 0x0
	flat_load_u16 v0, v[2:3]
	s_wait_loadcnt_dscnt 0x0
	v_cvt_f32_f16_e32 v0, v0
.LBB51_2285:                            ;   in Loop: Header=BB51_17 Depth=1
	s_wait_xcnt 0x0
	s_or_b32 exec_lo, exec_lo, s25
.LBB51_2286:                            ;   in Loop: Header=BB51_17 Depth=1
	s_delay_alu instid0(SALU_CYCLE_1)
	s_or_b32 exec_lo, exec_lo, s24
                                        ; implicit-def: $vgpr18
                                        ; implicit-def: $vgpr2_vgpr3
.LBB51_2287:                            ;   in Loop: Header=BB51_17 Depth=1
	s_and_not1_saveexec_b32 s23, s23
	s_cbranch_execz .LBB51_2305
; %bb.2288:                             ;   in Loop: Header=BB51_17 Depth=1
	s_mov_b32 s24, exec_lo
                                        ; implicit-def: $vgpr0
	v_cmpx_lt_i16_e32 1, v18
	s_xor_b32 s24, exec_lo, s24
	s_cbranch_execz .LBB51_2298
; %bb.2289:                             ;   in Loop: Header=BB51_17 Depth=1
	s_mov_b32 s25, exec_lo
                                        ; implicit-def: $vgpr0
	v_cmpx_lt_i16_e32 2, v18
	s_xor_b32 s25, exec_lo, s25
	;; [unrolled: 6-line block ×3, first 2 shown]
	s_cbranch_execz .LBB51_2292
; %bb.2291:                             ;   in Loop: Header=BB51_17 Depth=1
	flat_load_b64 v[2:3], v[2:3]
	s_wait_loadcnt_dscnt 0x0
	v_xor_b32_e32 v0, v2, v3
	v_cls_i32_e32 v18, v3
	s_delay_alu instid0(VALU_DEP_2) | instskip(NEXT) | instid1(VALU_DEP_1)
	v_ashrrev_i32_e32 v0, 31, v0
	v_add_nc_u32_e32 v0, 32, v0
	s_delay_alu instid0(VALU_DEP_1) | instskip(SKIP_1) | instid1(VALU_DEP_1)
	v_add_min_u32_e64 v0, v18, -1, v0
	s_wait_xcnt 0x0
	v_lshlrev_b64_e32 v[2:3], v0, v[2:3]
	v_sub_nc_u32_e32 v0, 32, v0
	s_delay_alu instid0(VALU_DEP_2) | instskip(NEXT) | instid1(VALU_DEP_1)
	v_min_u32_e32 v2, 1, v2
	v_or_b32_e32 v2, v3, v2
	s_delay_alu instid0(VALU_DEP_1) | instskip(NEXT) | instid1(VALU_DEP_1)
	v_cvt_f32_i32_e32 v2, v2
	v_ldexp_f32 v0, v2, v0
                                        ; implicit-def: $vgpr2_vgpr3
.LBB51_2292:                            ;   in Loop: Header=BB51_17 Depth=1
	s_and_not1_saveexec_b32 s26, s26
	s_cbranch_execz .LBB51_2294
; %bb.2293:                             ;   in Loop: Header=BB51_17 Depth=1
	s_wait_loadcnt_dscnt 0x0
	flat_load_b32 v0, v[2:3]
	s_wait_loadcnt_dscnt 0x0
	v_cvt_f32_i32_e32 v0, v0
.LBB51_2294:                            ;   in Loop: Header=BB51_17 Depth=1
	s_wait_xcnt 0x0
	s_or_b32 exec_lo, exec_lo, s26
                                        ; implicit-def: $vgpr2_vgpr3
.LBB51_2295:                            ;   in Loop: Header=BB51_17 Depth=1
	s_and_not1_saveexec_b32 s25, s25
	s_cbranch_execz .LBB51_2297
; %bb.2296:                             ;   in Loop: Header=BB51_17 Depth=1
	s_wait_loadcnt_dscnt 0x0
	flat_load_i16 v0, v[2:3]
	s_wait_loadcnt_dscnt 0x0
	v_cvt_f32_i32_e32 v0, v0
.LBB51_2297:                            ;   in Loop: Header=BB51_17 Depth=1
	s_wait_xcnt 0x0
	s_or_b32 exec_lo, exec_lo, s25
                                        ; implicit-def: $vgpr2_vgpr3
                                        ; implicit-def: $vgpr18
.LBB51_2298:                            ;   in Loop: Header=BB51_17 Depth=1
	s_and_not1_saveexec_b32 s24, s24
	s_cbranch_execz .LBB51_2304
; %bb.2299:                             ;   in Loop: Header=BB51_17 Depth=1
	s_mov_b32 s25, exec_lo
                                        ; implicit-def: $vgpr0
	v_cmpx_lt_i16_e32 0, v18
	s_xor_b32 s25, exec_lo, s25
	s_cbranch_execz .LBB51_2301
; %bb.2300:                             ;   in Loop: Header=BB51_17 Depth=1
	s_wait_loadcnt_dscnt 0x0
	flat_load_i8 v0, v[2:3]
                                        ; implicit-def: $vgpr2_vgpr3
	s_wait_loadcnt_dscnt 0x0
	v_cvt_f32_i32_e32 v0, v0
.LBB51_2301:                            ;   in Loop: Header=BB51_17 Depth=1
	s_wait_xcnt 0x0
	s_and_not1_saveexec_b32 s25, s25
	s_cbranch_execz .LBB51_2303
; %bb.2302:                             ;   in Loop: Header=BB51_17 Depth=1
	s_wait_loadcnt_dscnt 0x0
	flat_load_u8 v0, v[2:3]
	s_wait_loadcnt_dscnt 0x0
	v_cvt_f32_ubyte0_e32 v0, v0
.LBB51_2303:                            ;   in Loop: Header=BB51_17 Depth=1
	s_wait_xcnt 0x0
	s_or_b32 exec_lo, exec_lo, s25
.LBB51_2304:                            ;   in Loop: Header=BB51_17 Depth=1
	s_delay_alu instid0(SALU_CYCLE_1)
	s_or_b32 exec_lo, exec_lo, s24
.LBB51_2305:                            ;   in Loop: Header=BB51_17 Depth=1
	s_delay_alu instid0(SALU_CYCLE_1) | instskip(NEXT) | instid1(SALU_CYCLE_1)
	s_or_b32 exec_lo, exec_lo, s23
	s_or_b32 s22, s22, exec_lo
	s_or_b32 exec_lo, exec_lo, s18
	s_mov_b32 s23, 0
	s_and_saveexec_b32 s18, s22
	s_cbranch_execnz .LBB51_568
	s_branch .LBB51_569
.LBB51_2306:                            ;   in Loop: Header=BB51_17 Depth=1
	s_mov_b32 s15, -1
	s_mov_b32 s17, exec_lo
	v_cmpx_eq_u16_e32 0x80, v2
; %bb.2307:                             ;   in Loop: Header=BB51_17 Depth=1
	s_xor_b32 s15, exec_lo, -1
; %bb.2308:                             ;   in Loop: Header=BB51_17 Depth=1
	s_or_b32 exec_lo, exec_lo, s17
	s_delay_alu instid0(SALU_CYCLE_1)
	s_and_b32 s15, s15, exec_lo
	s_or_saveexec_b32 s16, s16
	v_mov_b32_e32 v0, 0x7f800001
	s_xor_b32 exec_lo, exec_lo, s16
	s_cbranch_execz .LBB51_1821
.LBB51_2309:                            ;   in Loop: Header=BB51_17 Depth=1
	v_cmp_ne_u16_e32 vcc_lo, 0, v2
	v_mov_b32_e32 v0, 0
	s_and_not1_b32 s15, s15, exec_lo
	s_and_b32 s17, vcc_lo, exec_lo
	s_delay_alu instid0(SALU_CYCLE_1)
	s_or_b32 s15, s15, s17
	s_or_b32 exec_lo, exec_lo, s16
	s_and_saveexec_b32 s16, s15
	s_cbranch_execnz .LBB51_1822
	s_branch .LBB51_1823
.LBB51_2310:                            ;   in Loop: Header=BB51_17 Depth=1
	s_mov_b32 s16, -1
	s_mov_b32 s18, exec_lo
	v_cmpx_eq_u16_e32 0x80, v2
; %bb.2311:                             ;   in Loop: Header=BB51_17 Depth=1
	s_xor_b32 s16, exec_lo, -1
; %bb.2312:                             ;   in Loop: Header=BB51_17 Depth=1
	s_or_b32 exec_lo, exec_lo, s18
	s_delay_alu instid0(SALU_CYCLE_1)
	s_and_b32 s16, s16, exec_lo
	s_or_saveexec_b32 s17, s17
	v_mov_b32_e32 v0, 0x7f800001
	s_xor_b32 exec_lo, exec_lo, s17
	s_cbranch_execz .LBB51_168
.LBB51_2313:                            ;   in Loop: Header=BB51_17 Depth=1
	v_cmp_ne_u16_e32 vcc_lo, 0, v2
	v_mov_b32_e32 v0, 0
	s_and_not1_b32 s16, s16, exec_lo
	s_and_b32 s18, vcc_lo, exec_lo
	s_delay_alu instid0(SALU_CYCLE_1)
	s_or_b32 s16, s16, s18
	s_or_b32 exec_lo, exec_lo, s17
	s_and_saveexec_b32 s17, s16
	s_cbranch_execnz .LBB51_169
	s_branch .LBB51_170
.LBB51_2314:                            ;   in Loop: Header=BB51_17 Depth=1
	s_mov_b32 s18, -1
	s_mov_b32 s20, exec_lo
	v_cmpx_eq_u16_e32 0x80, v2
; %bb.2315:                             ;   in Loop: Header=BB51_17 Depth=1
	s_xor_b32 s18, exec_lo, -1
; %bb.2316:                             ;   in Loop: Header=BB51_17 Depth=1
	s_or_b32 exec_lo, exec_lo, s20
	s_delay_alu instid0(SALU_CYCLE_1)
	s_and_b32 s18, s18, exec_lo
	s_or_saveexec_b32 s19, s19
	v_mov_b32_e32 v0, 0x7f800001
	s_xor_b32 exec_lo, exec_lo, s19
	s_cbranch_execz .LBB51_268
.LBB51_2317:                            ;   in Loop: Header=BB51_17 Depth=1
	v_cmp_ne_u16_e32 vcc_lo, 0, v2
	v_mov_b32_e32 v0, 0
	s_and_not1_b32 s18, s18, exec_lo
	s_and_b32 s20, vcc_lo, exec_lo
	s_delay_alu instid0(SALU_CYCLE_1)
	s_or_b32 s18, s18, s20
	s_or_b32 exec_lo, exec_lo, s19
	s_and_saveexec_b32 s19, s18
	s_cbranch_execnz .LBB51_269
	s_branch .LBB51_270
.LBB51_2318:                            ;   in Loop: Header=BB51_17 Depth=1
	s_mov_b32 s25, exec_lo
                                        ; implicit-def: $vgpr0
	v_cmpx_lt_i16_e32 25, v18
	s_xor_b32 s25, exec_lo, s25
	s_cbranch_execz .LBB51_2350
; %bb.2319:                             ;   in Loop: Header=BB51_17 Depth=1
	s_mov_b32 s27, exec_lo
                                        ; implicit-def: $vgpr0
	v_cmpx_lt_i16_e32 28, v18
	s_xor_b32 s27, exec_lo, s27
	s_cbranch_execz .LBB51_2335
; %bb.2320:                             ;   in Loop: Header=BB51_17 Depth=1
	s_mov_b32 s28, 0
	s_mov_b32 s26, exec_lo
                                        ; implicit-def: $vgpr0
	v_cmpx_lt_i16_e32 43, v18
	s_xor_b32 s26, exec_lo, s26
	s_cbranch_execz .LBB51_2330
; %bb.2321:                             ;   in Loop: Header=BB51_17 Depth=1
	s_mov_b32 s29, exec_lo
                                        ; implicit-def: $vgpr0
	v_cmpx_lt_i16_e32 45, v18
	s_xor_b32 s29, exec_lo, s29
	s_cbranch_execz .LBB51_2325
; %bb.2322:                             ;   in Loop: Header=BB51_17 Depth=1
	s_mov_b32 s40, exec_lo
                                        ; implicit-def: $vgpr0
	v_cmpx_eq_u16_e32 46, v18
	s_cbranch_execz .LBB51_2324
; %bb.2323:                             ;   in Loop: Header=BB51_17 Depth=1
	flat_load_b32 v0, v[2:3]
	s_mov_b32 s28, exec_lo
	s_wait_loadcnt_dscnt 0x0
	v_lshlrev_b32_e32 v0, 16, v0
.LBB51_2324:                            ;   in Loop: Header=BB51_17 Depth=1
	s_wait_xcnt 0x0
	s_or_b32 exec_lo, exec_lo, s40
	s_delay_alu instid0(SALU_CYCLE_1)
	s_and_b32 s28, s28, exec_lo
                                        ; implicit-def: $vgpr18
                                        ; implicit-def: $vgpr2_vgpr3
.LBB51_2325:                            ;   in Loop: Header=BB51_17 Depth=1
	s_and_not1_saveexec_b32 s29, s29
	s_cbranch_execz .LBB51_2329
; %bb.2326:                             ;   in Loop: Header=BB51_17 Depth=1
	s_mov_b32 s41, s28
	s_mov_b32 s40, exec_lo
                                        ; implicit-def: $vgpr0
	v_cmpx_eq_u16_e32 44, v18
	s_cbranch_execz .LBB51_2328
; %bb.2327:                             ;   in Loop: Header=BB51_17 Depth=1
	flat_load_u8 v0, v[2:3]
	s_or_b32 s41, s28, exec_lo
	s_wait_loadcnt_dscnt 0x0
	v_lshlrev_b32_e32 v2, 23, v0
	v_cmp_ne_u32_e32 vcc_lo, 0xff, v0
	s_delay_alu instid0(VALU_DEP_2) | instskip(SKIP_1) | instid1(VALU_DEP_2)
	v_cndmask_b32_e32 v2, 0x7f800001, v2, vcc_lo
	v_cmp_ne_u32_e32 vcc_lo, 0, v0
	v_cndmask_b32_e32 v0, 0x400000, v2, vcc_lo
.LBB51_2328:                            ;   in Loop: Header=BB51_17 Depth=1
	s_or_b32 exec_lo, exec_lo, s40
	s_delay_alu instid0(SALU_CYCLE_1) | instskip(SKIP_1) | instid1(SALU_CYCLE_1)
	s_and_not1_b32 s28, s28, exec_lo
	s_and_b32 s40, s41, exec_lo
	s_or_b32 s28, s28, s40
.LBB51_2329:                            ;   in Loop: Header=BB51_17 Depth=1
	s_or_b32 exec_lo, exec_lo, s29
	s_delay_alu instid0(SALU_CYCLE_1)
	s_and_b32 s28, s28, exec_lo
                                        ; implicit-def: $vgpr18
                                        ; implicit-def: $vgpr2_vgpr3
.LBB51_2330:                            ;   in Loop: Header=BB51_17 Depth=1
	s_and_not1_saveexec_b32 s26, s26
	s_cbranch_execz .LBB51_2334
; %bb.2331:                             ;   in Loop: Header=BB51_17 Depth=1
	s_mov_b32 s40, s28
	s_mov_b32 s29, exec_lo
                                        ; implicit-def: $vgpr0
	v_cmpx_eq_u16_e32 29, v18
	s_cbranch_execz .LBB51_2333
; %bb.2332:                             ;   in Loop: Header=BB51_17 Depth=1
	flat_load_b64 v[2:3], v[2:3]
	s_or_b32 s40, s28, exec_lo
	s_wait_loadcnt_dscnt 0x0
	v_clz_i32_u32_e32 v0, v3
	s_delay_alu instid0(VALU_DEP_1) | instskip(SKIP_1) | instid1(VALU_DEP_1)
	v_min_u32_e32 v0, 32, v0
	s_wait_xcnt 0x0
	v_lshlrev_b64_e32 v[2:3], v0, v[2:3]
	v_sub_nc_u32_e32 v0, 32, v0
	s_delay_alu instid0(VALU_DEP_2) | instskip(NEXT) | instid1(VALU_DEP_1)
	v_min_u32_e32 v2, 1, v2
	v_or_b32_e32 v2, v3, v2
	s_delay_alu instid0(VALU_DEP_1) | instskip(NEXT) | instid1(VALU_DEP_1)
	v_cvt_f32_u32_e32 v2, v2
	v_ldexp_f32 v0, v2, v0
.LBB51_2333:                            ;   in Loop: Header=BB51_17 Depth=1
	s_or_b32 exec_lo, exec_lo, s29
	s_delay_alu instid0(SALU_CYCLE_1) | instskip(SKIP_1) | instid1(SALU_CYCLE_1)
	s_and_not1_b32 s28, s28, exec_lo
	s_and_b32 s29, s40, exec_lo
	s_or_b32 s28, s28, s29
.LBB51_2334:                            ;   in Loop: Header=BB51_17 Depth=1
	s_or_b32 exec_lo, exec_lo, s26
	s_delay_alu instid0(SALU_CYCLE_1)
	s_and_b32 s26, s28, exec_lo
                                        ; implicit-def: $vgpr18
                                        ; implicit-def: $vgpr2_vgpr3
.LBB51_2335:                            ;   in Loop: Header=BB51_17 Depth=1
	s_and_not1_saveexec_b32 s27, s27
	s_cbranch_execz .LBB51_2349
; %bb.2336:                             ;   in Loop: Header=BB51_17 Depth=1
	s_mov_b32 s28, exec_lo
                                        ; implicit-def: $vgpr0
	v_cmpx_lt_i16_e32 26, v18
	s_xor_b32 s28, exec_lo, s28
	s_cbranch_execz .LBB51_2342
; %bb.2337:                             ;   in Loop: Header=BB51_17 Depth=1
	s_mov_b32 s29, exec_lo
                                        ; implicit-def: $vgpr0
	v_cmpx_lt_i16_e32 27, v18
	s_xor_b32 s29, exec_lo, s29
	s_cbranch_execz .LBB51_2339
; %bb.2338:                             ;   in Loop: Header=BB51_17 Depth=1
	flat_load_b32 v0, v[2:3]
                                        ; implicit-def: $vgpr2_vgpr3
	s_wait_loadcnt_dscnt 0x0
	v_cvt_f32_u32_e32 v0, v0
.LBB51_2339:                            ;   in Loop: Header=BB51_17 Depth=1
	s_wait_xcnt 0x0
	s_and_not1_saveexec_b32 s29, s29
	s_cbranch_execz .LBB51_2341
; %bb.2340:                             ;   in Loop: Header=BB51_17 Depth=1
	flat_load_u16 v0, v[2:3]
	s_wait_loadcnt_dscnt 0x0
	v_cvt_f32_u32_e32 v0, v0
.LBB51_2341:                            ;   in Loop: Header=BB51_17 Depth=1
	s_wait_xcnt 0x0
	s_or_b32 exec_lo, exec_lo, s29
                                        ; implicit-def: $vgpr2_vgpr3
.LBB51_2342:                            ;   in Loop: Header=BB51_17 Depth=1
	s_and_not1_saveexec_b32 s28, s28
	s_cbranch_execz .LBB51_2348
; %bb.2343:                             ;   in Loop: Header=BB51_17 Depth=1
	flat_load_u8 v2, v[2:3]
	s_mov_b32 s29, 0
	s_mov_b32 s40, exec_lo
	s_wait_loadcnt_dscnt 0x0
	v_cmpx_lt_i16_e32 0x7f, v2
	s_xor_b32 s40, exec_lo, s40
	s_cbranch_execnz .LBB51_2886
; %bb.2344:                             ;   in Loop: Header=BB51_17 Depth=1
	s_or_saveexec_b32 s40, s40
	v_mov_b32_e32 v0, 0x7f800001
	s_xor_b32 exec_lo, exec_lo, s40
	s_cbranch_execnz .LBB51_2889
.LBB51_2345:                            ;   in Loop: Header=BB51_17 Depth=1
	s_or_b32 exec_lo, exec_lo, s40
	s_and_saveexec_b32 s40, s29
	s_cbranch_execz .LBB51_2347
.LBB51_2346:                            ;   in Loop: Header=BB51_17 Depth=1
	v_and_b32_e32 v0, 0xffff, v2
	s_delay_alu instid0(VALU_DEP_1) | instskip(SKIP_1) | instid1(VALU_DEP_2)
	v_and_b32_e32 v3, 7, v0
	v_bfe_u32 v20, v0, 3, 4
	v_clz_i32_u32_e32 v18, v3
	s_delay_alu instid0(VALU_DEP_2) | instskip(NEXT) | instid1(VALU_DEP_2)
	v_cmp_eq_u32_e32 vcc_lo, 0, v20
	v_min_u32_e32 v18, 32, v18
	s_delay_alu instid0(VALU_DEP_1) | instskip(NEXT) | instid1(VALU_DEP_1)
	v_subrev_nc_u32_e32 v19, 28, v18
	v_dual_lshlrev_b32 v0, v19, v0 :: v_dual_sub_nc_u32 v18, 29, v18
	s_delay_alu instid0(VALU_DEP_1) | instskip(NEXT) | instid1(VALU_DEP_1)
	v_dual_lshlrev_b32 v2, 24, v2 :: v_dual_bitop2_b32 v0, 7, v0 bitop3:0x40
	v_dual_cndmask_b32 v0, v3, v0, vcc_lo :: v_dual_cndmask_b32 v18, v20, v18, vcc_lo
	s_delay_alu instid0(VALU_DEP_2) | instskip(NEXT) | instid1(VALU_DEP_2)
	v_and_b32_e32 v2, 0x80000000, v2
	v_lshlrev_b32_e32 v0, 20, v0
	s_delay_alu instid0(VALU_DEP_3) | instskip(NEXT) | instid1(VALU_DEP_1)
	v_lshl_add_u32 v3, v18, 23, 0x3b800000
	v_or3_b32 v0, v2, v3, v0
.LBB51_2347:                            ;   in Loop: Header=BB51_17 Depth=1
	s_or_b32 exec_lo, exec_lo, s40
.LBB51_2348:                            ;   in Loop: Header=BB51_17 Depth=1
	s_delay_alu instid0(SALU_CYCLE_1) | instskip(NEXT) | instid1(SALU_CYCLE_1)
	s_or_b32 exec_lo, exec_lo, s28
	s_or_b32 s26, s26, exec_lo
.LBB51_2349:                            ;   in Loop: Header=BB51_17 Depth=1
	s_or_b32 exec_lo, exec_lo, s27
	s_delay_alu instid0(SALU_CYCLE_1)
	s_and_b32 s26, s26, exec_lo
                                        ; implicit-def: $vgpr18
                                        ; implicit-def: $vgpr2_vgpr3
.LBB51_2350:                            ;   in Loop: Header=BB51_17 Depth=1
	s_and_not1_saveexec_b32 s25, s25
	s_cbranch_execz .LBB51_2376
; %bb.2351:                             ;   in Loop: Header=BB51_17 Depth=1
	s_mov_b32 s28, s26
	s_mov_b32 s27, exec_lo
                                        ; implicit-def: $vgpr0
	v_cmpx_lt_i16_e32 22, v18
	s_xor_b32 s27, exec_lo, s27
	s_cbranch_execz .LBB51_2365
; %bb.2352:                             ;   in Loop: Header=BB51_17 Depth=1
	s_mov_b32 s28, exec_lo
                                        ; implicit-def: $vgpr0
	v_cmpx_lt_i16_e32 23, v18
	s_xor_b32 s28, exec_lo, s28
	s_cbranch_execz .LBB51_2362
; %bb.2353:                             ;   in Loop: Header=BB51_17 Depth=1
	;; [unrolled: 6-line block ×3, first 2 shown]
	flat_load_u8 v2, v[2:3]
	s_mov_b32 s40, 0
	s_mov_b32 s41, exec_lo
	s_wait_loadcnt_dscnt 0x0
	v_cmpx_lt_i16_e32 0x7f, v2
	s_xor_b32 s41, exec_lo, s41
	s_cbranch_execnz .LBB51_2998
; %bb.2355:                             ;   in Loop: Header=BB51_17 Depth=1
	s_or_saveexec_b32 s41, s41
	v_mov_b32_e32 v0, 0x7f800001
	s_xor_b32 exec_lo, exec_lo, s41
	s_cbranch_execnz .LBB51_3001
.LBB51_2356:                            ;   in Loop: Header=BB51_17 Depth=1
	s_or_b32 exec_lo, exec_lo, s41
	s_and_saveexec_b32 s41, s40
	s_cbranch_execz .LBB51_2358
.LBB51_2357:                            ;   in Loop: Header=BB51_17 Depth=1
	v_and_b32_e32 v0, 0xffff, v2
	s_delay_alu instid0(VALU_DEP_1) | instskip(SKIP_1) | instid1(VALU_DEP_2)
	v_and_b32_e32 v3, 3, v0
	v_bfe_u32 v20, v0, 2, 5
	v_clz_i32_u32_e32 v18, v3
	s_delay_alu instid0(VALU_DEP_2) | instskip(NEXT) | instid1(VALU_DEP_2)
	v_cmp_eq_u32_e32 vcc_lo, 0, v20
	v_min_u32_e32 v18, 32, v18
	s_delay_alu instid0(VALU_DEP_1) | instskip(NEXT) | instid1(VALU_DEP_1)
	v_subrev_nc_u32_e32 v19, 29, v18
	v_dual_lshlrev_b32 v0, v19, v0 :: v_dual_sub_nc_u32 v18, 30, v18
	s_delay_alu instid0(VALU_DEP_1) | instskip(NEXT) | instid1(VALU_DEP_1)
	v_dual_lshlrev_b32 v2, 24, v2 :: v_dual_bitop2_b32 v0, 3, v0 bitop3:0x40
	v_dual_cndmask_b32 v0, v3, v0, vcc_lo :: v_dual_cndmask_b32 v18, v20, v18, vcc_lo
	s_delay_alu instid0(VALU_DEP_2) | instskip(NEXT) | instid1(VALU_DEP_2)
	v_and_b32_e32 v2, 0x80000000, v2
	v_lshlrev_b32_e32 v0, 21, v0
	s_delay_alu instid0(VALU_DEP_3) | instskip(NEXT) | instid1(VALU_DEP_1)
	v_lshl_add_u32 v3, v18, 23, 0x37800000
	v_or3_b32 v0, v2, v3, v0
.LBB51_2358:                            ;   in Loop: Header=BB51_17 Depth=1
	s_or_b32 exec_lo, exec_lo, s41
                                        ; implicit-def: $vgpr2_vgpr3
.LBB51_2359:                            ;   in Loop: Header=BB51_17 Depth=1
	s_and_not1_saveexec_b32 s29, s29
	s_cbranch_execz .LBB51_2361
; %bb.2360:                             ;   in Loop: Header=BB51_17 Depth=1
	flat_load_u8 v0, v[2:3]
	s_wait_loadcnt_dscnt 0x0
	v_lshlrev_b32_e32 v0, 24, v0
	s_wait_xcnt 0x0
	s_delay_alu instid0(VALU_DEP_1) | instskip(NEXT) | instid1(VALU_DEP_1)
	v_and_b32_e32 v2, 0x7f000000, v0
	v_clz_i32_u32_e32 v3, v2
	v_cmp_ne_u32_e32 vcc_lo, 0, v2
	v_add_nc_u32_e32 v19, 0x1000000, v2
	s_delay_alu instid0(VALU_DEP_3) | instskip(NEXT) | instid1(VALU_DEP_1)
	v_min_u32_e32 v3, 32, v3
	v_sub_nc_u32_e64 v3, v3, 4 clamp
	s_delay_alu instid0(VALU_DEP_1) | instskip(NEXT) | instid1(VALU_DEP_1)
	v_dual_lshlrev_b32 v18, v3, v2 :: v_dual_lshlrev_b32 v3, 23, v3
	v_lshrrev_b32_e32 v18, 4, v18
	s_delay_alu instid0(VALU_DEP_1) | instskip(SKIP_1) | instid1(VALU_DEP_2)
	v_sub_nc_u32_e32 v3, v18, v3
	v_ashrrev_i32_e32 v18, 8, v19
	v_add_nc_u32_e32 v3, 0x3c000000, v3
	s_delay_alu instid0(VALU_DEP_1) | instskip(NEXT) | instid1(VALU_DEP_1)
	v_and_or_b32 v3, 0x7f800000, v18, v3
	v_cndmask_b32_e32 v2, 0, v3, vcc_lo
	s_delay_alu instid0(VALU_DEP_1)
	v_and_or_b32 v0, 0x80000000, v0, v2
.LBB51_2361:                            ;   in Loop: Header=BB51_17 Depth=1
	s_or_b32 exec_lo, exec_lo, s29
                                        ; implicit-def: $vgpr2_vgpr3
.LBB51_2362:                            ;   in Loop: Header=BB51_17 Depth=1
	s_and_not1_saveexec_b32 s28, s28
	s_cbranch_execz .LBB51_2364
; %bb.2363:                             ;   in Loop: Header=BB51_17 Depth=1
	flat_load_u8 v0, v[2:3]
	s_wait_loadcnt_dscnt 0x0
	v_lshlrev_b32_e32 v2, 25, v0
	v_lshlrev_b16 v0, 8, v0
	s_delay_alu instid0(VALU_DEP_1) | instskip(SKIP_1) | instid1(VALU_DEP_2)
	v_and_or_b32 v18, 0x7f00, v0, 0.5
	v_bfe_i32 v0, v0, 0, 16
	v_add_f32_e32 v18, -0.5, v18
	v_lshrrev_b32_e32 v3, 4, v2
	v_cmp_gt_u32_e32 vcc_lo, 0x8000000, v2
	s_delay_alu instid0(VALU_DEP_2) | instskip(NEXT) | instid1(VALU_DEP_1)
	v_or_b32_e32 v3, 0x70000000, v3
	v_mul_f32_e32 v3, 0x7800000, v3
	s_delay_alu instid0(VALU_DEP_1) | instskip(NEXT) | instid1(VALU_DEP_1)
	v_cndmask_b32_e32 v2, v3, v18, vcc_lo
	v_and_or_b32 v0, 0x80000000, v0, v2
.LBB51_2364:                            ;   in Loop: Header=BB51_17 Depth=1
	s_or_b32 exec_lo, exec_lo, s28
	s_delay_alu instid0(SALU_CYCLE_1)
	s_or_b32 s28, s26, exec_lo
                                        ; implicit-def: $vgpr18
                                        ; implicit-def: $vgpr2_vgpr3
.LBB51_2365:                            ;   in Loop: Header=BB51_17 Depth=1
	s_and_not1_saveexec_b32 s27, s27
	s_cbranch_execz .LBB51_2375
; %bb.2366:                             ;   in Loop: Header=BB51_17 Depth=1
	s_mov_b32 s29, s28
	s_mov_b32 s40, exec_lo
                                        ; implicit-def: $vgpr0
	v_cmpx_lt_i16_e32 14, v18
	s_xor_b32 s40, exec_lo, s40
	s_cbranch_execz .LBB51_2370
; %bb.2367:                             ;   in Loop: Header=BB51_17 Depth=1
	s_mov_b32 s29, s28
	s_mov_b32 s41, exec_lo
                                        ; implicit-def: $vgpr0
	v_cmpx_eq_u16_e32 15, v18
	s_cbranch_execz .LBB51_2369
; %bb.2368:                             ;   in Loop: Header=BB51_17 Depth=1
	flat_load_u16 v0, v[2:3]
	s_or_b32 s29, s28, exec_lo
	s_wait_loadcnt_dscnt 0x0
	v_lshlrev_b32_e32 v0, 16, v0
.LBB51_2369:                            ;   in Loop: Header=BB51_17 Depth=1
	s_wait_xcnt 0x0
	s_or_b32 exec_lo, exec_lo, s41
	s_delay_alu instid0(SALU_CYCLE_1) | instskip(SKIP_1) | instid1(SALU_CYCLE_1)
	s_and_not1_b32 s41, s28, exec_lo
	s_and_b32 s29, s29, exec_lo
                                        ; implicit-def: $vgpr18
                                        ; implicit-def: $vgpr2_vgpr3
	s_or_b32 s29, s41, s29
.LBB51_2370:                            ;   in Loop: Header=BB51_17 Depth=1
	s_and_not1_saveexec_b32 s40, s40
	s_cbranch_execz .LBB51_2374
; %bb.2371:                             ;   in Loop: Header=BB51_17 Depth=1
	s_mov_b32 s41, s29
	s_mov_b32 s42, exec_lo
                                        ; implicit-def: $vgpr0
	v_cmpx_eq_u16_e32 11, v18
	s_cbranch_execz .LBB51_2373
; %bb.2372:                             ;   in Loop: Header=BB51_17 Depth=1
	flat_load_u8 v0, v[2:3]
	s_or_b32 s41, s29, exec_lo
	s_wait_loadcnt_dscnt 0x0
	v_cmp_ne_u16_e32 vcc_lo, 0, v0
	v_cndmask_b32_e64 v0, 0, 1.0, vcc_lo
.LBB51_2373:                            ;   in Loop: Header=BB51_17 Depth=1
	s_wait_xcnt 0x0
	s_or_b32 exec_lo, exec_lo, s42
	s_delay_alu instid0(SALU_CYCLE_1) | instskip(SKIP_1) | instid1(SALU_CYCLE_1)
	s_and_not1_b32 s29, s29, exec_lo
	s_and_b32 s41, s41, exec_lo
	s_or_b32 s29, s29, s41
.LBB51_2374:                            ;   in Loop: Header=BB51_17 Depth=1
	s_or_b32 exec_lo, exec_lo, s40
	s_delay_alu instid0(SALU_CYCLE_1) | instskip(SKIP_1) | instid1(SALU_CYCLE_1)
	s_and_not1_b32 s28, s28, exec_lo
	s_and_b32 s29, s29, exec_lo
	s_or_b32 s28, s28, s29
.LBB51_2375:                            ;   in Loop: Header=BB51_17 Depth=1
	s_or_b32 exec_lo, exec_lo, s27
	s_delay_alu instid0(SALU_CYCLE_1) | instskip(SKIP_1) | instid1(SALU_CYCLE_1)
	s_and_not1_b32 s26, s26, exec_lo
	s_and_b32 s27, s28, exec_lo
	s_or_b32 s26, s26, s27
.LBB51_2376:                            ;   in Loop: Header=BB51_17 Depth=1
	s_or_b32 exec_lo, exec_lo, s25
	s_delay_alu instid0(SALU_CYCLE_1)
	s_and_b32 s25, s26, exec_lo
                                        ; implicit-def: $vgpr18
                                        ; implicit-def: $vgpr2_vgpr3
	s_and_not1_saveexec_b32 s21, s21
	s_cbranch_execz .LBB51_678
.LBB51_2377:                            ;   in Loop: Header=BB51_17 Depth=1
	s_mov_b32 s26, exec_lo
                                        ; implicit-def: $vgpr0
	v_cmpx_lt_i16_e32 4, v18
	s_xor_b32 s26, exec_lo, s26
	s_cbranch_execz .LBB51_2399
; %bb.2378:                             ;   in Loop: Header=BB51_17 Depth=1
	s_mov_b32 s27, exec_lo
                                        ; implicit-def: $vgpr0
	v_cmpx_lt_i16_e32 7, v18
	s_xor_b32 s27, exec_lo, s27
	s_cbranch_execz .LBB51_2388
; %bb.2379:                             ;   in Loop: Header=BB51_17 Depth=1
	;; [unrolled: 6-line block ×4, first 2 shown]
	flat_load_b64 v[2:3], v[2:3]
	s_wait_loadcnt_dscnt 0x0
	v_cvt_f32_f64_e32 v0, v[2:3]
                                        ; implicit-def: $vgpr2_vgpr3
.LBB51_2382:                            ;   in Loop: Header=BB51_17 Depth=1
	s_wait_xcnt 0x0
	s_and_not1_saveexec_b32 s29, s29
	s_cbranch_execz .LBB51_2384
; %bb.2383:                             ;   in Loop: Header=BB51_17 Depth=1
	flat_load_b32 v0, v[2:3]
.LBB51_2384:                            ;   in Loop: Header=BB51_17 Depth=1
	s_wait_xcnt 0x0
	s_or_b32 exec_lo, exec_lo, s29
                                        ; implicit-def: $vgpr2_vgpr3
.LBB51_2385:                            ;   in Loop: Header=BB51_17 Depth=1
	s_and_not1_saveexec_b32 s28, s28
	s_cbranch_execz .LBB51_2387
; %bb.2386:                             ;   in Loop: Header=BB51_17 Depth=1
	s_wait_loadcnt_dscnt 0x0
	flat_load_b32 v0, v[2:3]
	s_wait_loadcnt_dscnt 0x0
	v_cvt_f32_f16_e32 v0, v0
.LBB51_2387:                            ;   in Loop: Header=BB51_17 Depth=1
	s_wait_xcnt 0x0
	s_or_b32 exec_lo, exec_lo, s28
                                        ; implicit-def: $vgpr2_vgpr3
                                        ; implicit-def: $vgpr18
.LBB51_2388:                            ;   in Loop: Header=BB51_17 Depth=1
	s_and_not1_saveexec_b32 s27, s27
	s_cbranch_execz .LBB51_2398
; %bb.2389:                             ;   in Loop: Header=BB51_17 Depth=1
	s_mov_b32 s28, exec_lo
                                        ; implicit-def: $vgpr0
	v_cmpx_lt_i16_e32 5, v18
	s_xor_b32 s28, exec_lo, s28
	s_cbranch_execz .LBB51_2395
; %bb.2390:                             ;   in Loop: Header=BB51_17 Depth=1
	s_mov_b32 s29, exec_lo
                                        ; implicit-def: $vgpr0
	v_cmpx_lt_i16_e32 6, v18
	s_xor_b32 s29, exec_lo, s29
	s_cbranch_execz .LBB51_2392
; %bb.2391:                             ;   in Loop: Header=BB51_17 Depth=1
	flat_load_b64 v[2:3], v[2:3]
	s_wait_loadcnt_dscnt 0x0
	v_cvt_f32_f64_e32 v0, v[2:3]
                                        ; implicit-def: $vgpr2_vgpr3
.LBB51_2392:                            ;   in Loop: Header=BB51_17 Depth=1
	s_wait_xcnt 0x0
	s_and_not1_saveexec_b32 s29, s29
	s_cbranch_execz .LBB51_2394
; %bb.2393:                             ;   in Loop: Header=BB51_17 Depth=1
	s_wait_loadcnt_dscnt 0x0
	flat_load_b32 v0, v[2:3]
.LBB51_2394:                            ;   in Loop: Header=BB51_17 Depth=1
	s_wait_xcnt 0x0
	s_or_b32 exec_lo, exec_lo, s29
                                        ; implicit-def: $vgpr2_vgpr3
.LBB51_2395:                            ;   in Loop: Header=BB51_17 Depth=1
	s_and_not1_saveexec_b32 s28, s28
	s_cbranch_execz .LBB51_2397
; %bb.2396:                             ;   in Loop: Header=BB51_17 Depth=1
	s_wait_loadcnt_dscnt 0x0
	flat_load_u16 v0, v[2:3]
	s_wait_loadcnt_dscnt 0x0
	v_cvt_f32_f16_e32 v0, v0
.LBB51_2397:                            ;   in Loop: Header=BB51_17 Depth=1
	s_wait_xcnt 0x0
	s_or_b32 exec_lo, exec_lo, s28
.LBB51_2398:                            ;   in Loop: Header=BB51_17 Depth=1
	s_delay_alu instid0(SALU_CYCLE_1)
	s_or_b32 exec_lo, exec_lo, s27
                                        ; implicit-def: $vgpr18
                                        ; implicit-def: $vgpr2_vgpr3
.LBB51_2399:                            ;   in Loop: Header=BB51_17 Depth=1
	s_and_not1_saveexec_b32 s26, s26
	s_cbranch_execz .LBB51_2417
; %bb.2400:                             ;   in Loop: Header=BB51_17 Depth=1
	s_mov_b32 s27, exec_lo
                                        ; implicit-def: $vgpr0
	v_cmpx_lt_i16_e32 1, v18
	s_xor_b32 s27, exec_lo, s27
	s_cbranch_execz .LBB51_2410
; %bb.2401:                             ;   in Loop: Header=BB51_17 Depth=1
	s_mov_b32 s28, exec_lo
                                        ; implicit-def: $vgpr0
	v_cmpx_lt_i16_e32 2, v18
	s_xor_b32 s28, exec_lo, s28
	;; [unrolled: 6-line block ×3, first 2 shown]
	s_cbranch_execz .LBB51_2404
; %bb.2403:                             ;   in Loop: Header=BB51_17 Depth=1
	flat_load_b64 v[2:3], v[2:3]
	s_wait_loadcnt_dscnt 0x0
	v_xor_b32_e32 v0, v2, v3
	v_cls_i32_e32 v18, v3
	s_delay_alu instid0(VALU_DEP_2) | instskip(NEXT) | instid1(VALU_DEP_1)
	v_ashrrev_i32_e32 v0, 31, v0
	v_add_nc_u32_e32 v0, 32, v0
	s_delay_alu instid0(VALU_DEP_1) | instskip(SKIP_1) | instid1(VALU_DEP_1)
	v_add_min_u32_e64 v0, v18, -1, v0
	s_wait_xcnt 0x0
	v_lshlrev_b64_e32 v[2:3], v0, v[2:3]
	v_sub_nc_u32_e32 v0, 32, v0
	s_delay_alu instid0(VALU_DEP_2) | instskip(NEXT) | instid1(VALU_DEP_1)
	v_min_u32_e32 v2, 1, v2
	v_or_b32_e32 v2, v3, v2
	s_delay_alu instid0(VALU_DEP_1) | instskip(NEXT) | instid1(VALU_DEP_1)
	v_cvt_f32_i32_e32 v2, v2
	v_ldexp_f32 v0, v2, v0
                                        ; implicit-def: $vgpr2_vgpr3
.LBB51_2404:                            ;   in Loop: Header=BB51_17 Depth=1
	s_and_not1_saveexec_b32 s29, s29
	s_cbranch_execz .LBB51_2406
; %bb.2405:                             ;   in Loop: Header=BB51_17 Depth=1
	s_wait_loadcnt_dscnt 0x0
	flat_load_b32 v0, v[2:3]
	s_wait_loadcnt_dscnt 0x0
	v_cvt_f32_i32_e32 v0, v0
.LBB51_2406:                            ;   in Loop: Header=BB51_17 Depth=1
	s_wait_xcnt 0x0
	s_or_b32 exec_lo, exec_lo, s29
                                        ; implicit-def: $vgpr2_vgpr3
.LBB51_2407:                            ;   in Loop: Header=BB51_17 Depth=1
	s_and_not1_saveexec_b32 s28, s28
	s_cbranch_execz .LBB51_2409
; %bb.2408:                             ;   in Loop: Header=BB51_17 Depth=1
	s_wait_loadcnt_dscnt 0x0
	flat_load_i16 v0, v[2:3]
	s_wait_loadcnt_dscnt 0x0
	v_cvt_f32_i32_e32 v0, v0
.LBB51_2409:                            ;   in Loop: Header=BB51_17 Depth=1
	s_wait_xcnt 0x0
	s_or_b32 exec_lo, exec_lo, s28
                                        ; implicit-def: $vgpr2_vgpr3
                                        ; implicit-def: $vgpr18
.LBB51_2410:                            ;   in Loop: Header=BB51_17 Depth=1
	s_and_not1_saveexec_b32 s27, s27
	s_cbranch_execz .LBB51_2416
; %bb.2411:                             ;   in Loop: Header=BB51_17 Depth=1
	s_mov_b32 s28, exec_lo
                                        ; implicit-def: $vgpr0
	v_cmpx_lt_i16_e32 0, v18
	s_xor_b32 s28, exec_lo, s28
	s_cbranch_execz .LBB51_2413
; %bb.2412:                             ;   in Loop: Header=BB51_17 Depth=1
	s_wait_loadcnt_dscnt 0x0
	flat_load_i8 v0, v[2:3]
                                        ; implicit-def: $vgpr2_vgpr3
	s_wait_loadcnt_dscnt 0x0
	v_cvt_f32_i32_e32 v0, v0
.LBB51_2413:                            ;   in Loop: Header=BB51_17 Depth=1
	s_wait_xcnt 0x0
	s_and_not1_saveexec_b32 s28, s28
	s_cbranch_execz .LBB51_2415
; %bb.2414:                             ;   in Loop: Header=BB51_17 Depth=1
	s_wait_loadcnt_dscnt 0x0
	flat_load_u8 v0, v[2:3]
	s_wait_loadcnt_dscnt 0x0
	v_cvt_f32_ubyte0_e32 v0, v0
.LBB51_2415:                            ;   in Loop: Header=BB51_17 Depth=1
	s_wait_xcnt 0x0
	s_or_b32 exec_lo, exec_lo, s28
.LBB51_2416:                            ;   in Loop: Header=BB51_17 Depth=1
	s_delay_alu instid0(SALU_CYCLE_1)
	s_or_b32 exec_lo, exec_lo, s27
.LBB51_2417:                            ;   in Loop: Header=BB51_17 Depth=1
	s_delay_alu instid0(SALU_CYCLE_1) | instskip(NEXT) | instid1(SALU_CYCLE_1)
	s_or_b32 exec_lo, exec_lo, s26
	s_or_b32 s25, s25, exec_lo
	s_or_b32 exec_lo, exec_lo, s21
	s_mov_b32 s26, 0
	s_and_saveexec_b32 s21, s25
	s_cbranch_execnz .LBB51_679
	s_branch .LBB51_680
.LBB51_2418:                            ;   in Loop: Header=BB51_17 Depth=1
	s_mov_b32 s16, -1
	s_mov_b32 s18, exec_lo
	v_cmpx_eq_u16_e32 0x80, v2
; %bb.2419:                             ;   in Loop: Header=BB51_17 Depth=1
	s_xor_b32 s16, exec_lo, -1
; %bb.2420:                             ;   in Loop: Header=BB51_17 Depth=1
	s_or_b32 exec_lo, exec_lo, s18
	s_delay_alu instid0(SALU_CYCLE_1)
	s_and_b32 s16, s16, exec_lo
	s_or_saveexec_b32 s17, s17
	v_mov_b32_e32 v0, 0x7f800001
	s_xor_b32 exec_lo, exec_lo, s17
	s_cbranch_execz .LBB51_1832
.LBB51_2421:                            ;   in Loop: Header=BB51_17 Depth=1
	v_cmp_ne_u16_e32 vcc_lo, 0, v2
	v_mov_b32_e32 v0, 0
	s_and_not1_b32 s16, s16, exec_lo
	s_and_b32 s18, vcc_lo, exec_lo
	s_delay_alu instid0(SALU_CYCLE_1)
	s_or_b32 s16, s16, s18
	s_or_b32 exec_lo, exec_lo, s17
	s_and_saveexec_b32 s17, s16
	s_cbranch_execnz .LBB51_1833
	s_branch .LBB51_1834
.LBB51_2422:                            ;   in Loop: Header=BB51_17 Depth=1
	s_mov_b32 s17, -1
	s_mov_b32 s19, exec_lo
	v_cmpx_eq_u16_e32 0x80, v2
; %bb.2423:                             ;   in Loop: Header=BB51_17 Depth=1
	s_xor_b32 s17, exec_lo, -1
; %bb.2424:                             ;   in Loop: Header=BB51_17 Depth=1
	s_or_b32 exec_lo, exec_lo, s19
	s_delay_alu instid0(SALU_CYCLE_1)
	s_and_b32 s17, s17, exec_lo
	s_or_saveexec_b32 s18, s18
	v_mov_b32_e32 v0, 0x7f800001
	s_xor_b32 exec_lo, exec_lo, s18
	s_cbranch_execz .LBB51_1921
.LBB51_2425:                            ;   in Loop: Header=BB51_17 Depth=1
	v_cmp_ne_u16_e32 vcc_lo, 0, v2
	v_mov_b32_e32 v0, 0
	s_and_not1_b32 s17, s17, exec_lo
	s_and_b32 s19, vcc_lo, exec_lo
	s_delay_alu instid0(SALU_CYCLE_1)
	s_or_b32 s17, s17, s19
	s_or_b32 exec_lo, exec_lo, s18
	s_and_saveexec_b32 s18, s17
	s_cbranch_execnz .LBB51_1922
	s_branch .LBB51_1923
.LBB51_2426:                            ;   in Loop: Header=BB51_17 Depth=1
	s_mov_b32 s19, -1
	s_mov_b32 s21, exec_lo
	v_cmpx_eq_u16_e32 0x80, v2
; %bb.2427:                             ;   in Loop: Header=BB51_17 Depth=1
	s_xor_b32 s19, exec_lo, -1
; %bb.2428:                             ;   in Loop: Header=BB51_17 Depth=1
	s_or_b32 exec_lo, exec_lo, s21
	s_delay_alu instid0(SALU_CYCLE_1)
	s_and_b32 s19, s19, exec_lo
	s_or_saveexec_b32 s20, s20
	v_mov_b32_e32 v0, 0x7f800001
	s_xor_b32 exec_lo, exec_lo, s20
	s_cbranch_execz .LBB51_279
.LBB51_2429:                            ;   in Loop: Header=BB51_17 Depth=1
	v_cmp_ne_u16_e32 vcc_lo, 0, v2
	v_mov_b32_e32 v0, 0
	s_and_not1_b32 s19, s19, exec_lo
	s_and_b32 s21, vcc_lo, exec_lo
	s_delay_alu instid0(SALU_CYCLE_1)
	s_or_b32 s19, s19, s21
	s_or_b32 exec_lo, exec_lo, s20
	s_and_saveexec_b32 s20, s19
	s_cbranch_execnz .LBB51_280
	s_branch .LBB51_281
.LBB51_2430:                            ;   in Loop: Header=BB51_17 Depth=1
	s_mov_b32 s21, -1
	s_mov_b32 s23, exec_lo
	v_cmpx_eq_u16_e32 0x80, v2
; %bb.2431:                             ;   in Loop: Header=BB51_17 Depth=1
	s_xor_b32 s21, exec_lo, -1
; %bb.2432:                             ;   in Loop: Header=BB51_17 Depth=1
	s_or_b32 exec_lo, exec_lo, s23
	s_delay_alu instid0(SALU_CYCLE_1)
	s_and_b32 s21, s21, exec_lo
	s_or_saveexec_b32 s22, s22
	v_mov_b32_e32 v0, 0x7f800001
	s_xor_b32 exec_lo, exec_lo, s22
	s_cbranch_execz .LBB51_379
.LBB51_2433:                            ;   in Loop: Header=BB51_17 Depth=1
	v_cmp_ne_u16_e32 vcc_lo, 0, v2
	v_mov_b32_e32 v0, 0
	s_and_not1_b32 s21, s21, exec_lo
	s_and_b32 s23, vcc_lo, exec_lo
	s_delay_alu instid0(SALU_CYCLE_1)
	s_or_b32 s21, s21, s23
	s_or_b32 exec_lo, exec_lo, s22
	s_and_saveexec_b32 s22, s21
	s_cbranch_execnz .LBB51_380
	s_branch .LBB51_381
.LBB51_2434:                            ;   in Loop: Header=BB51_17 Depth=1
	s_mov_b32 s28, exec_lo
                                        ; implicit-def: $vgpr0
	v_cmpx_lt_i16_e32 25, v18
	s_xor_b32 s28, exec_lo, s28
	s_cbranch_execz .LBB51_2466
; %bb.2435:                             ;   in Loop: Header=BB51_17 Depth=1
	s_mov_b32 s40, exec_lo
                                        ; implicit-def: $vgpr0
	v_cmpx_lt_i16_e32 28, v18
	s_xor_b32 s40, exec_lo, s40
	s_cbranch_execz .LBB51_2451
; %bb.2436:                             ;   in Loop: Header=BB51_17 Depth=1
	s_mov_b32 s41, 0
	s_mov_b32 s29, exec_lo
                                        ; implicit-def: $vgpr0
	v_cmpx_lt_i16_e32 43, v18
	s_xor_b32 s29, exec_lo, s29
	s_cbranch_execz .LBB51_2446
; %bb.2437:                             ;   in Loop: Header=BB51_17 Depth=1
	s_mov_b32 s42, exec_lo
                                        ; implicit-def: $vgpr0
	v_cmpx_lt_i16_e32 45, v18
	s_xor_b32 s42, exec_lo, s42
	s_cbranch_execz .LBB51_2441
; %bb.2438:                             ;   in Loop: Header=BB51_17 Depth=1
	s_mov_b32 s43, exec_lo
                                        ; implicit-def: $vgpr0
	v_cmpx_eq_u16_e32 46, v18
	s_cbranch_execz .LBB51_2440
; %bb.2439:                             ;   in Loop: Header=BB51_17 Depth=1
	flat_load_b32 v0, v[2:3]
	s_mov_b32 s41, exec_lo
	s_wait_loadcnt_dscnt 0x0
	v_lshlrev_b32_e32 v0, 16, v0
.LBB51_2440:                            ;   in Loop: Header=BB51_17 Depth=1
	s_wait_xcnt 0x0
	s_or_b32 exec_lo, exec_lo, s43
	s_delay_alu instid0(SALU_CYCLE_1)
	s_and_b32 s41, s41, exec_lo
                                        ; implicit-def: $vgpr18
                                        ; implicit-def: $vgpr2_vgpr3
.LBB51_2441:                            ;   in Loop: Header=BB51_17 Depth=1
	s_and_not1_saveexec_b32 s42, s42
	s_cbranch_execz .LBB51_2445
; %bb.2442:                             ;   in Loop: Header=BB51_17 Depth=1
	s_mov_b32 s44, s41
	s_mov_b32 s43, exec_lo
                                        ; implicit-def: $vgpr0
	v_cmpx_eq_u16_e32 44, v18
	s_cbranch_execz .LBB51_2444
; %bb.2443:                             ;   in Loop: Header=BB51_17 Depth=1
	flat_load_u8 v0, v[2:3]
	s_or_b32 s44, s41, exec_lo
	s_wait_loadcnt_dscnt 0x0
	v_lshlrev_b32_e32 v2, 23, v0
	v_cmp_ne_u32_e32 vcc_lo, 0xff, v0
	s_delay_alu instid0(VALU_DEP_2) | instskip(SKIP_1) | instid1(VALU_DEP_2)
	v_cndmask_b32_e32 v2, 0x7f800001, v2, vcc_lo
	v_cmp_ne_u32_e32 vcc_lo, 0, v0
	v_cndmask_b32_e32 v0, 0x400000, v2, vcc_lo
.LBB51_2444:                            ;   in Loop: Header=BB51_17 Depth=1
	s_or_b32 exec_lo, exec_lo, s43
	s_delay_alu instid0(SALU_CYCLE_1) | instskip(SKIP_1) | instid1(SALU_CYCLE_1)
	s_and_not1_b32 s41, s41, exec_lo
	s_and_b32 s43, s44, exec_lo
	s_or_b32 s41, s41, s43
.LBB51_2445:                            ;   in Loop: Header=BB51_17 Depth=1
	s_or_b32 exec_lo, exec_lo, s42
	s_delay_alu instid0(SALU_CYCLE_1)
	s_and_b32 s41, s41, exec_lo
                                        ; implicit-def: $vgpr18
                                        ; implicit-def: $vgpr2_vgpr3
.LBB51_2446:                            ;   in Loop: Header=BB51_17 Depth=1
	s_and_not1_saveexec_b32 s29, s29
	s_cbranch_execz .LBB51_2450
; %bb.2447:                             ;   in Loop: Header=BB51_17 Depth=1
	s_mov_b32 s43, s41
	s_mov_b32 s42, exec_lo
                                        ; implicit-def: $vgpr0
	v_cmpx_eq_u16_e32 29, v18
	s_cbranch_execz .LBB51_2449
; %bb.2448:                             ;   in Loop: Header=BB51_17 Depth=1
	flat_load_b64 v[2:3], v[2:3]
	s_or_b32 s43, s41, exec_lo
	s_wait_loadcnt_dscnt 0x0
	v_clz_i32_u32_e32 v0, v3
	s_delay_alu instid0(VALU_DEP_1) | instskip(SKIP_1) | instid1(VALU_DEP_1)
	v_min_u32_e32 v0, 32, v0
	s_wait_xcnt 0x0
	v_lshlrev_b64_e32 v[2:3], v0, v[2:3]
	v_sub_nc_u32_e32 v0, 32, v0
	s_delay_alu instid0(VALU_DEP_2) | instskip(NEXT) | instid1(VALU_DEP_1)
	v_min_u32_e32 v2, 1, v2
	v_or_b32_e32 v2, v3, v2
	s_delay_alu instid0(VALU_DEP_1) | instskip(NEXT) | instid1(VALU_DEP_1)
	v_cvt_f32_u32_e32 v2, v2
	v_ldexp_f32 v0, v2, v0
.LBB51_2449:                            ;   in Loop: Header=BB51_17 Depth=1
	s_or_b32 exec_lo, exec_lo, s42
	s_delay_alu instid0(SALU_CYCLE_1) | instskip(SKIP_1) | instid1(SALU_CYCLE_1)
	s_and_not1_b32 s41, s41, exec_lo
	s_and_b32 s42, s43, exec_lo
	s_or_b32 s41, s41, s42
.LBB51_2450:                            ;   in Loop: Header=BB51_17 Depth=1
	s_or_b32 exec_lo, exec_lo, s29
	s_delay_alu instid0(SALU_CYCLE_1)
	s_and_b32 s29, s41, exec_lo
                                        ; implicit-def: $vgpr18
                                        ; implicit-def: $vgpr2_vgpr3
.LBB51_2451:                            ;   in Loop: Header=BB51_17 Depth=1
	s_and_not1_saveexec_b32 s40, s40
	s_cbranch_execz .LBB51_2465
; %bb.2452:                             ;   in Loop: Header=BB51_17 Depth=1
	s_mov_b32 s41, exec_lo
                                        ; implicit-def: $vgpr0
	v_cmpx_lt_i16_e32 26, v18
	s_xor_b32 s41, exec_lo, s41
	s_cbranch_execz .LBB51_2458
; %bb.2453:                             ;   in Loop: Header=BB51_17 Depth=1
	s_mov_b32 s42, exec_lo
                                        ; implicit-def: $vgpr0
	v_cmpx_lt_i16_e32 27, v18
	s_xor_b32 s42, exec_lo, s42
	s_cbranch_execz .LBB51_2455
; %bb.2454:                             ;   in Loop: Header=BB51_17 Depth=1
	flat_load_b32 v0, v[2:3]
                                        ; implicit-def: $vgpr2_vgpr3
	s_wait_loadcnt_dscnt 0x0
	v_cvt_f32_u32_e32 v0, v0
.LBB51_2455:                            ;   in Loop: Header=BB51_17 Depth=1
	s_wait_xcnt 0x0
	s_and_not1_saveexec_b32 s42, s42
	s_cbranch_execz .LBB51_2457
; %bb.2456:                             ;   in Loop: Header=BB51_17 Depth=1
	flat_load_u16 v0, v[2:3]
	s_wait_loadcnt_dscnt 0x0
	v_cvt_f32_u32_e32 v0, v0
.LBB51_2457:                            ;   in Loop: Header=BB51_17 Depth=1
	s_wait_xcnt 0x0
	s_or_b32 exec_lo, exec_lo, s42
                                        ; implicit-def: $vgpr2_vgpr3
.LBB51_2458:                            ;   in Loop: Header=BB51_17 Depth=1
	s_and_not1_saveexec_b32 s41, s41
	s_cbranch_execz .LBB51_2464
; %bb.2459:                             ;   in Loop: Header=BB51_17 Depth=1
	flat_load_u8 v2, v[2:3]
	s_mov_b32 s42, 0
	s_mov_b32 s43, exec_lo
	s_wait_loadcnt_dscnt 0x0
	v_cmpx_lt_i16_e32 0x7f, v2
	s_xor_b32 s43, exec_lo, s43
	s_cbranch_execnz .LBB51_3002
; %bb.2460:                             ;   in Loop: Header=BB51_17 Depth=1
	s_or_saveexec_b32 s43, s43
	v_mov_b32_e32 v0, 0x7f800001
	s_xor_b32 exec_lo, exec_lo, s43
	s_cbranch_execnz .LBB51_3005
.LBB51_2461:                            ;   in Loop: Header=BB51_17 Depth=1
	s_or_b32 exec_lo, exec_lo, s43
	s_and_saveexec_b32 s43, s42
	s_cbranch_execz .LBB51_2463
.LBB51_2462:                            ;   in Loop: Header=BB51_17 Depth=1
	v_and_b32_e32 v0, 0xffff, v2
	s_delay_alu instid0(VALU_DEP_1) | instskip(SKIP_1) | instid1(VALU_DEP_2)
	v_and_b32_e32 v3, 7, v0
	v_bfe_u32 v20, v0, 3, 4
	v_clz_i32_u32_e32 v18, v3
	s_delay_alu instid0(VALU_DEP_2) | instskip(NEXT) | instid1(VALU_DEP_2)
	v_cmp_eq_u32_e32 vcc_lo, 0, v20
	v_min_u32_e32 v18, 32, v18
	s_delay_alu instid0(VALU_DEP_1) | instskip(NEXT) | instid1(VALU_DEP_1)
	v_subrev_nc_u32_e32 v19, 28, v18
	v_dual_lshlrev_b32 v0, v19, v0 :: v_dual_sub_nc_u32 v18, 29, v18
	s_delay_alu instid0(VALU_DEP_1) | instskip(NEXT) | instid1(VALU_DEP_1)
	v_dual_lshlrev_b32 v2, 24, v2 :: v_dual_bitop2_b32 v0, 7, v0 bitop3:0x40
	v_dual_cndmask_b32 v0, v3, v0, vcc_lo :: v_dual_cndmask_b32 v18, v20, v18, vcc_lo
	s_delay_alu instid0(VALU_DEP_2) | instskip(NEXT) | instid1(VALU_DEP_2)
	v_and_b32_e32 v2, 0x80000000, v2
	v_lshlrev_b32_e32 v0, 20, v0
	s_delay_alu instid0(VALU_DEP_3) | instskip(NEXT) | instid1(VALU_DEP_1)
	v_lshl_add_u32 v3, v18, 23, 0x3b800000
	v_or3_b32 v0, v2, v3, v0
.LBB51_2463:                            ;   in Loop: Header=BB51_17 Depth=1
	s_or_b32 exec_lo, exec_lo, s43
.LBB51_2464:                            ;   in Loop: Header=BB51_17 Depth=1
	s_delay_alu instid0(SALU_CYCLE_1) | instskip(NEXT) | instid1(SALU_CYCLE_1)
	s_or_b32 exec_lo, exec_lo, s41
	s_or_b32 s29, s29, exec_lo
.LBB51_2465:                            ;   in Loop: Header=BB51_17 Depth=1
	s_or_b32 exec_lo, exec_lo, s40
	s_delay_alu instid0(SALU_CYCLE_1)
	s_and_b32 s29, s29, exec_lo
                                        ; implicit-def: $vgpr18
                                        ; implicit-def: $vgpr2_vgpr3
.LBB51_2466:                            ;   in Loop: Header=BB51_17 Depth=1
	s_and_not1_saveexec_b32 s28, s28
	s_cbranch_execz .LBB51_2492
; %bb.2467:                             ;   in Loop: Header=BB51_17 Depth=1
	s_mov_b32 s41, s29
	s_mov_b32 s40, exec_lo
                                        ; implicit-def: $vgpr0
	v_cmpx_lt_i16_e32 22, v18
	s_xor_b32 s40, exec_lo, s40
	s_cbranch_execz .LBB51_2481
; %bb.2468:                             ;   in Loop: Header=BB51_17 Depth=1
	s_mov_b32 s41, exec_lo
                                        ; implicit-def: $vgpr0
	v_cmpx_lt_i16_e32 23, v18
	s_xor_b32 s41, exec_lo, s41
	s_cbranch_execz .LBB51_2478
; %bb.2469:                             ;   in Loop: Header=BB51_17 Depth=1
	s_mov_b32 s42, exec_lo
                                        ; implicit-def: $vgpr0
	v_cmpx_lt_i16_e32 24, v18
	s_xor_b32 s42, exec_lo, s42
	s_cbranch_execz .LBB51_2475
; %bb.2470:                             ;   in Loop: Header=BB51_17 Depth=1
	flat_load_u8 v2, v[2:3]
	s_mov_b32 s43, 0
	s_mov_b32 s44, exec_lo
	s_wait_loadcnt_dscnt 0x0
	v_cmpx_lt_i16_e32 0x7f, v2
	s_xor_b32 s44, exec_lo, s44
	s_cbranch_execnz .LBB51_3114
; %bb.2471:                             ;   in Loop: Header=BB51_17 Depth=1
	s_or_saveexec_b32 s44, s44
	v_mov_b32_e32 v0, 0x7f800001
	s_xor_b32 exec_lo, exec_lo, s44
	s_cbranch_execnz .LBB51_3117
.LBB51_2472:                            ;   in Loop: Header=BB51_17 Depth=1
	s_or_b32 exec_lo, exec_lo, s44
	s_and_saveexec_b32 s44, s43
	s_cbranch_execz .LBB51_2474
.LBB51_2473:                            ;   in Loop: Header=BB51_17 Depth=1
	v_and_b32_e32 v0, 0xffff, v2
	s_delay_alu instid0(VALU_DEP_1) | instskip(SKIP_1) | instid1(VALU_DEP_2)
	v_and_b32_e32 v3, 3, v0
	v_bfe_u32 v20, v0, 2, 5
	v_clz_i32_u32_e32 v18, v3
	s_delay_alu instid0(VALU_DEP_2) | instskip(NEXT) | instid1(VALU_DEP_2)
	v_cmp_eq_u32_e32 vcc_lo, 0, v20
	v_min_u32_e32 v18, 32, v18
	s_delay_alu instid0(VALU_DEP_1) | instskip(NEXT) | instid1(VALU_DEP_1)
	v_subrev_nc_u32_e32 v19, 29, v18
	v_dual_lshlrev_b32 v0, v19, v0 :: v_dual_sub_nc_u32 v18, 30, v18
	s_delay_alu instid0(VALU_DEP_1) | instskip(NEXT) | instid1(VALU_DEP_1)
	v_dual_lshlrev_b32 v2, 24, v2 :: v_dual_bitop2_b32 v0, 3, v0 bitop3:0x40
	v_dual_cndmask_b32 v0, v3, v0, vcc_lo :: v_dual_cndmask_b32 v18, v20, v18, vcc_lo
	s_delay_alu instid0(VALU_DEP_2) | instskip(NEXT) | instid1(VALU_DEP_2)
	v_and_b32_e32 v2, 0x80000000, v2
	v_lshlrev_b32_e32 v0, 21, v0
	s_delay_alu instid0(VALU_DEP_3) | instskip(NEXT) | instid1(VALU_DEP_1)
	v_lshl_add_u32 v3, v18, 23, 0x37800000
	v_or3_b32 v0, v2, v3, v0
.LBB51_2474:                            ;   in Loop: Header=BB51_17 Depth=1
	s_or_b32 exec_lo, exec_lo, s44
                                        ; implicit-def: $vgpr2_vgpr3
.LBB51_2475:                            ;   in Loop: Header=BB51_17 Depth=1
	s_and_not1_saveexec_b32 s42, s42
	s_cbranch_execz .LBB51_2477
; %bb.2476:                             ;   in Loop: Header=BB51_17 Depth=1
	flat_load_u8 v0, v[2:3]
	s_wait_loadcnt_dscnt 0x0
	v_lshlrev_b32_e32 v0, 24, v0
	s_wait_xcnt 0x0
	s_delay_alu instid0(VALU_DEP_1) | instskip(NEXT) | instid1(VALU_DEP_1)
	v_and_b32_e32 v2, 0x7f000000, v0
	v_clz_i32_u32_e32 v3, v2
	v_cmp_ne_u32_e32 vcc_lo, 0, v2
	v_add_nc_u32_e32 v19, 0x1000000, v2
	s_delay_alu instid0(VALU_DEP_3) | instskip(NEXT) | instid1(VALU_DEP_1)
	v_min_u32_e32 v3, 32, v3
	v_sub_nc_u32_e64 v3, v3, 4 clamp
	s_delay_alu instid0(VALU_DEP_1) | instskip(NEXT) | instid1(VALU_DEP_1)
	v_dual_lshlrev_b32 v18, v3, v2 :: v_dual_lshlrev_b32 v3, 23, v3
	v_lshrrev_b32_e32 v18, 4, v18
	s_delay_alu instid0(VALU_DEP_1) | instskip(SKIP_1) | instid1(VALU_DEP_2)
	v_sub_nc_u32_e32 v3, v18, v3
	v_ashrrev_i32_e32 v18, 8, v19
	v_add_nc_u32_e32 v3, 0x3c000000, v3
	s_delay_alu instid0(VALU_DEP_1) | instskip(NEXT) | instid1(VALU_DEP_1)
	v_and_or_b32 v3, 0x7f800000, v18, v3
	v_cndmask_b32_e32 v2, 0, v3, vcc_lo
	s_delay_alu instid0(VALU_DEP_1)
	v_and_or_b32 v0, 0x80000000, v0, v2
.LBB51_2477:                            ;   in Loop: Header=BB51_17 Depth=1
	s_or_b32 exec_lo, exec_lo, s42
                                        ; implicit-def: $vgpr2_vgpr3
.LBB51_2478:                            ;   in Loop: Header=BB51_17 Depth=1
	s_and_not1_saveexec_b32 s41, s41
	s_cbranch_execz .LBB51_2480
; %bb.2479:                             ;   in Loop: Header=BB51_17 Depth=1
	flat_load_u8 v0, v[2:3]
	s_wait_loadcnt_dscnt 0x0
	v_lshlrev_b32_e32 v2, 25, v0
	v_lshlrev_b16 v0, 8, v0
	s_delay_alu instid0(VALU_DEP_1) | instskip(SKIP_1) | instid1(VALU_DEP_2)
	v_and_or_b32 v18, 0x7f00, v0, 0.5
	v_bfe_i32 v0, v0, 0, 16
	v_add_f32_e32 v18, -0.5, v18
	v_lshrrev_b32_e32 v3, 4, v2
	v_cmp_gt_u32_e32 vcc_lo, 0x8000000, v2
	s_delay_alu instid0(VALU_DEP_2) | instskip(NEXT) | instid1(VALU_DEP_1)
	v_or_b32_e32 v3, 0x70000000, v3
	v_mul_f32_e32 v3, 0x7800000, v3
	s_delay_alu instid0(VALU_DEP_1) | instskip(NEXT) | instid1(VALU_DEP_1)
	v_cndmask_b32_e32 v2, v3, v18, vcc_lo
	v_and_or_b32 v0, 0x80000000, v0, v2
.LBB51_2480:                            ;   in Loop: Header=BB51_17 Depth=1
	s_or_b32 exec_lo, exec_lo, s41
	s_delay_alu instid0(SALU_CYCLE_1)
	s_or_b32 s41, s29, exec_lo
                                        ; implicit-def: $vgpr18
                                        ; implicit-def: $vgpr2_vgpr3
.LBB51_2481:                            ;   in Loop: Header=BB51_17 Depth=1
	s_and_not1_saveexec_b32 s40, s40
	s_cbranch_execz .LBB51_2491
; %bb.2482:                             ;   in Loop: Header=BB51_17 Depth=1
	s_mov_b32 s42, s41
	s_mov_b32 s43, exec_lo
                                        ; implicit-def: $vgpr0
	v_cmpx_lt_i16_e32 14, v18
	s_xor_b32 s43, exec_lo, s43
	s_cbranch_execz .LBB51_2486
; %bb.2483:                             ;   in Loop: Header=BB51_17 Depth=1
	s_mov_b32 s42, s41
	s_mov_b32 s44, exec_lo
                                        ; implicit-def: $vgpr0
	v_cmpx_eq_u16_e32 15, v18
	s_cbranch_execz .LBB51_2485
; %bb.2484:                             ;   in Loop: Header=BB51_17 Depth=1
	flat_load_u16 v0, v[2:3]
	s_or_b32 s42, s41, exec_lo
	s_wait_loadcnt_dscnt 0x0
	v_lshlrev_b32_e32 v0, 16, v0
.LBB51_2485:                            ;   in Loop: Header=BB51_17 Depth=1
	s_wait_xcnt 0x0
	s_or_b32 exec_lo, exec_lo, s44
	s_delay_alu instid0(SALU_CYCLE_1) | instskip(SKIP_1) | instid1(SALU_CYCLE_1)
	s_and_not1_b32 s44, s41, exec_lo
	s_and_b32 s42, s42, exec_lo
                                        ; implicit-def: $vgpr18
                                        ; implicit-def: $vgpr2_vgpr3
	s_or_b32 s42, s44, s42
.LBB51_2486:                            ;   in Loop: Header=BB51_17 Depth=1
	s_and_not1_saveexec_b32 s43, s43
	s_cbranch_execz .LBB51_2490
; %bb.2487:                             ;   in Loop: Header=BB51_17 Depth=1
	s_mov_b32 s44, s42
	s_mov_b32 s45, exec_lo
                                        ; implicit-def: $vgpr0
	v_cmpx_eq_u16_e32 11, v18
	s_cbranch_execz .LBB51_2489
; %bb.2488:                             ;   in Loop: Header=BB51_17 Depth=1
	flat_load_u8 v0, v[2:3]
	s_or_b32 s44, s42, exec_lo
	s_wait_loadcnt_dscnt 0x0
	v_cmp_ne_u16_e32 vcc_lo, 0, v0
	v_cndmask_b32_e64 v0, 0, 1.0, vcc_lo
.LBB51_2489:                            ;   in Loop: Header=BB51_17 Depth=1
	s_wait_xcnt 0x0
	s_or_b32 exec_lo, exec_lo, s45
	s_delay_alu instid0(SALU_CYCLE_1) | instskip(SKIP_1) | instid1(SALU_CYCLE_1)
	s_and_not1_b32 s42, s42, exec_lo
	s_and_b32 s44, s44, exec_lo
	s_or_b32 s42, s42, s44
.LBB51_2490:                            ;   in Loop: Header=BB51_17 Depth=1
	s_or_b32 exec_lo, exec_lo, s43
	s_delay_alu instid0(SALU_CYCLE_1) | instskip(SKIP_1) | instid1(SALU_CYCLE_1)
	s_and_not1_b32 s41, s41, exec_lo
	s_and_b32 s42, s42, exec_lo
	s_or_b32 s41, s41, s42
.LBB51_2491:                            ;   in Loop: Header=BB51_17 Depth=1
	s_or_b32 exec_lo, exec_lo, s40
	s_delay_alu instid0(SALU_CYCLE_1) | instskip(SKIP_1) | instid1(SALU_CYCLE_1)
	s_and_not1_b32 s29, s29, exec_lo
	s_and_b32 s40, s41, exec_lo
	s_or_b32 s29, s29, s40
.LBB51_2492:                            ;   in Loop: Header=BB51_17 Depth=1
	s_or_b32 exec_lo, exec_lo, s28
	s_delay_alu instid0(SALU_CYCLE_1)
	s_and_b32 s28, s29, exec_lo
                                        ; implicit-def: $vgpr18
                                        ; implicit-def: $vgpr2_vgpr3
	s_and_not1_saveexec_b32 s24, s24
	s_cbranch_execz .LBB51_789
.LBB51_2493:                            ;   in Loop: Header=BB51_17 Depth=1
	s_mov_b32 s29, exec_lo
                                        ; implicit-def: $vgpr0
	v_cmpx_lt_i16_e32 4, v18
	s_xor_b32 s29, exec_lo, s29
	s_cbranch_execz .LBB51_2515
; %bb.2494:                             ;   in Loop: Header=BB51_17 Depth=1
	s_mov_b32 s40, exec_lo
                                        ; implicit-def: $vgpr0
	v_cmpx_lt_i16_e32 7, v18
	s_xor_b32 s40, exec_lo, s40
	s_cbranch_execz .LBB51_2504
; %bb.2495:                             ;   in Loop: Header=BB51_17 Depth=1
	;; [unrolled: 6-line block ×4, first 2 shown]
	flat_load_b64 v[2:3], v[2:3]
	s_wait_loadcnt_dscnt 0x0
	v_cvt_f32_f64_e32 v0, v[2:3]
                                        ; implicit-def: $vgpr2_vgpr3
.LBB51_2498:                            ;   in Loop: Header=BB51_17 Depth=1
	s_wait_xcnt 0x0
	s_and_not1_saveexec_b32 s42, s42
	s_cbranch_execz .LBB51_2500
; %bb.2499:                             ;   in Loop: Header=BB51_17 Depth=1
	flat_load_b32 v0, v[2:3]
.LBB51_2500:                            ;   in Loop: Header=BB51_17 Depth=1
	s_wait_xcnt 0x0
	s_or_b32 exec_lo, exec_lo, s42
                                        ; implicit-def: $vgpr2_vgpr3
.LBB51_2501:                            ;   in Loop: Header=BB51_17 Depth=1
	s_and_not1_saveexec_b32 s41, s41
	s_cbranch_execz .LBB51_2503
; %bb.2502:                             ;   in Loop: Header=BB51_17 Depth=1
	s_wait_loadcnt_dscnt 0x0
	flat_load_b32 v0, v[2:3]
	s_wait_loadcnt_dscnt 0x0
	v_cvt_f32_f16_e32 v0, v0
.LBB51_2503:                            ;   in Loop: Header=BB51_17 Depth=1
	s_wait_xcnt 0x0
	s_or_b32 exec_lo, exec_lo, s41
                                        ; implicit-def: $vgpr2_vgpr3
                                        ; implicit-def: $vgpr18
.LBB51_2504:                            ;   in Loop: Header=BB51_17 Depth=1
	s_and_not1_saveexec_b32 s40, s40
	s_cbranch_execz .LBB51_2514
; %bb.2505:                             ;   in Loop: Header=BB51_17 Depth=1
	s_mov_b32 s41, exec_lo
                                        ; implicit-def: $vgpr0
	v_cmpx_lt_i16_e32 5, v18
	s_xor_b32 s41, exec_lo, s41
	s_cbranch_execz .LBB51_2511
; %bb.2506:                             ;   in Loop: Header=BB51_17 Depth=1
	s_mov_b32 s42, exec_lo
                                        ; implicit-def: $vgpr0
	v_cmpx_lt_i16_e32 6, v18
	s_xor_b32 s42, exec_lo, s42
	s_cbranch_execz .LBB51_2508
; %bb.2507:                             ;   in Loop: Header=BB51_17 Depth=1
	flat_load_b64 v[2:3], v[2:3]
	s_wait_loadcnt_dscnt 0x0
	v_cvt_f32_f64_e32 v0, v[2:3]
                                        ; implicit-def: $vgpr2_vgpr3
.LBB51_2508:                            ;   in Loop: Header=BB51_17 Depth=1
	s_wait_xcnt 0x0
	s_and_not1_saveexec_b32 s42, s42
	s_cbranch_execz .LBB51_2510
; %bb.2509:                             ;   in Loop: Header=BB51_17 Depth=1
	s_wait_loadcnt_dscnt 0x0
	flat_load_b32 v0, v[2:3]
.LBB51_2510:                            ;   in Loop: Header=BB51_17 Depth=1
	s_wait_xcnt 0x0
	s_or_b32 exec_lo, exec_lo, s42
                                        ; implicit-def: $vgpr2_vgpr3
.LBB51_2511:                            ;   in Loop: Header=BB51_17 Depth=1
	s_and_not1_saveexec_b32 s41, s41
	s_cbranch_execz .LBB51_2513
; %bb.2512:                             ;   in Loop: Header=BB51_17 Depth=1
	s_wait_loadcnt_dscnt 0x0
	flat_load_u16 v0, v[2:3]
	s_wait_loadcnt_dscnt 0x0
	v_cvt_f32_f16_e32 v0, v0
.LBB51_2513:                            ;   in Loop: Header=BB51_17 Depth=1
	s_wait_xcnt 0x0
	s_or_b32 exec_lo, exec_lo, s41
.LBB51_2514:                            ;   in Loop: Header=BB51_17 Depth=1
	s_delay_alu instid0(SALU_CYCLE_1)
	s_or_b32 exec_lo, exec_lo, s40
                                        ; implicit-def: $vgpr18
                                        ; implicit-def: $vgpr2_vgpr3
.LBB51_2515:                            ;   in Loop: Header=BB51_17 Depth=1
	s_and_not1_saveexec_b32 s29, s29
	s_cbranch_execz .LBB51_2533
; %bb.2516:                             ;   in Loop: Header=BB51_17 Depth=1
	s_mov_b32 s40, exec_lo
                                        ; implicit-def: $vgpr0
	v_cmpx_lt_i16_e32 1, v18
	s_xor_b32 s40, exec_lo, s40
	s_cbranch_execz .LBB51_2526
; %bb.2517:                             ;   in Loop: Header=BB51_17 Depth=1
	s_mov_b32 s41, exec_lo
                                        ; implicit-def: $vgpr0
	v_cmpx_lt_i16_e32 2, v18
	s_xor_b32 s41, exec_lo, s41
	;; [unrolled: 6-line block ×3, first 2 shown]
	s_cbranch_execz .LBB51_2520
; %bb.2519:                             ;   in Loop: Header=BB51_17 Depth=1
	flat_load_b64 v[2:3], v[2:3]
	s_wait_loadcnt_dscnt 0x0
	v_xor_b32_e32 v0, v2, v3
	v_cls_i32_e32 v18, v3
	s_delay_alu instid0(VALU_DEP_2) | instskip(NEXT) | instid1(VALU_DEP_1)
	v_ashrrev_i32_e32 v0, 31, v0
	v_add_nc_u32_e32 v0, 32, v0
	s_delay_alu instid0(VALU_DEP_1) | instskip(SKIP_1) | instid1(VALU_DEP_1)
	v_add_min_u32_e64 v0, v18, -1, v0
	s_wait_xcnt 0x0
	v_lshlrev_b64_e32 v[2:3], v0, v[2:3]
	v_sub_nc_u32_e32 v0, 32, v0
	s_delay_alu instid0(VALU_DEP_2) | instskip(NEXT) | instid1(VALU_DEP_1)
	v_min_u32_e32 v2, 1, v2
	v_or_b32_e32 v2, v3, v2
	s_delay_alu instid0(VALU_DEP_1) | instskip(NEXT) | instid1(VALU_DEP_1)
	v_cvt_f32_i32_e32 v2, v2
	v_ldexp_f32 v0, v2, v0
                                        ; implicit-def: $vgpr2_vgpr3
.LBB51_2520:                            ;   in Loop: Header=BB51_17 Depth=1
	s_and_not1_saveexec_b32 s42, s42
	s_cbranch_execz .LBB51_2522
; %bb.2521:                             ;   in Loop: Header=BB51_17 Depth=1
	s_wait_loadcnt_dscnt 0x0
	flat_load_b32 v0, v[2:3]
	s_wait_loadcnt_dscnt 0x0
	v_cvt_f32_i32_e32 v0, v0
.LBB51_2522:                            ;   in Loop: Header=BB51_17 Depth=1
	s_wait_xcnt 0x0
	s_or_b32 exec_lo, exec_lo, s42
                                        ; implicit-def: $vgpr2_vgpr3
.LBB51_2523:                            ;   in Loop: Header=BB51_17 Depth=1
	s_and_not1_saveexec_b32 s41, s41
	s_cbranch_execz .LBB51_2525
; %bb.2524:                             ;   in Loop: Header=BB51_17 Depth=1
	s_wait_loadcnt_dscnt 0x0
	flat_load_i16 v0, v[2:3]
	s_wait_loadcnt_dscnt 0x0
	v_cvt_f32_i32_e32 v0, v0
.LBB51_2525:                            ;   in Loop: Header=BB51_17 Depth=1
	s_wait_xcnt 0x0
	s_or_b32 exec_lo, exec_lo, s41
                                        ; implicit-def: $vgpr2_vgpr3
                                        ; implicit-def: $vgpr18
.LBB51_2526:                            ;   in Loop: Header=BB51_17 Depth=1
	s_and_not1_saveexec_b32 s40, s40
	s_cbranch_execz .LBB51_2532
; %bb.2527:                             ;   in Loop: Header=BB51_17 Depth=1
	s_mov_b32 s41, exec_lo
                                        ; implicit-def: $vgpr0
	v_cmpx_lt_i16_e32 0, v18
	s_xor_b32 s41, exec_lo, s41
	s_cbranch_execz .LBB51_2529
; %bb.2528:                             ;   in Loop: Header=BB51_17 Depth=1
	s_wait_loadcnt_dscnt 0x0
	flat_load_i8 v0, v[2:3]
                                        ; implicit-def: $vgpr2_vgpr3
	s_wait_loadcnt_dscnt 0x0
	v_cvt_f32_i32_e32 v0, v0
.LBB51_2529:                            ;   in Loop: Header=BB51_17 Depth=1
	s_wait_xcnt 0x0
	s_and_not1_saveexec_b32 s41, s41
	s_cbranch_execz .LBB51_2531
; %bb.2530:                             ;   in Loop: Header=BB51_17 Depth=1
	s_wait_loadcnt_dscnt 0x0
	flat_load_u8 v0, v[2:3]
	s_wait_loadcnt_dscnt 0x0
	v_cvt_f32_ubyte0_e32 v0, v0
.LBB51_2531:                            ;   in Loop: Header=BB51_17 Depth=1
	s_wait_xcnt 0x0
	s_or_b32 exec_lo, exec_lo, s41
.LBB51_2532:                            ;   in Loop: Header=BB51_17 Depth=1
	s_delay_alu instid0(SALU_CYCLE_1)
	s_or_b32 exec_lo, exec_lo, s40
.LBB51_2533:                            ;   in Loop: Header=BB51_17 Depth=1
	s_delay_alu instid0(SALU_CYCLE_1) | instskip(NEXT) | instid1(SALU_CYCLE_1)
	s_or_b32 exec_lo, exec_lo, s29
	s_or_b32 s28, s28, exec_lo
	s_or_b32 exec_lo, exec_lo, s24
	s_mov_b32 s29, 0
	s_and_saveexec_b32 s24, s28
	s_cbranch_execnz .LBB51_790
	s_branch .LBB51_791
.LBB51_2534:                            ;   in Loop: Header=BB51_17 Depth=1
	s_mov_b32 s18, -1
	s_mov_b32 s20, exec_lo
	v_cmpx_eq_u16_e32 0x80, v2
; %bb.2535:                             ;   in Loop: Header=BB51_17 Depth=1
	s_xor_b32 s18, exec_lo, -1
; %bb.2536:                             ;   in Loop: Header=BB51_17 Depth=1
	s_or_b32 exec_lo, exec_lo, s20
	s_delay_alu instid0(SALU_CYCLE_1)
	s_and_b32 s18, s18, exec_lo
	s_or_saveexec_b32 s19, s19
	v_mov_b32_e32 v0, 0x7f800001
	s_xor_b32 exec_lo, exec_lo, s19
	s_cbranch_execz .LBB51_1932
.LBB51_2537:                            ;   in Loop: Header=BB51_17 Depth=1
	v_cmp_ne_u16_e32 vcc_lo, 0, v2
	v_mov_b32_e32 v0, 0
	s_and_not1_b32 s18, s18, exec_lo
	s_and_b32 s20, vcc_lo, exec_lo
	s_delay_alu instid0(SALU_CYCLE_1)
	s_or_b32 s18, s18, s20
	s_or_b32 exec_lo, exec_lo, s19
	s_and_saveexec_b32 s19, s18
	s_cbranch_execnz .LBB51_1933
	s_branch .LBB51_1934
.LBB51_2538:                            ;   in Loop: Header=BB51_17 Depth=1
	s_mov_b32 s20, -1
	s_mov_b32 s22, exec_lo
	v_cmpx_eq_u16_e32 0x80, v2
; %bb.2539:                             ;   in Loop: Header=BB51_17 Depth=1
	s_xor_b32 s20, exec_lo, -1
; %bb.2540:                             ;   in Loop: Header=BB51_17 Depth=1
	s_or_b32 exec_lo, exec_lo, s22
	s_delay_alu instid0(SALU_CYCLE_1)
	s_and_b32 s20, s20, exec_lo
	s_or_saveexec_b32 s21, s21
	v_mov_b32_e32 v0, 0x7f800001
	s_xor_b32 exec_lo, exec_lo, s21
	s_cbranch_execz .LBB51_2021
.LBB51_2541:                            ;   in Loop: Header=BB51_17 Depth=1
	v_cmp_ne_u16_e32 vcc_lo, 0, v2
	v_mov_b32_e32 v0, 0
	s_and_not1_b32 s20, s20, exec_lo
	s_and_b32 s22, vcc_lo, exec_lo
	s_delay_alu instid0(SALU_CYCLE_1)
	s_or_b32 s20, s20, s22
	s_or_b32 exec_lo, exec_lo, s21
	s_and_saveexec_b32 s21, s20
	s_cbranch_execnz .LBB51_2022
	s_branch .LBB51_2023
.LBB51_2542:                            ;   in Loop: Header=BB51_17 Depth=1
	s_mov_b32 s22, -1
	s_mov_b32 s24, exec_lo
	v_cmpx_eq_u16_e32 0x80, v2
; %bb.2543:                             ;   in Loop: Header=BB51_17 Depth=1
	s_xor_b32 s22, exec_lo, -1
; %bb.2544:                             ;   in Loop: Header=BB51_17 Depth=1
	s_or_b32 exec_lo, exec_lo, s24
	s_delay_alu instid0(SALU_CYCLE_1)
	s_and_b32 s22, s22, exec_lo
	s_or_saveexec_b32 s23, s23
	v_mov_b32_e32 v0, 0x7f800001
	s_xor_b32 exec_lo, exec_lo, s23
	s_cbranch_execz .LBB51_390
.LBB51_2545:                            ;   in Loop: Header=BB51_17 Depth=1
	v_cmp_ne_u16_e32 vcc_lo, 0, v2
	v_mov_b32_e32 v0, 0
	s_and_not1_b32 s22, s22, exec_lo
	s_and_b32 s24, vcc_lo, exec_lo
	s_delay_alu instid0(SALU_CYCLE_1)
	s_or_b32 s22, s22, s24
	s_or_b32 exec_lo, exec_lo, s23
	s_and_saveexec_b32 s23, s22
	s_cbranch_execnz .LBB51_391
	s_branch .LBB51_392
.LBB51_2546:                            ;   in Loop: Header=BB51_17 Depth=1
	s_mov_b32 s24, -1
	s_mov_b32 s26, exec_lo
	v_cmpx_eq_u16_e32 0x80, v2
; %bb.2547:                             ;   in Loop: Header=BB51_17 Depth=1
	s_xor_b32 s24, exec_lo, -1
; %bb.2548:                             ;   in Loop: Header=BB51_17 Depth=1
	s_or_b32 exec_lo, exec_lo, s26
	s_delay_alu instid0(SALU_CYCLE_1)
	s_and_b32 s24, s24, exec_lo
	s_or_saveexec_b32 s25, s25
	v_mov_b32_e32 v0, 0x7f800001
	s_xor_b32 exec_lo, exec_lo, s25
	s_cbranch_execz .LBB51_490
.LBB51_2549:                            ;   in Loop: Header=BB51_17 Depth=1
	v_cmp_ne_u16_e32 vcc_lo, 0, v2
	v_mov_b32_e32 v0, 0
	s_and_not1_b32 s24, s24, exec_lo
	s_and_b32 s26, vcc_lo, exec_lo
	s_delay_alu instid0(SALU_CYCLE_1)
	s_or_b32 s24, s24, s26
	s_or_b32 exec_lo, exec_lo, s25
	s_and_saveexec_b32 s25, s24
	s_cbranch_execnz .LBB51_491
	s_branch .LBB51_492
.LBB51_2550:                            ;   in Loop: Header=BB51_17 Depth=1
	s_mov_b32 s41, exec_lo
                                        ; implicit-def: $vgpr0
	v_cmpx_lt_i16_e32 25, v18
	s_xor_b32 s41, exec_lo, s41
	s_cbranch_execz .LBB51_2582
; %bb.2551:                             ;   in Loop: Header=BB51_17 Depth=1
	s_mov_b32 s43, exec_lo
                                        ; implicit-def: $vgpr0
	v_cmpx_lt_i16_e32 28, v18
	s_xor_b32 s43, exec_lo, s43
	s_cbranch_execz .LBB51_2567
; %bb.2552:                             ;   in Loop: Header=BB51_17 Depth=1
	s_mov_b32 s44, 0
	s_mov_b32 s42, exec_lo
                                        ; implicit-def: $vgpr0
	v_cmpx_lt_i16_e32 43, v18
	s_xor_b32 s42, exec_lo, s42
	s_cbranch_execz .LBB51_2562
; %bb.2553:                             ;   in Loop: Header=BB51_17 Depth=1
	s_mov_b32 s45, exec_lo
                                        ; implicit-def: $vgpr0
	v_cmpx_lt_i16_e32 45, v18
	s_xor_b32 s45, exec_lo, s45
	s_cbranch_execz .LBB51_2557
; %bb.2554:                             ;   in Loop: Header=BB51_17 Depth=1
	s_mov_b32 s46, exec_lo
                                        ; implicit-def: $vgpr0
	v_cmpx_eq_u16_e32 46, v18
	s_cbranch_execz .LBB51_2556
; %bb.2555:                             ;   in Loop: Header=BB51_17 Depth=1
	flat_load_b32 v0, v[2:3]
	s_mov_b32 s44, exec_lo
	s_wait_loadcnt_dscnt 0x0
	v_lshlrev_b32_e32 v0, 16, v0
.LBB51_2556:                            ;   in Loop: Header=BB51_17 Depth=1
	s_wait_xcnt 0x0
	s_or_b32 exec_lo, exec_lo, s46
	s_delay_alu instid0(SALU_CYCLE_1)
	s_and_b32 s44, s44, exec_lo
                                        ; implicit-def: $vgpr18
                                        ; implicit-def: $vgpr2_vgpr3
.LBB51_2557:                            ;   in Loop: Header=BB51_17 Depth=1
	s_and_not1_saveexec_b32 s45, s45
	s_cbranch_execz .LBB51_2561
; %bb.2558:                             ;   in Loop: Header=BB51_17 Depth=1
	s_mov_b32 s47, s44
	s_mov_b32 s46, exec_lo
                                        ; implicit-def: $vgpr0
	v_cmpx_eq_u16_e32 44, v18
	s_cbranch_execz .LBB51_2560
; %bb.2559:                             ;   in Loop: Header=BB51_17 Depth=1
	flat_load_u8 v0, v[2:3]
	s_or_b32 s47, s44, exec_lo
	s_wait_loadcnt_dscnt 0x0
	v_lshlrev_b32_e32 v2, 23, v0
	v_cmp_ne_u32_e32 vcc_lo, 0xff, v0
	s_delay_alu instid0(VALU_DEP_2) | instskip(SKIP_1) | instid1(VALU_DEP_2)
	v_cndmask_b32_e32 v2, 0x7f800001, v2, vcc_lo
	v_cmp_ne_u32_e32 vcc_lo, 0, v0
	v_cndmask_b32_e32 v0, 0x400000, v2, vcc_lo
.LBB51_2560:                            ;   in Loop: Header=BB51_17 Depth=1
	s_or_b32 exec_lo, exec_lo, s46
	s_delay_alu instid0(SALU_CYCLE_1) | instskip(SKIP_1) | instid1(SALU_CYCLE_1)
	s_and_not1_b32 s44, s44, exec_lo
	s_and_b32 s46, s47, exec_lo
	s_or_b32 s44, s44, s46
.LBB51_2561:                            ;   in Loop: Header=BB51_17 Depth=1
	s_or_b32 exec_lo, exec_lo, s45
	s_delay_alu instid0(SALU_CYCLE_1)
	s_and_b32 s44, s44, exec_lo
                                        ; implicit-def: $vgpr18
                                        ; implicit-def: $vgpr2_vgpr3
.LBB51_2562:                            ;   in Loop: Header=BB51_17 Depth=1
	s_and_not1_saveexec_b32 s42, s42
	s_cbranch_execz .LBB51_2566
; %bb.2563:                             ;   in Loop: Header=BB51_17 Depth=1
	s_mov_b32 s46, s44
	s_mov_b32 s45, exec_lo
                                        ; implicit-def: $vgpr0
	v_cmpx_eq_u16_e32 29, v18
	s_cbranch_execz .LBB51_2565
; %bb.2564:                             ;   in Loop: Header=BB51_17 Depth=1
	flat_load_b64 v[2:3], v[2:3]
	s_or_b32 s46, s44, exec_lo
	s_wait_loadcnt_dscnt 0x0
	v_clz_i32_u32_e32 v0, v3
	s_delay_alu instid0(VALU_DEP_1) | instskip(SKIP_1) | instid1(VALU_DEP_1)
	v_min_u32_e32 v0, 32, v0
	s_wait_xcnt 0x0
	v_lshlrev_b64_e32 v[2:3], v0, v[2:3]
	v_sub_nc_u32_e32 v0, 32, v0
	s_delay_alu instid0(VALU_DEP_2) | instskip(NEXT) | instid1(VALU_DEP_1)
	v_min_u32_e32 v2, 1, v2
	v_or_b32_e32 v2, v3, v2
	s_delay_alu instid0(VALU_DEP_1) | instskip(NEXT) | instid1(VALU_DEP_1)
	v_cvt_f32_u32_e32 v2, v2
	v_ldexp_f32 v0, v2, v0
.LBB51_2565:                            ;   in Loop: Header=BB51_17 Depth=1
	s_or_b32 exec_lo, exec_lo, s45
	s_delay_alu instid0(SALU_CYCLE_1) | instskip(SKIP_1) | instid1(SALU_CYCLE_1)
	s_and_not1_b32 s44, s44, exec_lo
	s_and_b32 s45, s46, exec_lo
	s_or_b32 s44, s44, s45
.LBB51_2566:                            ;   in Loop: Header=BB51_17 Depth=1
	s_or_b32 exec_lo, exec_lo, s42
	s_delay_alu instid0(SALU_CYCLE_1)
	s_and_b32 s42, s44, exec_lo
                                        ; implicit-def: $vgpr18
                                        ; implicit-def: $vgpr2_vgpr3
.LBB51_2567:                            ;   in Loop: Header=BB51_17 Depth=1
	s_and_not1_saveexec_b32 s43, s43
	s_cbranch_execz .LBB51_2581
; %bb.2568:                             ;   in Loop: Header=BB51_17 Depth=1
	s_mov_b32 s44, exec_lo
                                        ; implicit-def: $vgpr0
	v_cmpx_lt_i16_e32 26, v18
	s_xor_b32 s44, exec_lo, s44
	s_cbranch_execz .LBB51_2574
; %bb.2569:                             ;   in Loop: Header=BB51_17 Depth=1
	s_mov_b32 s45, exec_lo
                                        ; implicit-def: $vgpr0
	v_cmpx_lt_i16_e32 27, v18
	s_xor_b32 s45, exec_lo, s45
	s_cbranch_execz .LBB51_2571
; %bb.2570:                             ;   in Loop: Header=BB51_17 Depth=1
	flat_load_b32 v0, v[2:3]
                                        ; implicit-def: $vgpr2_vgpr3
	s_wait_loadcnt_dscnt 0x0
	v_cvt_f32_u32_e32 v0, v0
.LBB51_2571:                            ;   in Loop: Header=BB51_17 Depth=1
	s_wait_xcnt 0x0
	s_and_not1_saveexec_b32 s45, s45
	s_cbranch_execz .LBB51_2573
; %bb.2572:                             ;   in Loop: Header=BB51_17 Depth=1
	flat_load_u16 v0, v[2:3]
	s_wait_loadcnt_dscnt 0x0
	v_cvt_f32_u32_e32 v0, v0
.LBB51_2573:                            ;   in Loop: Header=BB51_17 Depth=1
	s_wait_xcnt 0x0
	s_or_b32 exec_lo, exec_lo, s45
                                        ; implicit-def: $vgpr2_vgpr3
.LBB51_2574:                            ;   in Loop: Header=BB51_17 Depth=1
	s_and_not1_saveexec_b32 s44, s44
	s_cbranch_execz .LBB51_2580
; %bb.2575:                             ;   in Loop: Header=BB51_17 Depth=1
	flat_load_u8 v2, v[2:3]
	s_mov_b32 s45, 0
	s_mov_b32 s46, exec_lo
	s_wait_loadcnt_dscnt 0x0
	v_cmpx_lt_i16_e32 0x7f, v2
	s_xor_b32 s46, exec_lo, s46
	s_cbranch_execnz .LBB51_3118
; %bb.2576:                             ;   in Loop: Header=BB51_17 Depth=1
	s_or_saveexec_b32 s46, s46
	v_mov_b32_e32 v0, 0x7f800001
	s_xor_b32 exec_lo, exec_lo, s46
	s_cbranch_execnz .LBB51_3121
.LBB51_2577:                            ;   in Loop: Header=BB51_17 Depth=1
	s_or_b32 exec_lo, exec_lo, s46
	s_and_saveexec_b32 s46, s45
	s_cbranch_execz .LBB51_2579
.LBB51_2578:                            ;   in Loop: Header=BB51_17 Depth=1
	v_and_b32_e32 v0, 0xffff, v2
	s_delay_alu instid0(VALU_DEP_1) | instskip(SKIP_1) | instid1(VALU_DEP_2)
	v_and_b32_e32 v3, 7, v0
	v_bfe_u32 v20, v0, 3, 4
	v_clz_i32_u32_e32 v18, v3
	s_delay_alu instid0(VALU_DEP_2) | instskip(NEXT) | instid1(VALU_DEP_2)
	v_cmp_eq_u32_e32 vcc_lo, 0, v20
	v_min_u32_e32 v18, 32, v18
	s_delay_alu instid0(VALU_DEP_1) | instskip(NEXT) | instid1(VALU_DEP_1)
	v_subrev_nc_u32_e32 v19, 28, v18
	v_dual_lshlrev_b32 v0, v19, v0 :: v_dual_sub_nc_u32 v18, 29, v18
	s_delay_alu instid0(VALU_DEP_1) | instskip(NEXT) | instid1(VALU_DEP_1)
	v_dual_lshlrev_b32 v2, 24, v2 :: v_dual_bitop2_b32 v0, 7, v0 bitop3:0x40
	v_dual_cndmask_b32 v0, v3, v0, vcc_lo :: v_dual_cndmask_b32 v18, v20, v18, vcc_lo
	s_delay_alu instid0(VALU_DEP_2) | instskip(NEXT) | instid1(VALU_DEP_2)
	v_and_b32_e32 v2, 0x80000000, v2
	v_lshlrev_b32_e32 v0, 20, v0
	s_delay_alu instid0(VALU_DEP_3) | instskip(NEXT) | instid1(VALU_DEP_1)
	v_lshl_add_u32 v3, v18, 23, 0x3b800000
	v_or3_b32 v0, v2, v3, v0
.LBB51_2579:                            ;   in Loop: Header=BB51_17 Depth=1
	s_or_b32 exec_lo, exec_lo, s46
.LBB51_2580:                            ;   in Loop: Header=BB51_17 Depth=1
	s_delay_alu instid0(SALU_CYCLE_1) | instskip(NEXT) | instid1(SALU_CYCLE_1)
	s_or_b32 exec_lo, exec_lo, s44
	s_or_b32 s42, s42, exec_lo
.LBB51_2581:                            ;   in Loop: Header=BB51_17 Depth=1
	s_or_b32 exec_lo, exec_lo, s43
	s_delay_alu instid0(SALU_CYCLE_1)
	s_and_b32 s42, s42, exec_lo
                                        ; implicit-def: $vgpr18
                                        ; implicit-def: $vgpr2_vgpr3
.LBB51_2582:                            ;   in Loop: Header=BB51_17 Depth=1
	s_and_not1_saveexec_b32 s41, s41
	s_cbranch_execz .LBB51_2608
; %bb.2583:                             ;   in Loop: Header=BB51_17 Depth=1
	s_mov_b32 s44, s42
	s_mov_b32 s43, exec_lo
                                        ; implicit-def: $vgpr0
	v_cmpx_lt_i16_e32 22, v18
	s_xor_b32 s43, exec_lo, s43
	s_cbranch_execz .LBB51_2597
; %bb.2584:                             ;   in Loop: Header=BB51_17 Depth=1
	s_mov_b32 s44, exec_lo
                                        ; implicit-def: $vgpr0
	v_cmpx_lt_i16_e32 23, v18
	s_xor_b32 s44, exec_lo, s44
	s_cbranch_execz .LBB51_2594
; %bb.2585:                             ;   in Loop: Header=BB51_17 Depth=1
	;; [unrolled: 6-line block ×3, first 2 shown]
	flat_load_u8 v2, v[2:3]
	s_mov_b32 s46, 0
	s_mov_b32 s47, exec_lo
	s_wait_loadcnt_dscnt 0x0
	v_cmpx_lt_i16_e32 0x7f, v2
	s_xor_b32 s47, exec_lo, s47
	s_cbranch_execnz .LBB51_3230
; %bb.2587:                             ;   in Loop: Header=BB51_17 Depth=1
	s_or_saveexec_b32 s47, s47
	v_mov_b32_e32 v0, 0x7f800001
	s_xor_b32 exec_lo, exec_lo, s47
	s_cbranch_execnz .LBB51_3233
.LBB51_2588:                            ;   in Loop: Header=BB51_17 Depth=1
	s_or_b32 exec_lo, exec_lo, s47
	s_and_saveexec_b32 s47, s46
	s_cbranch_execz .LBB51_2590
.LBB51_2589:                            ;   in Loop: Header=BB51_17 Depth=1
	v_and_b32_e32 v0, 0xffff, v2
	s_delay_alu instid0(VALU_DEP_1) | instskip(SKIP_1) | instid1(VALU_DEP_2)
	v_and_b32_e32 v3, 3, v0
	v_bfe_u32 v20, v0, 2, 5
	v_clz_i32_u32_e32 v18, v3
	s_delay_alu instid0(VALU_DEP_2) | instskip(NEXT) | instid1(VALU_DEP_2)
	v_cmp_eq_u32_e32 vcc_lo, 0, v20
	v_min_u32_e32 v18, 32, v18
	s_delay_alu instid0(VALU_DEP_1) | instskip(NEXT) | instid1(VALU_DEP_1)
	v_subrev_nc_u32_e32 v19, 29, v18
	v_dual_lshlrev_b32 v0, v19, v0 :: v_dual_sub_nc_u32 v18, 30, v18
	s_delay_alu instid0(VALU_DEP_1) | instskip(NEXT) | instid1(VALU_DEP_1)
	v_dual_lshlrev_b32 v2, 24, v2 :: v_dual_bitop2_b32 v0, 3, v0 bitop3:0x40
	v_dual_cndmask_b32 v0, v3, v0, vcc_lo :: v_dual_cndmask_b32 v18, v20, v18, vcc_lo
	s_delay_alu instid0(VALU_DEP_2) | instskip(NEXT) | instid1(VALU_DEP_2)
	v_and_b32_e32 v2, 0x80000000, v2
	v_lshlrev_b32_e32 v0, 21, v0
	s_delay_alu instid0(VALU_DEP_3) | instskip(NEXT) | instid1(VALU_DEP_1)
	v_lshl_add_u32 v3, v18, 23, 0x37800000
	v_or3_b32 v0, v2, v3, v0
.LBB51_2590:                            ;   in Loop: Header=BB51_17 Depth=1
	s_or_b32 exec_lo, exec_lo, s47
                                        ; implicit-def: $vgpr2_vgpr3
.LBB51_2591:                            ;   in Loop: Header=BB51_17 Depth=1
	s_and_not1_saveexec_b32 s45, s45
	s_cbranch_execz .LBB51_2593
; %bb.2592:                             ;   in Loop: Header=BB51_17 Depth=1
	flat_load_u8 v0, v[2:3]
	s_wait_loadcnt_dscnt 0x0
	v_lshlrev_b32_e32 v0, 24, v0
	s_wait_xcnt 0x0
	s_delay_alu instid0(VALU_DEP_1) | instskip(NEXT) | instid1(VALU_DEP_1)
	v_and_b32_e32 v2, 0x7f000000, v0
	v_clz_i32_u32_e32 v3, v2
	v_cmp_ne_u32_e32 vcc_lo, 0, v2
	v_add_nc_u32_e32 v19, 0x1000000, v2
	s_delay_alu instid0(VALU_DEP_3) | instskip(NEXT) | instid1(VALU_DEP_1)
	v_min_u32_e32 v3, 32, v3
	v_sub_nc_u32_e64 v3, v3, 4 clamp
	s_delay_alu instid0(VALU_DEP_1) | instskip(NEXT) | instid1(VALU_DEP_1)
	v_dual_lshlrev_b32 v18, v3, v2 :: v_dual_lshlrev_b32 v3, 23, v3
	v_lshrrev_b32_e32 v18, 4, v18
	s_delay_alu instid0(VALU_DEP_1) | instskip(SKIP_1) | instid1(VALU_DEP_2)
	v_sub_nc_u32_e32 v3, v18, v3
	v_ashrrev_i32_e32 v18, 8, v19
	v_add_nc_u32_e32 v3, 0x3c000000, v3
	s_delay_alu instid0(VALU_DEP_1) | instskip(NEXT) | instid1(VALU_DEP_1)
	v_and_or_b32 v3, 0x7f800000, v18, v3
	v_cndmask_b32_e32 v2, 0, v3, vcc_lo
	s_delay_alu instid0(VALU_DEP_1)
	v_and_or_b32 v0, 0x80000000, v0, v2
.LBB51_2593:                            ;   in Loop: Header=BB51_17 Depth=1
	s_or_b32 exec_lo, exec_lo, s45
                                        ; implicit-def: $vgpr2_vgpr3
.LBB51_2594:                            ;   in Loop: Header=BB51_17 Depth=1
	s_and_not1_saveexec_b32 s44, s44
	s_cbranch_execz .LBB51_2596
; %bb.2595:                             ;   in Loop: Header=BB51_17 Depth=1
	flat_load_u8 v0, v[2:3]
	s_wait_loadcnt_dscnt 0x0
	v_lshlrev_b32_e32 v2, 25, v0
	v_lshlrev_b16 v0, 8, v0
	s_delay_alu instid0(VALU_DEP_1) | instskip(SKIP_1) | instid1(VALU_DEP_2)
	v_and_or_b32 v18, 0x7f00, v0, 0.5
	v_bfe_i32 v0, v0, 0, 16
	v_add_f32_e32 v18, -0.5, v18
	v_lshrrev_b32_e32 v3, 4, v2
	v_cmp_gt_u32_e32 vcc_lo, 0x8000000, v2
	s_delay_alu instid0(VALU_DEP_2) | instskip(NEXT) | instid1(VALU_DEP_1)
	v_or_b32_e32 v3, 0x70000000, v3
	v_mul_f32_e32 v3, 0x7800000, v3
	s_delay_alu instid0(VALU_DEP_1) | instskip(NEXT) | instid1(VALU_DEP_1)
	v_cndmask_b32_e32 v2, v3, v18, vcc_lo
	v_and_or_b32 v0, 0x80000000, v0, v2
.LBB51_2596:                            ;   in Loop: Header=BB51_17 Depth=1
	s_or_b32 exec_lo, exec_lo, s44
	s_delay_alu instid0(SALU_CYCLE_1)
	s_or_b32 s44, s42, exec_lo
                                        ; implicit-def: $vgpr18
                                        ; implicit-def: $vgpr2_vgpr3
.LBB51_2597:                            ;   in Loop: Header=BB51_17 Depth=1
	s_and_not1_saveexec_b32 s43, s43
	s_cbranch_execz .LBB51_2607
; %bb.2598:                             ;   in Loop: Header=BB51_17 Depth=1
	s_mov_b32 s45, s44
	s_mov_b32 s46, exec_lo
                                        ; implicit-def: $vgpr0
	v_cmpx_lt_i16_e32 14, v18
	s_xor_b32 s46, exec_lo, s46
	s_cbranch_execz .LBB51_2602
; %bb.2599:                             ;   in Loop: Header=BB51_17 Depth=1
	s_mov_b32 s45, s44
	s_mov_b32 s47, exec_lo
                                        ; implicit-def: $vgpr0
	v_cmpx_eq_u16_e32 15, v18
	s_cbranch_execz .LBB51_2601
; %bb.2600:                             ;   in Loop: Header=BB51_17 Depth=1
	flat_load_u16 v0, v[2:3]
	s_or_b32 s45, s44, exec_lo
	s_wait_loadcnt_dscnt 0x0
	v_lshlrev_b32_e32 v0, 16, v0
.LBB51_2601:                            ;   in Loop: Header=BB51_17 Depth=1
	s_wait_xcnt 0x0
	s_or_b32 exec_lo, exec_lo, s47
	s_delay_alu instid0(SALU_CYCLE_1) | instskip(SKIP_1) | instid1(SALU_CYCLE_1)
	s_and_not1_b32 s47, s44, exec_lo
	s_and_b32 s45, s45, exec_lo
                                        ; implicit-def: $vgpr18
                                        ; implicit-def: $vgpr2_vgpr3
	s_or_b32 s45, s47, s45
.LBB51_2602:                            ;   in Loop: Header=BB51_17 Depth=1
	s_and_not1_saveexec_b32 s46, s46
	s_cbranch_execz .LBB51_2606
; %bb.2603:                             ;   in Loop: Header=BB51_17 Depth=1
	s_mov_b32 s47, s45
	s_mov_b32 s56, exec_lo
                                        ; implicit-def: $vgpr0
	v_cmpx_eq_u16_e32 11, v18
	s_cbranch_execz .LBB51_2605
; %bb.2604:                             ;   in Loop: Header=BB51_17 Depth=1
	flat_load_u8 v0, v[2:3]
	s_or_b32 s47, s45, exec_lo
	s_wait_loadcnt_dscnt 0x0
	v_cmp_ne_u16_e32 vcc_lo, 0, v0
	v_cndmask_b32_e64 v0, 0, 1.0, vcc_lo
.LBB51_2605:                            ;   in Loop: Header=BB51_17 Depth=1
	s_wait_xcnt 0x0
	s_or_b32 exec_lo, exec_lo, s56
	s_delay_alu instid0(SALU_CYCLE_1) | instskip(SKIP_1) | instid1(SALU_CYCLE_1)
	s_and_not1_b32 s45, s45, exec_lo
	s_and_b32 s47, s47, exec_lo
	s_or_b32 s45, s45, s47
.LBB51_2606:                            ;   in Loop: Header=BB51_17 Depth=1
	s_or_b32 exec_lo, exec_lo, s46
	s_delay_alu instid0(SALU_CYCLE_1) | instskip(SKIP_1) | instid1(SALU_CYCLE_1)
	s_and_not1_b32 s44, s44, exec_lo
	s_and_b32 s45, s45, exec_lo
	s_or_b32 s44, s44, s45
.LBB51_2607:                            ;   in Loop: Header=BB51_17 Depth=1
	s_or_b32 exec_lo, exec_lo, s43
	s_delay_alu instid0(SALU_CYCLE_1) | instskip(SKIP_1) | instid1(SALU_CYCLE_1)
	s_and_not1_b32 s42, s42, exec_lo
	s_and_b32 s43, s44, exec_lo
	s_or_b32 s42, s42, s43
.LBB51_2608:                            ;   in Loop: Header=BB51_17 Depth=1
	s_or_b32 exec_lo, exec_lo, s41
	s_delay_alu instid0(SALU_CYCLE_1)
	s_and_b32 s41, s42, exec_lo
                                        ; implicit-def: $vgpr18
                                        ; implicit-def: $vgpr2_vgpr3
	s_and_not1_saveexec_b32 s27, s27
	s_cbranch_execz .LBB51_900
.LBB51_2609:                            ;   in Loop: Header=BB51_17 Depth=1
	s_mov_b32 s42, exec_lo
                                        ; implicit-def: $vgpr0
	v_cmpx_lt_i16_e32 4, v18
	s_xor_b32 s42, exec_lo, s42
	s_cbranch_execz .LBB51_2631
; %bb.2610:                             ;   in Loop: Header=BB51_17 Depth=1
	s_mov_b32 s43, exec_lo
                                        ; implicit-def: $vgpr0
	v_cmpx_lt_i16_e32 7, v18
	s_xor_b32 s43, exec_lo, s43
	s_cbranch_execz .LBB51_2620
; %bb.2611:                             ;   in Loop: Header=BB51_17 Depth=1
	;; [unrolled: 6-line block ×4, first 2 shown]
	flat_load_b64 v[2:3], v[2:3]
	s_wait_loadcnt_dscnt 0x0
	v_cvt_f32_f64_e32 v0, v[2:3]
                                        ; implicit-def: $vgpr2_vgpr3
.LBB51_2614:                            ;   in Loop: Header=BB51_17 Depth=1
	s_wait_xcnt 0x0
	s_and_not1_saveexec_b32 s45, s45
	s_cbranch_execz .LBB51_2616
; %bb.2615:                             ;   in Loop: Header=BB51_17 Depth=1
	flat_load_b32 v0, v[2:3]
.LBB51_2616:                            ;   in Loop: Header=BB51_17 Depth=1
	s_wait_xcnt 0x0
	s_or_b32 exec_lo, exec_lo, s45
                                        ; implicit-def: $vgpr2_vgpr3
.LBB51_2617:                            ;   in Loop: Header=BB51_17 Depth=1
	s_and_not1_saveexec_b32 s44, s44
	s_cbranch_execz .LBB51_2619
; %bb.2618:                             ;   in Loop: Header=BB51_17 Depth=1
	s_wait_loadcnt_dscnt 0x0
	flat_load_b32 v0, v[2:3]
	s_wait_loadcnt_dscnt 0x0
	v_cvt_f32_f16_e32 v0, v0
.LBB51_2619:                            ;   in Loop: Header=BB51_17 Depth=1
	s_wait_xcnt 0x0
	s_or_b32 exec_lo, exec_lo, s44
                                        ; implicit-def: $vgpr2_vgpr3
                                        ; implicit-def: $vgpr18
.LBB51_2620:                            ;   in Loop: Header=BB51_17 Depth=1
	s_and_not1_saveexec_b32 s43, s43
	s_cbranch_execz .LBB51_2630
; %bb.2621:                             ;   in Loop: Header=BB51_17 Depth=1
	s_mov_b32 s44, exec_lo
                                        ; implicit-def: $vgpr0
	v_cmpx_lt_i16_e32 5, v18
	s_xor_b32 s44, exec_lo, s44
	s_cbranch_execz .LBB51_2627
; %bb.2622:                             ;   in Loop: Header=BB51_17 Depth=1
	s_mov_b32 s45, exec_lo
                                        ; implicit-def: $vgpr0
	v_cmpx_lt_i16_e32 6, v18
	s_xor_b32 s45, exec_lo, s45
	s_cbranch_execz .LBB51_2624
; %bb.2623:                             ;   in Loop: Header=BB51_17 Depth=1
	flat_load_b64 v[2:3], v[2:3]
	s_wait_loadcnt_dscnt 0x0
	v_cvt_f32_f64_e32 v0, v[2:3]
                                        ; implicit-def: $vgpr2_vgpr3
.LBB51_2624:                            ;   in Loop: Header=BB51_17 Depth=1
	s_wait_xcnt 0x0
	s_and_not1_saveexec_b32 s45, s45
	s_cbranch_execz .LBB51_2626
; %bb.2625:                             ;   in Loop: Header=BB51_17 Depth=1
	s_wait_loadcnt_dscnt 0x0
	flat_load_b32 v0, v[2:3]
.LBB51_2626:                            ;   in Loop: Header=BB51_17 Depth=1
	s_wait_xcnt 0x0
	s_or_b32 exec_lo, exec_lo, s45
                                        ; implicit-def: $vgpr2_vgpr3
.LBB51_2627:                            ;   in Loop: Header=BB51_17 Depth=1
	s_and_not1_saveexec_b32 s44, s44
	s_cbranch_execz .LBB51_2629
; %bb.2628:                             ;   in Loop: Header=BB51_17 Depth=1
	s_wait_loadcnt_dscnt 0x0
	flat_load_u16 v0, v[2:3]
	s_wait_loadcnt_dscnt 0x0
	v_cvt_f32_f16_e32 v0, v0
.LBB51_2629:                            ;   in Loop: Header=BB51_17 Depth=1
	s_wait_xcnt 0x0
	s_or_b32 exec_lo, exec_lo, s44
.LBB51_2630:                            ;   in Loop: Header=BB51_17 Depth=1
	s_delay_alu instid0(SALU_CYCLE_1)
	s_or_b32 exec_lo, exec_lo, s43
                                        ; implicit-def: $vgpr18
                                        ; implicit-def: $vgpr2_vgpr3
.LBB51_2631:                            ;   in Loop: Header=BB51_17 Depth=1
	s_and_not1_saveexec_b32 s42, s42
	s_cbranch_execz .LBB51_2649
; %bb.2632:                             ;   in Loop: Header=BB51_17 Depth=1
	s_mov_b32 s43, exec_lo
                                        ; implicit-def: $vgpr0
	v_cmpx_lt_i16_e32 1, v18
	s_xor_b32 s43, exec_lo, s43
	s_cbranch_execz .LBB51_2642
; %bb.2633:                             ;   in Loop: Header=BB51_17 Depth=1
	s_mov_b32 s44, exec_lo
                                        ; implicit-def: $vgpr0
	v_cmpx_lt_i16_e32 2, v18
	s_xor_b32 s44, exec_lo, s44
	;; [unrolled: 6-line block ×3, first 2 shown]
	s_cbranch_execz .LBB51_2636
; %bb.2635:                             ;   in Loop: Header=BB51_17 Depth=1
	flat_load_b64 v[2:3], v[2:3]
	s_wait_loadcnt_dscnt 0x0
	v_xor_b32_e32 v0, v2, v3
	v_cls_i32_e32 v18, v3
	s_delay_alu instid0(VALU_DEP_2) | instskip(NEXT) | instid1(VALU_DEP_1)
	v_ashrrev_i32_e32 v0, 31, v0
	v_add_nc_u32_e32 v0, 32, v0
	s_delay_alu instid0(VALU_DEP_1) | instskip(SKIP_1) | instid1(VALU_DEP_1)
	v_add_min_u32_e64 v0, v18, -1, v0
	s_wait_xcnt 0x0
	v_lshlrev_b64_e32 v[2:3], v0, v[2:3]
	v_sub_nc_u32_e32 v0, 32, v0
	s_delay_alu instid0(VALU_DEP_2) | instskip(NEXT) | instid1(VALU_DEP_1)
	v_min_u32_e32 v2, 1, v2
	v_or_b32_e32 v2, v3, v2
	s_delay_alu instid0(VALU_DEP_1) | instskip(NEXT) | instid1(VALU_DEP_1)
	v_cvt_f32_i32_e32 v2, v2
	v_ldexp_f32 v0, v2, v0
                                        ; implicit-def: $vgpr2_vgpr3
.LBB51_2636:                            ;   in Loop: Header=BB51_17 Depth=1
	s_and_not1_saveexec_b32 s45, s45
	s_cbranch_execz .LBB51_2638
; %bb.2637:                             ;   in Loop: Header=BB51_17 Depth=1
	s_wait_loadcnt_dscnt 0x0
	flat_load_b32 v0, v[2:3]
	s_wait_loadcnt_dscnt 0x0
	v_cvt_f32_i32_e32 v0, v0
.LBB51_2638:                            ;   in Loop: Header=BB51_17 Depth=1
	s_wait_xcnt 0x0
	s_or_b32 exec_lo, exec_lo, s45
                                        ; implicit-def: $vgpr2_vgpr3
.LBB51_2639:                            ;   in Loop: Header=BB51_17 Depth=1
	s_and_not1_saveexec_b32 s44, s44
	s_cbranch_execz .LBB51_2641
; %bb.2640:                             ;   in Loop: Header=BB51_17 Depth=1
	s_wait_loadcnt_dscnt 0x0
	flat_load_i16 v0, v[2:3]
	s_wait_loadcnt_dscnt 0x0
	v_cvt_f32_i32_e32 v0, v0
.LBB51_2641:                            ;   in Loop: Header=BB51_17 Depth=1
	s_wait_xcnt 0x0
	s_or_b32 exec_lo, exec_lo, s44
                                        ; implicit-def: $vgpr2_vgpr3
                                        ; implicit-def: $vgpr18
.LBB51_2642:                            ;   in Loop: Header=BB51_17 Depth=1
	s_and_not1_saveexec_b32 s43, s43
	s_cbranch_execz .LBB51_2648
; %bb.2643:                             ;   in Loop: Header=BB51_17 Depth=1
	s_mov_b32 s44, exec_lo
                                        ; implicit-def: $vgpr0
	v_cmpx_lt_i16_e32 0, v18
	s_xor_b32 s44, exec_lo, s44
	s_cbranch_execz .LBB51_2645
; %bb.2644:                             ;   in Loop: Header=BB51_17 Depth=1
	s_wait_loadcnt_dscnt 0x0
	flat_load_i8 v0, v[2:3]
                                        ; implicit-def: $vgpr2_vgpr3
	s_wait_loadcnt_dscnt 0x0
	v_cvt_f32_i32_e32 v0, v0
.LBB51_2645:                            ;   in Loop: Header=BB51_17 Depth=1
	s_wait_xcnt 0x0
	s_and_not1_saveexec_b32 s44, s44
	s_cbranch_execz .LBB51_2647
; %bb.2646:                             ;   in Loop: Header=BB51_17 Depth=1
	s_wait_loadcnt_dscnt 0x0
	flat_load_u8 v0, v[2:3]
	s_wait_loadcnt_dscnt 0x0
	v_cvt_f32_ubyte0_e32 v0, v0
.LBB51_2647:                            ;   in Loop: Header=BB51_17 Depth=1
	s_wait_xcnt 0x0
	s_or_b32 exec_lo, exec_lo, s44
.LBB51_2648:                            ;   in Loop: Header=BB51_17 Depth=1
	s_delay_alu instid0(SALU_CYCLE_1)
	s_or_b32 exec_lo, exec_lo, s43
.LBB51_2649:                            ;   in Loop: Header=BB51_17 Depth=1
	s_delay_alu instid0(SALU_CYCLE_1) | instskip(NEXT) | instid1(SALU_CYCLE_1)
	s_or_b32 exec_lo, exec_lo, s42
	s_or_b32 s41, s41, exec_lo
	s_or_b32 exec_lo, exec_lo, s27
	s_mov_b32 s42, 0
	s_and_saveexec_b32 s27, s41
	s_cbranch_execnz .LBB51_901
	s_branch .LBB51_902
.LBB51_2650:                            ;   in Loop: Header=BB51_17 Depth=1
	s_mov_b32 s21, -1
	s_mov_b32 s23, exec_lo
	v_cmpx_eq_u16_e32 0x80, v2
; %bb.2651:                             ;   in Loop: Header=BB51_17 Depth=1
	s_xor_b32 s21, exec_lo, -1
; %bb.2652:                             ;   in Loop: Header=BB51_17 Depth=1
	s_or_b32 exec_lo, exec_lo, s23
	s_delay_alu instid0(SALU_CYCLE_1)
	s_and_b32 s21, s21, exec_lo
	s_or_saveexec_b32 s22, s22
	v_mov_b32_e32 v0, 0x7f800001
	s_xor_b32 exec_lo, exec_lo, s22
	s_cbranch_execz .LBB51_2032
.LBB51_2653:                            ;   in Loop: Header=BB51_17 Depth=1
	v_cmp_ne_u16_e32 vcc_lo, 0, v2
	v_mov_b32_e32 v0, 0
	s_and_not1_b32 s21, s21, exec_lo
	s_and_b32 s23, vcc_lo, exec_lo
	s_delay_alu instid0(SALU_CYCLE_1)
	s_or_b32 s21, s21, s23
	s_or_b32 exec_lo, exec_lo, s22
	s_and_saveexec_b32 s22, s21
	s_cbranch_execnz .LBB51_2033
	s_branch .LBB51_2034
.LBB51_2654:                            ;   in Loop: Header=BB51_17 Depth=1
	s_mov_b32 s23, -1
	s_mov_b32 s25, exec_lo
	v_cmpx_eq_u16_e32 0x80, v2
; %bb.2655:                             ;   in Loop: Header=BB51_17 Depth=1
	s_xor_b32 s23, exec_lo, -1
; %bb.2656:                             ;   in Loop: Header=BB51_17 Depth=1
	s_or_b32 exec_lo, exec_lo, s25
	s_delay_alu instid0(SALU_CYCLE_1)
	s_and_b32 s23, s23, exec_lo
	s_or_saveexec_b32 s24, s24
	v_mov_b32_e32 v0, 0x7f800001
	s_xor_b32 exec_lo, exec_lo, s24
	s_cbranch_execz .LBB51_2125
.LBB51_2657:                            ;   in Loop: Header=BB51_17 Depth=1
	v_cmp_ne_u16_e32 vcc_lo, 0, v2
	v_mov_b32_e32 v0, 0
	s_and_not1_b32 s23, s23, exec_lo
	s_and_b32 s25, vcc_lo, exec_lo
	s_delay_alu instid0(SALU_CYCLE_1)
	s_or_b32 s23, s23, s25
	s_or_b32 exec_lo, exec_lo, s24
	s_and_saveexec_b32 s24, s23
	s_cbranch_execnz .LBB51_2126
	s_branch .LBB51_2127
.LBB51_2658:                            ;   in Loop: Header=BB51_17 Depth=1
	s_mov_b32 s25, -1
	s_mov_b32 s27, exec_lo
	v_cmpx_eq_u16_e32 0x80, v2
; %bb.2659:                             ;   in Loop: Header=BB51_17 Depth=1
	s_xor_b32 s25, exec_lo, -1
; %bb.2660:                             ;   in Loop: Header=BB51_17 Depth=1
	s_or_b32 exec_lo, exec_lo, s27
	s_delay_alu instid0(SALU_CYCLE_1)
	s_and_b32 s25, s25, exec_lo
	s_or_saveexec_b32 s26, s26
	v_mov_b32_e32 v0, 0x7f800001
	s_xor_b32 exec_lo, exec_lo, s26
	s_cbranch_execz .LBB51_501
.LBB51_2661:                            ;   in Loop: Header=BB51_17 Depth=1
	v_cmp_ne_u16_e32 vcc_lo, 0, v2
	v_mov_b32_e32 v0, 0
	s_and_not1_b32 s25, s25, exec_lo
	s_and_b32 s27, vcc_lo, exec_lo
	s_delay_alu instid0(SALU_CYCLE_1)
	s_or_b32 s25, s25, s27
	s_or_b32 exec_lo, exec_lo, s26
	s_and_saveexec_b32 s26, s25
	s_cbranch_execnz .LBB51_502
	s_branch .LBB51_503
.LBB51_2662:                            ;   in Loop: Header=BB51_17 Depth=1
	s_mov_b32 s27, -1
	s_mov_b32 s29, exec_lo
	v_cmpx_eq_u16_e32 0x80, v2
; %bb.2663:                             ;   in Loop: Header=BB51_17 Depth=1
	s_xor_b32 s27, exec_lo, -1
; %bb.2664:                             ;   in Loop: Header=BB51_17 Depth=1
	s_or_b32 exec_lo, exec_lo, s29
	s_delay_alu instid0(SALU_CYCLE_1)
	s_and_b32 s27, s27, exec_lo
	s_or_saveexec_b32 s28, s28
	v_mov_b32_e32 v0, 0x7f800001
	s_xor_b32 exec_lo, exec_lo, s28
	s_cbranch_execz .LBB51_601
.LBB51_2665:                            ;   in Loop: Header=BB51_17 Depth=1
	v_cmp_ne_u16_e32 vcc_lo, 0, v2
	v_mov_b32_e32 v0, 0
	s_and_not1_b32 s27, s27, exec_lo
	s_and_b32 s29, vcc_lo, exec_lo
	s_delay_alu instid0(SALU_CYCLE_1)
	s_or_b32 s27, s27, s29
	s_or_b32 exec_lo, exec_lo, s28
	s_and_saveexec_b32 s28, s27
	s_cbranch_execnz .LBB51_602
	s_branch .LBB51_603
.LBB51_2666:                            ;   in Loop: Header=BB51_17 Depth=1
	s_mov_b32 s44, exec_lo
                                        ; implicit-def: $vgpr0
	v_cmpx_lt_i16_e32 25, v18
	s_xor_b32 s44, exec_lo, s44
	s_cbranch_execz .LBB51_2698
; %bb.2667:                             ;   in Loop: Header=BB51_17 Depth=1
	s_mov_b32 s46, exec_lo
                                        ; implicit-def: $vgpr0
	v_cmpx_lt_i16_e32 28, v18
	s_xor_b32 s46, exec_lo, s46
	s_cbranch_execz .LBB51_2683
; %bb.2668:                             ;   in Loop: Header=BB51_17 Depth=1
	s_mov_b32 s47, 0
	s_mov_b32 s45, exec_lo
                                        ; implicit-def: $vgpr0
	v_cmpx_lt_i16_e32 43, v18
	s_xor_b32 s45, exec_lo, s45
	s_cbranch_execz .LBB51_2678
; %bb.2669:                             ;   in Loop: Header=BB51_17 Depth=1
	s_mov_b32 s56, exec_lo
                                        ; implicit-def: $vgpr0
	v_cmpx_lt_i16_e32 45, v18
	s_xor_b32 s56, exec_lo, s56
	s_cbranch_execz .LBB51_2673
; %bb.2670:                             ;   in Loop: Header=BB51_17 Depth=1
	s_mov_b32 s57, exec_lo
                                        ; implicit-def: $vgpr0
	v_cmpx_eq_u16_e32 46, v18
	s_cbranch_execz .LBB51_2672
; %bb.2671:                             ;   in Loop: Header=BB51_17 Depth=1
	flat_load_b32 v0, v[2:3]
	s_mov_b32 s47, exec_lo
	s_wait_loadcnt_dscnt 0x0
	v_lshlrev_b32_e32 v0, 16, v0
.LBB51_2672:                            ;   in Loop: Header=BB51_17 Depth=1
	s_wait_xcnt 0x0
	s_or_b32 exec_lo, exec_lo, s57
	s_delay_alu instid0(SALU_CYCLE_1)
	s_and_b32 s47, s47, exec_lo
                                        ; implicit-def: $vgpr18
                                        ; implicit-def: $vgpr2_vgpr3
.LBB51_2673:                            ;   in Loop: Header=BB51_17 Depth=1
	s_and_not1_saveexec_b32 s56, s56
	s_cbranch_execz .LBB51_2677
; %bb.2674:                             ;   in Loop: Header=BB51_17 Depth=1
	s_mov_b32 s58, s47
	s_mov_b32 s57, exec_lo
                                        ; implicit-def: $vgpr0
	v_cmpx_eq_u16_e32 44, v18
	s_cbranch_execz .LBB51_2676
; %bb.2675:                             ;   in Loop: Header=BB51_17 Depth=1
	flat_load_u8 v0, v[2:3]
	s_or_b32 s58, s47, exec_lo
	s_wait_loadcnt_dscnt 0x0
	v_lshlrev_b32_e32 v2, 23, v0
	v_cmp_ne_u32_e32 vcc_lo, 0xff, v0
	s_delay_alu instid0(VALU_DEP_2) | instskip(SKIP_1) | instid1(VALU_DEP_2)
	v_cndmask_b32_e32 v2, 0x7f800001, v2, vcc_lo
	v_cmp_ne_u32_e32 vcc_lo, 0, v0
	v_cndmask_b32_e32 v0, 0x400000, v2, vcc_lo
.LBB51_2676:                            ;   in Loop: Header=BB51_17 Depth=1
	s_or_b32 exec_lo, exec_lo, s57
	s_delay_alu instid0(SALU_CYCLE_1) | instskip(SKIP_1) | instid1(SALU_CYCLE_1)
	s_and_not1_b32 s47, s47, exec_lo
	s_and_b32 s57, s58, exec_lo
	s_or_b32 s47, s47, s57
.LBB51_2677:                            ;   in Loop: Header=BB51_17 Depth=1
	s_or_b32 exec_lo, exec_lo, s56
	s_delay_alu instid0(SALU_CYCLE_1)
	s_and_b32 s47, s47, exec_lo
                                        ; implicit-def: $vgpr18
                                        ; implicit-def: $vgpr2_vgpr3
.LBB51_2678:                            ;   in Loop: Header=BB51_17 Depth=1
	s_and_not1_saveexec_b32 s45, s45
	s_cbranch_execz .LBB51_2682
; %bb.2679:                             ;   in Loop: Header=BB51_17 Depth=1
	s_mov_b32 s57, s47
	s_mov_b32 s56, exec_lo
                                        ; implicit-def: $vgpr0
	v_cmpx_eq_u16_e32 29, v18
	s_cbranch_execz .LBB51_2681
; %bb.2680:                             ;   in Loop: Header=BB51_17 Depth=1
	flat_load_b64 v[2:3], v[2:3]
	s_or_b32 s57, s47, exec_lo
	s_wait_loadcnt_dscnt 0x0
	v_clz_i32_u32_e32 v0, v3
	s_delay_alu instid0(VALU_DEP_1) | instskip(SKIP_1) | instid1(VALU_DEP_1)
	v_min_u32_e32 v0, 32, v0
	s_wait_xcnt 0x0
	v_lshlrev_b64_e32 v[2:3], v0, v[2:3]
	v_sub_nc_u32_e32 v0, 32, v0
	s_delay_alu instid0(VALU_DEP_2) | instskip(NEXT) | instid1(VALU_DEP_1)
	v_min_u32_e32 v2, 1, v2
	v_or_b32_e32 v2, v3, v2
	s_delay_alu instid0(VALU_DEP_1) | instskip(NEXT) | instid1(VALU_DEP_1)
	v_cvt_f32_u32_e32 v2, v2
	v_ldexp_f32 v0, v2, v0
.LBB51_2681:                            ;   in Loop: Header=BB51_17 Depth=1
	s_or_b32 exec_lo, exec_lo, s56
	s_delay_alu instid0(SALU_CYCLE_1) | instskip(SKIP_1) | instid1(SALU_CYCLE_1)
	s_and_not1_b32 s47, s47, exec_lo
	s_and_b32 s56, s57, exec_lo
	s_or_b32 s47, s47, s56
.LBB51_2682:                            ;   in Loop: Header=BB51_17 Depth=1
	s_or_b32 exec_lo, exec_lo, s45
	s_delay_alu instid0(SALU_CYCLE_1)
	s_and_b32 s45, s47, exec_lo
                                        ; implicit-def: $vgpr18
                                        ; implicit-def: $vgpr2_vgpr3
.LBB51_2683:                            ;   in Loop: Header=BB51_17 Depth=1
	s_and_not1_saveexec_b32 s46, s46
	s_cbranch_execz .LBB51_2697
; %bb.2684:                             ;   in Loop: Header=BB51_17 Depth=1
	s_mov_b32 s47, exec_lo
                                        ; implicit-def: $vgpr0
	v_cmpx_lt_i16_e32 26, v18
	s_xor_b32 s47, exec_lo, s47
	s_cbranch_execz .LBB51_2690
; %bb.2685:                             ;   in Loop: Header=BB51_17 Depth=1
	s_mov_b32 s56, exec_lo
                                        ; implicit-def: $vgpr0
	v_cmpx_lt_i16_e32 27, v18
	s_xor_b32 s56, exec_lo, s56
	s_cbranch_execz .LBB51_2687
; %bb.2686:                             ;   in Loop: Header=BB51_17 Depth=1
	flat_load_b32 v0, v[2:3]
                                        ; implicit-def: $vgpr2_vgpr3
	s_wait_loadcnt_dscnt 0x0
	v_cvt_f32_u32_e32 v0, v0
.LBB51_2687:                            ;   in Loop: Header=BB51_17 Depth=1
	s_wait_xcnt 0x0
	s_and_not1_saveexec_b32 s56, s56
	s_cbranch_execz .LBB51_2689
; %bb.2688:                             ;   in Loop: Header=BB51_17 Depth=1
	flat_load_u16 v0, v[2:3]
	s_wait_loadcnt_dscnt 0x0
	v_cvt_f32_u32_e32 v0, v0
.LBB51_2689:                            ;   in Loop: Header=BB51_17 Depth=1
	s_wait_xcnt 0x0
	s_or_b32 exec_lo, exec_lo, s56
                                        ; implicit-def: $vgpr2_vgpr3
.LBB51_2690:                            ;   in Loop: Header=BB51_17 Depth=1
	s_and_not1_saveexec_b32 s47, s47
	s_cbranch_execz .LBB51_2696
; %bb.2691:                             ;   in Loop: Header=BB51_17 Depth=1
	flat_load_u8 v2, v[2:3]
	s_mov_b32 s56, 0
	s_mov_b32 s57, exec_lo
	s_wait_loadcnt_dscnt 0x0
	v_cmpx_lt_i16_e32 0x7f, v2
	s_xor_b32 s57, exec_lo, s57
	s_cbranch_execnz .LBB51_3234
; %bb.2692:                             ;   in Loop: Header=BB51_17 Depth=1
	s_or_saveexec_b32 s57, s57
	v_mov_b32_e32 v0, 0x7f800001
	s_xor_b32 exec_lo, exec_lo, s57
	s_cbranch_execnz .LBB51_3237
.LBB51_2693:                            ;   in Loop: Header=BB51_17 Depth=1
	s_or_b32 exec_lo, exec_lo, s57
	s_and_saveexec_b32 s57, s56
	s_cbranch_execz .LBB51_2695
.LBB51_2694:                            ;   in Loop: Header=BB51_17 Depth=1
	v_and_b32_e32 v0, 0xffff, v2
	s_delay_alu instid0(VALU_DEP_1) | instskip(SKIP_1) | instid1(VALU_DEP_2)
	v_and_b32_e32 v3, 7, v0
	v_bfe_u32 v20, v0, 3, 4
	v_clz_i32_u32_e32 v18, v3
	s_delay_alu instid0(VALU_DEP_2) | instskip(NEXT) | instid1(VALU_DEP_2)
	v_cmp_eq_u32_e32 vcc_lo, 0, v20
	v_min_u32_e32 v18, 32, v18
	s_delay_alu instid0(VALU_DEP_1) | instskip(NEXT) | instid1(VALU_DEP_1)
	v_subrev_nc_u32_e32 v19, 28, v18
	v_dual_lshlrev_b32 v0, v19, v0 :: v_dual_sub_nc_u32 v18, 29, v18
	s_delay_alu instid0(VALU_DEP_1) | instskip(NEXT) | instid1(VALU_DEP_1)
	v_dual_lshlrev_b32 v2, 24, v2 :: v_dual_bitop2_b32 v0, 7, v0 bitop3:0x40
	v_dual_cndmask_b32 v0, v3, v0, vcc_lo :: v_dual_cndmask_b32 v18, v20, v18, vcc_lo
	s_delay_alu instid0(VALU_DEP_2) | instskip(NEXT) | instid1(VALU_DEP_2)
	v_and_b32_e32 v2, 0x80000000, v2
	v_lshlrev_b32_e32 v0, 20, v0
	s_delay_alu instid0(VALU_DEP_3) | instskip(NEXT) | instid1(VALU_DEP_1)
	v_lshl_add_u32 v3, v18, 23, 0x3b800000
	v_or3_b32 v0, v2, v3, v0
.LBB51_2695:                            ;   in Loop: Header=BB51_17 Depth=1
	s_or_b32 exec_lo, exec_lo, s57
.LBB51_2696:                            ;   in Loop: Header=BB51_17 Depth=1
	s_delay_alu instid0(SALU_CYCLE_1) | instskip(NEXT) | instid1(SALU_CYCLE_1)
	s_or_b32 exec_lo, exec_lo, s47
	s_or_b32 s45, s45, exec_lo
.LBB51_2697:                            ;   in Loop: Header=BB51_17 Depth=1
	s_or_b32 exec_lo, exec_lo, s46
	s_delay_alu instid0(SALU_CYCLE_1)
	s_and_b32 s45, s45, exec_lo
                                        ; implicit-def: $vgpr18
                                        ; implicit-def: $vgpr2_vgpr3
.LBB51_2698:                            ;   in Loop: Header=BB51_17 Depth=1
	s_and_not1_saveexec_b32 s44, s44
	s_cbranch_execz .LBB51_2724
; %bb.2699:                             ;   in Loop: Header=BB51_17 Depth=1
	s_mov_b32 s47, s45
	s_mov_b32 s46, exec_lo
                                        ; implicit-def: $vgpr0
	v_cmpx_lt_i16_e32 22, v18
	s_xor_b32 s46, exec_lo, s46
	s_cbranch_execz .LBB51_2713
; %bb.2700:                             ;   in Loop: Header=BB51_17 Depth=1
	s_mov_b32 s47, exec_lo
                                        ; implicit-def: $vgpr0
	v_cmpx_lt_i16_e32 23, v18
	s_xor_b32 s47, exec_lo, s47
	s_cbranch_execz .LBB51_2710
; %bb.2701:                             ;   in Loop: Header=BB51_17 Depth=1
	;; [unrolled: 6-line block ×3, first 2 shown]
	flat_load_u8 v2, v[2:3]
	s_mov_b32 s57, 0
	s_mov_b32 s58, exec_lo
	s_wait_loadcnt_dscnt 0x0
	v_cmpx_lt_i16_e32 0x7f, v2
	s_xor_b32 s58, exec_lo, s58
	s_cbranch_execnz .LBB51_3346
; %bb.2703:                             ;   in Loop: Header=BB51_17 Depth=1
	s_or_saveexec_b32 s58, s58
	v_mov_b32_e32 v0, 0x7f800001
	s_xor_b32 exec_lo, exec_lo, s58
	s_cbranch_execnz .LBB51_3349
.LBB51_2704:                            ;   in Loop: Header=BB51_17 Depth=1
	s_or_b32 exec_lo, exec_lo, s58
	s_and_saveexec_b32 s58, s57
	s_cbranch_execz .LBB51_2706
.LBB51_2705:                            ;   in Loop: Header=BB51_17 Depth=1
	v_and_b32_e32 v0, 0xffff, v2
	s_delay_alu instid0(VALU_DEP_1) | instskip(SKIP_1) | instid1(VALU_DEP_2)
	v_and_b32_e32 v3, 3, v0
	v_bfe_u32 v20, v0, 2, 5
	v_clz_i32_u32_e32 v18, v3
	s_delay_alu instid0(VALU_DEP_2) | instskip(NEXT) | instid1(VALU_DEP_2)
	v_cmp_eq_u32_e32 vcc_lo, 0, v20
	v_min_u32_e32 v18, 32, v18
	s_delay_alu instid0(VALU_DEP_1) | instskip(NEXT) | instid1(VALU_DEP_1)
	v_subrev_nc_u32_e32 v19, 29, v18
	v_dual_lshlrev_b32 v0, v19, v0 :: v_dual_sub_nc_u32 v18, 30, v18
	s_delay_alu instid0(VALU_DEP_1) | instskip(NEXT) | instid1(VALU_DEP_1)
	v_dual_lshlrev_b32 v2, 24, v2 :: v_dual_bitop2_b32 v0, 3, v0 bitop3:0x40
	v_dual_cndmask_b32 v0, v3, v0, vcc_lo :: v_dual_cndmask_b32 v18, v20, v18, vcc_lo
	s_delay_alu instid0(VALU_DEP_2) | instskip(NEXT) | instid1(VALU_DEP_2)
	v_and_b32_e32 v2, 0x80000000, v2
	v_lshlrev_b32_e32 v0, 21, v0
	s_delay_alu instid0(VALU_DEP_3) | instskip(NEXT) | instid1(VALU_DEP_1)
	v_lshl_add_u32 v3, v18, 23, 0x37800000
	v_or3_b32 v0, v2, v3, v0
.LBB51_2706:                            ;   in Loop: Header=BB51_17 Depth=1
	s_or_b32 exec_lo, exec_lo, s58
                                        ; implicit-def: $vgpr2_vgpr3
.LBB51_2707:                            ;   in Loop: Header=BB51_17 Depth=1
	s_and_not1_saveexec_b32 s56, s56
	s_cbranch_execz .LBB51_2709
; %bb.2708:                             ;   in Loop: Header=BB51_17 Depth=1
	flat_load_u8 v0, v[2:3]
	s_wait_loadcnt_dscnt 0x0
	v_lshlrev_b32_e32 v0, 24, v0
	s_wait_xcnt 0x0
	s_delay_alu instid0(VALU_DEP_1) | instskip(NEXT) | instid1(VALU_DEP_1)
	v_and_b32_e32 v2, 0x7f000000, v0
	v_clz_i32_u32_e32 v3, v2
	v_cmp_ne_u32_e32 vcc_lo, 0, v2
	v_add_nc_u32_e32 v19, 0x1000000, v2
	s_delay_alu instid0(VALU_DEP_3) | instskip(NEXT) | instid1(VALU_DEP_1)
	v_min_u32_e32 v3, 32, v3
	v_sub_nc_u32_e64 v3, v3, 4 clamp
	s_delay_alu instid0(VALU_DEP_1) | instskip(NEXT) | instid1(VALU_DEP_1)
	v_dual_lshlrev_b32 v18, v3, v2 :: v_dual_lshlrev_b32 v3, 23, v3
	v_lshrrev_b32_e32 v18, 4, v18
	s_delay_alu instid0(VALU_DEP_1) | instskip(SKIP_1) | instid1(VALU_DEP_2)
	v_sub_nc_u32_e32 v3, v18, v3
	v_ashrrev_i32_e32 v18, 8, v19
	v_add_nc_u32_e32 v3, 0x3c000000, v3
	s_delay_alu instid0(VALU_DEP_1) | instskip(NEXT) | instid1(VALU_DEP_1)
	v_and_or_b32 v3, 0x7f800000, v18, v3
	v_cndmask_b32_e32 v2, 0, v3, vcc_lo
	s_delay_alu instid0(VALU_DEP_1)
	v_and_or_b32 v0, 0x80000000, v0, v2
.LBB51_2709:                            ;   in Loop: Header=BB51_17 Depth=1
	s_or_b32 exec_lo, exec_lo, s56
                                        ; implicit-def: $vgpr2_vgpr3
.LBB51_2710:                            ;   in Loop: Header=BB51_17 Depth=1
	s_and_not1_saveexec_b32 s47, s47
	s_cbranch_execz .LBB51_2712
; %bb.2711:                             ;   in Loop: Header=BB51_17 Depth=1
	flat_load_u8 v0, v[2:3]
	s_wait_loadcnt_dscnt 0x0
	v_lshlrev_b32_e32 v2, 25, v0
	v_lshlrev_b16 v0, 8, v0
	s_delay_alu instid0(VALU_DEP_1) | instskip(SKIP_1) | instid1(VALU_DEP_2)
	v_and_or_b32 v18, 0x7f00, v0, 0.5
	v_bfe_i32 v0, v0, 0, 16
	v_add_f32_e32 v18, -0.5, v18
	v_lshrrev_b32_e32 v3, 4, v2
	v_cmp_gt_u32_e32 vcc_lo, 0x8000000, v2
	s_delay_alu instid0(VALU_DEP_2) | instskip(NEXT) | instid1(VALU_DEP_1)
	v_or_b32_e32 v3, 0x70000000, v3
	v_mul_f32_e32 v3, 0x7800000, v3
	s_delay_alu instid0(VALU_DEP_1) | instskip(NEXT) | instid1(VALU_DEP_1)
	v_cndmask_b32_e32 v2, v3, v18, vcc_lo
	v_and_or_b32 v0, 0x80000000, v0, v2
.LBB51_2712:                            ;   in Loop: Header=BB51_17 Depth=1
	s_or_b32 exec_lo, exec_lo, s47
	s_delay_alu instid0(SALU_CYCLE_1)
	s_or_b32 s47, s45, exec_lo
                                        ; implicit-def: $vgpr18
                                        ; implicit-def: $vgpr2_vgpr3
.LBB51_2713:                            ;   in Loop: Header=BB51_17 Depth=1
	s_and_not1_saveexec_b32 s46, s46
	s_cbranch_execz .LBB51_2723
; %bb.2714:                             ;   in Loop: Header=BB51_17 Depth=1
	s_mov_b32 s56, s47
	s_mov_b32 s57, exec_lo
                                        ; implicit-def: $vgpr0
	v_cmpx_lt_i16_e32 14, v18
	s_xor_b32 s57, exec_lo, s57
	s_cbranch_execz .LBB51_2718
; %bb.2715:                             ;   in Loop: Header=BB51_17 Depth=1
	s_mov_b32 s56, s47
	s_mov_b32 s58, exec_lo
                                        ; implicit-def: $vgpr0
	v_cmpx_eq_u16_e32 15, v18
	s_cbranch_execz .LBB51_2717
; %bb.2716:                             ;   in Loop: Header=BB51_17 Depth=1
	flat_load_u16 v0, v[2:3]
	s_or_b32 s56, s47, exec_lo
	s_wait_loadcnt_dscnt 0x0
	v_lshlrev_b32_e32 v0, 16, v0
.LBB51_2717:                            ;   in Loop: Header=BB51_17 Depth=1
	s_wait_xcnt 0x0
	s_or_b32 exec_lo, exec_lo, s58
	s_delay_alu instid0(SALU_CYCLE_1) | instskip(SKIP_1) | instid1(SALU_CYCLE_1)
	s_and_not1_b32 s58, s47, exec_lo
	s_and_b32 s56, s56, exec_lo
                                        ; implicit-def: $vgpr18
                                        ; implicit-def: $vgpr2_vgpr3
	s_or_b32 s56, s58, s56
.LBB51_2718:                            ;   in Loop: Header=BB51_17 Depth=1
	s_and_not1_saveexec_b32 s57, s57
	s_cbranch_execz .LBB51_2722
; %bb.2719:                             ;   in Loop: Header=BB51_17 Depth=1
	s_mov_b32 s58, s56
	s_mov_b32 s59, exec_lo
                                        ; implicit-def: $vgpr0
	v_cmpx_eq_u16_e32 11, v18
	s_cbranch_execz .LBB51_2721
; %bb.2720:                             ;   in Loop: Header=BB51_17 Depth=1
	flat_load_u8 v0, v[2:3]
	s_or_b32 s58, s56, exec_lo
	s_wait_loadcnt_dscnt 0x0
	v_cmp_ne_u16_e32 vcc_lo, 0, v0
	v_cndmask_b32_e64 v0, 0, 1.0, vcc_lo
.LBB51_2721:                            ;   in Loop: Header=BB51_17 Depth=1
	s_wait_xcnt 0x0
	s_or_b32 exec_lo, exec_lo, s59
	s_delay_alu instid0(SALU_CYCLE_1) | instskip(SKIP_1) | instid1(SALU_CYCLE_1)
	s_and_not1_b32 s56, s56, exec_lo
	s_and_b32 s58, s58, exec_lo
	s_or_b32 s56, s56, s58
.LBB51_2722:                            ;   in Loop: Header=BB51_17 Depth=1
	s_or_b32 exec_lo, exec_lo, s57
	s_delay_alu instid0(SALU_CYCLE_1) | instskip(SKIP_1) | instid1(SALU_CYCLE_1)
	s_and_not1_b32 s47, s47, exec_lo
	s_and_b32 s56, s56, exec_lo
	s_or_b32 s47, s47, s56
.LBB51_2723:                            ;   in Loop: Header=BB51_17 Depth=1
	s_or_b32 exec_lo, exec_lo, s46
	s_delay_alu instid0(SALU_CYCLE_1) | instskip(SKIP_1) | instid1(SALU_CYCLE_1)
	s_and_not1_b32 s45, s45, exec_lo
	s_and_b32 s46, s47, exec_lo
	s_or_b32 s45, s45, s46
.LBB51_2724:                            ;   in Loop: Header=BB51_17 Depth=1
	s_or_b32 exec_lo, exec_lo, s44
	s_delay_alu instid0(SALU_CYCLE_1)
	s_and_b32 s44, s45, exec_lo
                                        ; implicit-def: $vgpr18
                                        ; implicit-def: $vgpr2_vgpr3
	s_and_not1_saveexec_b32 s40, s40
	s_cbranch_execz .LBB51_1011
.LBB51_2725:                            ;   in Loop: Header=BB51_17 Depth=1
	s_mov_b32 s45, exec_lo
                                        ; implicit-def: $vgpr0
	v_cmpx_lt_i16_e32 4, v18
	s_xor_b32 s45, exec_lo, s45
	s_cbranch_execz .LBB51_2747
; %bb.2726:                             ;   in Loop: Header=BB51_17 Depth=1
	s_mov_b32 s46, exec_lo
                                        ; implicit-def: $vgpr0
	v_cmpx_lt_i16_e32 7, v18
	s_xor_b32 s46, exec_lo, s46
	s_cbranch_execz .LBB51_2736
; %bb.2727:                             ;   in Loop: Header=BB51_17 Depth=1
	;; [unrolled: 6-line block ×4, first 2 shown]
	flat_load_b64 v[2:3], v[2:3]
	s_wait_loadcnt_dscnt 0x0
	v_cvt_f32_f64_e32 v0, v[2:3]
                                        ; implicit-def: $vgpr2_vgpr3
.LBB51_2730:                            ;   in Loop: Header=BB51_17 Depth=1
	s_wait_xcnt 0x0
	s_and_not1_saveexec_b32 s56, s56
	s_cbranch_execz .LBB51_2732
; %bb.2731:                             ;   in Loop: Header=BB51_17 Depth=1
	flat_load_b32 v0, v[2:3]
.LBB51_2732:                            ;   in Loop: Header=BB51_17 Depth=1
	s_wait_xcnt 0x0
	s_or_b32 exec_lo, exec_lo, s56
                                        ; implicit-def: $vgpr2_vgpr3
.LBB51_2733:                            ;   in Loop: Header=BB51_17 Depth=1
	s_and_not1_saveexec_b32 s47, s47
	s_cbranch_execz .LBB51_2735
; %bb.2734:                             ;   in Loop: Header=BB51_17 Depth=1
	s_wait_loadcnt_dscnt 0x0
	flat_load_b32 v0, v[2:3]
	s_wait_loadcnt_dscnt 0x0
	v_cvt_f32_f16_e32 v0, v0
.LBB51_2735:                            ;   in Loop: Header=BB51_17 Depth=1
	s_wait_xcnt 0x0
	s_or_b32 exec_lo, exec_lo, s47
                                        ; implicit-def: $vgpr2_vgpr3
                                        ; implicit-def: $vgpr18
.LBB51_2736:                            ;   in Loop: Header=BB51_17 Depth=1
	s_and_not1_saveexec_b32 s46, s46
	s_cbranch_execz .LBB51_2746
; %bb.2737:                             ;   in Loop: Header=BB51_17 Depth=1
	s_mov_b32 s47, exec_lo
                                        ; implicit-def: $vgpr0
	v_cmpx_lt_i16_e32 5, v18
	s_xor_b32 s47, exec_lo, s47
	s_cbranch_execz .LBB51_2743
; %bb.2738:                             ;   in Loop: Header=BB51_17 Depth=1
	s_mov_b32 s56, exec_lo
                                        ; implicit-def: $vgpr0
	v_cmpx_lt_i16_e32 6, v18
	s_xor_b32 s56, exec_lo, s56
	s_cbranch_execz .LBB51_2740
; %bb.2739:                             ;   in Loop: Header=BB51_17 Depth=1
	flat_load_b64 v[2:3], v[2:3]
	s_wait_loadcnt_dscnt 0x0
	v_cvt_f32_f64_e32 v0, v[2:3]
                                        ; implicit-def: $vgpr2_vgpr3
.LBB51_2740:                            ;   in Loop: Header=BB51_17 Depth=1
	s_wait_xcnt 0x0
	s_and_not1_saveexec_b32 s56, s56
	s_cbranch_execz .LBB51_2742
; %bb.2741:                             ;   in Loop: Header=BB51_17 Depth=1
	s_wait_loadcnt_dscnt 0x0
	flat_load_b32 v0, v[2:3]
.LBB51_2742:                            ;   in Loop: Header=BB51_17 Depth=1
	s_wait_xcnt 0x0
	s_or_b32 exec_lo, exec_lo, s56
                                        ; implicit-def: $vgpr2_vgpr3
.LBB51_2743:                            ;   in Loop: Header=BB51_17 Depth=1
	s_and_not1_saveexec_b32 s47, s47
	s_cbranch_execz .LBB51_2745
; %bb.2744:                             ;   in Loop: Header=BB51_17 Depth=1
	s_wait_loadcnt_dscnt 0x0
	flat_load_u16 v0, v[2:3]
	s_wait_loadcnt_dscnt 0x0
	v_cvt_f32_f16_e32 v0, v0
.LBB51_2745:                            ;   in Loop: Header=BB51_17 Depth=1
	s_wait_xcnt 0x0
	s_or_b32 exec_lo, exec_lo, s47
.LBB51_2746:                            ;   in Loop: Header=BB51_17 Depth=1
	s_delay_alu instid0(SALU_CYCLE_1)
	s_or_b32 exec_lo, exec_lo, s46
                                        ; implicit-def: $vgpr18
                                        ; implicit-def: $vgpr2_vgpr3
.LBB51_2747:                            ;   in Loop: Header=BB51_17 Depth=1
	s_and_not1_saveexec_b32 s45, s45
	s_cbranch_execz .LBB51_2765
; %bb.2748:                             ;   in Loop: Header=BB51_17 Depth=1
	s_mov_b32 s46, exec_lo
                                        ; implicit-def: $vgpr0
	v_cmpx_lt_i16_e32 1, v18
	s_xor_b32 s46, exec_lo, s46
	s_cbranch_execz .LBB51_2758
; %bb.2749:                             ;   in Loop: Header=BB51_17 Depth=1
	s_mov_b32 s47, exec_lo
                                        ; implicit-def: $vgpr0
	v_cmpx_lt_i16_e32 2, v18
	s_xor_b32 s47, exec_lo, s47
	;; [unrolled: 6-line block ×3, first 2 shown]
	s_cbranch_execz .LBB51_2752
; %bb.2751:                             ;   in Loop: Header=BB51_17 Depth=1
	flat_load_b64 v[2:3], v[2:3]
	s_wait_loadcnt_dscnt 0x0
	v_xor_b32_e32 v0, v2, v3
	v_cls_i32_e32 v18, v3
	s_delay_alu instid0(VALU_DEP_2) | instskip(NEXT) | instid1(VALU_DEP_1)
	v_ashrrev_i32_e32 v0, 31, v0
	v_add_nc_u32_e32 v0, 32, v0
	s_delay_alu instid0(VALU_DEP_1) | instskip(SKIP_1) | instid1(VALU_DEP_1)
	v_add_min_u32_e64 v0, v18, -1, v0
	s_wait_xcnt 0x0
	v_lshlrev_b64_e32 v[2:3], v0, v[2:3]
	v_sub_nc_u32_e32 v0, 32, v0
	s_delay_alu instid0(VALU_DEP_2) | instskip(NEXT) | instid1(VALU_DEP_1)
	v_min_u32_e32 v2, 1, v2
	v_or_b32_e32 v2, v3, v2
	s_delay_alu instid0(VALU_DEP_1) | instskip(NEXT) | instid1(VALU_DEP_1)
	v_cvt_f32_i32_e32 v2, v2
	v_ldexp_f32 v0, v2, v0
                                        ; implicit-def: $vgpr2_vgpr3
.LBB51_2752:                            ;   in Loop: Header=BB51_17 Depth=1
	s_and_not1_saveexec_b32 s56, s56
	s_cbranch_execz .LBB51_2754
; %bb.2753:                             ;   in Loop: Header=BB51_17 Depth=1
	s_wait_loadcnt_dscnt 0x0
	flat_load_b32 v0, v[2:3]
	s_wait_loadcnt_dscnt 0x0
	v_cvt_f32_i32_e32 v0, v0
.LBB51_2754:                            ;   in Loop: Header=BB51_17 Depth=1
	s_wait_xcnt 0x0
	s_or_b32 exec_lo, exec_lo, s56
                                        ; implicit-def: $vgpr2_vgpr3
.LBB51_2755:                            ;   in Loop: Header=BB51_17 Depth=1
	s_and_not1_saveexec_b32 s47, s47
	s_cbranch_execz .LBB51_2757
; %bb.2756:                             ;   in Loop: Header=BB51_17 Depth=1
	s_wait_loadcnt_dscnt 0x0
	flat_load_i16 v0, v[2:3]
	s_wait_loadcnt_dscnt 0x0
	v_cvt_f32_i32_e32 v0, v0
.LBB51_2757:                            ;   in Loop: Header=BB51_17 Depth=1
	s_wait_xcnt 0x0
	s_or_b32 exec_lo, exec_lo, s47
                                        ; implicit-def: $vgpr2_vgpr3
                                        ; implicit-def: $vgpr18
.LBB51_2758:                            ;   in Loop: Header=BB51_17 Depth=1
	s_and_not1_saveexec_b32 s46, s46
	s_cbranch_execz .LBB51_2764
; %bb.2759:                             ;   in Loop: Header=BB51_17 Depth=1
	s_mov_b32 s47, exec_lo
                                        ; implicit-def: $vgpr0
	v_cmpx_lt_i16_e32 0, v18
	s_xor_b32 s47, exec_lo, s47
	s_cbranch_execz .LBB51_2761
; %bb.2760:                             ;   in Loop: Header=BB51_17 Depth=1
	s_wait_loadcnt_dscnt 0x0
	flat_load_i8 v0, v[2:3]
                                        ; implicit-def: $vgpr2_vgpr3
	s_wait_loadcnt_dscnt 0x0
	v_cvt_f32_i32_e32 v0, v0
.LBB51_2761:                            ;   in Loop: Header=BB51_17 Depth=1
	s_wait_xcnt 0x0
	s_and_not1_saveexec_b32 s47, s47
	s_cbranch_execz .LBB51_2763
; %bb.2762:                             ;   in Loop: Header=BB51_17 Depth=1
	s_wait_loadcnt_dscnt 0x0
	flat_load_u8 v0, v[2:3]
	s_wait_loadcnt_dscnt 0x0
	v_cvt_f32_ubyte0_e32 v0, v0
.LBB51_2763:                            ;   in Loop: Header=BB51_17 Depth=1
	s_wait_xcnt 0x0
	s_or_b32 exec_lo, exec_lo, s47
.LBB51_2764:                            ;   in Loop: Header=BB51_17 Depth=1
	s_delay_alu instid0(SALU_CYCLE_1)
	s_or_b32 exec_lo, exec_lo, s46
.LBB51_2765:                            ;   in Loop: Header=BB51_17 Depth=1
	s_delay_alu instid0(SALU_CYCLE_1) | instskip(NEXT) | instid1(SALU_CYCLE_1)
	s_or_b32 exec_lo, exec_lo, s45
	s_or_b32 s44, s44, exec_lo
	s_or_b32 exec_lo, exec_lo, s40
	s_mov_b32 s45, 0
	s_and_saveexec_b32 s40, s44
	s_cbranch_execnz .LBB51_1012
	s_branch .LBB51_1013
.LBB51_2766:                            ;   in Loop: Header=BB51_17 Depth=1
	s_mov_b32 s24, -1
	s_mov_b32 s26, exec_lo
	v_cmpx_eq_u16_e32 0x80, v2
; %bb.2767:                             ;   in Loop: Header=BB51_17 Depth=1
	s_xor_b32 s24, exec_lo, -1
; %bb.2768:                             ;   in Loop: Header=BB51_17 Depth=1
	s_or_b32 exec_lo, exec_lo, s26
	s_delay_alu instid0(SALU_CYCLE_1)
	s_and_b32 s24, s24, exec_lo
	s_or_saveexec_b32 s25, s25
	v_mov_b32_e32 v0, 0x7f800001
	s_xor_b32 exec_lo, exec_lo, s25
	s_cbranch_execz .LBB51_2136
.LBB51_2769:                            ;   in Loop: Header=BB51_17 Depth=1
	v_cmp_ne_u16_e32 vcc_lo, 0, v2
	v_mov_b32_e32 v0, 0
	s_and_not1_b32 s24, s24, exec_lo
	s_and_b32 s26, vcc_lo, exec_lo
	s_delay_alu instid0(SALU_CYCLE_1)
	s_or_b32 s24, s24, s26
	s_or_b32 exec_lo, exec_lo, s25
	s_and_saveexec_b32 s25, s24
	s_cbranch_execnz .LBB51_2137
	s_branch .LBB51_2138
.LBB51_2770:                            ;   in Loop: Header=BB51_17 Depth=1
	s_mov_b32 s26, -1
	s_mov_b32 s28, exec_lo
	v_cmpx_eq_u16_e32 0x80, v2
; %bb.2771:                             ;   in Loop: Header=BB51_17 Depth=1
	s_xor_b32 s26, exec_lo, -1
; %bb.2772:                             ;   in Loop: Header=BB51_17 Depth=1
	s_or_b32 exec_lo, exec_lo, s28
	s_delay_alu instid0(SALU_CYCLE_1)
	s_and_b32 s26, s26, exec_lo
	s_or_saveexec_b32 s27, s27
	v_mov_b32_e32 v0, 0x7f800001
	s_xor_b32 exec_lo, exec_lo, s27
	s_cbranch_execz .LBB51_2233
.LBB51_2773:                            ;   in Loop: Header=BB51_17 Depth=1
	v_cmp_ne_u16_e32 vcc_lo, 0, v2
	v_mov_b32_e32 v0, 0
	s_and_not1_b32 s26, s26, exec_lo
	s_and_b32 s28, vcc_lo, exec_lo
	s_delay_alu instid0(SALU_CYCLE_1)
	s_or_b32 s26, s26, s28
	s_or_b32 exec_lo, exec_lo, s27
	s_and_saveexec_b32 s27, s26
	s_cbranch_execnz .LBB51_2234
	s_branch .LBB51_2235
.LBB51_2774:                            ;   in Loop: Header=BB51_17 Depth=1
	s_mov_b32 s28, -1
	s_mov_b32 s40, exec_lo
	v_cmpx_eq_u16_e32 0x80, v2
; %bb.2775:                             ;   in Loop: Header=BB51_17 Depth=1
	s_xor_b32 s28, exec_lo, -1
; %bb.2776:                             ;   in Loop: Header=BB51_17 Depth=1
	s_or_b32 exec_lo, exec_lo, s40
	s_delay_alu instid0(SALU_CYCLE_1)
	s_and_b32 s28, s28, exec_lo
	s_or_saveexec_b32 s29, s29
	v_mov_b32_e32 v0, 0x7f800001
	s_xor_b32 exec_lo, exec_lo, s29
	s_cbranch_execz .LBB51_612
.LBB51_2777:                            ;   in Loop: Header=BB51_17 Depth=1
	v_cmp_ne_u16_e32 vcc_lo, 0, v2
	v_mov_b32_e32 v0, 0
	s_and_not1_b32 s28, s28, exec_lo
	s_and_b32 s40, vcc_lo, exec_lo
	s_delay_alu instid0(SALU_CYCLE_1)
	s_or_b32 s28, s28, s40
	s_or_b32 exec_lo, exec_lo, s29
	s_and_saveexec_b32 s29, s28
	s_cbranch_execnz .LBB51_613
	s_branch .LBB51_614
.LBB51_2778:                            ;   in Loop: Header=BB51_17 Depth=1
	s_mov_b32 s40, -1
	s_mov_b32 s42, exec_lo
	v_cmpx_eq_u16_e32 0x80, v2
; %bb.2779:                             ;   in Loop: Header=BB51_17 Depth=1
	s_xor_b32 s40, exec_lo, -1
; %bb.2780:                             ;   in Loop: Header=BB51_17 Depth=1
	s_or_b32 exec_lo, exec_lo, s42
	s_delay_alu instid0(SALU_CYCLE_1)
	s_and_b32 s40, s40, exec_lo
	s_or_saveexec_b32 s41, s41
	v_mov_b32_e32 v0, 0x7f800001
	s_xor_b32 exec_lo, exec_lo, s41
	s_cbranch_execz .LBB51_712
.LBB51_2781:                            ;   in Loop: Header=BB51_17 Depth=1
	v_cmp_ne_u16_e32 vcc_lo, 0, v2
	v_mov_b32_e32 v0, 0
	s_and_not1_b32 s40, s40, exec_lo
	s_and_b32 s42, vcc_lo, exec_lo
	s_delay_alu instid0(SALU_CYCLE_1)
	s_or_b32 s40, s40, s42
	s_or_b32 exec_lo, exec_lo, s41
	s_and_saveexec_b32 s41, s40
	s_cbranch_execnz .LBB51_713
	s_branch .LBB51_714
.LBB51_2782:                            ;   in Loop: Header=BB51_17 Depth=1
	s_mov_b32 s47, exec_lo
                                        ; implicit-def: $vgpr0
	v_cmpx_lt_i16_e32 25, v18
	s_xor_b32 s47, exec_lo, s47
	s_cbranch_execz .LBB51_2814
; %bb.2783:                             ;   in Loop: Header=BB51_17 Depth=1
	s_mov_b32 s57, exec_lo
                                        ; implicit-def: $vgpr0
	v_cmpx_lt_i16_e32 28, v18
	s_xor_b32 s57, exec_lo, s57
	s_cbranch_execz .LBB51_2799
; %bb.2784:                             ;   in Loop: Header=BB51_17 Depth=1
	s_mov_b32 s58, 0
	s_mov_b32 s56, exec_lo
                                        ; implicit-def: $vgpr0
	v_cmpx_lt_i16_e32 43, v18
	s_xor_b32 s56, exec_lo, s56
	s_cbranch_execz .LBB51_2794
; %bb.2785:                             ;   in Loop: Header=BB51_17 Depth=1
	s_mov_b32 s59, exec_lo
                                        ; implicit-def: $vgpr0
	v_cmpx_lt_i16_e32 45, v18
	s_xor_b32 s59, exec_lo, s59
	s_cbranch_execz .LBB51_2789
; %bb.2786:                             ;   in Loop: Header=BB51_17 Depth=1
	s_mov_b32 s60, exec_lo
                                        ; implicit-def: $vgpr0
	v_cmpx_eq_u16_e32 46, v18
	s_cbranch_execz .LBB51_2788
; %bb.2787:                             ;   in Loop: Header=BB51_17 Depth=1
	flat_load_b32 v0, v[2:3]
	s_mov_b32 s58, exec_lo
	s_wait_loadcnt_dscnt 0x0
	v_lshlrev_b32_e32 v0, 16, v0
.LBB51_2788:                            ;   in Loop: Header=BB51_17 Depth=1
	s_wait_xcnt 0x0
	s_or_b32 exec_lo, exec_lo, s60
	s_delay_alu instid0(SALU_CYCLE_1)
	s_and_b32 s58, s58, exec_lo
                                        ; implicit-def: $vgpr18
                                        ; implicit-def: $vgpr2_vgpr3
.LBB51_2789:                            ;   in Loop: Header=BB51_17 Depth=1
	s_and_not1_saveexec_b32 s59, s59
	s_cbranch_execz .LBB51_2793
; %bb.2790:                             ;   in Loop: Header=BB51_17 Depth=1
	s_mov_b32 s61, s58
	s_mov_b32 s60, exec_lo
                                        ; implicit-def: $vgpr0
	v_cmpx_eq_u16_e32 44, v18
	s_cbranch_execz .LBB51_2792
; %bb.2791:                             ;   in Loop: Header=BB51_17 Depth=1
	flat_load_u8 v0, v[2:3]
	s_or_b32 s61, s58, exec_lo
	s_wait_loadcnt_dscnt 0x0
	v_lshlrev_b32_e32 v2, 23, v0
	v_cmp_ne_u32_e32 vcc_lo, 0xff, v0
	s_delay_alu instid0(VALU_DEP_2) | instskip(SKIP_1) | instid1(VALU_DEP_2)
	v_cndmask_b32_e32 v2, 0x7f800001, v2, vcc_lo
	v_cmp_ne_u32_e32 vcc_lo, 0, v0
	v_cndmask_b32_e32 v0, 0x400000, v2, vcc_lo
.LBB51_2792:                            ;   in Loop: Header=BB51_17 Depth=1
	s_or_b32 exec_lo, exec_lo, s60
	s_delay_alu instid0(SALU_CYCLE_1) | instskip(SKIP_1) | instid1(SALU_CYCLE_1)
	s_and_not1_b32 s58, s58, exec_lo
	s_and_b32 s60, s61, exec_lo
	s_or_b32 s58, s58, s60
.LBB51_2793:                            ;   in Loop: Header=BB51_17 Depth=1
	s_or_b32 exec_lo, exec_lo, s59
	s_delay_alu instid0(SALU_CYCLE_1)
	s_and_b32 s58, s58, exec_lo
                                        ; implicit-def: $vgpr18
                                        ; implicit-def: $vgpr2_vgpr3
.LBB51_2794:                            ;   in Loop: Header=BB51_17 Depth=1
	s_and_not1_saveexec_b32 s56, s56
	s_cbranch_execz .LBB51_2798
; %bb.2795:                             ;   in Loop: Header=BB51_17 Depth=1
	s_mov_b32 s60, s58
	s_mov_b32 s59, exec_lo
                                        ; implicit-def: $vgpr0
	v_cmpx_eq_u16_e32 29, v18
	s_cbranch_execz .LBB51_2797
; %bb.2796:                             ;   in Loop: Header=BB51_17 Depth=1
	flat_load_b64 v[2:3], v[2:3]
	s_or_b32 s60, s58, exec_lo
	s_wait_loadcnt_dscnt 0x0
	v_clz_i32_u32_e32 v0, v3
	s_delay_alu instid0(VALU_DEP_1) | instskip(SKIP_1) | instid1(VALU_DEP_1)
	v_min_u32_e32 v0, 32, v0
	s_wait_xcnt 0x0
	v_lshlrev_b64_e32 v[2:3], v0, v[2:3]
	v_sub_nc_u32_e32 v0, 32, v0
	s_delay_alu instid0(VALU_DEP_2) | instskip(NEXT) | instid1(VALU_DEP_1)
	v_min_u32_e32 v2, 1, v2
	v_or_b32_e32 v2, v3, v2
	s_delay_alu instid0(VALU_DEP_1) | instskip(NEXT) | instid1(VALU_DEP_1)
	v_cvt_f32_u32_e32 v2, v2
	v_ldexp_f32 v0, v2, v0
.LBB51_2797:                            ;   in Loop: Header=BB51_17 Depth=1
	s_or_b32 exec_lo, exec_lo, s59
	s_delay_alu instid0(SALU_CYCLE_1) | instskip(SKIP_1) | instid1(SALU_CYCLE_1)
	s_and_not1_b32 s58, s58, exec_lo
	s_and_b32 s59, s60, exec_lo
	s_or_b32 s58, s58, s59
.LBB51_2798:                            ;   in Loop: Header=BB51_17 Depth=1
	s_or_b32 exec_lo, exec_lo, s56
	s_delay_alu instid0(SALU_CYCLE_1)
	s_and_b32 s56, s58, exec_lo
                                        ; implicit-def: $vgpr18
                                        ; implicit-def: $vgpr2_vgpr3
.LBB51_2799:                            ;   in Loop: Header=BB51_17 Depth=1
	s_and_not1_saveexec_b32 s57, s57
	s_cbranch_execz .LBB51_2813
; %bb.2800:                             ;   in Loop: Header=BB51_17 Depth=1
	s_mov_b32 s58, exec_lo
                                        ; implicit-def: $vgpr0
	v_cmpx_lt_i16_e32 26, v18
	s_xor_b32 s58, exec_lo, s58
	s_cbranch_execz .LBB51_2806
; %bb.2801:                             ;   in Loop: Header=BB51_17 Depth=1
	s_mov_b32 s59, exec_lo
                                        ; implicit-def: $vgpr0
	v_cmpx_lt_i16_e32 27, v18
	s_xor_b32 s59, exec_lo, s59
	s_cbranch_execz .LBB51_2803
; %bb.2802:                             ;   in Loop: Header=BB51_17 Depth=1
	flat_load_b32 v0, v[2:3]
                                        ; implicit-def: $vgpr2_vgpr3
	s_wait_loadcnt_dscnt 0x0
	v_cvt_f32_u32_e32 v0, v0
.LBB51_2803:                            ;   in Loop: Header=BB51_17 Depth=1
	s_wait_xcnt 0x0
	s_and_not1_saveexec_b32 s59, s59
	s_cbranch_execz .LBB51_2805
; %bb.2804:                             ;   in Loop: Header=BB51_17 Depth=1
	flat_load_u16 v0, v[2:3]
	s_wait_loadcnt_dscnt 0x0
	v_cvt_f32_u32_e32 v0, v0
.LBB51_2805:                            ;   in Loop: Header=BB51_17 Depth=1
	s_wait_xcnt 0x0
	s_or_b32 exec_lo, exec_lo, s59
                                        ; implicit-def: $vgpr2_vgpr3
.LBB51_2806:                            ;   in Loop: Header=BB51_17 Depth=1
	s_and_not1_saveexec_b32 s58, s58
	s_cbranch_execz .LBB51_2812
; %bb.2807:                             ;   in Loop: Header=BB51_17 Depth=1
	flat_load_u8 v2, v[2:3]
	s_mov_b32 s59, 0
	s_mov_b32 s60, exec_lo
	s_wait_loadcnt_dscnt 0x0
	v_cmpx_lt_i16_e32 0x7f, v2
	s_xor_b32 s60, exec_lo, s60
	s_cbranch_execnz .LBB51_3350
; %bb.2808:                             ;   in Loop: Header=BB51_17 Depth=1
	s_or_saveexec_b32 s60, s60
	v_mov_b32_e32 v0, 0x7f800001
	s_xor_b32 exec_lo, exec_lo, s60
	s_cbranch_execnz .LBB51_3353
.LBB51_2809:                            ;   in Loop: Header=BB51_17 Depth=1
	s_or_b32 exec_lo, exec_lo, s60
	s_and_saveexec_b32 s60, s59
	s_cbranch_execz .LBB51_2811
.LBB51_2810:                            ;   in Loop: Header=BB51_17 Depth=1
	v_and_b32_e32 v0, 0xffff, v2
	s_delay_alu instid0(VALU_DEP_1) | instskip(SKIP_1) | instid1(VALU_DEP_2)
	v_and_b32_e32 v3, 7, v0
	v_bfe_u32 v20, v0, 3, 4
	v_clz_i32_u32_e32 v18, v3
	s_delay_alu instid0(VALU_DEP_2) | instskip(NEXT) | instid1(VALU_DEP_2)
	v_cmp_eq_u32_e32 vcc_lo, 0, v20
	v_min_u32_e32 v18, 32, v18
	s_delay_alu instid0(VALU_DEP_1) | instskip(NEXT) | instid1(VALU_DEP_1)
	v_subrev_nc_u32_e32 v19, 28, v18
	v_dual_lshlrev_b32 v0, v19, v0 :: v_dual_sub_nc_u32 v18, 29, v18
	s_delay_alu instid0(VALU_DEP_1) | instskip(NEXT) | instid1(VALU_DEP_1)
	v_dual_lshlrev_b32 v2, 24, v2 :: v_dual_bitop2_b32 v0, 7, v0 bitop3:0x40
	v_dual_cndmask_b32 v0, v3, v0, vcc_lo :: v_dual_cndmask_b32 v18, v20, v18, vcc_lo
	s_delay_alu instid0(VALU_DEP_2) | instskip(NEXT) | instid1(VALU_DEP_2)
	v_and_b32_e32 v2, 0x80000000, v2
	v_lshlrev_b32_e32 v0, 20, v0
	s_delay_alu instid0(VALU_DEP_3) | instskip(NEXT) | instid1(VALU_DEP_1)
	v_lshl_add_u32 v3, v18, 23, 0x3b800000
	v_or3_b32 v0, v2, v3, v0
.LBB51_2811:                            ;   in Loop: Header=BB51_17 Depth=1
	s_or_b32 exec_lo, exec_lo, s60
.LBB51_2812:                            ;   in Loop: Header=BB51_17 Depth=1
	s_delay_alu instid0(SALU_CYCLE_1) | instskip(NEXT) | instid1(SALU_CYCLE_1)
	s_or_b32 exec_lo, exec_lo, s58
	s_or_b32 s56, s56, exec_lo
.LBB51_2813:                            ;   in Loop: Header=BB51_17 Depth=1
	s_or_b32 exec_lo, exec_lo, s57
	s_delay_alu instid0(SALU_CYCLE_1)
	s_and_b32 s56, s56, exec_lo
                                        ; implicit-def: $vgpr18
                                        ; implicit-def: $vgpr2_vgpr3
.LBB51_2814:                            ;   in Loop: Header=BB51_17 Depth=1
	s_and_not1_saveexec_b32 s47, s47
	s_cbranch_execz .LBB51_2840
; %bb.2815:                             ;   in Loop: Header=BB51_17 Depth=1
	s_mov_b32 s58, s56
	s_mov_b32 s57, exec_lo
                                        ; implicit-def: $vgpr0
	v_cmpx_lt_i16_e32 22, v18
	s_xor_b32 s57, exec_lo, s57
	s_cbranch_execz .LBB51_2829
; %bb.2816:                             ;   in Loop: Header=BB51_17 Depth=1
	s_mov_b32 s58, exec_lo
                                        ; implicit-def: $vgpr0
	v_cmpx_lt_i16_e32 23, v18
	s_xor_b32 s58, exec_lo, s58
	s_cbranch_execz .LBB51_2826
; %bb.2817:                             ;   in Loop: Header=BB51_17 Depth=1
	s_mov_b32 s59, exec_lo
                                        ; implicit-def: $vgpr0
	v_cmpx_lt_i16_e32 24, v18
	s_xor_b32 s59, exec_lo, s59
	s_cbranch_execz .LBB51_2823
; %bb.2818:                             ;   in Loop: Header=BB51_17 Depth=1
	flat_load_u8 v2, v[2:3]
	s_mov_b32 s60, 0
	s_mov_b32 s61, exec_lo
	s_wait_loadcnt_dscnt 0x0
	v_cmpx_lt_i16_e32 0x7f, v2
	s_xor_b32 s61, exec_lo, s61
	s_cbranch_execnz .LBB51_3462
; %bb.2819:                             ;   in Loop: Header=BB51_17 Depth=1
	s_or_saveexec_b32 s61, s61
	v_mov_b32_e32 v0, 0x7f800001
	s_xor_b32 exec_lo, exec_lo, s61
	s_cbranch_execnz .LBB51_3465
.LBB51_2820:                            ;   in Loop: Header=BB51_17 Depth=1
	s_or_b32 exec_lo, exec_lo, s61
	s_and_saveexec_b32 s61, s60
	s_cbranch_execz .LBB51_2822
.LBB51_2821:                            ;   in Loop: Header=BB51_17 Depth=1
	v_and_b32_e32 v0, 0xffff, v2
	s_delay_alu instid0(VALU_DEP_1) | instskip(SKIP_1) | instid1(VALU_DEP_2)
	v_and_b32_e32 v3, 3, v0
	v_bfe_u32 v20, v0, 2, 5
	v_clz_i32_u32_e32 v18, v3
	s_delay_alu instid0(VALU_DEP_2) | instskip(NEXT) | instid1(VALU_DEP_2)
	v_cmp_eq_u32_e32 vcc_lo, 0, v20
	v_min_u32_e32 v18, 32, v18
	s_delay_alu instid0(VALU_DEP_1) | instskip(NEXT) | instid1(VALU_DEP_1)
	v_subrev_nc_u32_e32 v19, 29, v18
	v_dual_lshlrev_b32 v0, v19, v0 :: v_dual_sub_nc_u32 v18, 30, v18
	s_delay_alu instid0(VALU_DEP_1) | instskip(NEXT) | instid1(VALU_DEP_1)
	v_dual_lshlrev_b32 v2, 24, v2 :: v_dual_bitop2_b32 v0, 3, v0 bitop3:0x40
	v_dual_cndmask_b32 v0, v3, v0, vcc_lo :: v_dual_cndmask_b32 v18, v20, v18, vcc_lo
	s_delay_alu instid0(VALU_DEP_2) | instskip(NEXT) | instid1(VALU_DEP_2)
	v_and_b32_e32 v2, 0x80000000, v2
	v_lshlrev_b32_e32 v0, 21, v0
	s_delay_alu instid0(VALU_DEP_3) | instskip(NEXT) | instid1(VALU_DEP_1)
	v_lshl_add_u32 v3, v18, 23, 0x37800000
	v_or3_b32 v0, v2, v3, v0
.LBB51_2822:                            ;   in Loop: Header=BB51_17 Depth=1
	s_or_b32 exec_lo, exec_lo, s61
                                        ; implicit-def: $vgpr2_vgpr3
.LBB51_2823:                            ;   in Loop: Header=BB51_17 Depth=1
	s_and_not1_saveexec_b32 s59, s59
	s_cbranch_execz .LBB51_2825
; %bb.2824:                             ;   in Loop: Header=BB51_17 Depth=1
	flat_load_u8 v0, v[2:3]
	s_wait_loadcnt_dscnt 0x0
	v_lshlrev_b32_e32 v0, 24, v0
	s_wait_xcnt 0x0
	s_delay_alu instid0(VALU_DEP_1) | instskip(NEXT) | instid1(VALU_DEP_1)
	v_and_b32_e32 v2, 0x7f000000, v0
	v_clz_i32_u32_e32 v3, v2
	v_cmp_ne_u32_e32 vcc_lo, 0, v2
	v_add_nc_u32_e32 v19, 0x1000000, v2
	s_delay_alu instid0(VALU_DEP_3) | instskip(NEXT) | instid1(VALU_DEP_1)
	v_min_u32_e32 v3, 32, v3
	v_sub_nc_u32_e64 v3, v3, 4 clamp
	s_delay_alu instid0(VALU_DEP_1) | instskip(NEXT) | instid1(VALU_DEP_1)
	v_dual_lshlrev_b32 v18, v3, v2 :: v_dual_lshlrev_b32 v3, 23, v3
	v_lshrrev_b32_e32 v18, 4, v18
	s_delay_alu instid0(VALU_DEP_1) | instskip(SKIP_1) | instid1(VALU_DEP_2)
	v_sub_nc_u32_e32 v3, v18, v3
	v_ashrrev_i32_e32 v18, 8, v19
	v_add_nc_u32_e32 v3, 0x3c000000, v3
	s_delay_alu instid0(VALU_DEP_1) | instskip(NEXT) | instid1(VALU_DEP_1)
	v_and_or_b32 v3, 0x7f800000, v18, v3
	v_cndmask_b32_e32 v2, 0, v3, vcc_lo
	s_delay_alu instid0(VALU_DEP_1)
	v_and_or_b32 v0, 0x80000000, v0, v2
.LBB51_2825:                            ;   in Loop: Header=BB51_17 Depth=1
	s_or_b32 exec_lo, exec_lo, s59
                                        ; implicit-def: $vgpr2_vgpr3
.LBB51_2826:                            ;   in Loop: Header=BB51_17 Depth=1
	s_and_not1_saveexec_b32 s58, s58
	s_cbranch_execz .LBB51_2828
; %bb.2827:                             ;   in Loop: Header=BB51_17 Depth=1
	flat_load_u8 v0, v[2:3]
	s_wait_loadcnt_dscnt 0x0
	v_lshlrev_b32_e32 v2, 25, v0
	v_lshlrev_b16 v0, 8, v0
	s_delay_alu instid0(VALU_DEP_1) | instskip(SKIP_1) | instid1(VALU_DEP_2)
	v_and_or_b32 v18, 0x7f00, v0, 0.5
	v_bfe_i32 v0, v0, 0, 16
	v_add_f32_e32 v18, -0.5, v18
	v_lshrrev_b32_e32 v3, 4, v2
	v_cmp_gt_u32_e32 vcc_lo, 0x8000000, v2
	s_delay_alu instid0(VALU_DEP_2) | instskip(NEXT) | instid1(VALU_DEP_1)
	v_or_b32_e32 v3, 0x70000000, v3
	v_mul_f32_e32 v3, 0x7800000, v3
	s_delay_alu instid0(VALU_DEP_1) | instskip(NEXT) | instid1(VALU_DEP_1)
	v_cndmask_b32_e32 v2, v3, v18, vcc_lo
	v_and_or_b32 v0, 0x80000000, v0, v2
.LBB51_2828:                            ;   in Loop: Header=BB51_17 Depth=1
	s_or_b32 exec_lo, exec_lo, s58
	s_delay_alu instid0(SALU_CYCLE_1)
	s_or_b32 s58, s56, exec_lo
                                        ; implicit-def: $vgpr18
                                        ; implicit-def: $vgpr2_vgpr3
.LBB51_2829:                            ;   in Loop: Header=BB51_17 Depth=1
	s_and_not1_saveexec_b32 s57, s57
	s_cbranch_execz .LBB51_2839
; %bb.2830:                             ;   in Loop: Header=BB51_17 Depth=1
	s_mov_b32 s59, s58
	s_mov_b32 s60, exec_lo
                                        ; implicit-def: $vgpr0
	v_cmpx_lt_i16_e32 14, v18
	s_xor_b32 s60, exec_lo, s60
	s_cbranch_execz .LBB51_2834
; %bb.2831:                             ;   in Loop: Header=BB51_17 Depth=1
	s_mov_b32 s59, s58
	s_mov_b32 s61, exec_lo
                                        ; implicit-def: $vgpr0
	v_cmpx_eq_u16_e32 15, v18
	s_cbranch_execz .LBB51_2833
; %bb.2832:                             ;   in Loop: Header=BB51_17 Depth=1
	flat_load_u16 v0, v[2:3]
	s_or_b32 s59, s58, exec_lo
	s_wait_loadcnt_dscnt 0x0
	v_lshlrev_b32_e32 v0, 16, v0
.LBB51_2833:                            ;   in Loop: Header=BB51_17 Depth=1
	s_wait_xcnt 0x0
	s_or_b32 exec_lo, exec_lo, s61
	s_delay_alu instid0(SALU_CYCLE_1) | instskip(SKIP_1) | instid1(SALU_CYCLE_1)
	s_and_not1_b32 s61, s58, exec_lo
	s_and_b32 s59, s59, exec_lo
                                        ; implicit-def: $vgpr18
                                        ; implicit-def: $vgpr2_vgpr3
	s_or_b32 s59, s61, s59
.LBB51_2834:                            ;   in Loop: Header=BB51_17 Depth=1
	s_and_not1_saveexec_b32 s60, s60
	s_cbranch_execz .LBB51_2838
; %bb.2835:                             ;   in Loop: Header=BB51_17 Depth=1
	s_mov_b32 s61, s59
	s_mov_b32 s62, exec_lo
                                        ; implicit-def: $vgpr0
	v_cmpx_eq_u16_e32 11, v18
	s_cbranch_execz .LBB51_2837
; %bb.2836:                             ;   in Loop: Header=BB51_17 Depth=1
	flat_load_u8 v0, v[2:3]
	s_or_b32 s61, s59, exec_lo
	s_wait_loadcnt_dscnt 0x0
	v_cmp_ne_u16_e32 vcc_lo, 0, v0
	v_cndmask_b32_e64 v0, 0, 1.0, vcc_lo
.LBB51_2837:                            ;   in Loop: Header=BB51_17 Depth=1
	s_wait_xcnt 0x0
	s_or_b32 exec_lo, exec_lo, s62
	s_delay_alu instid0(SALU_CYCLE_1) | instskip(SKIP_1) | instid1(SALU_CYCLE_1)
	s_and_not1_b32 s59, s59, exec_lo
	s_and_b32 s61, s61, exec_lo
	s_or_b32 s59, s59, s61
.LBB51_2838:                            ;   in Loop: Header=BB51_17 Depth=1
	s_or_b32 exec_lo, exec_lo, s60
	s_delay_alu instid0(SALU_CYCLE_1) | instskip(SKIP_1) | instid1(SALU_CYCLE_1)
	s_and_not1_b32 s58, s58, exec_lo
	s_and_b32 s59, s59, exec_lo
	s_or_b32 s58, s58, s59
.LBB51_2839:                            ;   in Loop: Header=BB51_17 Depth=1
	s_or_b32 exec_lo, exec_lo, s57
	s_delay_alu instid0(SALU_CYCLE_1) | instskip(SKIP_1) | instid1(SALU_CYCLE_1)
	s_and_not1_b32 s56, s56, exec_lo
	s_and_b32 s57, s58, exec_lo
	s_or_b32 s56, s56, s57
.LBB51_2840:                            ;   in Loop: Header=BB51_17 Depth=1
	s_or_b32 exec_lo, exec_lo, s47
	s_delay_alu instid0(SALU_CYCLE_1)
	s_and_b32 s47, s56, exec_lo
                                        ; implicit-def: $vgpr18
                                        ; implicit-def: $vgpr2_vgpr3
	s_and_not1_saveexec_b32 s43, s43
	s_cbranch_execz .LBB51_1122
.LBB51_2841:                            ;   in Loop: Header=BB51_17 Depth=1
	s_mov_b32 s56, exec_lo
                                        ; implicit-def: $vgpr0
	v_cmpx_lt_i16_e32 4, v18
	s_xor_b32 s56, exec_lo, s56
	s_cbranch_execz .LBB51_2863
; %bb.2842:                             ;   in Loop: Header=BB51_17 Depth=1
	s_mov_b32 s57, exec_lo
                                        ; implicit-def: $vgpr0
	v_cmpx_lt_i16_e32 7, v18
	s_xor_b32 s57, exec_lo, s57
	s_cbranch_execz .LBB51_2852
; %bb.2843:                             ;   in Loop: Header=BB51_17 Depth=1
	;; [unrolled: 6-line block ×4, first 2 shown]
	flat_load_b64 v[2:3], v[2:3]
	s_wait_loadcnt_dscnt 0x0
	v_cvt_f32_f64_e32 v0, v[2:3]
                                        ; implicit-def: $vgpr2_vgpr3
.LBB51_2846:                            ;   in Loop: Header=BB51_17 Depth=1
	s_wait_xcnt 0x0
	s_and_not1_saveexec_b32 s59, s59
	s_cbranch_execz .LBB51_2848
; %bb.2847:                             ;   in Loop: Header=BB51_17 Depth=1
	flat_load_b32 v0, v[2:3]
.LBB51_2848:                            ;   in Loop: Header=BB51_17 Depth=1
	s_wait_xcnt 0x0
	s_or_b32 exec_lo, exec_lo, s59
                                        ; implicit-def: $vgpr2_vgpr3
.LBB51_2849:                            ;   in Loop: Header=BB51_17 Depth=1
	s_and_not1_saveexec_b32 s58, s58
	s_cbranch_execz .LBB51_2851
; %bb.2850:                             ;   in Loop: Header=BB51_17 Depth=1
	s_wait_loadcnt_dscnt 0x0
	flat_load_b32 v0, v[2:3]
	s_wait_loadcnt_dscnt 0x0
	v_cvt_f32_f16_e32 v0, v0
.LBB51_2851:                            ;   in Loop: Header=BB51_17 Depth=1
	s_wait_xcnt 0x0
	s_or_b32 exec_lo, exec_lo, s58
                                        ; implicit-def: $vgpr2_vgpr3
                                        ; implicit-def: $vgpr18
.LBB51_2852:                            ;   in Loop: Header=BB51_17 Depth=1
	s_and_not1_saveexec_b32 s57, s57
	s_cbranch_execz .LBB51_2862
; %bb.2853:                             ;   in Loop: Header=BB51_17 Depth=1
	s_mov_b32 s58, exec_lo
                                        ; implicit-def: $vgpr0
	v_cmpx_lt_i16_e32 5, v18
	s_xor_b32 s58, exec_lo, s58
	s_cbranch_execz .LBB51_2859
; %bb.2854:                             ;   in Loop: Header=BB51_17 Depth=1
	s_mov_b32 s59, exec_lo
                                        ; implicit-def: $vgpr0
	v_cmpx_lt_i16_e32 6, v18
	s_xor_b32 s59, exec_lo, s59
	s_cbranch_execz .LBB51_2856
; %bb.2855:                             ;   in Loop: Header=BB51_17 Depth=1
	flat_load_b64 v[2:3], v[2:3]
	s_wait_loadcnt_dscnt 0x0
	v_cvt_f32_f64_e32 v0, v[2:3]
                                        ; implicit-def: $vgpr2_vgpr3
.LBB51_2856:                            ;   in Loop: Header=BB51_17 Depth=1
	s_wait_xcnt 0x0
	s_and_not1_saveexec_b32 s59, s59
	s_cbranch_execz .LBB51_2858
; %bb.2857:                             ;   in Loop: Header=BB51_17 Depth=1
	s_wait_loadcnt_dscnt 0x0
	flat_load_b32 v0, v[2:3]
.LBB51_2858:                            ;   in Loop: Header=BB51_17 Depth=1
	s_wait_xcnt 0x0
	s_or_b32 exec_lo, exec_lo, s59
                                        ; implicit-def: $vgpr2_vgpr3
.LBB51_2859:                            ;   in Loop: Header=BB51_17 Depth=1
	s_and_not1_saveexec_b32 s58, s58
	s_cbranch_execz .LBB51_2861
; %bb.2860:                             ;   in Loop: Header=BB51_17 Depth=1
	s_wait_loadcnt_dscnt 0x0
	flat_load_u16 v0, v[2:3]
	s_wait_loadcnt_dscnt 0x0
	v_cvt_f32_f16_e32 v0, v0
.LBB51_2861:                            ;   in Loop: Header=BB51_17 Depth=1
	s_wait_xcnt 0x0
	s_or_b32 exec_lo, exec_lo, s58
.LBB51_2862:                            ;   in Loop: Header=BB51_17 Depth=1
	s_delay_alu instid0(SALU_CYCLE_1)
	s_or_b32 exec_lo, exec_lo, s57
                                        ; implicit-def: $vgpr18
                                        ; implicit-def: $vgpr2_vgpr3
.LBB51_2863:                            ;   in Loop: Header=BB51_17 Depth=1
	s_and_not1_saveexec_b32 s56, s56
	s_cbranch_execz .LBB51_2881
; %bb.2864:                             ;   in Loop: Header=BB51_17 Depth=1
	s_mov_b32 s57, exec_lo
                                        ; implicit-def: $vgpr0
	v_cmpx_lt_i16_e32 1, v18
	s_xor_b32 s57, exec_lo, s57
	s_cbranch_execz .LBB51_2874
; %bb.2865:                             ;   in Loop: Header=BB51_17 Depth=1
	s_mov_b32 s58, exec_lo
                                        ; implicit-def: $vgpr0
	v_cmpx_lt_i16_e32 2, v18
	s_xor_b32 s58, exec_lo, s58
	;; [unrolled: 6-line block ×3, first 2 shown]
	s_cbranch_execz .LBB51_2868
; %bb.2867:                             ;   in Loop: Header=BB51_17 Depth=1
	flat_load_b64 v[2:3], v[2:3]
	s_wait_loadcnt_dscnt 0x0
	v_xor_b32_e32 v0, v2, v3
	v_cls_i32_e32 v18, v3
	s_delay_alu instid0(VALU_DEP_2) | instskip(NEXT) | instid1(VALU_DEP_1)
	v_ashrrev_i32_e32 v0, 31, v0
	v_add_nc_u32_e32 v0, 32, v0
	s_delay_alu instid0(VALU_DEP_1) | instskip(SKIP_1) | instid1(VALU_DEP_1)
	v_add_min_u32_e64 v0, v18, -1, v0
	s_wait_xcnt 0x0
	v_lshlrev_b64_e32 v[2:3], v0, v[2:3]
	v_sub_nc_u32_e32 v0, 32, v0
	s_delay_alu instid0(VALU_DEP_2) | instskip(NEXT) | instid1(VALU_DEP_1)
	v_min_u32_e32 v2, 1, v2
	v_or_b32_e32 v2, v3, v2
	s_delay_alu instid0(VALU_DEP_1) | instskip(NEXT) | instid1(VALU_DEP_1)
	v_cvt_f32_i32_e32 v2, v2
	v_ldexp_f32 v0, v2, v0
                                        ; implicit-def: $vgpr2_vgpr3
.LBB51_2868:                            ;   in Loop: Header=BB51_17 Depth=1
	s_and_not1_saveexec_b32 s59, s59
	s_cbranch_execz .LBB51_2870
; %bb.2869:                             ;   in Loop: Header=BB51_17 Depth=1
	s_wait_loadcnt_dscnt 0x0
	flat_load_b32 v0, v[2:3]
	s_wait_loadcnt_dscnt 0x0
	v_cvt_f32_i32_e32 v0, v0
.LBB51_2870:                            ;   in Loop: Header=BB51_17 Depth=1
	s_wait_xcnt 0x0
	s_or_b32 exec_lo, exec_lo, s59
                                        ; implicit-def: $vgpr2_vgpr3
.LBB51_2871:                            ;   in Loop: Header=BB51_17 Depth=1
	s_and_not1_saveexec_b32 s58, s58
	s_cbranch_execz .LBB51_2873
; %bb.2872:                             ;   in Loop: Header=BB51_17 Depth=1
	s_wait_loadcnt_dscnt 0x0
	flat_load_i16 v0, v[2:3]
	s_wait_loadcnt_dscnt 0x0
	v_cvt_f32_i32_e32 v0, v0
.LBB51_2873:                            ;   in Loop: Header=BB51_17 Depth=1
	s_wait_xcnt 0x0
	s_or_b32 exec_lo, exec_lo, s58
                                        ; implicit-def: $vgpr2_vgpr3
                                        ; implicit-def: $vgpr18
.LBB51_2874:                            ;   in Loop: Header=BB51_17 Depth=1
	s_and_not1_saveexec_b32 s57, s57
	s_cbranch_execz .LBB51_2880
; %bb.2875:                             ;   in Loop: Header=BB51_17 Depth=1
	s_mov_b32 s58, exec_lo
                                        ; implicit-def: $vgpr0
	v_cmpx_lt_i16_e32 0, v18
	s_xor_b32 s58, exec_lo, s58
	s_cbranch_execz .LBB51_2877
; %bb.2876:                             ;   in Loop: Header=BB51_17 Depth=1
	s_wait_loadcnt_dscnt 0x0
	flat_load_i8 v0, v[2:3]
                                        ; implicit-def: $vgpr2_vgpr3
	s_wait_loadcnt_dscnt 0x0
	v_cvt_f32_i32_e32 v0, v0
.LBB51_2877:                            ;   in Loop: Header=BB51_17 Depth=1
	s_wait_xcnt 0x0
	s_and_not1_saveexec_b32 s58, s58
	s_cbranch_execz .LBB51_2879
; %bb.2878:                             ;   in Loop: Header=BB51_17 Depth=1
	s_wait_loadcnt_dscnt 0x0
	flat_load_u8 v0, v[2:3]
	s_wait_loadcnt_dscnt 0x0
	v_cvt_f32_ubyte0_e32 v0, v0
.LBB51_2879:                            ;   in Loop: Header=BB51_17 Depth=1
	s_wait_xcnt 0x0
	s_or_b32 exec_lo, exec_lo, s58
.LBB51_2880:                            ;   in Loop: Header=BB51_17 Depth=1
	s_delay_alu instid0(SALU_CYCLE_1)
	s_or_b32 exec_lo, exec_lo, s57
.LBB51_2881:                            ;   in Loop: Header=BB51_17 Depth=1
	s_delay_alu instid0(SALU_CYCLE_1) | instskip(NEXT) | instid1(SALU_CYCLE_1)
	s_or_b32 exec_lo, exec_lo, s56
	s_or_b32 s47, s47, exec_lo
	s_or_b32 exec_lo, exec_lo, s43
	s_mov_b32 s56, 0
	s_and_saveexec_b32 s43, s47
	s_cbranch_execnz .LBB51_1123
	s_branch .LBB51_1124
.LBB51_2882:                            ;   in Loop: Header=BB51_17 Depth=1
	s_mov_b32 s27, -1
	s_mov_b32 s29, exec_lo
	v_cmpx_eq_u16_e32 0x80, v2
; %bb.2883:                             ;   in Loop: Header=BB51_17 Depth=1
	s_xor_b32 s27, exec_lo, -1
; %bb.2884:                             ;   in Loop: Header=BB51_17 Depth=1
	s_or_b32 exec_lo, exec_lo, s29
	s_delay_alu instid0(SALU_CYCLE_1)
	s_and_b32 s27, s27, exec_lo
	s_or_saveexec_b32 s28, s28
	v_mov_b32_e32 v0, 0x7f800001
	s_xor_b32 exec_lo, exec_lo, s28
	s_cbranch_execz .LBB51_2244
.LBB51_2885:                            ;   in Loop: Header=BB51_17 Depth=1
	v_cmp_ne_u16_e32 vcc_lo, 0, v2
	v_mov_b32_e32 v0, 0
	s_and_not1_b32 s27, s27, exec_lo
	s_and_b32 s29, vcc_lo, exec_lo
	s_delay_alu instid0(SALU_CYCLE_1)
	s_or_b32 s27, s27, s29
	s_or_b32 exec_lo, exec_lo, s28
	s_and_saveexec_b32 s28, s27
	s_cbranch_execnz .LBB51_2245
	s_branch .LBB51_2246
.LBB51_2886:                            ;   in Loop: Header=BB51_17 Depth=1
	s_mov_b32 s29, -1
	s_mov_b32 s41, exec_lo
	v_cmpx_eq_u16_e32 0x80, v2
; %bb.2887:                             ;   in Loop: Header=BB51_17 Depth=1
	s_xor_b32 s29, exec_lo, -1
; %bb.2888:                             ;   in Loop: Header=BB51_17 Depth=1
	s_or_b32 exec_lo, exec_lo, s41
	s_delay_alu instid0(SALU_CYCLE_1)
	s_and_b32 s29, s29, exec_lo
	s_or_saveexec_b32 s40, s40
	v_mov_b32_e32 v0, 0x7f800001
	s_xor_b32 exec_lo, exec_lo, s40
	s_cbranch_execz .LBB51_2345
.LBB51_2889:                            ;   in Loop: Header=BB51_17 Depth=1
	v_cmp_ne_u16_e32 vcc_lo, 0, v2
	v_mov_b32_e32 v0, 0
	s_and_not1_b32 s29, s29, exec_lo
	s_and_b32 s41, vcc_lo, exec_lo
	s_delay_alu instid0(SALU_CYCLE_1)
	s_or_b32 s29, s29, s41
	s_or_b32 exec_lo, exec_lo, s40
	s_and_saveexec_b32 s40, s29
	s_cbranch_execnz .LBB51_2346
	s_branch .LBB51_2347
.LBB51_2890:                            ;   in Loop: Header=BB51_17 Depth=1
	s_mov_b32 s41, -1
	s_mov_b32 s43, exec_lo
	v_cmpx_eq_u16_e32 0x80, v2
; %bb.2891:                             ;   in Loop: Header=BB51_17 Depth=1
	s_xor_b32 s41, exec_lo, -1
; %bb.2892:                             ;   in Loop: Header=BB51_17 Depth=1
	s_or_b32 exec_lo, exec_lo, s43
	s_delay_alu instid0(SALU_CYCLE_1)
	s_and_b32 s41, s41, exec_lo
	s_or_saveexec_b32 s42, s42
	v_mov_b32_e32 v0, 0x7f800001
	s_xor_b32 exec_lo, exec_lo, s42
	s_cbranch_execz .LBB51_723
.LBB51_2893:                            ;   in Loop: Header=BB51_17 Depth=1
	v_cmp_ne_u16_e32 vcc_lo, 0, v2
	v_mov_b32_e32 v0, 0
	s_and_not1_b32 s41, s41, exec_lo
	s_and_b32 s43, vcc_lo, exec_lo
	s_delay_alu instid0(SALU_CYCLE_1)
	s_or_b32 s41, s41, s43
	s_or_b32 exec_lo, exec_lo, s42
	s_and_saveexec_b32 s42, s41
	s_cbranch_execnz .LBB51_724
	s_branch .LBB51_725
.LBB51_2894:                            ;   in Loop: Header=BB51_17 Depth=1
	s_mov_b32 s43, -1
	s_mov_b32 s45, exec_lo
	v_cmpx_eq_u16_e32 0x80, v2
; %bb.2895:                             ;   in Loop: Header=BB51_17 Depth=1
	s_xor_b32 s43, exec_lo, -1
; %bb.2896:                             ;   in Loop: Header=BB51_17 Depth=1
	s_or_b32 exec_lo, exec_lo, s45
	s_delay_alu instid0(SALU_CYCLE_1)
	s_and_b32 s43, s43, exec_lo
	s_or_saveexec_b32 s44, s44
	v_mov_b32_e32 v0, 0x7f800001
	s_xor_b32 exec_lo, exec_lo, s44
	s_cbranch_execz .LBB51_823
.LBB51_2897:                            ;   in Loop: Header=BB51_17 Depth=1
	v_cmp_ne_u16_e32 vcc_lo, 0, v2
	v_mov_b32_e32 v0, 0
	s_and_not1_b32 s43, s43, exec_lo
	s_and_b32 s45, vcc_lo, exec_lo
	s_delay_alu instid0(SALU_CYCLE_1)
	s_or_b32 s43, s43, s45
	s_or_b32 exec_lo, exec_lo, s44
	s_and_saveexec_b32 s44, s43
	s_cbranch_execnz .LBB51_824
	s_branch .LBB51_825
.LBB51_2898:                            ;   in Loop: Header=BB51_17 Depth=1
	s_mov_b32 s58, exec_lo
                                        ; implicit-def: $vgpr0
	v_cmpx_lt_i16_e32 25, v18
	s_xor_b32 s58, exec_lo, s58
	s_cbranch_execz .LBB51_2930
; %bb.2899:                             ;   in Loop: Header=BB51_17 Depth=1
	s_mov_b32 s60, exec_lo
                                        ; implicit-def: $vgpr0
	v_cmpx_lt_i16_e32 28, v18
	s_xor_b32 s60, exec_lo, s60
	s_cbranch_execz .LBB51_2915
; %bb.2900:                             ;   in Loop: Header=BB51_17 Depth=1
	s_mov_b32 s61, 0
	s_mov_b32 s59, exec_lo
                                        ; implicit-def: $vgpr0
	v_cmpx_lt_i16_e32 43, v18
	s_xor_b32 s59, exec_lo, s59
	s_cbranch_execz .LBB51_2910
; %bb.2901:                             ;   in Loop: Header=BB51_17 Depth=1
	s_mov_b32 s62, exec_lo
                                        ; implicit-def: $vgpr0
	v_cmpx_lt_i16_e32 45, v18
	s_xor_b32 s62, exec_lo, s62
	s_cbranch_execz .LBB51_2905
; %bb.2902:                             ;   in Loop: Header=BB51_17 Depth=1
	s_mov_b32 s63, exec_lo
                                        ; implicit-def: $vgpr0
	v_cmpx_eq_u16_e32 46, v18
	s_cbranch_execz .LBB51_2904
; %bb.2903:                             ;   in Loop: Header=BB51_17 Depth=1
	flat_load_b32 v0, v[2:3]
	s_mov_b32 s61, exec_lo
	s_wait_loadcnt_dscnt 0x0
	v_lshlrev_b32_e32 v0, 16, v0
.LBB51_2904:                            ;   in Loop: Header=BB51_17 Depth=1
	s_wait_xcnt 0x0
	s_or_b32 exec_lo, exec_lo, s63
	s_delay_alu instid0(SALU_CYCLE_1)
	s_and_b32 s61, s61, exec_lo
                                        ; implicit-def: $vgpr18
                                        ; implicit-def: $vgpr2_vgpr3
.LBB51_2905:                            ;   in Loop: Header=BB51_17 Depth=1
	s_and_not1_saveexec_b32 s62, s62
	s_cbranch_execz .LBB51_2909
; %bb.2906:                             ;   in Loop: Header=BB51_17 Depth=1
	s_mov_b32 s72, s61
	s_mov_b32 s63, exec_lo
                                        ; implicit-def: $vgpr0
	v_cmpx_eq_u16_e32 44, v18
	s_cbranch_execz .LBB51_2908
; %bb.2907:                             ;   in Loop: Header=BB51_17 Depth=1
	flat_load_u8 v0, v[2:3]
	s_or_b32 s72, s61, exec_lo
	s_wait_loadcnt_dscnt 0x0
	v_lshlrev_b32_e32 v2, 23, v0
	v_cmp_ne_u32_e32 vcc_lo, 0xff, v0
	s_delay_alu instid0(VALU_DEP_2) | instskip(SKIP_1) | instid1(VALU_DEP_2)
	v_cndmask_b32_e32 v2, 0x7f800001, v2, vcc_lo
	v_cmp_ne_u32_e32 vcc_lo, 0, v0
	v_cndmask_b32_e32 v0, 0x400000, v2, vcc_lo
.LBB51_2908:                            ;   in Loop: Header=BB51_17 Depth=1
	s_or_b32 exec_lo, exec_lo, s63
	s_delay_alu instid0(SALU_CYCLE_1) | instskip(SKIP_1) | instid1(SALU_CYCLE_1)
	s_and_not1_b32 s61, s61, exec_lo
	s_and_b32 s63, s72, exec_lo
	s_or_b32 s61, s61, s63
.LBB51_2909:                            ;   in Loop: Header=BB51_17 Depth=1
	s_or_b32 exec_lo, exec_lo, s62
	s_delay_alu instid0(SALU_CYCLE_1)
	s_and_b32 s61, s61, exec_lo
                                        ; implicit-def: $vgpr18
                                        ; implicit-def: $vgpr2_vgpr3
.LBB51_2910:                            ;   in Loop: Header=BB51_17 Depth=1
	s_and_not1_saveexec_b32 s59, s59
	s_cbranch_execz .LBB51_2914
; %bb.2911:                             ;   in Loop: Header=BB51_17 Depth=1
	s_mov_b32 s63, s61
	s_mov_b32 s62, exec_lo
                                        ; implicit-def: $vgpr0
	v_cmpx_eq_u16_e32 29, v18
	s_cbranch_execz .LBB51_2913
; %bb.2912:                             ;   in Loop: Header=BB51_17 Depth=1
	flat_load_b64 v[2:3], v[2:3]
	s_or_b32 s63, s61, exec_lo
	s_wait_loadcnt_dscnt 0x0
	v_clz_i32_u32_e32 v0, v3
	s_delay_alu instid0(VALU_DEP_1) | instskip(SKIP_1) | instid1(VALU_DEP_1)
	v_min_u32_e32 v0, 32, v0
	s_wait_xcnt 0x0
	v_lshlrev_b64_e32 v[2:3], v0, v[2:3]
	v_sub_nc_u32_e32 v0, 32, v0
	s_delay_alu instid0(VALU_DEP_2) | instskip(NEXT) | instid1(VALU_DEP_1)
	v_min_u32_e32 v2, 1, v2
	v_or_b32_e32 v2, v3, v2
	s_delay_alu instid0(VALU_DEP_1) | instskip(NEXT) | instid1(VALU_DEP_1)
	v_cvt_f32_u32_e32 v2, v2
	v_ldexp_f32 v0, v2, v0
.LBB51_2913:                            ;   in Loop: Header=BB51_17 Depth=1
	s_or_b32 exec_lo, exec_lo, s62
	s_delay_alu instid0(SALU_CYCLE_1) | instskip(SKIP_1) | instid1(SALU_CYCLE_1)
	s_and_not1_b32 s61, s61, exec_lo
	s_and_b32 s62, s63, exec_lo
	s_or_b32 s61, s61, s62
.LBB51_2914:                            ;   in Loop: Header=BB51_17 Depth=1
	s_or_b32 exec_lo, exec_lo, s59
	s_delay_alu instid0(SALU_CYCLE_1)
	s_and_b32 s59, s61, exec_lo
                                        ; implicit-def: $vgpr18
                                        ; implicit-def: $vgpr2_vgpr3
.LBB51_2915:                            ;   in Loop: Header=BB51_17 Depth=1
	s_and_not1_saveexec_b32 s60, s60
	s_cbranch_execz .LBB51_2929
; %bb.2916:                             ;   in Loop: Header=BB51_17 Depth=1
	s_mov_b32 s61, exec_lo
                                        ; implicit-def: $vgpr0
	v_cmpx_lt_i16_e32 26, v18
	s_xor_b32 s61, exec_lo, s61
	s_cbranch_execz .LBB51_2922
; %bb.2917:                             ;   in Loop: Header=BB51_17 Depth=1
	s_mov_b32 s62, exec_lo
                                        ; implicit-def: $vgpr0
	v_cmpx_lt_i16_e32 27, v18
	s_xor_b32 s62, exec_lo, s62
	s_cbranch_execz .LBB51_2919
; %bb.2918:                             ;   in Loop: Header=BB51_17 Depth=1
	flat_load_b32 v0, v[2:3]
                                        ; implicit-def: $vgpr2_vgpr3
	s_wait_loadcnt_dscnt 0x0
	v_cvt_f32_u32_e32 v0, v0
.LBB51_2919:                            ;   in Loop: Header=BB51_17 Depth=1
	s_wait_xcnt 0x0
	s_and_not1_saveexec_b32 s62, s62
	s_cbranch_execz .LBB51_2921
; %bb.2920:                             ;   in Loop: Header=BB51_17 Depth=1
	flat_load_u16 v0, v[2:3]
	s_wait_loadcnt_dscnt 0x0
	v_cvt_f32_u32_e32 v0, v0
.LBB51_2921:                            ;   in Loop: Header=BB51_17 Depth=1
	s_wait_xcnt 0x0
	s_or_b32 exec_lo, exec_lo, s62
                                        ; implicit-def: $vgpr2_vgpr3
.LBB51_2922:                            ;   in Loop: Header=BB51_17 Depth=1
	s_and_not1_saveexec_b32 s61, s61
	s_cbranch_execz .LBB51_2928
; %bb.2923:                             ;   in Loop: Header=BB51_17 Depth=1
	flat_load_u8 v2, v[2:3]
	s_mov_b32 s62, 0
	s_mov_b32 s63, exec_lo
	s_wait_loadcnt_dscnt 0x0
	v_cmpx_lt_i16_e32 0x7f, v2
	s_xor_b32 s63, exec_lo, s63
	s_cbranch_execnz .LBB51_3466
; %bb.2924:                             ;   in Loop: Header=BB51_17 Depth=1
	s_or_saveexec_b32 s63, s63
	v_mov_b32_e32 v0, 0x7f800001
	s_xor_b32 exec_lo, exec_lo, s63
	s_cbranch_execnz .LBB51_3469
.LBB51_2925:                            ;   in Loop: Header=BB51_17 Depth=1
	s_or_b32 exec_lo, exec_lo, s63
	s_and_saveexec_b32 s63, s62
	s_cbranch_execz .LBB51_2927
.LBB51_2926:                            ;   in Loop: Header=BB51_17 Depth=1
	v_and_b32_e32 v0, 0xffff, v2
	s_delay_alu instid0(VALU_DEP_1) | instskip(SKIP_1) | instid1(VALU_DEP_2)
	v_and_b32_e32 v3, 7, v0
	v_bfe_u32 v20, v0, 3, 4
	v_clz_i32_u32_e32 v18, v3
	s_delay_alu instid0(VALU_DEP_2) | instskip(NEXT) | instid1(VALU_DEP_2)
	v_cmp_eq_u32_e32 vcc_lo, 0, v20
	v_min_u32_e32 v18, 32, v18
	s_delay_alu instid0(VALU_DEP_1) | instskip(NEXT) | instid1(VALU_DEP_1)
	v_subrev_nc_u32_e32 v19, 28, v18
	v_dual_lshlrev_b32 v0, v19, v0 :: v_dual_sub_nc_u32 v18, 29, v18
	s_delay_alu instid0(VALU_DEP_1) | instskip(NEXT) | instid1(VALU_DEP_1)
	v_dual_lshlrev_b32 v2, 24, v2 :: v_dual_bitop2_b32 v0, 7, v0 bitop3:0x40
	v_dual_cndmask_b32 v0, v3, v0, vcc_lo :: v_dual_cndmask_b32 v18, v20, v18, vcc_lo
	s_delay_alu instid0(VALU_DEP_2) | instskip(NEXT) | instid1(VALU_DEP_2)
	v_and_b32_e32 v2, 0x80000000, v2
	v_lshlrev_b32_e32 v0, 20, v0
	s_delay_alu instid0(VALU_DEP_3) | instskip(NEXT) | instid1(VALU_DEP_1)
	v_lshl_add_u32 v3, v18, 23, 0x3b800000
	v_or3_b32 v0, v2, v3, v0
.LBB51_2927:                            ;   in Loop: Header=BB51_17 Depth=1
	s_or_b32 exec_lo, exec_lo, s63
.LBB51_2928:                            ;   in Loop: Header=BB51_17 Depth=1
	s_delay_alu instid0(SALU_CYCLE_1) | instskip(NEXT) | instid1(SALU_CYCLE_1)
	s_or_b32 exec_lo, exec_lo, s61
	s_or_b32 s59, s59, exec_lo
.LBB51_2929:                            ;   in Loop: Header=BB51_17 Depth=1
	s_or_b32 exec_lo, exec_lo, s60
	s_delay_alu instid0(SALU_CYCLE_1)
	s_and_b32 s59, s59, exec_lo
                                        ; implicit-def: $vgpr18
                                        ; implicit-def: $vgpr2_vgpr3
.LBB51_2930:                            ;   in Loop: Header=BB51_17 Depth=1
	s_and_not1_saveexec_b32 s58, s58
	s_cbranch_execz .LBB51_2956
; %bb.2931:                             ;   in Loop: Header=BB51_17 Depth=1
	s_mov_b32 s61, s59
	s_mov_b32 s60, exec_lo
                                        ; implicit-def: $vgpr0
	v_cmpx_lt_i16_e32 22, v18
	s_xor_b32 s60, exec_lo, s60
	s_cbranch_execz .LBB51_2945
; %bb.2932:                             ;   in Loop: Header=BB51_17 Depth=1
	s_mov_b32 s61, exec_lo
                                        ; implicit-def: $vgpr0
	v_cmpx_lt_i16_e32 23, v18
	s_xor_b32 s61, exec_lo, s61
	s_cbranch_execz .LBB51_2942
; %bb.2933:                             ;   in Loop: Header=BB51_17 Depth=1
	;; [unrolled: 6-line block ×3, first 2 shown]
	flat_load_u8 v2, v[2:3]
	s_mov_b32 s63, 0
	s_mov_b32 s72, exec_lo
	s_wait_loadcnt_dscnt 0x0
	v_cmpx_lt_i16_e32 0x7f, v2
	s_xor_b32 s72, exec_lo, s72
	s_cbranch_execnz .LBB51_3578
; %bb.2935:                             ;   in Loop: Header=BB51_17 Depth=1
	s_or_saveexec_b32 s72, s72
	v_mov_b32_e32 v0, 0x7f800001
	s_xor_b32 exec_lo, exec_lo, s72
	s_cbranch_execnz .LBB51_3581
.LBB51_2936:                            ;   in Loop: Header=BB51_17 Depth=1
	s_or_b32 exec_lo, exec_lo, s72
	s_and_saveexec_b32 s72, s63
	s_cbranch_execz .LBB51_2938
.LBB51_2937:                            ;   in Loop: Header=BB51_17 Depth=1
	v_and_b32_e32 v0, 0xffff, v2
	s_delay_alu instid0(VALU_DEP_1) | instskip(SKIP_1) | instid1(VALU_DEP_2)
	v_and_b32_e32 v3, 3, v0
	v_bfe_u32 v20, v0, 2, 5
	v_clz_i32_u32_e32 v18, v3
	s_delay_alu instid0(VALU_DEP_2) | instskip(NEXT) | instid1(VALU_DEP_2)
	v_cmp_eq_u32_e32 vcc_lo, 0, v20
	v_min_u32_e32 v18, 32, v18
	s_delay_alu instid0(VALU_DEP_1) | instskip(NEXT) | instid1(VALU_DEP_1)
	v_subrev_nc_u32_e32 v19, 29, v18
	v_dual_lshlrev_b32 v0, v19, v0 :: v_dual_sub_nc_u32 v18, 30, v18
	s_delay_alu instid0(VALU_DEP_1) | instskip(NEXT) | instid1(VALU_DEP_1)
	v_dual_lshlrev_b32 v2, 24, v2 :: v_dual_bitop2_b32 v0, 3, v0 bitop3:0x40
	v_dual_cndmask_b32 v0, v3, v0, vcc_lo :: v_dual_cndmask_b32 v18, v20, v18, vcc_lo
	s_delay_alu instid0(VALU_DEP_2) | instskip(NEXT) | instid1(VALU_DEP_2)
	v_and_b32_e32 v2, 0x80000000, v2
	v_lshlrev_b32_e32 v0, 21, v0
	s_delay_alu instid0(VALU_DEP_3) | instskip(NEXT) | instid1(VALU_DEP_1)
	v_lshl_add_u32 v3, v18, 23, 0x37800000
	v_or3_b32 v0, v2, v3, v0
.LBB51_2938:                            ;   in Loop: Header=BB51_17 Depth=1
	s_or_b32 exec_lo, exec_lo, s72
                                        ; implicit-def: $vgpr2_vgpr3
.LBB51_2939:                            ;   in Loop: Header=BB51_17 Depth=1
	s_and_not1_saveexec_b32 s62, s62
	s_cbranch_execz .LBB51_2941
; %bb.2940:                             ;   in Loop: Header=BB51_17 Depth=1
	flat_load_u8 v0, v[2:3]
	s_wait_loadcnt_dscnt 0x0
	v_lshlrev_b32_e32 v0, 24, v0
	s_wait_xcnt 0x0
	s_delay_alu instid0(VALU_DEP_1) | instskip(NEXT) | instid1(VALU_DEP_1)
	v_and_b32_e32 v2, 0x7f000000, v0
	v_clz_i32_u32_e32 v3, v2
	v_cmp_ne_u32_e32 vcc_lo, 0, v2
	v_add_nc_u32_e32 v19, 0x1000000, v2
	s_delay_alu instid0(VALU_DEP_3) | instskip(NEXT) | instid1(VALU_DEP_1)
	v_min_u32_e32 v3, 32, v3
	v_sub_nc_u32_e64 v3, v3, 4 clamp
	s_delay_alu instid0(VALU_DEP_1) | instskip(NEXT) | instid1(VALU_DEP_1)
	v_dual_lshlrev_b32 v18, v3, v2 :: v_dual_lshlrev_b32 v3, 23, v3
	v_lshrrev_b32_e32 v18, 4, v18
	s_delay_alu instid0(VALU_DEP_1) | instskip(SKIP_1) | instid1(VALU_DEP_2)
	v_sub_nc_u32_e32 v3, v18, v3
	v_ashrrev_i32_e32 v18, 8, v19
	v_add_nc_u32_e32 v3, 0x3c000000, v3
	s_delay_alu instid0(VALU_DEP_1) | instskip(NEXT) | instid1(VALU_DEP_1)
	v_and_or_b32 v3, 0x7f800000, v18, v3
	v_cndmask_b32_e32 v2, 0, v3, vcc_lo
	s_delay_alu instid0(VALU_DEP_1)
	v_and_or_b32 v0, 0x80000000, v0, v2
.LBB51_2941:                            ;   in Loop: Header=BB51_17 Depth=1
	s_or_b32 exec_lo, exec_lo, s62
                                        ; implicit-def: $vgpr2_vgpr3
.LBB51_2942:                            ;   in Loop: Header=BB51_17 Depth=1
	s_and_not1_saveexec_b32 s61, s61
	s_cbranch_execz .LBB51_2944
; %bb.2943:                             ;   in Loop: Header=BB51_17 Depth=1
	flat_load_u8 v0, v[2:3]
	s_wait_loadcnt_dscnt 0x0
	v_lshlrev_b32_e32 v2, 25, v0
	v_lshlrev_b16 v0, 8, v0
	s_delay_alu instid0(VALU_DEP_1) | instskip(SKIP_1) | instid1(VALU_DEP_2)
	v_and_or_b32 v18, 0x7f00, v0, 0.5
	v_bfe_i32 v0, v0, 0, 16
	v_add_f32_e32 v18, -0.5, v18
	v_lshrrev_b32_e32 v3, 4, v2
	v_cmp_gt_u32_e32 vcc_lo, 0x8000000, v2
	s_delay_alu instid0(VALU_DEP_2) | instskip(NEXT) | instid1(VALU_DEP_1)
	v_or_b32_e32 v3, 0x70000000, v3
	v_mul_f32_e32 v3, 0x7800000, v3
	s_delay_alu instid0(VALU_DEP_1) | instskip(NEXT) | instid1(VALU_DEP_1)
	v_cndmask_b32_e32 v2, v3, v18, vcc_lo
	v_and_or_b32 v0, 0x80000000, v0, v2
.LBB51_2944:                            ;   in Loop: Header=BB51_17 Depth=1
	s_or_b32 exec_lo, exec_lo, s61
	s_delay_alu instid0(SALU_CYCLE_1)
	s_or_b32 s61, s59, exec_lo
                                        ; implicit-def: $vgpr18
                                        ; implicit-def: $vgpr2_vgpr3
.LBB51_2945:                            ;   in Loop: Header=BB51_17 Depth=1
	s_and_not1_saveexec_b32 s60, s60
	s_cbranch_execz .LBB51_2955
; %bb.2946:                             ;   in Loop: Header=BB51_17 Depth=1
	s_mov_b32 s62, s61
	s_mov_b32 s63, exec_lo
                                        ; implicit-def: $vgpr0
	v_cmpx_lt_i16_e32 14, v18
	s_xor_b32 s63, exec_lo, s63
	s_cbranch_execz .LBB51_2950
; %bb.2947:                             ;   in Loop: Header=BB51_17 Depth=1
	s_mov_b32 s62, s61
	s_mov_b32 s72, exec_lo
                                        ; implicit-def: $vgpr0
	v_cmpx_eq_u16_e32 15, v18
	s_cbranch_execz .LBB51_2949
; %bb.2948:                             ;   in Loop: Header=BB51_17 Depth=1
	flat_load_u16 v0, v[2:3]
	s_or_b32 s62, s61, exec_lo
	s_wait_loadcnt_dscnt 0x0
	v_lshlrev_b32_e32 v0, 16, v0
.LBB51_2949:                            ;   in Loop: Header=BB51_17 Depth=1
	s_wait_xcnt 0x0
	s_or_b32 exec_lo, exec_lo, s72
	s_delay_alu instid0(SALU_CYCLE_1) | instskip(SKIP_1) | instid1(SALU_CYCLE_1)
	s_and_not1_b32 s72, s61, exec_lo
	s_and_b32 s62, s62, exec_lo
                                        ; implicit-def: $vgpr18
                                        ; implicit-def: $vgpr2_vgpr3
	s_or_b32 s62, s72, s62
.LBB51_2950:                            ;   in Loop: Header=BB51_17 Depth=1
	s_and_not1_saveexec_b32 s63, s63
	s_cbranch_execz .LBB51_2954
; %bb.2951:                             ;   in Loop: Header=BB51_17 Depth=1
	s_mov_b32 s72, s62
	s_mov_b32 s73, exec_lo
                                        ; implicit-def: $vgpr0
	v_cmpx_eq_u16_e32 11, v18
	s_cbranch_execz .LBB51_2953
; %bb.2952:                             ;   in Loop: Header=BB51_17 Depth=1
	flat_load_u8 v0, v[2:3]
	s_or_b32 s72, s62, exec_lo
	s_wait_loadcnt_dscnt 0x0
	v_cmp_ne_u16_e32 vcc_lo, 0, v0
	v_cndmask_b32_e64 v0, 0, 1.0, vcc_lo
.LBB51_2953:                            ;   in Loop: Header=BB51_17 Depth=1
	s_wait_xcnt 0x0
	s_or_b32 exec_lo, exec_lo, s73
	s_delay_alu instid0(SALU_CYCLE_1) | instskip(SKIP_1) | instid1(SALU_CYCLE_1)
	s_and_not1_b32 s62, s62, exec_lo
	s_and_b32 s72, s72, exec_lo
	s_or_b32 s62, s62, s72
.LBB51_2954:                            ;   in Loop: Header=BB51_17 Depth=1
	s_or_b32 exec_lo, exec_lo, s63
	s_delay_alu instid0(SALU_CYCLE_1) | instskip(SKIP_1) | instid1(SALU_CYCLE_1)
	s_and_not1_b32 s61, s61, exec_lo
	s_and_b32 s62, s62, exec_lo
	s_or_b32 s61, s61, s62
.LBB51_2955:                            ;   in Loop: Header=BB51_17 Depth=1
	s_or_b32 exec_lo, exec_lo, s60
	s_delay_alu instid0(SALU_CYCLE_1) | instskip(SKIP_1) | instid1(SALU_CYCLE_1)
	s_and_not1_b32 s59, s59, exec_lo
	s_and_b32 s60, s61, exec_lo
	s_or_b32 s59, s59, s60
.LBB51_2956:                            ;   in Loop: Header=BB51_17 Depth=1
	s_or_b32 exec_lo, exec_lo, s58
	s_delay_alu instid0(SALU_CYCLE_1)
	s_and_b32 s58, s59, exec_lo
                                        ; implicit-def: $vgpr18
                                        ; implicit-def: $vgpr2_vgpr3
	s_and_not1_saveexec_b32 s46, s46
	s_cbranch_execz .LBB51_1233
.LBB51_2957:                            ;   in Loop: Header=BB51_17 Depth=1
	s_mov_b32 s59, exec_lo
                                        ; implicit-def: $vgpr0
	v_cmpx_lt_i16_e32 4, v18
	s_xor_b32 s59, exec_lo, s59
	s_cbranch_execz .LBB51_2979
; %bb.2958:                             ;   in Loop: Header=BB51_17 Depth=1
	s_mov_b32 s60, exec_lo
                                        ; implicit-def: $vgpr0
	v_cmpx_lt_i16_e32 7, v18
	s_xor_b32 s60, exec_lo, s60
	s_cbranch_execz .LBB51_2968
; %bb.2959:                             ;   in Loop: Header=BB51_17 Depth=1
	;; [unrolled: 6-line block ×4, first 2 shown]
	flat_load_b64 v[2:3], v[2:3]
	s_wait_loadcnt_dscnt 0x0
	v_cvt_f32_f64_e32 v0, v[2:3]
                                        ; implicit-def: $vgpr2_vgpr3
.LBB51_2962:                            ;   in Loop: Header=BB51_17 Depth=1
	s_wait_xcnt 0x0
	s_and_not1_saveexec_b32 s62, s62
	s_cbranch_execz .LBB51_2964
; %bb.2963:                             ;   in Loop: Header=BB51_17 Depth=1
	flat_load_b32 v0, v[2:3]
.LBB51_2964:                            ;   in Loop: Header=BB51_17 Depth=1
	s_wait_xcnt 0x0
	s_or_b32 exec_lo, exec_lo, s62
                                        ; implicit-def: $vgpr2_vgpr3
.LBB51_2965:                            ;   in Loop: Header=BB51_17 Depth=1
	s_and_not1_saveexec_b32 s61, s61
	s_cbranch_execz .LBB51_2967
; %bb.2966:                             ;   in Loop: Header=BB51_17 Depth=1
	s_wait_loadcnt_dscnt 0x0
	flat_load_b32 v0, v[2:3]
	s_wait_loadcnt_dscnt 0x0
	v_cvt_f32_f16_e32 v0, v0
.LBB51_2967:                            ;   in Loop: Header=BB51_17 Depth=1
	s_wait_xcnt 0x0
	s_or_b32 exec_lo, exec_lo, s61
                                        ; implicit-def: $vgpr2_vgpr3
                                        ; implicit-def: $vgpr18
.LBB51_2968:                            ;   in Loop: Header=BB51_17 Depth=1
	s_and_not1_saveexec_b32 s60, s60
	s_cbranch_execz .LBB51_2978
; %bb.2969:                             ;   in Loop: Header=BB51_17 Depth=1
	s_mov_b32 s61, exec_lo
                                        ; implicit-def: $vgpr0
	v_cmpx_lt_i16_e32 5, v18
	s_xor_b32 s61, exec_lo, s61
	s_cbranch_execz .LBB51_2975
; %bb.2970:                             ;   in Loop: Header=BB51_17 Depth=1
	s_mov_b32 s62, exec_lo
                                        ; implicit-def: $vgpr0
	v_cmpx_lt_i16_e32 6, v18
	s_xor_b32 s62, exec_lo, s62
	s_cbranch_execz .LBB51_2972
; %bb.2971:                             ;   in Loop: Header=BB51_17 Depth=1
	flat_load_b64 v[2:3], v[2:3]
	s_wait_loadcnt_dscnt 0x0
	v_cvt_f32_f64_e32 v0, v[2:3]
                                        ; implicit-def: $vgpr2_vgpr3
.LBB51_2972:                            ;   in Loop: Header=BB51_17 Depth=1
	s_wait_xcnt 0x0
	s_and_not1_saveexec_b32 s62, s62
	s_cbranch_execz .LBB51_2974
; %bb.2973:                             ;   in Loop: Header=BB51_17 Depth=1
	s_wait_loadcnt_dscnt 0x0
	flat_load_b32 v0, v[2:3]
.LBB51_2974:                            ;   in Loop: Header=BB51_17 Depth=1
	s_wait_xcnt 0x0
	s_or_b32 exec_lo, exec_lo, s62
                                        ; implicit-def: $vgpr2_vgpr3
.LBB51_2975:                            ;   in Loop: Header=BB51_17 Depth=1
	s_and_not1_saveexec_b32 s61, s61
	s_cbranch_execz .LBB51_2977
; %bb.2976:                             ;   in Loop: Header=BB51_17 Depth=1
	s_wait_loadcnt_dscnt 0x0
	flat_load_u16 v0, v[2:3]
	s_wait_loadcnt_dscnt 0x0
	v_cvt_f32_f16_e32 v0, v0
.LBB51_2977:                            ;   in Loop: Header=BB51_17 Depth=1
	s_wait_xcnt 0x0
	s_or_b32 exec_lo, exec_lo, s61
.LBB51_2978:                            ;   in Loop: Header=BB51_17 Depth=1
	s_delay_alu instid0(SALU_CYCLE_1)
	s_or_b32 exec_lo, exec_lo, s60
                                        ; implicit-def: $vgpr18
                                        ; implicit-def: $vgpr2_vgpr3
.LBB51_2979:                            ;   in Loop: Header=BB51_17 Depth=1
	s_and_not1_saveexec_b32 s59, s59
	s_cbranch_execz .LBB51_2997
; %bb.2980:                             ;   in Loop: Header=BB51_17 Depth=1
	s_mov_b32 s60, exec_lo
                                        ; implicit-def: $vgpr0
	v_cmpx_lt_i16_e32 1, v18
	s_xor_b32 s60, exec_lo, s60
	s_cbranch_execz .LBB51_2990
; %bb.2981:                             ;   in Loop: Header=BB51_17 Depth=1
	s_mov_b32 s61, exec_lo
                                        ; implicit-def: $vgpr0
	v_cmpx_lt_i16_e32 2, v18
	s_xor_b32 s61, exec_lo, s61
	;; [unrolled: 6-line block ×3, first 2 shown]
	s_cbranch_execz .LBB51_2984
; %bb.2983:                             ;   in Loop: Header=BB51_17 Depth=1
	flat_load_b64 v[2:3], v[2:3]
	s_wait_loadcnt_dscnt 0x0
	v_xor_b32_e32 v0, v2, v3
	v_cls_i32_e32 v18, v3
	s_delay_alu instid0(VALU_DEP_2) | instskip(NEXT) | instid1(VALU_DEP_1)
	v_ashrrev_i32_e32 v0, 31, v0
	v_add_nc_u32_e32 v0, 32, v0
	s_delay_alu instid0(VALU_DEP_1) | instskip(SKIP_1) | instid1(VALU_DEP_1)
	v_add_min_u32_e64 v0, v18, -1, v0
	s_wait_xcnt 0x0
	v_lshlrev_b64_e32 v[2:3], v0, v[2:3]
	v_sub_nc_u32_e32 v0, 32, v0
	s_delay_alu instid0(VALU_DEP_2) | instskip(NEXT) | instid1(VALU_DEP_1)
	v_min_u32_e32 v2, 1, v2
	v_or_b32_e32 v2, v3, v2
	s_delay_alu instid0(VALU_DEP_1) | instskip(NEXT) | instid1(VALU_DEP_1)
	v_cvt_f32_i32_e32 v2, v2
	v_ldexp_f32 v0, v2, v0
                                        ; implicit-def: $vgpr2_vgpr3
.LBB51_2984:                            ;   in Loop: Header=BB51_17 Depth=1
	s_and_not1_saveexec_b32 s62, s62
	s_cbranch_execz .LBB51_2986
; %bb.2985:                             ;   in Loop: Header=BB51_17 Depth=1
	s_wait_loadcnt_dscnt 0x0
	flat_load_b32 v0, v[2:3]
	s_wait_loadcnt_dscnt 0x0
	v_cvt_f32_i32_e32 v0, v0
.LBB51_2986:                            ;   in Loop: Header=BB51_17 Depth=1
	s_wait_xcnt 0x0
	s_or_b32 exec_lo, exec_lo, s62
                                        ; implicit-def: $vgpr2_vgpr3
.LBB51_2987:                            ;   in Loop: Header=BB51_17 Depth=1
	s_and_not1_saveexec_b32 s61, s61
	s_cbranch_execz .LBB51_2989
; %bb.2988:                             ;   in Loop: Header=BB51_17 Depth=1
	s_wait_loadcnt_dscnt 0x0
	flat_load_i16 v0, v[2:3]
	s_wait_loadcnt_dscnt 0x0
	v_cvt_f32_i32_e32 v0, v0
.LBB51_2989:                            ;   in Loop: Header=BB51_17 Depth=1
	s_wait_xcnt 0x0
	s_or_b32 exec_lo, exec_lo, s61
                                        ; implicit-def: $vgpr2_vgpr3
                                        ; implicit-def: $vgpr18
.LBB51_2990:                            ;   in Loop: Header=BB51_17 Depth=1
	s_and_not1_saveexec_b32 s60, s60
	s_cbranch_execz .LBB51_2996
; %bb.2991:                             ;   in Loop: Header=BB51_17 Depth=1
	s_mov_b32 s61, exec_lo
                                        ; implicit-def: $vgpr0
	v_cmpx_lt_i16_e32 0, v18
	s_xor_b32 s61, exec_lo, s61
	s_cbranch_execz .LBB51_2993
; %bb.2992:                             ;   in Loop: Header=BB51_17 Depth=1
	s_wait_loadcnt_dscnt 0x0
	flat_load_i8 v0, v[2:3]
                                        ; implicit-def: $vgpr2_vgpr3
	s_wait_loadcnt_dscnt 0x0
	v_cvt_f32_i32_e32 v0, v0
.LBB51_2993:                            ;   in Loop: Header=BB51_17 Depth=1
	s_wait_xcnt 0x0
	s_and_not1_saveexec_b32 s61, s61
	s_cbranch_execz .LBB51_2995
; %bb.2994:                             ;   in Loop: Header=BB51_17 Depth=1
	s_wait_loadcnt_dscnt 0x0
	flat_load_u8 v0, v[2:3]
	s_wait_loadcnt_dscnt 0x0
	v_cvt_f32_ubyte0_e32 v0, v0
.LBB51_2995:                            ;   in Loop: Header=BB51_17 Depth=1
	s_wait_xcnt 0x0
	s_or_b32 exec_lo, exec_lo, s61
.LBB51_2996:                            ;   in Loop: Header=BB51_17 Depth=1
	s_delay_alu instid0(SALU_CYCLE_1)
	s_or_b32 exec_lo, exec_lo, s60
.LBB51_2997:                            ;   in Loop: Header=BB51_17 Depth=1
	s_delay_alu instid0(SALU_CYCLE_1) | instskip(NEXT) | instid1(SALU_CYCLE_1)
	s_or_b32 exec_lo, exec_lo, s59
	s_or_b32 s58, s58, exec_lo
	s_or_b32 exec_lo, exec_lo, s46
	s_mov_b32 s59, 0
	s_and_saveexec_b32 s46, s58
	s_cbranch_execnz .LBB51_1234
	s_branch .LBB51_1235
.LBB51_2998:                            ;   in Loop: Header=BB51_17 Depth=1
	s_mov_b32 s40, -1
	s_mov_b32 s42, exec_lo
	v_cmpx_eq_u16_e32 0x80, v2
; %bb.2999:                             ;   in Loop: Header=BB51_17 Depth=1
	s_xor_b32 s40, exec_lo, -1
; %bb.3000:                             ;   in Loop: Header=BB51_17 Depth=1
	s_or_b32 exec_lo, exec_lo, s42
	s_delay_alu instid0(SALU_CYCLE_1)
	s_and_b32 s40, s40, exec_lo
	s_or_saveexec_b32 s41, s41
	v_mov_b32_e32 v0, 0x7f800001
	s_xor_b32 exec_lo, exec_lo, s41
	s_cbranch_execz .LBB51_2356
.LBB51_3001:                            ;   in Loop: Header=BB51_17 Depth=1
	v_cmp_ne_u16_e32 vcc_lo, 0, v2
	v_mov_b32_e32 v0, 0
	s_and_not1_b32 s40, s40, exec_lo
	s_and_b32 s42, vcc_lo, exec_lo
	s_delay_alu instid0(SALU_CYCLE_1)
	s_or_b32 s40, s40, s42
	s_or_b32 exec_lo, exec_lo, s41
	s_and_saveexec_b32 s41, s40
	s_cbranch_execnz .LBB51_2357
	s_branch .LBB51_2358
.LBB51_3002:                            ;   in Loop: Header=BB51_17 Depth=1
	s_mov_b32 s42, -1
	s_mov_b32 s44, exec_lo
	v_cmpx_eq_u16_e32 0x80, v2
; %bb.3003:                             ;   in Loop: Header=BB51_17 Depth=1
	s_xor_b32 s42, exec_lo, -1
; %bb.3004:                             ;   in Loop: Header=BB51_17 Depth=1
	s_or_b32 exec_lo, exec_lo, s44
	s_delay_alu instid0(SALU_CYCLE_1)
	s_and_b32 s42, s42, exec_lo
	s_or_saveexec_b32 s43, s43
	v_mov_b32_e32 v0, 0x7f800001
	s_xor_b32 exec_lo, exec_lo, s43
	s_cbranch_execz .LBB51_2461
.LBB51_3005:                            ;   in Loop: Header=BB51_17 Depth=1
	v_cmp_ne_u16_e32 vcc_lo, 0, v2
	v_mov_b32_e32 v0, 0
	s_and_not1_b32 s42, s42, exec_lo
	s_and_b32 s44, vcc_lo, exec_lo
	s_delay_alu instid0(SALU_CYCLE_1)
	s_or_b32 s42, s42, s44
	s_or_b32 exec_lo, exec_lo, s43
	s_and_saveexec_b32 s43, s42
	s_cbranch_execnz .LBB51_2462
	s_branch .LBB51_2463
.LBB51_3006:                            ;   in Loop: Header=BB51_17 Depth=1
	s_mov_b32 s44, -1
	s_mov_b32 s46, exec_lo
	v_cmpx_eq_u16_e32 0x80, v2
; %bb.3007:                             ;   in Loop: Header=BB51_17 Depth=1
	s_xor_b32 s44, exec_lo, -1
; %bb.3008:                             ;   in Loop: Header=BB51_17 Depth=1
	s_or_b32 exec_lo, exec_lo, s46
	s_delay_alu instid0(SALU_CYCLE_1)
	s_and_b32 s44, s44, exec_lo
	s_or_saveexec_b32 s45, s45
	v_mov_b32_e32 v0, 0x7f800001
	s_xor_b32 exec_lo, exec_lo, s45
	s_cbranch_execz .LBB51_834
.LBB51_3009:                            ;   in Loop: Header=BB51_17 Depth=1
	v_cmp_ne_u16_e32 vcc_lo, 0, v2
	v_mov_b32_e32 v0, 0
	s_and_not1_b32 s44, s44, exec_lo
	s_and_b32 s46, vcc_lo, exec_lo
	s_delay_alu instid0(SALU_CYCLE_1)
	s_or_b32 s44, s44, s46
	s_or_b32 exec_lo, exec_lo, s45
	s_and_saveexec_b32 s45, s44
	s_cbranch_execnz .LBB51_835
	s_branch .LBB51_836
.LBB51_3010:                            ;   in Loop: Header=BB51_17 Depth=1
	s_mov_b32 s46, -1
	s_mov_b32 s56, exec_lo
	v_cmpx_eq_u16_e32 0x80, v2
; %bb.3011:                             ;   in Loop: Header=BB51_17 Depth=1
	s_xor_b32 s46, exec_lo, -1
; %bb.3012:                             ;   in Loop: Header=BB51_17 Depth=1
	s_or_b32 exec_lo, exec_lo, s56
	s_delay_alu instid0(SALU_CYCLE_1)
	s_and_b32 s46, s46, exec_lo
	s_or_saveexec_b32 s47, s47
	v_mov_b32_e32 v0, 0x7f800001
	s_xor_b32 exec_lo, exec_lo, s47
	s_cbranch_execz .LBB51_934
.LBB51_3013:                            ;   in Loop: Header=BB51_17 Depth=1
	v_cmp_ne_u16_e32 vcc_lo, 0, v2
	v_mov_b32_e32 v0, 0
	s_and_not1_b32 s46, s46, exec_lo
	s_and_b32 s56, vcc_lo, exec_lo
	s_delay_alu instid0(SALU_CYCLE_1)
	s_or_b32 s46, s46, s56
	s_or_b32 exec_lo, exec_lo, s47
	s_and_saveexec_b32 s47, s46
	s_cbranch_execnz .LBB51_935
	s_branch .LBB51_936
.LBB51_3014:                            ;   in Loop: Header=BB51_17 Depth=1
	s_mov_b32 s61, exec_lo
                                        ; implicit-def: $vgpr0
	v_cmpx_lt_i16_e32 25, v18
	s_xor_b32 s61, exec_lo, s61
	s_cbranch_execz .LBB51_3046
; %bb.3015:                             ;   in Loop: Header=BB51_17 Depth=1
	s_mov_b32 s63, exec_lo
                                        ; implicit-def: $vgpr0
	v_cmpx_lt_i16_e32 28, v18
	s_xor_b32 s63, exec_lo, s63
	s_cbranch_execz .LBB51_3031
; %bb.3016:                             ;   in Loop: Header=BB51_17 Depth=1
	s_mov_b32 s72, 0
	s_mov_b32 s62, exec_lo
                                        ; implicit-def: $vgpr0
	v_cmpx_lt_i16_e32 43, v18
	s_xor_b32 s62, exec_lo, s62
	s_cbranch_execz .LBB51_3026
; %bb.3017:                             ;   in Loop: Header=BB51_17 Depth=1
	s_mov_b32 s73, exec_lo
                                        ; implicit-def: $vgpr0
	v_cmpx_lt_i16_e32 45, v18
	s_xor_b32 s73, exec_lo, s73
	s_cbranch_execz .LBB51_3021
; %bb.3018:                             ;   in Loop: Header=BB51_17 Depth=1
	s_mov_b32 s74, exec_lo
                                        ; implicit-def: $vgpr0
	v_cmpx_eq_u16_e32 46, v18
	s_cbranch_execz .LBB51_3020
; %bb.3019:                             ;   in Loop: Header=BB51_17 Depth=1
	flat_load_b32 v0, v[2:3]
	s_mov_b32 s72, exec_lo
	s_wait_loadcnt_dscnt 0x0
	v_lshlrev_b32_e32 v0, 16, v0
.LBB51_3020:                            ;   in Loop: Header=BB51_17 Depth=1
	s_wait_xcnt 0x0
	s_or_b32 exec_lo, exec_lo, s74
	s_delay_alu instid0(SALU_CYCLE_1)
	s_and_b32 s72, s72, exec_lo
                                        ; implicit-def: $vgpr18
                                        ; implicit-def: $vgpr2_vgpr3
.LBB51_3021:                            ;   in Loop: Header=BB51_17 Depth=1
	s_and_not1_saveexec_b32 s73, s73
	s_cbranch_execz .LBB51_3025
; %bb.3022:                             ;   in Loop: Header=BB51_17 Depth=1
	s_mov_b32 s75, s72
	s_mov_b32 s74, exec_lo
                                        ; implicit-def: $vgpr0
	v_cmpx_eq_u16_e32 44, v18
	s_cbranch_execz .LBB51_3024
; %bb.3023:                             ;   in Loop: Header=BB51_17 Depth=1
	flat_load_u8 v0, v[2:3]
	s_or_b32 s75, s72, exec_lo
	s_wait_loadcnt_dscnt 0x0
	v_lshlrev_b32_e32 v2, 23, v0
	v_cmp_ne_u32_e32 vcc_lo, 0xff, v0
	s_delay_alu instid0(VALU_DEP_2) | instskip(SKIP_1) | instid1(VALU_DEP_2)
	v_cndmask_b32_e32 v2, 0x7f800001, v2, vcc_lo
	v_cmp_ne_u32_e32 vcc_lo, 0, v0
	v_cndmask_b32_e32 v0, 0x400000, v2, vcc_lo
.LBB51_3024:                            ;   in Loop: Header=BB51_17 Depth=1
	s_or_b32 exec_lo, exec_lo, s74
	s_delay_alu instid0(SALU_CYCLE_1) | instskip(SKIP_1) | instid1(SALU_CYCLE_1)
	s_and_not1_b32 s72, s72, exec_lo
	s_and_b32 s74, s75, exec_lo
	s_or_b32 s72, s72, s74
.LBB51_3025:                            ;   in Loop: Header=BB51_17 Depth=1
	s_or_b32 exec_lo, exec_lo, s73
	s_delay_alu instid0(SALU_CYCLE_1)
	s_and_b32 s72, s72, exec_lo
                                        ; implicit-def: $vgpr18
                                        ; implicit-def: $vgpr2_vgpr3
.LBB51_3026:                            ;   in Loop: Header=BB51_17 Depth=1
	s_and_not1_saveexec_b32 s62, s62
	s_cbranch_execz .LBB51_3030
; %bb.3027:                             ;   in Loop: Header=BB51_17 Depth=1
	s_mov_b32 s74, s72
	s_mov_b32 s73, exec_lo
                                        ; implicit-def: $vgpr0
	v_cmpx_eq_u16_e32 29, v18
	s_cbranch_execz .LBB51_3029
; %bb.3028:                             ;   in Loop: Header=BB51_17 Depth=1
	flat_load_b64 v[2:3], v[2:3]
	s_or_b32 s74, s72, exec_lo
	s_wait_loadcnt_dscnt 0x0
	v_clz_i32_u32_e32 v0, v3
	s_delay_alu instid0(VALU_DEP_1) | instskip(SKIP_1) | instid1(VALU_DEP_1)
	v_min_u32_e32 v0, 32, v0
	s_wait_xcnt 0x0
	v_lshlrev_b64_e32 v[2:3], v0, v[2:3]
	v_sub_nc_u32_e32 v0, 32, v0
	s_delay_alu instid0(VALU_DEP_2) | instskip(NEXT) | instid1(VALU_DEP_1)
	v_min_u32_e32 v2, 1, v2
	v_or_b32_e32 v2, v3, v2
	s_delay_alu instid0(VALU_DEP_1) | instskip(NEXT) | instid1(VALU_DEP_1)
	v_cvt_f32_u32_e32 v2, v2
	v_ldexp_f32 v0, v2, v0
.LBB51_3029:                            ;   in Loop: Header=BB51_17 Depth=1
	s_or_b32 exec_lo, exec_lo, s73
	s_delay_alu instid0(SALU_CYCLE_1) | instskip(SKIP_1) | instid1(SALU_CYCLE_1)
	s_and_not1_b32 s72, s72, exec_lo
	s_and_b32 s73, s74, exec_lo
	s_or_b32 s72, s72, s73
.LBB51_3030:                            ;   in Loop: Header=BB51_17 Depth=1
	s_or_b32 exec_lo, exec_lo, s62
	s_delay_alu instid0(SALU_CYCLE_1)
	s_and_b32 s62, s72, exec_lo
                                        ; implicit-def: $vgpr18
                                        ; implicit-def: $vgpr2_vgpr3
.LBB51_3031:                            ;   in Loop: Header=BB51_17 Depth=1
	s_and_not1_saveexec_b32 s63, s63
	s_cbranch_execz .LBB51_3045
; %bb.3032:                             ;   in Loop: Header=BB51_17 Depth=1
	s_mov_b32 s72, exec_lo
                                        ; implicit-def: $vgpr0
	v_cmpx_lt_i16_e32 26, v18
	s_xor_b32 s72, exec_lo, s72
	s_cbranch_execz .LBB51_3038
; %bb.3033:                             ;   in Loop: Header=BB51_17 Depth=1
	s_mov_b32 s73, exec_lo
                                        ; implicit-def: $vgpr0
	v_cmpx_lt_i16_e32 27, v18
	s_xor_b32 s73, exec_lo, s73
	s_cbranch_execz .LBB51_3035
; %bb.3034:                             ;   in Loop: Header=BB51_17 Depth=1
	flat_load_b32 v0, v[2:3]
                                        ; implicit-def: $vgpr2_vgpr3
	s_wait_loadcnt_dscnt 0x0
	v_cvt_f32_u32_e32 v0, v0
.LBB51_3035:                            ;   in Loop: Header=BB51_17 Depth=1
	s_wait_xcnt 0x0
	s_and_not1_saveexec_b32 s73, s73
	s_cbranch_execz .LBB51_3037
; %bb.3036:                             ;   in Loop: Header=BB51_17 Depth=1
	flat_load_u16 v0, v[2:3]
	s_wait_loadcnt_dscnt 0x0
	v_cvt_f32_u32_e32 v0, v0
.LBB51_3037:                            ;   in Loop: Header=BB51_17 Depth=1
	s_wait_xcnt 0x0
	s_or_b32 exec_lo, exec_lo, s73
                                        ; implicit-def: $vgpr2_vgpr3
.LBB51_3038:                            ;   in Loop: Header=BB51_17 Depth=1
	s_and_not1_saveexec_b32 s72, s72
	s_cbranch_execz .LBB51_3044
; %bb.3039:                             ;   in Loop: Header=BB51_17 Depth=1
	flat_load_u8 v2, v[2:3]
	s_mov_b32 s73, 0
	s_mov_b32 s74, exec_lo
	s_wait_loadcnt_dscnt 0x0
	v_cmpx_lt_i16_e32 0x7f, v2
	s_xor_b32 s74, exec_lo, s74
	s_cbranch_execnz .LBB51_3582
; %bb.3040:                             ;   in Loop: Header=BB51_17 Depth=1
	s_or_saveexec_b32 s74, s74
	v_mov_b32_e32 v0, 0x7f800001
	s_xor_b32 exec_lo, exec_lo, s74
	s_cbranch_execnz .LBB51_3585
.LBB51_3041:                            ;   in Loop: Header=BB51_17 Depth=1
	s_or_b32 exec_lo, exec_lo, s74
	s_and_saveexec_b32 s74, s73
	s_cbranch_execz .LBB51_3043
.LBB51_3042:                            ;   in Loop: Header=BB51_17 Depth=1
	v_and_b32_e32 v0, 0xffff, v2
	s_delay_alu instid0(VALU_DEP_1) | instskip(SKIP_1) | instid1(VALU_DEP_2)
	v_and_b32_e32 v3, 7, v0
	v_bfe_u32 v20, v0, 3, 4
	v_clz_i32_u32_e32 v18, v3
	s_delay_alu instid0(VALU_DEP_2) | instskip(NEXT) | instid1(VALU_DEP_2)
	v_cmp_eq_u32_e32 vcc_lo, 0, v20
	v_min_u32_e32 v18, 32, v18
	s_delay_alu instid0(VALU_DEP_1) | instskip(NEXT) | instid1(VALU_DEP_1)
	v_subrev_nc_u32_e32 v19, 28, v18
	v_dual_lshlrev_b32 v0, v19, v0 :: v_dual_sub_nc_u32 v18, 29, v18
	s_delay_alu instid0(VALU_DEP_1) | instskip(NEXT) | instid1(VALU_DEP_1)
	v_dual_lshlrev_b32 v2, 24, v2 :: v_dual_bitop2_b32 v0, 7, v0 bitop3:0x40
	v_dual_cndmask_b32 v0, v3, v0, vcc_lo :: v_dual_cndmask_b32 v18, v20, v18, vcc_lo
	s_delay_alu instid0(VALU_DEP_2) | instskip(NEXT) | instid1(VALU_DEP_2)
	v_and_b32_e32 v2, 0x80000000, v2
	v_lshlrev_b32_e32 v0, 20, v0
	s_delay_alu instid0(VALU_DEP_3) | instskip(NEXT) | instid1(VALU_DEP_1)
	v_lshl_add_u32 v3, v18, 23, 0x3b800000
	v_or3_b32 v0, v2, v3, v0
.LBB51_3043:                            ;   in Loop: Header=BB51_17 Depth=1
	s_or_b32 exec_lo, exec_lo, s74
.LBB51_3044:                            ;   in Loop: Header=BB51_17 Depth=1
	s_delay_alu instid0(SALU_CYCLE_1) | instskip(NEXT) | instid1(SALU_CYCLE_1)
	s_or_b32 exec_lo, exec_lo, s72
	s_or_b32 s62, s62, exec_lo
.LBB51_3045:                            ;   in Loop: Header=BB51_17 Depth=1
	s_or_b32 exec_lo, exec_lo, s63
	s_delay_alu instid0(SALU_CYCLE_1)
	s_and_b32 s62, s62, exec_lo
                                        ; implicit-def: $vgpr18
                                        ; implicit-def: $vgpr2_vgpr3
.LBB51_3046:                            ;   in Loop: Header=BB51_17 Depth=1
	s_and_not1_saveexec_b32 s61, s61
	s_cbranch_execz .LBB51_3072
; %bb.3047:                             ;   in Loop: Header=BB51_17 Depth=1
	s_mov_b32 s72, s62
	s_mov_b32 s63, exec_lo
                                        ; implicit-def: $vgpr0
	v_cmpx_lt_i16_e32 22, v18
	s_xor_b32 s63, exec_lo, s63
	s_cbranch_execz .LBB51_3061
; %bb.3048:                             ;   in Loop: Header=BB51_17 Depth=1
	s_mov_b32 s72, exec_lo
                                        ; implicit-def: $vgpr0
	v_cmpx_lt_i16_e32 23, v18
	s_xor_b32 s72, exec_lo, s72
	s_cbranch_execz .LBB51_3058
; %bb.3049:                             ;   in Loop: Header=BB51_17 Depth=1
	;; [unrolled: 6-line block ×3, first 2 shown]
	flat_load_u8 v2, v[2:3]
	s_mov_b32 s74, 0
	s_mov_b32 s75, exec_lo
	s_wait_loadcnt_dscnt 0x0
	v_cmpx_lt_i16_e32 0x7f, v2
	s_xor_b32 s75, exec_lo, s75
	s_cbranch_execnz .LBB51_3594
; %bb.3051:                             ;   in Loop: Header=BB51_17 Depth=1
	s_or_saveexec_b32 s75, s75
	v_mov_b32_e32 v0, 0x7f800001
	s_xor_b32 exec_lo, exec_lo, s75
	s_cbranch_execnz .LBB51_3597
.LBB51_3052:                            ;   in Loop: Header=BB51_17 Depth=1
	s_or_b32 exec_lo, exec_lo, s75
	s_and_saveexec_b32 s75, s74
	s_cbranch_execz .LBB51_3054
.LBB51_3053:                            ;   in Loop: Header=BB51_17 Depth=1
	v_and_b32_e32 v0, 0xffff, v2
	s_delay_alu instid0(VALU_DEP_1) | instskip(SKIP_1) | instid1(VALU_DEP_2)
	v_and_b32_e32 v3, 3, v0
	v_bfe_u32 v20, v0, 2, 5
	v_clz_i32_u32_e32 v18, v3
	s_delay_alu instid0(VALU_DEP_2) | instskip(NEXT) | instid1(VALU_DEP_2)
	v_cmp_eq_u32_e32 vcc_lo, 0, v20
	v_min_u32_e32 v18, 32, v18
	s_delay_alu instid0(VALU_DEP_1) | instskip(NEXT) | instid1(VALU_DEP_1)
	v_subrev_nc_u32_e32 v19, 29, v18
	v_dual_lshlrev_b32 v0, v19, v0 :: v_dual_sub_nc_u32 v18, 30, v18
	s_delay_alu instid0(VALU_DEP_1) | instskip(NEXT) | instid1(VALU_DEP_1)
	v_dual_lshlrev_b32 v2, 24, v2 :: v_dual_bitop2_b32 v0, 3, v0 bitop3:0x40
	v_dual_cndmask_b32 v0, v3, v0, vcc_lo :: v_dual_cndmask_b32 v18, v20, v18, vcc_lo
	s_delay_alu instid0(VALU_DEP_2) | instskip(NEXT) | instid1(VALU_DEP_2)
	v_and_b32_e32 v2, 0x80000000, v2
	v_lshlrev_b32_e32 v0, 21, v0
	s_delay_alu instid0(VALU_DEP_3) | instskip(NEXT) | instid1(VALU_DEP_1)
	v_lshl_add_u32 v3, v18, 23, 0x37800000
	v_or3_b32 v0, v2, v3, v0
.LBB51_3054:                            ;   in Loop: Header=BB51_17 Depth=1
	s_or_b32 exec_lo, exec_lo, s75
                                        ; implicit-def: $vgpr2_vgpr3
.LBB51_3055:                            ;   in Loop: Header=BB51_17 Depth=1
	s_and_not1_saveexec_b32 s73, s73
	s_cbranch_execz .LBB51_3057
; %bb.3056:                             ;   in Loop: Header=BB51_17 Depth=1
	flat_load_u8 v0, v[2:3]
	s_wait_loadcnt_dscnt 0x0
	v_lshlrev_b32_e32 v0, 24, v0
	s_wait_xcnt 0x0
	s_delay_alu instid0(VALU_DEP_1) | instskip(NEXT) | instid1(VALU_DEP_1)
	v_and_b32_e32 v2, 0x7f000000, v0
	v_clz_i32_u32_e32 v3, v2
	v_cmp_ne_u32_e32 vcc_lo, 0, v2
	v_add_nc_u32_e32 v19, 0x1000000, v2
	s_delay_alu instid0(VALU_DEP_3) | instskip(NEXT) | instid1(VALU_DEP_1)
	v_min_u32_e32 v3, 32, v3
	v_sub_nc_u32_e64 v3, v3, 4 clamp
	s_delay_alu instid0(VALU_DEP_1) | instskip(NEXT) | instid1(VALU_DEP_1)
	v_dual_lshlrev_b32 v18, v3, v2 :: v_dual_lshlrev_b32 v3, 23, v3
	v_lshrrev_b32_e32 v18, 4, v18
	s_delay_alu instid0(VALU_DEP_1) | instskip(SKIP_1) | instid1(VALU_DEP_2)
	v_sub_nc_u32_e32 v3, v18, v3
	v_ashrrev_i32_e32 v18, 8, v19
	v_add_nc_u32_e32 v3, 0x3c000000, v3
	s_delay_alu instid0(VALU_DEP_1) | instskip(NEXT) | instid1(VALU_DEP_1)
	v_and_or_b32 v3, 0x7f800000, v18, v3
	v_cndmask_b32_e32 v2, 0, v3, vcc_lo
	s_delay_alu instid0(VALU_DEP_1)
	v_and_or_b32 v0, 0x80000000, v0, v2
.LBB51_3057:                            ;   in Loop: Header=BB51_17 Depth=1
	s_or_b32 exec_lo, exec_lo, s73
                                        ; implicit-def: $vgpr2_vgpr3
.LBB51_3058:                            ;   in Loop: Header=BB51_17 Depth=1
	s_and_not1_saveexec_b32 s72, s72
	s_cbranch_execz .LBB51_3060
; %bb.3059:                             ;   in Loop: Header=BB51_17 Depth=1
	flat_load_u8 v0, v[2:3]
	s_wait_loadcnt_dscnt 0x0
	v_lshlrev_b32_e32 v2, 25, v0
	v_lshlrev_b16 v0, 8, v0
	s_delay_alu instid0(VALU_DEP_1) | instskip(SKIP_1) | instid1(VALU_DEP_2)
	v_and_or_b32 v18, 0x7f00, v0, 0.5
	v_bfe_i32 v0, v0, 0, 16
	v_add_f32_e32 v18, -0.5, v18
	v_lshrrev_b32_e32 v3, 4, v2
	v_cmp_gt_u32_e32 vcc_lo, 0x8000000, v2
	s_delay_alu instid0(VALU_DEP_2) | instskip(NEXT) | instid1(VALU_DEP_1)
	v_or_b32_e32 v3, 0x70000000, v3
	v_mul_f32_e32 v3, 0x7800000, v3
	s_delay_alu instid0(VALU_DEP_1) | instskip(NEXT) | instid1(VALU_DEP_1)
	v_cndmask_b32_e32 v2, v3, v18, vcc_lo
	v_and_or_b32 v0, 0x80000000, v0, v2
.LBB51_3060:                            ;   in Loop: Header=BB51_17 Depth=1
	s_or_b32 exec_lo, exec_lo, s72
	s_delay_alu instid0(SALU_CYCLE_1)
	s_or_b32 s72, s62, exec_lo
                                        ; implicit-def: $vgpr18
                                        ; implicit-def: $vgpr2_vgpr3
.LBB51_3061:                            ;   in Loop: Header=BB51_17 Depth=1
	s_and_not1_saveexec_b32 s63, s63
	s_cbranch_execz .LBB51_3071
; %bb.3062:                             ;   in Loop: Header=BB51_17 Depth=1
	s_mov_b32 s73, s72
	s_mov_b32 s74, exec_lo
                                        ; implicit-def: $vgpr0
	v_cmpx_lt_i16_e32 14, v18
	s_xor_b32 s74, exec_lo, s74
	s_cbranch_execz .LBB51_3066
; %bb.3063:                             ;   in Loop: Header=BB51_17 Depth=1
	s_mov_b32 s73, s72
	s_mov_b32 s75, exec_lo
                                        ; implicit-def: $vgpr0
	v_cmpx_eq_u16_e32 15, v18
	s_cbranch_execz .LBB51_3065
; %bb.3064:                             ;   in Loop: Header=BB51_17 Depth=1
	flat_load_u16 v0, v[2:3]
	s_or_b32 s73, s72, exec_lo
	s_wait_loadcnt_dscnt 0x0
	v_lshlrev_b32_e32 v0, 16, v0
.LBB51_3065:                            ;   in Loop: Header=BB51_17 Depth=1
	s_wait_xcnt 0x0
	s_or_b32 exec_lo, exec_lo, s75
	s_delay_alu instid0(SALU_CYCLE_1) | instskip(SKIP_1) | instid1(SALU_CYCLE_1)
	s_and_not1_b32 s75, s72, exec_lo
	s_and_b32 s73, s73, exec_lo
                                        ; implicit-def: $vgpr18
                                        ; implicit-def: $vgpr2_vgpr3
	s_or_b32 s73, s75, s73
.LBB51_3066:                            ;   in Loop: Header=BB51_17 Depth=1
	s_and_not1_saveexec_b32 s74, s74
	s_cbranch_execz .LBB51_3070
; %bb.3067:                             ;   in Loop: Header=BB51_17 Depth=1
	s_mov_b32 s75, s73
	s_mov_b32 s76, exec_lo
                                        ; implicit-def: $vgpr0
	v_cmpx_eq_u16_e32 11, v18
	s_cbranch_execz .LBB51_3069
; %bb.3068:                             ;   in Loop: Header=BB51_17 Depth=1
	flat_load_u8 v0, v[2:3]
	s_or_b32 s75, s73, exec_lo
	s_wait_loadcnt_dscnt 0x0
	v_cmp_ne_u16_e32 vcc_lo, 0, v0
	v_cndmask_b32_e64 v0, 0, 1.0, vcc_lo
.LBB51_3069:                            ;   in Loop: Header=BB51_17 Depth=1
	s_wait_xcnt 0x0
	s_or_b32 exec_lo, exec_lo, s76
	s_delay_alu instid0(SALU_CYCLE_1) | instskip(SKIP_1) | instid1(SALU_CYCLE_1)
	s_and_not1_b32 s73, s73, exec_lo
	s_and_b32 s75, s75, exec_lo
	s_or_b32 s73, s73, s75
.LBB51_3070:                            ;   in Loop: Header=BB51_17 Depth=1
	s_or_b32 exec_lo, exec_lo, s74
	s_delay_alu instid0(SALU_CYCLE_1) | instskip(SKIP_1) | instid1(SALU_CYCLE_1)
	s_and_not1_b32 s72, s72, exec_lo
	s_and_b32 s73, s73, exec_lo
	s_or_b32 s72, s72, s73
.LBB51_3071:                            ;   in Loop: Header=BB51_17 Depth=1
	s_or_b32 exec_lo, exec_lo, s63
	s_delay_alu instid0(SALU_CYCLE_1) | instskip(SKIP_1) | instid1(SALU_CYCLE_1)
	s_and_not1_b32 s62, s62, exec_lo
	s_and_b32 s63, s72, exec_lo
	s_or_b32 s62, s62, s63
.LBB51_3072:                            ;   in Loop: Header=BB51_17 Depth=1
	s_or_b32 exec_lo, exec_lo, s61
	s_delay_alu instid0(SALU_CYCLE_1)
	s_and_b32 s61, s62, exec_lo
                                        ; implicit-def: $vgpr18
                                        ; implicit-def: $vgpr2_vgpr3
	s_and_not1_saveexec_b32 s57, s57
	s_cbranch_execz .LBB51_1344
.LBB51_3073:                            ;   in Loop: Header=BB51_17 Depth=1
	s_mov_b32 s62, exec_lo
                                        ; implicit-def: $vgpr0
	v_cmpx_lt_i16_e32 4, v18
	s_xor_b32 s62, exec_lo, s62
	s_cbranch_execz .LBB51_3095
; %bb.3074:                             ;   in Loop: Header=BB51_17 Depth=1
	s_mov_b32 s63, exec_lo
                                        ; implicit-def: $vgpr0
	v_cmpx_lt_i16_e32 7, v18
	s_xor_b32 s63, exec_lo, s63
	s_cbranch_execz .LBB51_3084
; %bb.3075:                             ;   in Loop: Header=BB51_17 Depth=1
	s_mov_b32 s72, exec_lo
                                        ; implicit-def: $vgpr0
	v_cmpx_lt_i16_e32 8, v18
	s_xor_b32 s72, exec_lo, s72
	s_cbranch_execz .LBB51_3081
; %bb.3076:                             ;   in Loop: Header=BB51_17 Depth=1
	s_mov_b32 s73, exec_lo
                                        ; implicit-def: $vgpr0
	v_cmpx_lt_i16_e32 9, v18
	s_xor_b32 s73, exec_lo, s73
	s_cbranch_execz .LBB51_3078
; %bb.3077:                             ;   in Loop: Header=BB51_17 Depth=1
	flat_load_b64 v[2:3], v[2:3]
	s_wait_loadcnt_dscnt 0x0
	v_cvt_f32_f64_e32 v0, v[2:3]
                                        ; implicit-def: $vgpr2_vgpr3
.LBB51_3078:                            ;   in Loop: Header=BB51_17 Depth=1
	s_wait_xcnt 0x0
	s_and_not1_saveexec_b32 s73, s73
	s_cbranch_execz .LBB51_3080
; %bb.3079:                             ;   in Loop: Header=BB51_17 Depth=1
	flat_load_b32 v0, v[2:3]
.LBB51_3080:                            ;   in Loop: Header=BB51_17 Depth=1
	s_wait_xcnt 0x0
	s_or_b32 exec_lo, exec_lo, s73
                                        ; implicit-def: $vgpr2_vgpr3
.LBB51_3081:                            ;   in Loop: Header=BB51_17 Depth=1
	s_and_not1_saveexec_b32 s72, s72
	s_cbranch_execz .LBB51_3083
; %bb.3082:                             ;   in Loop: Header=BB51_17 Depth=1
	s_wait_loadcnt_dscnt 0x0
	flat_load_b32 v0, v[2:3]
	s_wait_loadcnt_dscnt 0x0
	v_cvt_f32_f16_e32 v0, v0
.LBB51_3083:                            ;   in Loop: Header=BB51_17 Depth=1
	s_wait_xcnt 0x0
	s_or_b32 exec_lo, exec_lo, s72
                                        ; implicit-def: $vgpr2_vgpr3
                                        ; implicit-def: $vgpr18
.LBB51_3084:                            ;   in Loop: Header=BB51_17 Depth=1
	s_and_not1_saveexec_b32 s63, s63
	s_cbranch_execz .LBB51_3094
; %bb.3085:                             ;   in Loop: Header=BB51_17 Depth=1
	s_mov_b32 s72, exec_lo
                                        ; implicit-def: $vgpr0
	v_cmpx_lt_i16_e32 5, v18
	s_xor_b32 s72, exec_lo, s72
	s_cbranch_execz .LBB51_3091
; %bb.3086:                             ;   in Loop: Header=BB51_17 Depth=1
	s_mov_b32 s73, exec_lo
                                        ; implicit-def: $vgpr0
	v_cmpx_lt_i16_e32 6, v18
	s_xor_b32 s73, exec_lo, s73
	s_cbranch_execz .LBB51_3088
; %bb.3087:                             ;   in Loop: Header=BB51_17 Depth=1
	flat_load_b64 v[2:3], v[2:3]
	s_wait_loadcnt_dscnt 0x0
	v_cvt_f32_f64_e32 v0, v[2:3]
                                        ; implicit-def: $vgpr2_vgpr3
.LBB51_3088:                            ;   in Loop: Header=BB51_17 Depth=1
	s_wait_xcnt 0x0
	s_and_not1_saveexec_b32 s73, s73
	s_cbranch_execz .LBB51_3090
; %bb.3089:                             ;   in Loop: Header=BB51_17 Depth=1
	s_wait_loadcnt_dscnt 0x0
	flat_load_b32 v0, v[2:3]
.LBB51_3090:                            ;   in Loop: Header=BB51_17 Depth=1
	s_wait_xcnt 0x0
	s_or_b32 exec_lo, exec_lo, s73
                                        ; implicit-def: $vgpr2_vgpr3
.LBB51_3091:                            ;   in Loop: Header=BB51_17 Depth=1
	s_and_not1_saveexec_b32 s72, s72
	s_cbranch_execz .LBB51_3093
; %bb.3092:                             ;   in Loop: Header=BB51_17 Depth=1
	s_wait_loadcnt_dscnt 0x0
	flat_load_u16 v0, v[2:3]
	s_wait_loadcnt_dscnt 0x0
	v_cvt_f32_f16_e32 v0, v0
.LBB51_3093:                            ;   in Loop: Header=BB51_17 Depth=1
	s_wait_xcnt 0x0
	s_or_b32 exec_lo, exec_lo, s72
.LBB51_3094:                            ;   in Loop: Header=BB51_17 Depth=1
	s_delay_alu instid0(SALU_CYCLE_1)
	s_or_b32 exec_lo, exec_lo, s63
                                        ; implicit-def: $vgpr18
                                        ; implicit-def: $vgpr2_vgpr3
.LBB51_3095:                            ;   in Loop: Header=BB51_17 Depth=1
	s_and_not1_saveexec_b32 s62, s62
	s_cbranch_execz .LBB51_3113
; %bb.3096:                             ;   in Loop: Header=BB51_17 Depth=1
	s_mov_b32 s63, exec_lo
                                        ; implicit-def: $vgpr0
	v_cmpx_lt_i16_e32 1, v18
	s_xor_b32 s63, exec_lo, s63
	s_cbranch_execz .LBB51_3106
; %bb.3097:                             ;   in Loop: Header=BB51_17 Depth=1
	s_mov_b32 s72, exec_lo
                                        ; implicit-def: $vgpr0
	v_cmpx_lt_i16_e32 2, v18
	s_xor_b32 s72, exec_lo, s72
	;; [unrolled: 6-line block ×3, first 2 shown]
	s_cbranch_execz .LBB51_3100
; %bb.3099:                             ;   in Loop: Header=BB51_17 Depth=1
	flat_load_b64 v[2:3], v[2:3]
	s_wait_loadcnt_dscnt 0x0
	v_xor_b32_e32 v0, v2, v3
	v_cls_i32_e32 v18, v3
	s_delay_alu instid0(VALU_DEP_2) | instskip(NEXT) | instid1(VALU_DEP_1)
	v_ashrrev_i32_e32 v0, 31, v0
	v_add_nc_u32_e32 v0, 32, v0
	s_delay_alu instid0(VALU_DEP_1) | instskip(SKIP_1) | instid1(VALU_DEP_1)
	v_add_min_u32_e64 v0, v18, -1, v0
	s_wait_xcnt 0x0
	v_lshlrev_b64_e32 v[2:3], v0, v[2:3]
	v_sub_nc_u32_e32 v0, 32, v0
	s_delay_alu instid0(VALU_DEP_2) | instskip(NEXT) | instid1(VALU_DEP_1)
	v_min_u32_e32 v2, 1, v2
	v_or_b32_e32 v2, v3, v2
	s_delay_alu instid0(VALU_DEP_1) | instskip(NEXT) | instid1(VALU_DEP_1)
	v_cvt_f32_i32_e32 v2, v2
	v_ldexp_f32 v0, v2, v0
                                        ; implicit-def: $vgpr2_vgpr3
.LBB51_3100:                            ;   in Loop: Header=BB51_17 Depth=1
	s_and_not1_saveexec_b32 s73, s73
	s_cbranch_execz .LBB51_3102
; %bb.3101:                             ;   in Loop: Header=BB51_17 Depth=1
	s_wait_loadcnt_dscnt 0x0
	flat_load_b32 v0, v[2:3]
	s_wait_loadcnt_dscnt 0x0
	v_cvt_f32_i32_e32 v0, v0
.LBB51_3102:                            ;   in Loop: Header=BB51_17 Depth=1
	s_wait_xcnt 0x0
	s_or_b32 exec_lo, exec_lo, s73
                                        ; implicit-def: $vgpr2_vgpr3
.LBB51_3103:                            ;   in Loop: Header=BB51_17 Depth=1
	s_and_not1_saveexec_b32 s72, s72
	s_cbranch_execz .LBB51_3105
; %bb.3104:                             ;   in Loop: Header=BB51_17 Depth=1
	s_wait_loadcnt_dscnt 0x0
	flat_load_i16 v0, v[2:3]
	s_wait_loadcnt_dscnt 0x0
	v_cvt_f32_i32_e32 v0, v0
.LBB51_3105:                            ;   in Loop: Header=BB51_17 Depth=1
	s_wait_xcnt 0x0
	s_or_b32 exec_lo, exec_lo, s72
                                        ; implicit-def: $vgpr2_vgpr3
                                        ; implicit-def: $vgpr18
.LBB51_3106:                            ;   in Loop: Header=BB51_17 Depth=1
	s_and_not1_saveexec_b32 s63, s63
	s_cbranch_execz .LBB51_3112
; %bb.3107:                             ;   in Loop: Header=BB51_17 Depth=1
	s_mov_b32 s72, exec_lo
                                        ; implicit-def: $vgpr0
	v_cmpx_lt_i16_e32 0, v18
	s_xor_b32 s72, exec_lo, s72
	s_cbranch_execz .LBB51_3109
; %bb.3108:                             ;   in Loop: Header=BB51_17 Depth=1
	s_wait_loadcnt_dscnt 0x0
	flat_load_i8 v0, v[2:3]
                                        ; implicit-def: $vgpr2_vgpr3
	s_wait_loadcnt_dscnt 0x0
	v_cvt_f32_i32_e32 v0, v0
.LBB51_3109:                            ;   in Loop: Header=BB51_17 Depth=1
	s_wait_xcnt 0x0
	s_and_not1_saveexec_b32 s72, s72
	s_cbranch_execz .LBB51_3111
; %bb.3110:                             ;   in Loop: Header=BB51_17 Depth=1
	s_wait_loadcnt_dscnt 0x0
	flat_load_u8 v0, v[2:3]
	s_wait_loadcnt_dscnt 0x0
	v_cvt_f32_ubyte0_e32 v0, v0
.LBB51_3111:                            ;   in Loop: Header=BB51_17 Depth=1
	s_wait_xcnt 0x0
	s_or_b32 exec_lo, exec_lo, s72
.LBB51_3112:                            ;   in Loop: Header=BB51_17 Depth=1
	s_delay_alu instid0(SALU_CYCLE_1)
	s_or_b32 exec_lo, exec_lo, s63
.LBB51_3113:                            ;   in Loop: Header=BB51_17 Depth=1
	s_delay_alu instid0(SALU_CYCLE_1) | instskip(NEXT) | instid1(SALU_CYCLE_1)
	s_or_b32 exec_lo, exec_lo, s62
	s_or_b32 s61, s61, exec_lo
	s_or_b32 exec_lo, exec_lo, s57
	s_mov_b32 s62, 0
	s_and_saveexec_b32 s57, s61
	s_cbranch_execnz .LBB51_1345
	s_branch .LBB51_1346
.LBB51_3114:                            ;   in Loop: Header=BB51_17 Depth=1
	s_mov_b32 s43, -1
	s_mov_b32 s45, exec_lo
	v_cmpx_eq_u16_e32 0x80, v2
; %bb.3115:                             ;   in Loop: Header=BB51_17 Depth=1
	s_xor_b32 s43, exec_lo, -1
; %bb.3116:                             ;   in Loop: Header=BB51_17 Depth=1
	s_or_b32 exec_lo, exec_lo, s45
	s_delay_alu instid0(SALU_CYCLE_1)
	s_and_b32 s43, s43, exec_lo
	s_or_saveexec_b32 s44, s44
	v_mov_b32_e32 v0, 0x7f800001
	s_xor_b32 exec_lo, exec_lo, s44
	s_cbranch_execz .LBB51_2472
.LBB51_3117:                            ;   in Loop: Header=BB51_17 Depth=1
	v_cmp_ne_u16_e32 vcc_lo, 0, v2
	v_mov_b32_e32 v0, 0
	s_and_not1_b32 s43, s43, exec_lo
	s_and_b32 s45, vcc_lo, exec_lo
	s_delay_alu instid0(SALU_CYCLE_1)
	s_or_b32 s43, s43, s45
	s_or_b32 exec_lo, exec_lo, s44
	s_and_saveexec_b32 s44, s43
	s_cbranch_execnz .LBB51_2473
	s_branch .LBB51_2474
.LBB51_3118:                            ;   in Loop: Header=BB51_17 Depth=1
	s_mov_b32 s45, -1
	s_mov_b32 s47, exec_lo
	v_cmpx_eq_u16_e32 0x80, v2
; %bb.3119:                             ;   in Loop: Header=BB51_17 Depth=1
	s_xor_b32 s45, exec_lo, -1
; %bb.3120:                             ;   in Loop: Header=BB51_17 Depth=1
	s_or_b32 exec_lo, exec_lo, s47
	s_delay_alu instid0(SALU_CYCLE_1)
	s_and_b32 s45, s45, exec_lo
	s_or_saveexec_b32 s46, s46
	v_mov_b32_e32 v0, 0x7f800001
	s_xor_b32 exec_lo, exec_lo, s46
	s_cbranch_execz .LBB51_2577
.LBB51_3121:                            ;   in Loop: Header=BB51_17 Depth=1
	v_cmp_ne_u16_e32 vcc_lo, 0, v2
	v_mov_b32_e32 v0, 0
	s_and_not1_b32 s45, s45, exec_lo
	s_and_b32 s47, vcc_lo, exec_lo
	s_delay_alu instid0(SALU_CYCLE_1)
	s_or_b32 s45, s45, s47
	s_or_b32 exec_lo, exec_lo, s46
	s_and_saveexec_b32 s46, s45
	s_cbranch_execnz .LBB51_2578
	s_branch .LBB51_2579
.LBB51_3122:                            ;   in Loop: Header=BB51_17 Depth=1
	s_mov_b32 s47, -1
	s_mov_b32 s57, exec_lo
	v_cmpx_eq_u16_e32 0x80, v2
; %bb.3123:                             ;   in Loop: Header=BB51_17 Depth=1
	s_xor_b32 s47, exec_lo, -1
; %bb.3124:                             ;   in Loop: Header=BB51_17 Depth=1
	s_or_b32 exec_lo, exec_lo, s57
	s_delay_alu instid0(SALU_CYCLE_1)
	s_and_b32 s47, s47, exec_lo
	s_or_saveexec_b32 s56, s56
	v_mov_b32_e32 v0, 0x7f800001
	s_xor_b32 exec_lo, exec_lo, s56
	s_cbranch_execz .LBB51_945
.LBB51_3125:                            ;   in Loop: Header=BB51_17 Depth=1
	v_cmp_ne_u16_e32 vcc_lo, 0, v2
	v_mov_b32_e32 v0, 0
	s_and_not1_b32 s47, s47, exec_lo
	s_and_b32 s57, vcc_lo, exec_lo
	s_delay_alu instid0(SALU_CYCLE_1)
	s_or_b32 s47, s47, s57
	s_or_b32 exec_lo, exec_lo, s56
	s_and_saveexec_b32 s56, s47
	s_cbranch_execnz .LBB51_946
	s_branch .LBB51_947
.LBB51_3126:                            ;   in Loop: Header=BB51_17 Depth=1
	s_mov_b32 s57, -1
	s_mov_b32 s59, exec_lo
	v_cmpx_eq_u16_e32 0x80, v2
; %bb.3127:                             ;   in Loop: Header=BB51_17 Depth=1
	s_xor_b32 s57, exec_lo, -1
; %bb.3128:                             ;   in Loop: Header=BB51_17 Depth=1
	s_or_b32 exec_lo, exec_lo, s59
	s_delay_alu instid0(SALU_CYCLE_1)
	s_and_b32 s57, s57, exec_lo
	s_or_saveexec_b32 s58, s58
	v_mov_b32_e32 v0, 0x7f800001
	s_xor_b32 exec_lo, exec_lo, s58
	s_cbranch_execz .LBB51_1045
.LBB51_3129:                            ;   in Loop: Header=BB51_17 Depth=1
	v_cmp_ne_u16_e32 vcc_lo, 0, v2
	v_mov_b32_e32 v0, 0
	s_and_not1_b32 s57, s57, exec_lo
	s_and_b32 s59, vcc_lo, exec_lo
	s_delay_alu instid0(SALU_CYCLE_1)
	s_or_b32 s57, s57, s59
	s_or_b32 exec_lo, exec_lo, s58
	s_and_saveexec_b32 s58, s57
	s_cbranch_execnz .LBB51_1046
	s_branch .LBB51_1047
.LBB51_3130:                            ;   in Loop: Header=BB51_17 Depth=1
	s_mov_b32 s72, exec_lo
                                        ; implicit-def: $vgpr0
	v_cmpx_lt_i16_e32 25, v18
	s_xor_b32 s72, exec_lo, s72
	s_cbranch_execz .LBB51_3162
; %bb.3131:                             ;   in Loop: Header=BB51_17 Depth=1
	s_mov_b32 s74, exec_lo
                                        ; implicit-def: $vgpr0
	v_cmpx_lt_i16_e32 28, v18
	s_xor_b32 s74, exec_lo, s74
	s_cbranch_execz .LBB51_3147
; %bb.3132:                             ;   in Loop: Header=BB51_17 Depth=1
	s_mov_b32 s75, 0
	s_mov_b32 s73, exec_lo
                                        ; implicit-def: $vgpr0
	v_cmpx_lt_i16_e32 43, v18
	s_xor_b32 s73, exec_lo, s73
	s_cbranch_execz .LBB51_3142
; %bb.3133:                             ;   in Loop: Header=BB51_17 Depth=1
	s_mov_b32 s76, exec_lo
                                        ; implicit-def: $vgpr0
	v_cmpx_lt_i16_e32 45, v18
	s_xor_b32 s76, exec_lo, s76
	s_cbranch_execz .LBB51_3137
; %bb.3134:                             ;   in Loop: Header=BB51_17 Depth=1
	s_mov_b32 s77, exec_lo
                                        ; implicit-def: $vgpr0
	v_cmpx_eq_u16_e32 46, v18
	s_cbranch_execz .LBB51_3136
; %bb.3135:                             ;   in Loop: Header=BB51_17 Depth=1
	flat_load_b32 v0, v[2:3]
	s_mov_b32 s75, exec_lo
	s_wait_loadcnt_dscnt 0x0
	v_lshlrev_b32_e32 v0, 16, v0
.LBB51_3136:                            ;   in Loop: Header=BB51_17 Depth=1
	s_wait_xcnt 0x0
	s_or_b32 exec_lo, exec_lo, s77
	s_delay_alu instid0(SALU_CYCLE_1)
	s_and_b32 s75, s75, exec_lo
                                        ; implicit-def: $vgpr18
                                        ; implicit-def: $vgpr2_vgpr3
.LBB51_3137:                            ;   in Loop: Header=BB51_17 Depth=1
	s_and_not1_saveexec_b32 s76, s76
	s_cbranch_execz .LBB51_3141
; %bb.3138:                             ;   in Loop: Header=BB51_17 Depth=1
	s_mov_b32 s78, s75
	s_mov_b32 s77, exec_lo
                                        ; implicit-def: $vgpr0
	v_cmpx_eq_u16_e32 44, v18
	s_cbranch_execz .LBB51_3140
; %bb.3139:                             ;   in Loop: Header=BB51_17 Depth=1
	flat_load_u8 v0, v[2:3]
	s_or_b32 s78, s75, exec_lo
	s_wait_loadcnt_dscnt 0x0
	v_lshlrev_b32_e32 v2, 23, v0
	v_cmp_ne_u32_e32 vcc_lo, 0xff, v0
	s_delay_alu instid0(VALU_DEP_2) | instskip(SKIP_1) | instid1(VALU_DEP_2)
	v_cndmask_b32_e32 v2, 0x7f800001, v2, vcc_lo
	v_cmp_ne_u32_e32 vcc_lo, 0, v0
	v_cndmask_b32_e32 v0, 0x400000, v2, vcc_lo
.LBB51_3140:                            ;   in Loop: Header=BB51_17 Depth=1
	s_or_b32 exec_lo, exec_lo, s77
	s_delay_alu instid0(SALU_CYCLE_1) | instskip(SKIP_1) | instid1(SALU_CYCLE_1)
	s_and_not1_b32 s75, s75, exec_lo
	s_and_b32 s77, s78, exec_lo
	s_or_b32 s75, s75, s77
.LBB51_3141:                            ;   in Loop: Header=BB51_17 Depth=1
	s_or_b32 exec_lo, exec_lo, s76
	s_delay_alu instid0(SALU_CYCLE_1)
	s_and_b32 s75, s75, exec_lo
                                        ; implicit-def: $vgpr18
                                        ; implicit-def: $vgpr2_vgpr3
.LBB51_3142:                            ;   in Loop: Header=BB51_17 Depth=1
	s_and_not1_saveexec_b32 s73, s73
	s_cbranch_execz .LBB51_3146
; %bb.3143:                             ;   in Loop: Header=BB51_17 Depth=1
	s_mov_b32 s77, s75
	s_mov_b32 s76, exec_lo
                                        ; implicit-def: $vgpr0
	v_cmpx_eq_u16_e32 29, v18
	s_cbranch_execz .LBB51_3145
; %bb.3144:                             ;   in Loop: Header=BB51_17 Depth=1
	flat_load_b64 v[2:3], v[2:3]
	s_or_b32 s77, s75, exec_lo
	s_wait_loadcnt_dscnt 0x0
	v_clz_i32_u32_e32 v0, v3
	s_delay_alu instid0(VALU_DEP_1) | instskip(SKIP_1) | instid1(VALU_DEP_1)
	v_min_u32_e32 v0, 32, v0
	s_wait_xcnt 0x0
	v_lshlrev_b64_e32 v[2:3], v0, v[2:3]
	v_sub_nc_u32_e32 v0, 32, v0
	s_delay_alu instid0(VALU_DEP_2) | instskip(NEXT) | instid1(VALU_DEP_1)
	v_min_u32_e32 v2, 1, v2
	v_or_b32_e32 v2, v3, v2
	s_delay_alu instid0(VALU_DEP_1) | instskip(NEXT) | instid1(VALU_DEP_1)
	v_cvt_f32_u32_e32 v2, v2
	v_ldexp_f32 v0, v2, v0
.LBB51_3145:                            ;   in Loop: Header=BB51_17 Depth=1
	s_or_b32 exec_lo, exec_lo, s76
	s_delay_alu instid0(SALU_CYCLE_1) | instskip(SKIP_1) | instid1(SALU_CYCLE_1)
	s_and_not1_b32 s75, s75, exec_lo
	s_and_b32 s76, s77, exec_lo
	s_or_b32 s75, s75, s76
.LBB51_3146:                            ;   in Loop: Header=BB51_17 Depth=1
	s_or_b32 exec_lo, exec_lo, s73
	s_delay_alu instid0(SALU_CYCLE_1)
	s_and_b32 s73, s75, exec_lo
                                        ; implicit-def: $vgpr18
                                        ; implicit-def: $vgpr2_vgpr3
.LBB51_3147:                            ;   in Loop: Header=BB51_17 Depth=1
	s_and_not1_saveexec_b32 s74, s74
	s_cbranch_execz .LBB51_3161
; %bb.3148:                             ;   in Loop: Header=BB51_17 Depth=1
	s_mov_b32 s75, exec_lo
                                        ; implicit-def: $vgpr0
	v_cmpx_lt_i16_e32 26, v18
	s_xor_b32 s75, exec_lo, s75
	s_cbranch_execz .LBB51_3154
; %bb.3149:                             ;   in Loop: Header=BB51_17 Depth=1
	s_mov_b32 s76, exec_lo
                                        ; implicit-def: $vgpr0
	v_cmpx_lt_i16_e32 27, v18
	s_xor_b32 s76, exec_lo, s76
	s_cbranch_execz .LBB51_3151
; %bb.3150:                             ;   in Loop: Header=BB51_17 Depth=1
	flat_load_b32 v0, v[2:3]
                                        ; implicit-def: $vgpr2_vgpr3
	s_wait_loadcnt_dscnt 0x0
	v_cvt_f32_u32_e32 v0, v0
.LBB51_3151:                            ;   in Loop: Header=BB51_17 Depth=1
	s_wait_xcnt 0x0
	s_and_not1_saveexec_b32 s76, s76
	s_cbranch_execz .LBB51_3153
; %bb.3152:                             ;   in Loop: Header=BB51_17 Depth=1
	flat_load_u16 v0, v[2:3]
	s_wait_loadcnt_dscnt 0x0
	v_cvt_f32_u32_e32 v0, v0
.LBB51_3153:                            ;   in Loop: Header=BB51_17 Depth=1
	s_wait_xcnt 0x0
	s_or_b32 exec_lo, exec_lo, s76
                                        ; implicit-def: $vgpr2_vgpr3
.LBB51_3154:                            ;   in Loop: Header=BB51_17 Depth=1
	s_and_not1_saveexec_b32 s75, s75
	s_cbranch_execz .LBB51_3160
; %bb.3155:                             ;   in Loop: Header=BB51_17 Depth=1
	flat_load_u8 v2, v[2:3]
	s_mov_b32 s76, 0
	s_mov_b32 s77, exec_lo
	s_wait_loadcnt_dscnt 0x0
	v_cmpx_lt_i16_e32 0x7f, v2
	s_xor_b32 s77, exec_lo, s77
	s_cbranch_execnz .LBB51_3598
; %bb.3156:                             ;   in Loop: Header=BB51_17 Depth=1
	s_or_saveexec_b32 s77, s77
	v_mov_b32_e32 v0, 0x7f800001
	s_xor_b32 exec_lo, exec_lo, s77
	s_cbranch_execnz .LBB51_3601
.LBB51_3157:                            ;   in Loop: Header=BB51_17 Depth=1
	s_or_b32 exec_lo, exec_lo, s77
	s_and_saveexec_b32 s77, s76
	s_cbranch_execz .LBB51_3159
.LBB51_3158:                            ;   in Loop: Header=BB51_17 Depth=1
	v_and_b32_e32 v0, 0xffff, v2
	s_delay_alu instid0(VALU_DEP_1) | instskip(SKIP_1) | instid1(VALU_DEP_2)
	v_and_b32_e32 v3, 7, v0
	v_bfe_u32 v20, v0, 3, 4
	v_clz_i32_u32_e32 v18, v3
	s_delay_alu instid0(VALU_DEP_2) | instskip(NEXT) | instid1(VALU_DEP_2)
	v_cmp_eq_u32_e32 vcc_lo, 0, v20
	v_min_u32_e32 v18, 32, v18
	s_delay_alu instid0(VALU_DEP_1) | instskip(NEXT) | instid1(VALU_DEP_1)
	v_subrev_nc_u32_e32 v19, 28, v18
	v_dual_lshlrev_b32 v0, v19, v0 :: v_dual_sub_nc_u32 v18, 29, v18
	s_delay_alu instid0(VALU_DEP_1) | instskip(NEXT) | instid1(VALU_DEP_1)
	v_dual_lshlrev_b32 v2, 24, v2 :: v_dual_bitop2_b32 v0, 7, v0 bitop3:0x40
	v_dual_cndmask_b32 v0, v3, v0, vcc_lo :: v_dual_cndmask_b32 v18, v20, v18, vcc_lo
	s_delay_alu instid0(VALU_DEP_2) | instskip(NEXT) | instid1(VALU_DEP_2)
	v_and_b32_e32 v2, 0x80000000, v2
	v_lshlrev_b32_e32 v0, 20, v0
	s_delay_alu instid0(VALU_DEP_3) | instskip(NEXT) | instid1(VALU_DEP_1)
	v_lshl_add_u32 v3, v18, 23, 0x3b800000
	v_or3_b32 v0, v2, v3, v0
.LBB51_3159:                            ;   in Loop: Header=BB51_17 Depth=1
	s_or_b32 exec_lo, exec_lo, s77
.LBB51_3160:                            ;   in Loop: Header=BB51_17 Depth=1
	s_delay_alu instid0(SALU_CYCLE_1) | instskip(NEXT) | instid1(SALU_CYCLE_1)
	s_or_b32 exec_lo, exec_lo, s75
	s_or_b32 s73, s73, exec_lo
.LBB51_3161:                            ;   in Loop: Header=BB51_17 Depth=1
	s_or_b32 exec_lo, exec_lo, s74
	s_delay_alu instid0(SALU_CYCLE_1)
	s_and_b32 s73, s73, exec_lo
                                        ; implicit-def: $vgpr18
                                        ; implicit-def: $vgpr2_vgpr3
.LBB51_3162:                            ;   in Loop: Header=BB51_17 Depth=1
	s_and_not1_saveexec_b32 s72, s72
	s_cbranch_execz .LBB51_3188
; %bb.3163:                             ;   in Loop: Header=BB51_17 Depth=1
	s_mov_b32 s75, s73
	s_mov_b32 s74, exec_lo
                                        ; implicit-def: $vgpr0
	v_cmpx_lt_i16_e32 22, v18
	s_xor_b32 s74, exec_lo, s74
	s_cbranch_execz .LBB51_3177
; %bb.3164:                             ;   in Loop: Header=BB51_17 Depth=1
	s_mov_b32 s75, exec_lo
                                        ; implicit-def: $vgpr0
	v_cmpx_lt_i16_e32 23, v18
	s_xor_b32 s75, exec_lo, s75
	s_cbranch_execz .LBB51_3174
; %bb.3165:                             ;   in Loop: Header=BB51_17 Depth=1
	;; [unrolled: 6-line block ×3, first 2 shown]
	flat_load_u8 v2, v[2:3]
	s_mov_b32 s77, 0
	s_mov_b32 s78, exec_lo
	s_wait_loadcnt_dscnt 0x0
	v_cmpx_lt_i16_e32 0x7f, v2
	s_xor_b32 s78, exec_lo, s78
	s_cbranch_execnz .LBB51_3610
; %bb.3167:                             ;   in Loop: Header=BB51_17 Depth=1
	s_or_saveexec_b32 s78, s78
	v_mov_b32_e32 v0, 0x7f800001
	s_xor_b32 exec_lo, exec_lo, s78
	s_cbranch_execnz .LBB51_3613
.LBB51_3168:                            ;   in Loop: Header=BB51_17 Depth=1
	s_or_b32 exec_lo, exec_lo, s78
	s_and_saveexec_b32 s78, s77
	s_cbranch_execz .LBB51_3170
.LBB51_3169:                            ;   in Loop: Header=BB51_17 Depth=1
	v_and_b32_e32 v0, 0xffff, v2
	s_delay_alu instid0(VALU_DEP_1) | instskip(SKIP_1) | instid1(VALU_DEP_2)
	v_and_b32_e32 v3, 3, v0
	v_bfe_u32 v20, v0, 2, 5
	v_clz_i32_u32_e32 v18, v3
	s_delay_alu instid0(VALU_DEP_2) | instskip(NEXT) | instid1(VALU_DEP_2)
	v_cmp_eq_u32_e32 vcc_lo, 0, v20
	v_min_u32_e32 v18, 32, v18
	s_delay_alu instid0(VALU_DEP_1) | instskip(NEXT) | instid1(VALU_DEP_1)
	v_subrev_nc_u32_e32 v19, 29, v18
	v_dual_lshlrev_b32 v0, v19, v0 :: v_dual_sub_nc_u32 v18, 30, v18
	s_delay_alu instid0(VALU_DEP_1) | instskip(NEXT) | instid1(VALU_DEP_1)
	v_dual_lshlrev_b32 v2, 24, v2 :: v_dual_bitop2_b32 v0, 3, v0 bitop3:0x40
	v_dual_cndmask_b32 v0, v3, v0, vcc_lo :: v_dual_cndmask_b32 v18, v20, v18, vcc_lo
	s_delay_alu instid0(VALU_DEP_2) | instskip(NEXT) | instid1(VALU_DEP_2)
	v_and_b32_e32 v2, 0x80000000, v2
	v_lshlrev_b32_e32 v0, 21, v0
	s_delay_alu instid0(VALU_DEP_3) | instskip(NEXT) | instid1(VALU_DEP_1)
	v_lshl_add_u32 v3, v18, 23, 0x37800000
	v_or3_b32 v0, v2, v3, v0
.LBB51_3170:                            ;   in Loop: Header=BB51_17 Depth=1
	s_or_b32 exec_lo, exec_lo, s78
                                        ; implicit-def: $vgpr2_vgpr3
.LBB51_3171:                            ;   in Loop: Header=BB51_17 Depth=1
	s_and_not1_saveexec_b32 s76, s76
	s_cbranch_execz .LBB51_3173
; %bb.3172:                             ;   in Loop: Header=BB51_17 Depth=1
	flat_load_u8 v0, v[2:3]
	s_wait_loadcnt_dscnt 0x0
	v_lshlrev_b32_e32 v0, 24, v0
	s_wait_xcnt 0x0
	s_delay_alu instid0(VALU_DEP_1) | instskip(NEXT) | instid1(VALU_DEP_1)
	v_and_b32_e32 v2, 0x7f000000, v0
	v_clz_i32_u32_e32 v3, v2
	v_cmp_ne_u32_e32 vcc_lo, 0, v2
	v_add_nc_u32_e32 v19, 0x1000000, v2
	s_delay_alu instid0(VALU_DEP_3) | instskip(NEXT) | instid1(VALU_DEP_1)
	v_min_u32_e32 v3, 32, v3
	v_sub_nc_u32_e64 v3, v3, 4 clamp
	s_delay_alu instid0(VALU_DEP_1) | instskip(NEXT) | instid1(VALU_DEP_1)
	v_dual_lshlrev_b32 v18, v3, v2 :: v_dual_lshlrev_b32 v3, 23, v3
	v_lshrrev_b32_e32 v18, 4, v18
	s_delay_alu instid0(VALU_DEP_1) | instskip(SKIP_1) | instid1(VALU_DEP_2)
	v_sub_nc_u32_e32 v3, v18, v3
	v_ashrrev_i32_e32 v18, 8, v19
	v_add_nc_u32_e32 v3, 0x3c000000, v3
	s_delay_alu instid0(VALU_DEP_1) | instskip(NEXT) | instid1(VALU_DEP_1)
	v_and_or_b32 v3, 0x7f800000, v18, v3
	v_cndmask_b32_e32 v2, 0, v3, vcc_lo
	s_delay_alu instid0(VALU_DEP_1)
	v_and_or_b32 v0, 0x80000000, v0, v2
.LBB51_3173:                            ;   in Loop: Header=BB51_17 Depth=1
	s_or_b32 exec_lo, exec_lo, s76
                                        ; implicit-def: $vgpr2_vgpr3
.LBB51_3174:                            ;   in Loop: Header=BB51_17 Depth=1
	s_and_not1_saveexec_b32 s75, s75
	s_cbranch_execz .LBB51_3176
; %bb.3175:                             ;   in Loop: Header=BB51_17 Depth=1
	flat_load_u8 v0, v[2:3]
	s_wait_loadcnt_dscnt 0x0
	v_lshlrev_b32_e32 v2, 25, v0
	v_lshlrev_b16 v0, 8, v0
	s_delay_alu instid0(VALU_DEP_1) | instskip(SKIP_1) | instid1(VALU_DEP_2)
	v_and_or_b32 v18, 0x7f00, v0, 0.5
	v_bfe_i32 v0, v0, 0, 16
	v_add_f32_e32 v18, -0.5, v18
	v_lshrrev_b32_e32 v3, 4, v2
	v_cmp_gt_u32_e32 vcc_lo, 0x8000000, v2
	s_delay_alu instid0(VALU_DEP_2) | instskip(NEXT) | instid1(VALU_DEP_1)
	v_or_b32_e32 v3, 0x70000000, v3
	v_mul_f32_e32 v3, 0x7800000, v3
	s_delay_alu instid0(VALU_DEP_1) | instskip(NEXT) | instid1(VALU_DEP_1)
	v_cndmask_b32_e32 v2, v3, v18, vcc_lo
	v_and_or_b32 v0, 0x80000000, v0, v2
.LBB51_3176:                            ;   in Loop: Header=BB51_17 Depth=1
	s_or_b32 exec_lo, exec_lo, s75
	s_delay_alu instid0(SALU_CYCLE_1)
	s_or_b32 s75, s73, exec_lo
                                        ; implicit-def: $vgpr18
                                        ; implicit-def: $vgpr2_vgpr3
.LBB51_3177:                            ;   in Loop: Header=BB51_17 Depth=1
	s_and_not1_saveexec_b32 s74, s74
	s_cbranch_execz .LBB51_3187
; %bb.3178:                             ;   in Loop: Header=BB51_17 Depth=1
	s_mov_b32 s76, s75
	s_mov_b32 s77, exec_lo
                                        ; implicit-def: $vgpr0
	v_cmpx_lt_i16_e32 14, v18
	s_xor_b32 s77, exec_lo, s77
	s_cbranch_execz .LBB51_3182
; %bb.3179:                             ;   in Loop: Header=BB51_17 Depth=1
	s_mov_b32 s76, s75
	s_mov_b32 s78, exec_lo
                                        ; implicit-def: $vgpr0
	v_cmpx_eq_u16_e32 15, v18
	s_cbranch_execz .LBB51_3181
; %bb.3180:                             ;   in Loop: Header=BB51_17 Depth=1
	flat_load_u16 v0, v[2:3]
	s_or_b32 s76, s75, exec_lo
	s_wait_loadcnt_dscnt 0x0
	v_lshlrev_b32_e32 v0, 16, v0
.LBB51_3181:                            ;   in Loop: Header=BB51_17 Depth=1
	s_wait_xcnt 0x0
	s_or_b32 exec_lo, exec_lo, s78
	s_delay_alu instid0(SALU_CYCLE_1) | instskip(SKIP_1) | instid1(SALU_CYCLE_1)
	s_and_not1_b32 s78, s75, exec_lo
	s_and_b32 s76, s76, exec_lo
                                        ; implicit-def: $vgpr18
                                        ; implicit-def: $vgpr2_vgpr3
	s_or_b32 s76, s78, s76
.LBB51_3182:                            ;   in Loop: Header=BB51_17 Depth=1
	s_and_not1_saveexec_b32 s77, s77
	s_cbranch_execz .LBB51_3186
; %bb.3183:                             ;   in Loop: Header=BB51_17 Depth=1
	s_mov_b32 s78, s76
	s_mov_b32 s79, exec_lo
                                        ; implicit-def: $vgpr0
	v_cmpx_eq_u16_e32 11, v18
	s_cbranch_execz .LBB51_3185
; %bb.3184:                             ;   in Loop: Header=BB51_17 Depth=1
	flat_load_u8 v0, v[2:3]
	s_or_b32 s78, s76, exec_lo
	s_wait_loadcnt_dscnt 0x0
	v_cmp_ne_u16_e32 vcc_lo, 0, v0
	v_cndmask_b32_e64 v0, 0, 1.0, vcc_lo
.LBB51_3185:                            ;   in Loop: Header=BB51_17 Depth=1
	s_wait_xcnt 0x0
	s_or_b32 exec_lo, exec_lo, s79
	s_delay_alu instid0(SALU_CYCLE_1) | instskip(SKIP_1) | instid1(SALU_CYCLE_1)
	s_and_not1_b32 s76, s76, exec_lo
	s_and_b32 s78, s78, exec_lo
	s_or_b32 s76, s76, s78
.LBB51_3186:                            ;   in Loop: Header=BB51_17 Depth=1
	s_or_b32 exec_lo, exec_lo, s77
	s_delay_alu instid0(SALU_CYCLE_1) | instskip(SKIP_1) | instid1(SALU_CYCLE_1)
	s_and_not1_b32 s75, s75, exec_lo
	s_and_b32 s76, s76, exec_lo
	s_or_b32 s75, s75, s76
.LBB51_3187:                            ;   in Loop: Header=BB51_17 Depth=1
	s_or_b32 exec_lo, exec_lo, s74
	s_delay_alu instid0(SALU_CYCLE_1) | instskip(SKIP_1) | instid1(SALU_CYCLE_1)
	s_and_not1_b32 s73, s73, exec_lo
	s_and_b32 s74, s75, exec_lo
	s_or_b32 s73, s73, s74
.LBB51_3188:                            ;   in Loop: Header=BB51_17 Depth=1
	s_or_b32 exec_lo, exec_lo, s72
	s_delay_alu instid0(SALU_CYCLE_1)
	s_and_b32 s72, s73, exec_lo
                                        ; implicit-def: $vgpr18
                                        ; implicit-def: $vgpr2_vgpr3
	s_and_not1_saveexec_b32 s60, s60
	s_cbranch_execz .LBB51_1455
.LBB51_3189:                            ;   in Loop: Header=BB51_17 Depth=1
	s_mov_b32 s73, exec_lo
                                        ; implicit-def: $vgpr0
	v_cmpx_lt_i16_e32 4, v18
	s_xor_b32 s73, exec_lo, s73
	s_cbranch_execz .LBB51_3211
; %bb.3190:                             ;   in Loop: Header=BB51_17 Depth=1
	s_mov_b32 s74, exec_lo
                                        ; implicit-def: $vgpr0
	v_cmpx_lt_i16_e32 7, v18
	s_xor_b32 s74, exec_lo, s74
	s_cbranch_execz .LBB51_3200
; %bb.3191:                             ;   in Loop: Header=BB51_17 Depth=1
	;; [unrolled: 6-line block ×4, first 2 shown]
	flat_load_b64 v[2:3], v[2:3]
	s_wait_loadcnt_dscnt 0x0
	v_cvt_f32_f64_e32 v0, v[2:3]
                                        ; implicit-def: $vgpr2_vgpr3
.LBB51_3194:                            ;   in Loop: Header=BB51_17 Depth=1
	s_wait_xcnt 0x0
	s_and_not1_saveexec_b32 s76, s76
	s_cbranch_execz .LBB51_3196
; %bb.3195:                             ;   in Loop: Header=BB51_17 Depth=1
	flat_load_b32 v0, v[2:3]
.LBB51_3196:                            ;   in Loop: Header=BB51_17 Depth=1
	s_wait_xcnt 0x0
	s_or_b32 exec_lo, exec_lo, s76
                                        ; implicit-def: $vgpr2_vgpr3
.LBB51_3197:                            ;   in Loop: Header=BB51_17 Depth=1
	s_and_not1_saveexec_b32 s75, s75
	s_cbranch_execz .LBB51_3199
; %bb.3198:                             ;   in Loop: Header=BB51_17 Depth=1
	s_wait_loadcnt_dscnt 0x0
	flat_load_b32 v0, v[2:3]
	s_wait_loadcnt_dscnt 0x0
	v_cvt_f32_f16_e32 v0, v0
.LBB51_3199:                            ;   in Loop: Header=BB51_17 Depth=1
	s_wait_xcnt 0x0
	s_or_b32 exec_lo, exec_lo, s75
                                        ; implicit-def: $vgpr2_vgpr3
                                        ; implicit-def: $vgpr18
.LBB51_3200:                            ;   in Loop: Header=BB51_17 Depth=1
	s_and_not1_saveexec_b32 s74, s74
	s_cbranch_execz .LBB51_3210
; %bb.3201:                             ;   in Loop: Header=BB51_17 Depth=1
	s_mov_b32 s75, exec_lo
                                        ; implicit-def: $vgpr0
	v_cmpx_lt_i16_e32 5, v18
	s_xor_b32 s75, exec_lo, s75
	s_cbranch_execz .LBB51_3207
; %bb.3202:                             ;   in Loop: Header=BB51_17 Depth=1
	s_mov_b32 s76, exec_lo
                                        ; implicit-def: $vgpr0
	v_cmpx_lt_i16_e32 6, v18
	s_xor_b32 s76, exec_lo, s76
	s_cbranch_execz .LBB51_3204
; %bb.3203:                             ;   in Loop: Header=BB51_17 Depth=1
	flat_load_b64 v[2:3], v[2:3]
	s_wait_loadcnt_dscnt 0x0
	v_cvt_f32_f64_e32 v0, v[2:3]
                                        ; implicit-def: $vgpr2_vgpr3
.LBB51_3204:                            ;   in Loop: Header=BB51_17 Depth=1
	s_wait_xcnt 0x0
	s_and_not1_saveexec_b32 s76, s76
	s_cbranch_execz .LBB51_3206
; %bb.3205:                             ;   in Loop: Header=BB51_17 Depth=1
	s_wait_loadcnt_dscnt 0x0
	flat_load_b32 v0, v[2:3]
.LBB51_3206:                            ;   in Loop: Header=BB51_17 Depth=1
	s_wait_xcnt 0x0
	s_or_b32 exec_lo, exec_lo, s76
                                        ; implicit-def: $vgpr2_vgpr3
.LBB51_3207:                            ;   in Loop: Header=BB51_17 Depth=1
	s_and_not1_saveexec_b32 s75, s75
	s_cbranch_execz .LBB51_3209
; %bb.3208:                             ;   in Loop: Header=BB51_17 Depth=1
	s_wait_loadcnt_dscnt 0x0
	flat_load_u16 v0, v[2:3]
	s_wait_loadcnt_dscnt 0x0
	v_cvt_f32_f16_e32 v0, v0
.LBB51_3209:                            ;   in Loop: Header=BB51_17 Depth=1
	s_wait_xcnt 0x0
	s_or_b32 exec_lo, exec_lo, s75
.LBB51_3210:                            ;   in Loop: Header=BB51_17 Depth=1
	s_delay_alu instid0(SALU_CYCLE_1)
	s_or_b32 exec_lo, exec_lo, s74
                                        ; implicit-def: $vgpr18
                                        ; implicit-def: $vgpr2_vgpr3
.LBB51_3211:                            ;   in Loop: Header=BB51_17 Depth=1
	s_and_not1_saveexec_b32 s73, s73
	s_cbranch_execz .LBB51_3229
; %bb.3212:                             ;   in Loop: Header=BB51_17 Depth=1
	s_mov_b32 s74, exec_lo
                                        ; implicit-def: $vgpr0
	v_cmpx_lt_i16_e32 1, v18
	s_xor_b32 s74, exec_lo, s74
	s_cbranch_execz .LBB51_3222
; %bb.3213:                             ;   in Loop: Header=BB51_17 Depth=1
	s_mov_b32 s75, exec_lo
                                        ; implicit-def: $vgpr0
	v_cmpx_lt_i16_e32 2, v18
	s_xor_b32 s75, exec_lo, s75
	;; [unrolled: 6-line block ×3, first 2 shown]
	s_cbranch_execz .LBB51_3216
; %bb.3215:                             ;   in Loop: Header=BB51_17 Depth=1
	flat_load_b64 v[2:3], v[2:3]
	s_wait_loadcnt_dscnt 0x0
	v_xor_b32_e32 v0, v2, v3
	v_cls_i32_e32 v18, v3
	s_delay_alu instid0(VALU_DEP_2) | instskip(NEXT) | instid1(VALU_DEP_1)
	v_ashrrev_i32_e32 v0, 31, v0
	v_add_nc_u32_e32 v0, 32, v0
	s_delay_alu instid0(VALU_DEP_1) | instskip(SKIP_1) | instid1(VALU_DEP_1)
	v_add_min_u32_e64 v0, v18, -1, v0
	s_wait_xcnt 0x0
	v_lshlrev_b64_e32 v[2:3], v0, v[2:3]
	v_sub_nc_u32_e32 v0, 32, v0
	s_delay_alu instid0(VALU_DEP_2) | instskip(NEXT) | instid1(VALU_DEP_1)
	v_min_u32_e32 v2, 1, v2
	v_or_b32_e32 v2, v3, v2
	s_delay_alu instid0(VALU_DEP_1) | instskip(NEXT) | instid1(VALU_DEP_1)
	v_cvt_f32_i32_e32 v2, v2
	v_ldexp_f32 v0, v2, v0
                                        ; implicit-def: $vgpr2_vgpr3
.LBB51_3216:                            ;   in Loop: Header=BB51_17 Depth=1
	s_and_not1_saveexec_b32 s76, s76
	s_cbranch_execz .LBB51_3218
; %bb.3217:                             ;   in Loop: Header=BB51_17 Depth=1
	s_wait_loadcnt_dscnt 0x0
	flat_load_b32 v0, v[2:3]
	s_wait_loadcnt_dscnt 0x0
	v_cvt_f32_i32_e32 v0, v0
.LBB51_3218:                            ;   in Loop: Header=BB51_17 Depth=1
	s_wait_xcnt 0x0
	s_or_b32 exec_lo, exec_lo, s76
                                        ; implicit-def: $vgpr2_vgpr3
.LBB51_3219:                            ;   in Loop: Header=BB51_17 Depth=1
	s_and_not1_saveexec_b32 s75, s75
	s_cbranch_execz .LBB51_3221
; %bb.3220:                             ;   in Loop: Header=BB51_17 Depth=1
	s_wait_loadcnt_dscnt 0x0
	flat_load_i16 v0, v[2:3]
	s_wait_loadcnt_dscnt 0x0
	v_cvt_f32_i32_e32 v0, v0
.LBB51_3221:                            ;   in Loop: Header=BB51_17 Depth=1
	s_wait_xcnt 0x0
	s_or_b32 exec_lo, exec_lo, s75
                                        ; implicit-def: $vgpr2_vgpr3
                                        ; implicit-def: $vgpr18
.LBB51_3222:                            ;   in Loop: Header=BB51_17 Depth=1
	s_and_not1_saveexec_b32 s74, s74
	s_cbranch_execz .LBB51_3228
; %bb.3223:                             ;   in Loop: Header=BB51_17 Depth=1
	s_mov_b32 s75, exec_lo
                                        ; implicit-def: $vgpr0
	v_cmpx_lt_i16_e32 0, v18
	s_xor_b32 s75, exec_lo, s75
	s_cbranch_execz .LBB51_3225
; %bb.3224:                             ;   in Loop: Header=BB51_17 Depth=1
	s_wait_loadcnt_dscnt 0x0
	flat_load_i8 v0, v[2:3]
                                        ; implicit-def: $vgpr2_vgpr3
	s_wait_loadcnt_dscnt 0x0
	v_cvt_f32_i32_e32 v0, v0
.LBB51_3225:                            ;   in Loop: Header=BB51_17 Depth=1
	s_wait_xcnt 0x0
	s_and_not1_saveexec_b32 s75, s75
	s_cbranch_execz .LBB51_3227
; %bb.3226:                             ;   in Loop: Header=BB51_17 Depth=1
	s_wait_loadcnt_dscnt 0x0
	flat_load_u8 v0, v[2:3]
	s_wait_loadcnt_dscnt 0x0
	v_cvt_f32_ubyte0_e32 v0, v0
.LBB51_3227:                            ;   in Loop: Header=BB51_17 Depth=1
	s_wait_xcnt 0x0
	s_or_b32 exec_lo, exec_lo, s75
.LBB51_3228:                            ;   in Loop: Header=BB51_17 Depth=1
	s_delay_alu instid0(SALU_CYCLE_1)
	s_or_b32 exec_lo, exec_lo, s74
.LBB51_3229:                            ;   in Loop: Header=BB51_17 Depth=1
	s_delay_alu instid0(SALU_CYCLE_1) | instskip(NEXT) | instid1(SALU_CYCLE_1)
	s_or_b32 exec_lo, exec_lo, s73
	s_or_b32 s72, s72, exec_lo
	s_or_b32 exec_lo, exec_lo, s60
	s_mov_b32 s73, 0
	s_and_saveexec_b32 s60, s72
	s_cbranch_execnz .LBB51_1456
	s_branch .LBB51_1457
.LBB51_3230:                            ;   in Loop: Header=BB51_17 Depth=1
	s_mov_b32 s46, -1
	s_mov_b32 s56, exec_lo
	v_cmpx_eq_u16_e32 0x80, v2
; %bb.3231:                             ;   in Loop: Header=BB51_17 Depth=1
	s_xor_b32 s46, exec_lo, -1
; %bb.3232:                             ;   in Loop: Header=BB51_17 Depth=1
	s_or_b32 exec_lo, exec_lo, s56
	s_delay_alu instid0(SALU_CYCLE_1)
	s_and_b32 s46, s46, exec_lo
	s_or_saveexec_b32 s47, s47
	v_mov_b32_e32 v0, 0x7f800001
	s_xor_b32 exec_lo, exec_lo, s47
	s_cbranch_execz .LBB51_2588
.LBB51_3233:                            ;   in Loop: Header=BB51_17 Depth=1
	v_cmp_ne_u16_e32 vcc_lo, 0, v2
	v_mov_b32_e32 v0, 0
	s_and_not1_b32 s46, s46, exec_lo
	s_and_b32 s56, vcc_lo, exec_lo
	s_delay_alu instid0(SALU_CYCLE_1)
	s_or_b32 s46, s46, s56
	s_or_b32 exec_lo, exec_lo, s47
	s_and_saveexec_b32 s47, s46
	s_cbranch_execnz .LBB51_2589
	s_branch .LBB51_2590
.LBB51_3234:                            ;   in Loop: Header=BB51_17 Depth=1
	s_mov_b32 s56, -1
	s_mov_b32 s58, exec_lo
	v_cmpx_eq_u16_e32 0x80, v2
; %bb.3235:                             ;   in Loop: Header=BB51_17 Depth=1
	s_xor_b32 s56, exec_lo, -1
; %bb.3236:                             ;   in Loop: Header=BB51_17 Depth=1
	s_or_b32 exec_lo, exec_lo, s58
	s_delay_alu instid0(SALU_CYCLE_1)
	s_and_b32 s56, s56, exec_lo
	s_or_saveexec_b32 s57, s57
	v_mov_b32_e32 v0, 0x7f800001
	s_xor_b32 exec_lo, exec_lo, s57
	s_cbranch_execz .LBB51_2693
.LBB51_3237:                            ;   in Loop: Header=BB51_17 Depth=1
	v_cmp_ne_u16_e32 vcc_lo, 0, v2
	v_mov_b32_e32 v0, 0
	s_and_not1_b32 s56, s56, exec_lo
	s_and_b32 s58, vcc_lo, exec_lo
	s_delay_alu instid0(SALU_CYCLE_1)
	s_or_b32 s56, s56, s58
	s_or_b32 exec_lo, exec_lo, s57
	s_and_saveexec_b32 s57, s56
	s_cbranch_execnz .LBB51_2694
	s_branch .LBB51_2695
.LBB51_3238:                            ;   in Loop: Header=BB51_17 Depth=1
	s_mov_b32 s58, -1
	s_mov_b32 s60, exec_lo
	v_cmpx_eq_u16_e32 0x80, v2
; %bb.3239:                             ;   in Loop: Header=BB51_17 Depth=1
	s_xor_b32 s58, exec_lo, -1
; %bb.3240:                             ;   in Loop: Header=BB51_17 Depth=1
	s_or_b32 exec_lo, exec_lo, s60
	s_delay_alu instid0(SALU_CYCLE_1)
	s_and_b32 s58, s58, exec_lo
	s_or_saveexec_b32 s59, s59
	v_mov_b32_e32 v0, 0x7f800001
	s_xor_b32 exec_lo, exec_lo, s59
	s_cbranch_execz .LBB51_1056
.LBB51_3241:                            ;   in Loop: Header=BB51_17 Depth=1
	v_cmp_ne_u16_e32 vcc_lo, 0, v2
	v_mov_b32_e32 v0, 0
	s_and_not1_b32 s58, s58, exec_lo
	s_and_b32 s60, vcc_lo, exec_lo
	s_delay_alu instid0(SALU_CYCLE_1)
	s_or_b32 s58, s58, s60
	s_or_b32 exec_lo, exec_lo, s59
	s_and_saveexec_b32 s59, s58
	s_cbranch_execnz .LBB51_1057
	s_branch .LBB51_1058
.LBB51_3242:                            ;   in Loop: Header=BB51_17 Depth=1
	s_mov_b32 s60, -1
	s_mov_b32 s62, exec_lo
	v_cmpx_eq_u16_e32 0x80, v2
; %bb.3243:                             ;   in Loop: Header=BB51_17 Depth=1
	s_xor_b32 s60, exec_lo, -1
; %bb.3244:                             ;   in Loop: Header=BB51_17 Depth=1
	s_or_b32 exec_lo, exec_lo, s62
	s_delay_alu instid0(SALU_CYCLE_1)
	s_and_b32 s60, s60, exec_lo
	s_or_saveexec_b32 s61, s61
	v_mov_b32_e32 v0, 0x7f800001
	s_xor_b32 exec_lo, exec_lo, s61
	s_cbranch_execz .LBB51_1156
.LBB51_3245:                            ;   in Loop: Header=BB51_17 Depth=1
	v_cmp_ne_u16_e32 vcc_lo, 0, v2
	v_mov_b32_e32 v0, 0
	s_and_not1_b32 s60, s60, exec_lo
	s_and_b32 s62, vcc_lo, exec_lo
	s_delay_alu instid0(SALU_CYCLE_1)
	s_or_b32 s60, s60, s62
	s_or_b32 exec_lo, exec_lo, s61
	s_and_saveexec_b32 s61, s60
	s_cbranch_execnz .LBB51_1157
	s_branch .LBB51_1158
.LBB51_3246:                            ;   in Loop: Header=BB51_17 Depth=1
	s_mov_b32 s75, exec_lo
                                        ; implicit-def: $vgpr0
	v_cmpx_lt_i16_e32 25, v18
	s_xor_b32 s75, exec_lo, s75
	s_cbranch_execz .LBB51_3278
; %bb.3247:                             ;   in Loop: Header=BB51_17 Depth=1
	s_mov_b32 s77, exec_lo
                                        ; implicit-def: $vgpr0
	v_cmpx_lt_i16_e32 28, v18
	s_xor_b32 s77, exec_lo, s77
	s_cbranch_execz .LBB51_3263
; %bb.3248:                             ;   in Loop: Header=BB51_17 Depth=1
	s_mov_b32 s78, 0
	s_mov_b32 s76, exec_lo
                                        ; implicit-def: $vgpr0
	v_cmpx_lt_i16_e32 43, v18
	s_xor_b32 s76, exec_lo, s76
	s_cbranch_execz .LBB51_3258
; %bb.3249:                             ;   in Loop: Header=BB51_17 Depth=1
	s_mov_b32 s79, exec_lo
                                        ; implicit-def: $vgpr0
	v_cmpx_lt_i16_e32 45, v18
	s_xor_b32 s79, exec_lo, s79
	s_cbranch_execz .LBB51_3253
; %bb.3250:                             ;   in Loop: Header=BB51_17 Depth=1
	s_mov_b32 s88, exec_lo
                                        ; implicit-def: $vgpr0
	v_cmpx_eq_u16_e32 46, v18
	s_cbranch_execz .LBB51_3252
; %bb.3251:                             ;   in Loop: Header=BB51_17 Depth=1
	flat_load_b32 v0, v[2:3]
	s_mov_b32 s78, exec_lo
	s_wait_loadcnt_dscnt 0x0
	v_lshlrev_b32_e32 v0, 16, v0
.LBB51_3252:                            ;   in Loop: Header=BB51_17 Depth=1
	s_wait_xcnt 0x0
	s_or_b32 exec_lo, exec_lo, s88
	s_delay_alu instid0(SALU_CYCLE_1)
	s_and_b32 s78, s78, exec_lo
                                        ; implicit-def: $vgpr18
                                        ; implicit-def: $vgpr2_vgpr3
.LBB51_3253:                            ;   in Loop: Header=BB51_17 Depth=1
	s_and_not1_saveexec_b32 s79, s79
	s_cbranch_execz .LBB51_3257
; %bb.3254:                             ;   in Loop: Header=BB51_17 Depth=1
	s_mov_b32 s89, s78
	s_mov_b32 s88, exec_lo
                                        ; implicit-def: $vgpr0
	v_cmpx_eq_u16_e32 44, v18
	s_cbranch_execz .LBB51_3256
; %bb.3255:                             ;   in Loop: Header=BB51_17 Depth=1
	flat_load_u8 v0, v[2:3]
	s_or_b32 s89, s78, exec_lo
	s_wait_loadcnt_dscnt 0x0
	v_lshlrev_b32_e32 v2, 23, v0
	v_cmp_ne_u32_e32 vcc_lo, 0xff, v0
	s_delay_alu instid0(VALU_DEP_2) | instskip(SKIP_1) | instid1(VALU_DEP_2)
	v_cndmask_b32_e32 v2, 0x7f800001, v2, vcc_lo
	v_cmp_ne_u32_e32 vcc_lo, 0, v0
	v_cndmask_b32_e32 v0, 0x400000, v2, vcc_lo
.LBB51_3256:                            ;   in Loop: Header=BB51_17 Depth=1
	s_or_b32 exec_lo, exec_lo, s88
	s_delay_alu instid0(SALU_CYCLE_1) | instskip(SKIP_1) | instid1(SALU_CYCLE_1)
	s_and_not1_b32 s78, s78, exec_lo
	s_and_b32 s88, s89, exec_lo
	s_or_b32 s78, s78, s88
.LBB51_3257:                            ;   in Loop: Header=BB51_17 Depth=1
	s_or_b32 exec_lo, exec_lo, s79
	s_delay_alu instid0(SALU_CYCLE_1)
	s_and_b32 s78, s78, exec_lo
                                        ; implicit-def: $vgpr18
                                        ; implicit-def: $vgpr2_vgpr3
.LBB51_3258:                            ;   in Loop: Header=BB51_17 Depth=1
	s_and_not1_saveexec_b32 s76, s76
	s_cbranch_execz .LBB51_3262
; %bb.3259:                             ;   in Loop: Header=BB51_17 Depth=1
	s_mov_b32 s88, s78
	s_mov_b32 s79, exec_lo
                                        ; implicit-def: $vgpr0
	v_cmpx_eq_u16_e32 29, v18
	s_cbranch_execz .LBB51_3261
; %bb.3260:                             ;   in Loop: Header=BB51_17 Depth=1
	flat_load_b64 v[2:3], v[2:3]
	s_or_b32 s88, s78, exec_lo
	s_wait_loadcnt_dscnt 0x0
	v_clz_i32_u32_e32 v0, v3
	s_delay_alu instid0(VALU_DEP_1) | instskip(SKIP_1) | instid1(VALU_DEP_1)
	v_min_u32_e32 v0, 32, v0
	s_wait_xcnt 0x0
	v_lshlrev_b64_e32 v[2:3], v0, v[2:3]
	v_sub_nc_u32_e32 v0, 32, v0
	s_delay_alu instid0(VALU_DEP_2) | instskip(NEXT) | instid1(VALU_DEP_1)
	v_min_u32_e32 v2, 1, v2
	v_or_b32_e32 v2, v3, v2
	s_delay_alu instid0(VALU_DEP_1) | instskip(NEXT) | instid1(VALU_DEP_1)
	v_cvt_f32_u32_e32 v2, v2
	v_ldexp_f32 v0, v2, v0
.LBB51_3261:                            ;   in Loop: Header=BB51_17 Depth=1
	s_or_b32 exec_lo, exec_lo, s79
	s_delay_alu instid0(SALU_CYCLE_1) | instskip(SKIP_1) | instid1(SALU_CYCLE_1)
	s_and_not1_b32 s78, s78, exec_lo
	s_and_b32 s79, s88, exec_lo
	s_or_b32 s78, s78, s79
.LBB51_3262:                            ;   in Loop: Header=BB51_17 Depth=1
	s_or_b32 exec_lo, exec_lo, s76
	s_delay_alu instid0(SALU_CYCLE_1)
	s_and_b32 s76, s78, exec_lo
                                        ; implicit-def: $vgpr18
                                        ; implicit-def: $vgpr2_vgpr3
.LBB51_3263:                            ;   in Loop: Header=BB51_17 Depth=1
	s_and_not1_saveexec_b32 s77, s77
	s_cbranch_execz .LBB51_3277
; %bb.3264:                             ;   in Loop: Header=BB51_17 Depth=1
	s_mov_b32 s78, exec_lo
                                        ; implicit-def: $vgpr0
	v_cmpx_lt_i16_e32 26, v18
	s_xor_b32 s78, exec_lo, s78
	s_cbranch_execz .LBB51_3270
; %bb.3265:                             ;   in Loop: Header=BB51_17 Depth=1
	s_mov_b32 s79, exec_lo
                                        ; implicit-def: $vgpr0
	v_cmpx_lt_i16_e32 27, v18
	s_xor_b32 s79, exec_lo, s79
	s_cbranch_execz .LBB51_3267
; %bb.3266:                             ;   in Loop: Header=BB51_17 Depth=1
	flat_load_b32 v0, v[2:3]
                                        ; implicit-def: $vgpr2_vgpr3
	s_wait_loadcnt_dscnt 0x0
	v_cvt_f32_u32_e32 v0, v0
.LBB51_3267:                            ;   in Loop: Header=BB51_17 Depth=1
	s_wait_xcnt 0x0
	s_and_not1_saveexec_b32 s79, s79
	s_cbranch_execz .LBB51_3269
; %bb.3268:                             ;   in Loop: Header=BB51_17 Depth=1
	flat_load_u16 v0, v[2:3]
	s_wait_loadcnt_dscnt 0x0
	v_cvt_f32_u32_e32 v0, v0
.LBB51_3269:                            ;   in Loop: Header=BB51_17 Depth=1
	s_wait_xcnt 0x0
	s_or_b32 exec_lo, exec_lo, s79
                                        ; implicit-def: $vgpr2_vgpr3
.LBB51_3270:                            ;   in Loop: Header=BB51_17 Depth=1
	s_and_not1_saveexec_b32 s78, s78
	s_cbranch_execz .LBB51_3276
; %bb.3271:                             ;   in Loop: Header=BB51_17 Depth=1
	flat_load_u8 v2, v[2:3]
	s_mov_b32 s79, 0
	s_mov_b32 s88, exec_lo
	s_wait_loadcnt_dscnt 0x0
	v_cmpx_lt_i16_e32 0x7f, v2
	s_xor_b32 s88, exec_lo, s88
	s_cbranch_execnz .LBB51_3614
; %bb.3272:                             ;   in Loop: Header=BB51_17 Depth=1
	s_or_saveexec_b32 s88, s88
	v_mov_b32_e32 v0, 0x7f800001
	s_xor_b32 exec_lo, exec_lo, s88
	s_cbranch_execnz .LBB51_3617
.LBB51_3273:                            ;   in Loop: Header=BB51_17 Depth=1
	s_or_b32 exec_lo, exec_lo, s88
	s_and_saveexec_b32 s88, s79
	s_cbranch_execz .LBB51_3275
.LBB51_3274:                            ;   in Loop: Header=BB51_17 Depth=1
	v_and_b32_e32 v0, 0xffff, v2
	s_delay_alu instid0(VALU_DEP_1) | instskip(SKIP_1) | instid1(VALU_DEP_2)
	v_and_b32_e32 v3, 7, v0
	v_bfe_u32 v20, v0, 3, 4
	v_clz_i32_u32_e32 v18, v3
	s_delay_alu instid0(VALU_DEP_2) | instskip(NEXT) | instid1(VALU_DEP_2)
	v_cmp_eq_u32_e32 vcc_lo, 0, v20
	v_min_u32_e32 v18, 32, v18
	s_delay_alu instid0(VALU_DEP_1) | instskip(NEXT) | instid1(VALU_DEP_1)
	v_subrev_nc_u32_e32 v19, 28, v18
	v_dual_lshlrev_b32 v0, v19, v0 :: v_dual_sub_nc_u32 v18, 29, v18
	s_delay_alu instid0(VALU_DEP_1) | instskip(NEXT) | instid1(VALU_DEP_1)
	v_dual_lshlrev_b32 v2, 24, v2 :: v_dual_bitop2_b32 v0, 7, v0 bitop3:0x40
	v_dual_cndmask_b32 v0, v3, v0, vcc_lo :: v_dual_cndmask_b32 v18, v20, v18, vcc_lo
	s_delay_alu instid0(VALU_DEP_2) | instskip(NEXT) | instid1(VALU_DEP_2)
	v_and_b32_e32 v2, 0x80000000, v2
	v_lshlrev_b32_e32 v0, 20, v0
	s_delay_alu instid0(VALU_DEP_3) | instskip(NEXT) | instid1(VALU_DEP_1)
	v_lshl_add_u32 v3, v18, 23, 0x3b800000
	v_or3_b32 v0, v2, v3, v0
.LBB51_3275:                            ;   in Loop: Header=BB51_17 Depth=1
	s_or_b32 exec_lo, exec_lo, s88
.LBB51_3276:                            ;   in Loop: Header=BB51_17 Depth=1
	s_delay_alu instid0(SALU_CYCLE_1) | instskip(NEXT) | instid1(SALU_CYCLE_1)
	s_or_b32 exec_lo, exec_lo, s78
	s_or_b32 s76, s76, exec_lo
.LBB51_3277:                            ;   in Loop: Header=BB51_17 Depth=1
	s_or_b32 exec_lo, exec_lo, s77
	s_delay_alu instid0(SALU_CYCLE_1)
	s_and_b32 s76, s76, exec_lo
                                        ; implicit-def: $vgpr18
                                        ; implicit-def: $vgpr2_vgpr3
.LBB51_3278:                            ;   in Loop: Header=BB51_17 Depth=1
	s_and_not1_saveexec_b32 s75, s75
	s_cbranch_execz .LBB51_3304
; %bb.3279:                             ;   in Loop: Header=BB51_17 Depth=1
	s_mov_b32 s78, s76
	s_mov_b32 s77, exec_lo
                                        ; implicit-def: $vgpr0
	v_cmpx_lt_i16_e32 22, v18
	s_xor_b32 s77, exec_lo, s77
	s_cbranch_execz .LBB51_3293
; %bb.3280:                             ;   in Loop: Header=BB51_17 Depth=1
	s_mov_b32 s78, exec_lo
                                        ; implicit-def: $vgpr0
	v_cmpx_lt_i16_e32 23, v18
	s_xor_b32 s78, exec_lo, s78
	s_cbranch_execz .LBB51_3290
; %bb.3281:                             ;   in Loop: Header=BB51_17 Depth=1
	;; [unrolled: 6-line block ×3, first 2 shown]
	flat_load_u8 v2, v[2:3]
	s_mov_b32 s88, 0
	s_mov_b32 s89, exec_lo
	s_wait_loadcnt_dscnt 0x0
	v_cmpx_lt_i16_e32 0x7f, v2
	s_xor_b32 s89, exec_lo, s89
	s_cbranch_execnz .LBB51_3626
; %bb.3283:                             ;   in Loop: Header=BB51_17 Depth=1
	s_or_saveexec_b32 s89, s89
	v_mov_b32_e32 v0, 0x7f800001
	s_xor_b32 exec_lo, exec_lo, s89
	s_cbranch_execnz .LBB51_3629
.LBB51_3284:                            ;   in Loop: Header=BB51_17 Depth=1
	s_or_b32 exec_lo, exec_lo, s89
	s_and_saveexec_b32 s89, s88
	s_cbranch_execz .LBB51_3286
.LBB51_3285:                            ;   in Loop: Header=BB51_17 Depth=1
	v_and_b32_e32 v0, 0xffff, v2
	s_delay_alu instid0(VALU_DEP_1) | instskip(SKIP_1) | instid1(VALU_DEP_2)
	v_and_b32_e32 v3, 3, v0
	v_bfe_u32 v20, v0, 2, 5
	v_clz_i32_u32_e32 v18, v3
	s_delay_alu instid0(VALU_DEP_2) | instskip(NEXT) | instid1(VALU_DEP_2)
	v_cmp_eq_u32_e32 vcc_lo, 0, v20
	v_min_u32_e32 v18, 32, v18
	s_delay_alu instid0(VALU_DEP_1) | instskip(NEXT) | instid1(VALU_DEP_1)
	v_subrev_nc_u32_e32 v19, 29, v18
	v_dual_lshlrev_b32 v0, v19, v0 :: v_dual_sub_nc_u32 v18, 30, v18
	s_delay_alu instid0(VALU_DEP_1) | instskip(NEXT) | instid1(VALU_DEP_1)
	v_dual_lshlrev_b32 v2, 24, v2 :: v_dual_bitop2_b32 v0, 3, v0 bitop3:0x40
	v_dual_cndmask_b32 v0, v3, v0, vcc_lo :: v_dual_cndmask_b32 v18, v20, v18, vcc_lo
	s_delay_alu instid0(VALU_DEP_2) | instskip(NEXT) | instid1(VALU_DEP_2)
	v_and_b32_e32 v2, 0x80000000, v2
	v_lshlrev_b32_e32 v0, 21, v0
	s_delay_alu instid0(VALU_DEP_3) | instskip(NEXT) | instid1(VALU_DEP_1)
	v_lshl_add_u32 v3, v18, 23, 0x37800000
	v_or3_b32 v0, v2, v3, v0
.LBB51_3286:                            ;   in Loop: Header=BB51_17 Depth=1
	s_or_b32 exec_lo, exec_lo, s89
                                        ; implicit-def: $vgpr2_vgpr3
.LBB51_3287:                            ;   in Loop: Header=BB51_17 Depth=1
	s_and_not1_saveexec_b32 s79, s79
	s_cbranch_execz .LBB51_3289
; %bb.3288:                             ;   in Loop: Header=BB51_17 Depth=1
	flat_load_u8 v0, v[2:3]
	s_wait_loadcnt_dscnt 0x0
	v_lshlrev_b32_e32 v0, 24, v0
	s_wait_xcnt 0x0
	s_delay_alu instid0(VALU_DEP_1) | instskip(NEXT) | instid1(VALU_DEP_1)
	v_and_b32_e32 v2, 0x7f000000, v0
	v_clz_i32_u32_e32 v3, v2
	v_cmp_ne_u32_e32 vcc_lo, 0, v2
	v_add_nc_u32_e32 v19, 0x1000000, v2
	s_delay_alu instid0(VALU_DEP_3) | instskip(NEXT) | instid1(VALU_DEP_1)
	v_min_u32_e32 v3, 32, v3
	v_sub_nc_u32_e64 v3, v3, 4 clamp
	s_delay_alu instid0(VALU_DEP_1) | instskip(NEXT) | instid1(VALU_DEP_1)
	v_dual_lshlrev_b32 v18, v3, v2 :: v_dual_lshlrev_b32 v3, 23, v3
	v_lshrrev_b32_e32 v18, 4, v18
	s_delay_alu instid0(VALU_DEP_1) | instskip(SKIP_1) | instid1(VALU_DEP_2)
	v_sub_nc_u32_e32 v3, v18, v3
	v_ashrrev_i32_e32 v18, 8, v19
	v_add_nc_u32_e32 v3, 0x3c000000, v3
	s_delay_alu instid0(VALU_DEP_1) | instskip(NEXT) | instid1(VALU_DEP_1)
	v_and_or_b32 v3, 0x7f800000, v18, v3
	v_cndmask_b32_e32 v2, 0, v3, vcc_lo
	s_delay_alu instid0(VALU_DEP_1)
	v_and_or_b32 v0, 0x80000000, v0, v2
.LBB51_3289:                            ;   in Loop: Header=BB51_17 Depth=1
	s_or_b32 exec_lo, exec_lo, s79
                                        ; implicit-def: $vgpr2_vgpr3
.LBB51_3290:                            ;   in Loop: Header=BB51_17 Depth=1
	s_and_not1_saveexec_b32 s78, s78
	s_cbranch_execz .LBB51_3292
; %bb.3291:                             ;   in Loop: Header=BB51_17 Depth=1
	flat_load_u8 v0, v[2:3]
	s_wait_loadcnt_dscnt 0x0
	v_lshlrev_b32_e32 v2, 25, v0
	v_lshlrev_b16 v0, 8, v0
	s_delay_alu instid0(VALU_DEP_1) | instskip(SKIP_1) | instid1(VALU_DEP_2)
	v_and_or_b32 v18, 0x7f00, v0, 0.5
	v_bfe_i32 v0, v0, 0, 16
	v_add_f32_e32 v18, -0.5, v18
	v_lshrrev_b32_e32 v3, 4, v2
	v_cmp_gt_u32_e32 vcc_lo, 0x8000000, v2
	s_delay_alu instid0(VALU_DEP_2) | instskip(NEXT) | instid1(VALU_DEP_1)
	v_or_b32_e32 v3, 0x70000000, v3
	v_mul_f32_e32 v3, 0x7800000, v3
	s_delay_alu instid0(VALU_DEP_1) | instskip(NEXT) | instid1(VALU_DEP_1)
	v_cndmask_b32_e32 v2, v3, v18, vcc_lo
	v_and_or_b32 v0, 0x80000000, v0, v2
.LBB51_3292:                            ;   in Loop: Header=BB51_17 Depth=1
	s_or_b32 exec_lo, exec_lo, s78
	s_delay_alu instid0(SALU_CYCLE_1)
	s_or_b32 s78, s76, exec_lo
                                        ; implicit-def: $vgpr18
                                        ; implicit-def: $vgpr2_vgpr3
.LBB51_3293:                            ;   in Loop: Header=BB51_17 Depth=1
	s_and_not1_saveexec_b32 s77, s77
	s_cbranch_execz .LBB51_3303
; %bb.3294:                             ;   in Loop: Header=BB51_17 Depth=1
	s_mov_b32 s79, s78
	s_mov_b32 s88, exec_lo
                                        ; implicit-def: $vgpr0
	v_cmpx_lt_i16_e32 14, v18
	s_xor_b32 s88, exec_lo, s88
	s_cbranch_execz .LBB51_3298
; %bb.3295:                             ;   in Loop: Header=BB51_17 Depth=1
	s_mov_b32 s79, s78
	s_mov_b32 s89, exec_lo
                                        ; implicit-def: $vgpr0
	v_cmpx_eq_u16_e32 15, v18
	s_cbranch_execz .LBB51_3297
; %bb.3296:                             ;   in Loop: Header=BB51_17 Depth=1
	flat_load_u16 v0, v[2:3]
	s_or_b32 s79, s78, exec_lo
	s_wait_loadcnt_dscnt 0x0
	v_lshlrev_b32_e32 v0, 16, v0
.LBB51_3297:                            ;   in Loop: Header=BB51_17 Depth=1
	s_wait_xcnt 0x0
	s_or_b32 exec_lo, exec_lo, s89
	s_delay_alu instid0(SALU_CYCLE_1) | instskip(SKIP_1) | instid1(SALU_CYCLE_1)
	s_and_not1_b32 s89, s78, exec_lo
	s_and_b32 s79, s79, exec_lo
                                        ; implicit-def: $vgpr18
                                        ; implicit-def: $vgpr2_vgpr3
	s_or_b32 s79, s89, s79
.LBB51_3298:                            ;   in Loop: Header=BB51_17 Depth=1
	s_and_not1_saveexec_b32 s88, s88
	s_cbranch_execz .LBB51_3302
; %bb.3299:                             ;   in Loop: Header=BB51_17 Depth=1
	s_mov_b32 s89, s79
	s_mov_b32 s90, exec_lo
                                        ; implicit-def: $vgpr0
	v_cmpx_eq_u16_e32 11, v18
	s_cbranch_execz .LBB51_3301
; %bb.3300:                             ;   in Loop: Header=BB51_17 Depth=1
	flat_load_u8 v0, v[2:3]
	s_or_b32 s89, s79, exec_lo
	s_wait_loadcnt_dscnt 0x0
	v_cmp_ne_u16_e32 vcc_lo, 0, v0
	v_cndmask_b32_e64 v0, 0, 1.0, vcc_lo
.LBB51_3301:                            ;   in Loop: Header=BB51_17 Depth=1
	s_wait_xcnt 0x0
	s_or_b32 exec_lo, exec_lo, s90
	s_delay_alu instid0(SALU_CYCLE_1) | instskip(SKIP_1) | instid1(SALU_CYCLE_1)
	s_and_not1_b32 s79, s79, exec_lo
	s_and_b32 s89, s89, exec_lo
	s_or_b32 s79, s79, s89
.LBB51_3302:                            ;   in Loop: Header=BB51_17 Depth=1
	s_or_b32 exec_lo, exec_lo, s88
	s_delay_alu instid0(SALU_CYCLE_1) | instskip(SKIP_1) | instid1(SALU_CYCLE_1)
	s_and_not1_b32 s78, s78, exec_lo
	s_and_b32 s79, s79, exec_lo
	s_or_b32 s78, s78, s79
.LBB51_3303:                            ;   in Loop: Header=BB51_17 Depth=1
	s_or_b32 exec_lo, exec_lo, s77
	s_delay_alu instid0(SALU_CYCLE_1) | instskip(SKIP_1) | instid1(SALU_CYCLE_1)
	s_and_not1_b32 s76, s76, exec_lo
	s_and_b32 s77, s78, exec_lo
	s_or_b32 s76, s76, s77
.LBB51_3304:                            ;   in Loop: Header=BB51_17 Depth=1
	s_or_b32 exec_lo, exec_lo, s75
	s_delay_alu instid0(SALU_CYCLE_1)
	s_and_b32 s75, s76, exec_lo
                                        ; implicit-def: $vgpr18
                                        ; implicit-def: $vgpr2_vgpr3
	s_and_not1_saveexec_b32 s63, s63
	s_cbranch_execz .LBB51_1566
.LBB51_3305:                            ;   in Loop: Header=BB51_17 Depth=1
	s_mov_b32 s76, exec_lo
                                        ; implicit-def: $vgpr0
	v_cmpx_lt_i16_e32 4, v18
	s_xor_b32 s76, exec_lo, s76
	s_cbranch_execz .LBB51_3327
; %bb.3306:                             ;   in Loop: Header=BB51_17 Depth=1
	s_mov_b32 s77, exec_lo
                                        ; implicit-def: $vgpr0
	v_cmpx_lt_i16_e32 7, v18
	s_xor_b32 s77, exec_lo, s77
	s_cbranch_execz .LBB51_3316
; %bb.3307:                             ;   in Loop: Header=BB51_17 Depth=1
	;; [unrolled: 6-line block ×4, first 2 shown]
	flat_load_b64 v[2:3], v[2:3]
	s_wait_loadcnt_dscnt 0x0
	v_cvt_f32_f64_e32 v0, v[2:3]
                                        ; implicit-def: $vgpr2_vgpr3
.LBB51_3310:                            ;   in Loop: Header=BB51_17 Depth=1
	s_wait_xcnt 0x0
	s_and_not1_saveexec_b32 s79, s79
	s_cbranch_execz .LBB51_3312
; %bb.3311:                             ;   in Loop: Header=BB51_17 Depth=1
	flat_load_b32 v0, v[2:3]
.LBB51_3312:                            ;   in Loop: Header=BB51_17 Depth=1
	s_wait_xcnt 0x0
	s_or_b32 exec_lo, exec_lo, s79
                                        ; implicit-def: $vgpr2_vgpr3
.LBB51_3313:                            ;   in Loop: Header=BB51_17 Depth=1
	s_and_not1_saveexec_b32 s78, s78
	s_cbranch_execz .LBB51_3315
; %bb.3314:                             ;   in Loop: Header=BB51_17 Depth=1
	s_wait_loadcnt_dscnt 0x0
	flat_load_b32 v0, v[2:3]
	s_wait_loadcnt_dscnt 0x0
	v_cvt_f32_f16_e32 v0, v0
.LBB51_3315:                            ;   in Loop: Header=BB51_17 Depth=1
	s_wait_xcnt 0x0
	s_or_b32 exec_lo, exec_lo, s78
                                        ; implicit-def: $vgpr2_vgpr3
                                        ; implicit-def: $vgpr18
.LBB51_3316:                            ;   in Loop: Header=BB51_17 Depth=1
	s_and_not1_saveexec_b32 s77, s77
	s_cbranch_execz .LBB51_3326
; %bb.3317:                             ;   in Loop: Header=BB51_17 Depth=1
	s_mov_b32 s78, exec_lo
                                        ; implicit-def: $vgpr0
	v_cmpx_lt_i16_e32 5, v18
	s_xor_b32 s78, exec_lo, s78
	s_cbranch_execz .LBB51_3323
; %bb.3318:                             ;   in Loop: Header=BB51_17 Depth=1
	s_mov_b32 s79, exec_lo
                                        ; implicit-def: $vgpr0
	v_cmpx_lt_i16_e32 6, v18
	s_xor_b32 s79, exec_lo, s79
	s_cbranch_execz .LBB51_3320
; %bb.3319:                             ;   in Loop: Header=BB51_17 Depth=1
	flat_load_b64 v[2:3], v[2:3]
	s_wait_loadcnt_dscnt 0x0
	v_cvt_f32_f64_e32 v0, v[2:3]
                                        ; implicit-def: $vgpr2_vgpr3
.LBB51_3320:                            ;   in Loop: Header=BB51_17 Depth=1
	s_wait_xcnt 0x0
	s_and_not1_saveexec_b32 s79, s79
	s_cbranch_execz .LBB51_3322
; %bb.3321:                             ;   in Loop: Header=BB51_17 Depth=1
	s_wait_loadcnt_dscnt 0x0
	flat_load_b32 v0, v[2:3]
.LBB51_3322:                            ;   in Loop: Header=BB51_17 Depth=1
	s_wait_xcnt 0x0
	s_or_b32 exec_lo, exec_lo, s79
                                        ; implicit-def: $vgpr2_vgpr3
.LBB51_3323:                            ;   in Loop: Header=BB51_17 Depth=1
	s_and_not1_saveexec_b32 s78, s78
	s_cbranch_execz .LBB51_3325
; %bb.3324:                             ;   in Loop: Header=BB51_17 Depth=1
	s_wait_loadcnt_dscnt 0x0
	flat_load_u16 v0, v[2:3]
	s_wait_loadcnt_dscnt 0x0
	v_cvt_f32_f16_e32 v0, v0
.LBB51_3325:                            ;   in Loop: Header=BB51_17 Depth=1
	s_wait_xcnt 0x0
	s_or_b32 exec_lo, exec_lo, s78
.LBB51_3326:                            ;   in Loop: Header=BB51_17 Depth=1
	s_delay_alu instid0(SALU_CYCLE_1)
	s_or_b32 exec_lo, exec_lo, s77
                                        ; implicit-def: $vgpr18
                                        ; implicit-def: $vgpr2_vgpr3
.LBB51_3327:                            ;   in Loop: Header=BB51_17 Depth=1
	s_and_not1_saveexec_b32 s76, s76
	s_cbranch_execz .LBB51_3345
; %bb.3328:                             ;   in Loop: Header=BB51_17 Depth=1
	s_mov_b32 s77, exec_lo
                                        ; implicit-def: $vgpr0
	v_cmpx_lt_i16_e32 1, v18
	s_xor_b32 s77, exec_lo, s77
	s_cbranch_execz .LBB51_3338
; %bb.3329:                             ;   in Loop: Header=BB51_17 Depth=1
	s_mov_b32 s78, exec_lo
                                        ; implicit-def: $vgpr0
	v_cmpx_lt_i16_e32 2, v18
	s_xor_b32 s78, exec_lo, s78
	;; [unrolled: 6-line block ×3, first 2 shown]
	s_cbranch_execz .LBB51_3332
; %bb.3331:                             ;   in Loop: Header=BB51_17 Depth=1
	flat_load_b64 v[2:3], v[2:3]
	s_wait_loadcnt_dscnt 0x0
	v_xor_b32_e32 v0, v2, v3
	v_cls_i32_e32 v18, v3
	s_delay_alu instid0(VALU_DEP_2) | instskip(NEXT) | instid1(VALU_DEP_1)
	v_ashrrev_i32_e32 v0, 31, v0
	v_add_nc_u32_e32 v0, 32, v0
	s_delay_alu instid0(VALU_DEP_1) | instskip(SKIP_1) | instid1(VALU_DEP_1)
	v_add_min_u32_e64 v0, v18, -1, v0
	s_wait_xcnt 0x0
	v_lshlrev_b64_e32 v[2:3], v0, v[2:3]
	v_sub_nc_u32_e32 v0, 32, v0
	s_delay_alu instid0(VALU_DEP_2) | instskip(NEXT) | instid1(VALU_DEP_1)
	v_min_u32_e32 v2, 1, v2
	v_or_b32_e32 v2, v3, v2
	s_delay_alu instid0(VALU_DEP_1) | instskip(NEXT) | instid1(VALU_DEP_1)
	v_cvt_f32_i32_e32 v2, v2
	v_ldexp_f32 v0, v2, v0
                                        ; implicit-def: $vgpr2_vgpr3
.LBB51_3332:                            ;   in Loop: Header=BB51_17 Depth=1
	s_and_not1_saveexec_b32 s79, s79
	s_cbranch_execz .LBB51_3334
; %bb.3333:                             ;   in Loop: Header=BB51_17 Depth=1
	s_wait_loadcnt_dscnt 0x0
	flat_load_b32 v0, v[2:3]
	s_wait_loadcnt_dscnt 0x0
	v_cvt_f32_i32_e32 v0, v0
.LBB51_3334:                            ;   in Loop: Header=BB51_17 Depth=1
	s_wait_xcnt 0x0
	s_or_b32 exec_lo, exec_lo, s79
                                        ; implicit-def: $vgpr2_vgpr3
.LBB51_3335:                            ;   in Loop: Header=BB51_17 Depth=1
	s_and_not1_saveexec_b32 s78, s78
	s_cbranch_execz .LBB51_3337
; %bb.3336:                             ;   in Loop: Header=BB51_17 Depth=1
	s_wait_loadcnt_dscnt 0x0
	flat_load_i16 v0, v[2:3]
	s_wait_loadcnt_dscnt 0x0
	v_cvt_f32_i32_e32 v0, v0
.LBB51_3337:                            ;   in Loop: Header=BB51_17 Depth=1
	s_wait_xcnt 0x0
	s_or_b32 exec_lo, exec_lo, s78
                                        ; implicit-def: $vgpr2_vgpr3
                                        ; implicit-def: $vgpr18
.LBB51_3338:                            ;   in Loop: Header=BB51_17 Depth=1
	s_and_not1_saveexec_b32 s77, s77
	s_cbranch_execz .LBB51_3344
; %bb.3339:                             ;   in Loop: Header=BB51_17 Depth=1
	s_mov_b32 s78, exec_lo
                                        ; implicit-def: $vgpr0
	v_cmpx_lt_i16_e32 0, v18
	s_xor_b32 s78, exec_lo, s78
	s_cbranch_execz .LBB51_3341
; %bb.3340:                             ;   in Loop: Header=BB51_17 Depth=1
	s_wait_loadcnt_dscnt 0x0
	flat_load_i8 v0, v[2:3]
                                        ; implicit-def: $vgpr2_vgpr3
	s_wait_loadcnt_dscnt 0x0
	v_cvt_f32_i32_e32 v0, v0
.LBB51_3341:                            ;   in Loop: Header=BB51_17 Depth=1
	s_wait_xcnt 0x0
	s_and_not1_saveexec_b32 s78, s78
	s_cbranch_execz .LBB51_3343
; %bb.3342:                             ;   in Loop: Header=BB51_17 Depth=1
	s_wait_loadcnt_dscnt 0x0
	flat_load_u8 v0, v[2:3]
	s_wait_loadcnt_dscnt 0x0
	v_cvt_f32_ubyte0_e32 v0, v0
.LBB51_3343:                            ;   in Loop: Header=BB51_17 Depth=1
	s_wait_xcnt 0x0
	s_or_b32 exec_lo, exec_lo, s78
.LBB51_3344:                            ;   in Loop: Header=BB51_17 Depth=1
	s_delay_alu instid0(SALU_CYCLE_1)
	s_or_b32 exec_lo, exec_lo, s77
.LBB51_3345:                            ;   in Loop: Header=BB51_17 Depth=1
	s_delay_alu instid0(SALU_CYCLE_1) | instskip(NEXT) | instid1(SALU_CYCLE_1)
	s_or_b32 exec_lo, exec_lo, s76
	s_or_b32 s75, s75, exec_lo
	s_or_b32 exec_lo, exec_lo, s63
	s_mov_b32 s76, 0
	s_and_saveexec_b32 s63, s75
	s_cbranch_execnz .LBB51_1567
	s_branch .LBB51_1568
.LBB51_3346:                            ;   in Loop: Header=BB51_17 Depth=1
	s_mov_b32 s57, -1
	s_mov_b32 s59, exec_lo
	v_cmpx_eq_u16_e32 0x80, v2
; %bb.3347:                             ;   in Loop: Header=BB51_17 Depth=1
	s_xor_b32 s57, exec_lo, -1
; %bb.3348:                             ;   in Loop: Header=BB51_17 Depth=1
	s_or_b32 exec_lo, exec_lo, s59
	s_delay_alu instid0(SALU_CYCLE_1)
	s_and_b32 s57, s57, exec_lo
	s_or_saveexec_b32 s58, s58
	v_mov_b32_e32 v0, 0x7f800001
	s_xor_b32 exec_lo, exec_lo, s58
	s_cbranch_execz .LBB51_2704
.LBB51_3349:                            ;   in Loop: Header=BB51_17 Depth=1
	v_cmp_ne_u16_e32 vcc_lo, 0, v2
	v_mov_b32_e32 v0, 0
	s_and_not1_b32 s57, s57, exec_lo
	s_and_b32 s59, vcc_lo, exec_lo
	s_delay_alu instid0(SALU_CYCLE_1)
	s_or_b32 s57, s57, s59
	s_or_b32 exec_lo, exec_lo, s58
	s_and_saveexec_b32 s58, s57
	s_cbranch_execnz .LBB51_2705
	s_branch .LBB51_2706
.LBB51_3350:                            ;   in Loop: Header=BB51_17 Depth=1
	s_mov_b32 s59, -1
	s_mov_b32 s61, exec_lo
	v_cmpx_eq_u16_e32 0x80, v2
; %bb.3351:                             ;   in Loop: Header=BB51_17 Depth=1
	s_xor_b32 s59, exec_lo, -1
; %bb.3352:                             ;   in Loop: Header=BB51_17 Depth=1
	s_or_b32 exec_lo, exec_lo, s61
	s_delay_alu instid0(SALU_CYCLE_1)
	s_and_b32 s59, s59, exec_lo
	s_or_saveexec_b32 s60, s60
	v_mov_b32_e32 v0, 0x7f800001
	s_xor_b32 exec_lo, exec_lo, s60
	s_cbranch_execz .LBB51_2809
.LBB51_3353:                            ;   in Loop: Header=BB51_17 Depth=1
	v_cmp_ne_u16_e32 vcc_lo, 0, v2
	v_mov_b32_e32 v0, 0
	s_and_not1_b32 s59, s59, exec_lo
	s_and_b32 s61, vcc_lo, exec_lo
	s_delay_alu instid0(SALU_CYCLE_1)
	s_or_b32 s59, s59, s61
	s_or_b32 exec_lo, exec_lo, s60
	s_and_saveexec_b32 s60, s59
	s_cbranch_execnz .LBB51_2810
	s_branch .LBB51_2811
.LBB51_3354:                            ;   in Loop: Header=BB51_17 Depth=1
	s_mov_b32 s61, -1
	s_mov_b32 s63, exec_lo
	v_cmpx_eq_u16_e32 0x80, v2
; %bb.3355:                             ;   in Loop: Header=BB51_17 Depth=1
	s_xor_b32 s61, exec_lo, -1
; %bb.3356:                             ;   in Loop: Header=BB51_17 Depth=1
	s_or_b32 exec_lo, exec_lo, s63
	s_delay_alu instid0(SALU_CYCLE_1)
	s_and_b32 s61, s61, exec_lo
	s_or_saveexec_b32 s62, s62
	v_mov_b32_e32 v0, 0x7f800001
	s_xor_b32 exec_lo, exec_lo, s62
	s_cbranch_execz .LBB51_1167
.LBB51_3357:                            ;   in Loop: Header=BB51_17 Depth=1
	v_cmp_ne_u16_e32 vcc_lo, 0, v2
	v_mov_b32_e32 v0, 0
	s_and_not1_b32 s61, s61, exec_lo
	s_and_b32 s63, vcc_lo, exec_lo
	s_delay_alu instid0(SALU_CYCLE_1)
	s_or_b32 s61, s61, s63
	s_or_b32 exec_lo, exec_lo, s62
	s_and_saveexec_b32 s62, s61
	s_cbranch_execnz .LBB51_1168
	s_branch .LBB51_1169
.LBB51_3358:                            ;   in Loop: Header=BB51_17 Depth=1
	s_mov_b32 s63, -1
	s_mov_b32 s73, exec_lo
	v_cmpx_eq_u16_e32 0x80, v2
; %bb.3359:                             ;   in Loop: Header=BB51_17 Depth=1
	s_xor_b32 s63, exec_lo, -1
; %bb.3360:                             ;   in Loop: Header=BB51_17 Depth=1
	s_or_b32 exec_lo, exec_lo, s73
	s_delay_alu instid0(SALU_CYCLE_1)
	s_and_b32 s63, s63, exec_lo
	s_or_saveexec_b32 s72, s72
	v_mov_b32_e32 v0, 0x7f800001
	s_xor_b32 exec_lo, exec_lo, s72
	s_cbranch_execz .LBB51_1267
.LBB51_3361:                            ;   in Loop: Header=BB51_17 Depth=1
	v_cmp_ne_u16_e32 vcc_lo, 0, v2
	v_mov_b32_e32 v0, 0
	s_and_not1_b32 s63, s63, exec_lo
	s_and_b32 s73, vcc_lo, exec_lo
	s_delay_alu instid0(SALU_CYCLE_1)
	s_or_b32 s63, s63, s73
	s_or_b32 exec_lo, exec_lo, s72
	s_and_saveexec_b32 s72, s63
	s_cbranch_execnz .LBB51_1268
	s_branch .LBB51_1269
.LBB51_3362:                            ;   in Loop: Header=BB51_17 Depth=1
	s_mov_b32 s78, exec_lo
                                        ; implicit-def: $vgpr0
	v_cmpx_lt_i16_e32 25, v18
	s_xor_b32 s78, exec_lo, s78
	s_cbranch_execz .LBB51_3394
; %bb.3363:                             ;   in Loop: Header=BB51_17 Depth=1
	s_mov_b32 s88, exec_lo
                                        ; implicit-def: $vgpr0
	v_cmpx_lt_i16_e32 28, v18
	s_xor_b32 s88, exec_lo, s88
	s_cbranch_execz .LBB51_3379
; %bb.3364:                             ;   in Loop: Header=BB51_17 Depth=1
	s_mov_b32 s89, 0
	s_mov_b32 s79, exec_lo
                                        ; implicit-def: $vgpr0
	v_cmpx_lt_i16_e32 43, v18
	s_xor_b32 s79, exec_lo, s79
	s_cbranch_execz .LBB51_3374
; %bb.3365:                             ;   in Loop: Header=BB51_17 Depth=1
	s_mov_b32 s90, exec_lo
                                        ; implicit-def: $vgpr0
	v_cmpx_lt_i16_e32 45, v18
	s_xor_b32 s90, exec_lo, s90
	s_cbranch_execz .LBB51_3369
; %bb.3366:                             ;   in Loop: Header=BB51_17 Depth=1
	s_mov_b32 s91, exec_lo
                                        ; implicit-def: $vgpr0
	v_cmpx_eq_u16_e32 46, v18
	s_cbranch_execz .LBB51_3368
; %bb.3367:                             ;   in Loop: Header=BB51_17 Depth=1
	flat_load_b32 v0, v[2:3]
	s_mov_b32 s89, exec_lo
	s_wait_loadcnt_dscnt 0x0
	v_lshlrev_b32_e32 v0, 16, v0
.LBB51_3368:                            ;   in Loop: Header=BB51_17 Depth=1
	s_wait_xcnt 0x0
	s_or_b32 exec_lo, exec_lo, s91
	s_delay_alu instid0(SALU_CYCLE_1)
	s_and_b32 s89, s89, exec_lo
                                        ; implicit-def: $vgpr18
                                        ; implicit-def: $vgpr2_vgpr3
.LBB51_3369:                            ;   in Loop: Header=BB51_17 Depth=1
	s_and_not1_saveexec_b32 s90, s90
	s_cbranch_execz .LBB51_3373
; %bb.3370:                             ;   in Loop: Header=BB51_17 Depth=1
	s_mov_b32 s92, s89
	s_mov_b32 s91, exec_lo
                                        ; implicit-def: $vgpr0
	v_cmpx_eq_u16_e32 44, v18
	s_cbranch_execz .LBB51_3372
; %bb.3371:                             ;   in Loop: Header=BB51_17 Depth=1
	flat_load_u8 v0, v[2:3]
	s_or_b32 s92, s89, exec_lo
	s_wait_loadcnt_dscnt 0x0
	v_lshlrev_b32_e32 v2, 23, v0
	v_cmp_ne_u32_e32 vcc_lo, 0xff, v0
	s_delay_alu instid0(VALU_DEP_2) | instskip(SKIP_1) | instid1(VALU_DEP_2)
	v_cndmask_b32_e32 v2, 0x7f800001, v2, vcc_lo
	v_cmp_ne_u32_e32 vcc_lo, 0, v0
	v_cndmask_b32_e32 v0, 0x400000, v2, vcc_lo
.LBB51_3372:                            ;   in Loop: Header=BB51_17 Depth=1
	s_or_b32 exec_lo, exec_lo, s91
	s_delay_alu instid0(SALU_CYCLE_1) | instskip(SKIP_1) | instid1(SALU_CYCLE_1)
	s_and_not1_b32 s89, s89, exec_lo
	s_and_b32 s91, s92, exec_lo
	s_or_b32 s89, s89, s91
.LBB51_3373:                            ;   in Loop: Header=BB51_17 Depth=1
	s_or_b32 exec_lo, exec_lo, s90
	s_delay_alu instid0(SALU_CYCLE_1)
	s_and_b32 s89, s89, exec_lo
                                        ; implicit-def: $vgpr18
                                        ; implicit-def: $vgpr2_vgpr3
.LBB51_3374:                            ;   in Loop: Header=BB51_17 Depth=1
	s_and_not1_saveexec_b32 s79, s79
	s_cbranch_execz .LBB51_3378
; %bb.3375:                             ;   in Loop: Header=BB51_17 Depth=1
	s_mov_b32 s91, s89
	s_mov_b32 s90, exec_lo
                                        ; implicit-def: $vgpr0
	v_cmpx_eq_u16_e32 29, v18
	s_cbranch_execz .LBB51_3377
; %bb.3376:                             ;   in Loop: Header=BB51_17 Depth=1
	flat_load_b64 v[2:3], v[2:3]
	s_or_b32 s91, s89, exec_lo
	s_wait_loadcnt_dscnt 0x0
	v_clz_i32_u32_e32 v0, v3
	s_delay_alu instid0(VALU_DEP_1) | instskip(SKIP_1) | instid1(VALU_DEP_1)
	v_min_u32_e32 v0, 32, v0
	s_wait_xcnt 0x0
	v_lshlrev_b64_e32 v[2:3], v0, v[2:3]
	v_sub_nc_u32_e32 v0, 32, v0
	s_delay_alu instid0(VALU_DEP_2) | instskip(NEXT) | instid1(VALU_DEP_1)
	v_min_u32_e32 v2, 1, v2
	v_or_b32_e32 v2, v3, v2
	s_delay_alu instid0(VALU_DEP_1) | instskip(NEXT) | instid1(VALU_DEP_1)
	v_cvt_f32_u32_e32 v2, v2
	v_ldexp_f32 v0, v2, v0
.LBB51_3377:                            ;   in Loop: Header=BB51_17 Depth=1
	s_or_b32 exec_lo, exec_lo, s90
	s_delay_alu instid0(SALU_CYCLE_1) | instskip(SKIP_1) | instid1(SALU_CYCLE_1)
	s_and_not1_b32 s89, s89, exec_lo
	s_and_b32 s90, s91, exec_lo
	s_or_b32 s89, s89, s90
.LBB51_3378:                            ;   in Loop: Header=BB51_17 Depth=1
	s_or_b32 exec_lo, exec_lo, s79
	s_delay_alu instid0(SALU_CYCLE_1)
	s_and_b32 s79, s89, exec_lo
                                        ; implicit-def: $vgpr18
                                        ; implicit-def: $vgpr2_vgpr3
.LBB51_3379:                            ;   in Loop: Header=BB51_17 Depth=1
	s_and_not1_saveexec_b32 s88, s88
	s_cbranch_execz .LBB51_3393
; %bb.3380:                             ;   in Loop: Header=BB51_17 Depth=1
	s_mov_b32 s89, exec_lo
                                        ; implicit-def: $vgpr0
	v_cmpx_lt_i16_e32 26, v18
	s_xor_b32 s89, exec_lo, s89
	s_cbranch_execz .LBB51_3386
; %bb.3381:                             ;   in Loop: Header=BB51_17 Depth=1
	s_mov_b32 s90, exec_lo
                                        ; implicit-def: $vgpr0
	v_cmpx_lt_i16_e32 27, v18
	s_xor_b32 s90, exec_lo, s90
	s_cbranch_execz .LBB51_3383
; %bb.3382:                             ;   in Loop: Header=BB51_17 Depth=1
	flat_load_b32 v0, v[2:3]
                                        ; implicit-def: $vgpr2_vgpr3
	s_wait_loadcnt_dscnt 0x0
	v_cvt_f32_u32_e32 v0, v0
.LBB51_3383:                            ;   in Loop: Header=BB51_17 Depth=1
	s_wait_xcnt 0x0
	s_and_not1_saveexec_b32 s90, s90
	s_cbranch_execz .LBB51_3385
; %bb.3384:                             ;   in Loop: Header=BB51_17 Depth=1
	flat_load_u16 v0, v[2:3]
	s_wait_loadcnt_dscnt 0x0
	v_cvt_f32_u32_e32 v0, v0
.LBB51_3385:                            ;   in Loop: Header=BB51_17 Depth=1
	s_wait_xcnt 0x0
	s_or_b32 exec_lo, exec_lo, s90
                                        ; implicit-def: $vgpr2_vgpr3
.LBB51_3386:                            ;   in Loop: Header=BB51_17 Depth=1
	s_and_not1_saveexec_b32 s89, s89
	s_cbranch_execz .LBB51_3392
; %bb.3387:                             ;   in Loop: Header=BB51_17 Depth=1
	flat_load_u8 v2, v[2:3]
	s_mov_b32 s90, 0
	s_mov_b32 s91, exec_lo
	s_wait_loadcnt_dscnt 0x0
	v_cmpx_lt_i16_e32 0x7f, v2
	s_xor_b32 s91, exec_lo, s91
	s_cbranch_execnz .LBB51_3630
; %bb.3388:                             ;   in Loop: Header=BB51_17 Depth=1
	s_or_saveexec_b32 s91, s91
	v_mov_b32_e32 v0, 0x7f800001
	s_xor_b32 exec_lo, exec_lo, s91
	s_cbranch_execnz .LBB51_3633
.LBB51_3389:                            ;   in Loop: Header=BB51_17 Depth=1
	s_or_b32 exec_lo, exec_lo, s91
	s_and_saveexec_b32 s91, s90
	s_cbranch_execz .LBB51_3391
.LBB51_3390:                            ;   in Loop: Header=BB51_17 Depth=1
	v_and_b32_e32 v0, 0xffff, v2
	s_delay_alu instid0(VALU_DEP_1) | instskip(SKIP_1) | instid1(VALU_DEP_2)
	v_and_b32_e32 v3, 7, v0
	v_bfe_u32 v20, v0, 3, 4
	v_clz_i32_u32_e32 v18, v3
	s_delay_alu instid0(VALU_DEP_2) | instskip(NEXT) | instid1(VALU_DEP_2)
	v_cmp_eq_u32_e32 vcc_lo, 0, v20
	v_min_u32_e32 v18, 32, v18
	s_delay_alu instid0(VALU_DEP_1) | instskip(NEXT) | instid1(VALU_DEP_1)
	v_subrev_nc_u32_e32 v19, 28, v18
	v_dual_lshlrev_b32 v0, v19, v0 :: v_dual_sub_nc_u32 v18, 29, v18
	s_delay_alu instid0(VALU_DEP_1) | instskip(NEXT) | instid1(VALU_DEP_1)
	v_dual_lshlrev_b32 v2, 24, v2 :: v_dual_bitop2_b32 v0, 7, v0 bitop3:0x40
	v_dual_cndmask_b32 v0, v3, v0, vcc_lo :: v_dual_cndmask_b32 v18, v20, v18, vcc_lo
	s_delay_alu instid0(VALU_DEP_2) | instskip(NEXT) | instid1(VALU_DEP_2)
	v_and_b32_e32 v2, 0x80000000, v2
	v_lshlrev_b32_e32 v0, 20, v0
	s_delay_alu instid0(VALU_DEP_3) | instskip(NEXT) | instid1(VALU_DEP_1)
	v_lshl_add_u32 v3, v18, 23, 0x3b800000
	v_or3_b32 v0, v2, v3, v0
.LBB51_3391:                            ;   in Loop: Header=BB51_17 Depth=1
	s_or_b32 exec_lo, exec_lo, s91
.LBB51_3392:                            ;   in Loop: Header=BB51_17 Depth=1
	s_delay_alu instid0(SALU_CYCLE_1) | instskip(NEXT) | instid1(SALU_CYCLE_1)
	s_or_b32 exec_lo, exec_lo, s89
	s_or_b32 s79, s79, exec_lo
.LBB51_3393:                            ;   in Loop: Header=BB51_17 Depth=1
	s_or_b32 exec_lo, exec_lo, s88
	s_delay_alu instid0(SALU_CYCLE_1)
	s_and_b32 s79, s79, exec_lo
                                        ; implicit-def: $vgpr18
                                        ; implicit-def: $vgpr2_vgpr3
.LBB51_3394:                            ;   in Loop: Header=BB51_17 Depth=1
	s_and_not1_saveexec_b32 s78, s78
	s_cbranch_execz .LBB51_3420
; %bb.3395:                             ;   in Loop: Header=BB51_17 Depth=1
	s_mov_b32 s89, s79
	s_mov_b32 s88, exec_lo
                                        ; implicit-def: $vgpr0
	v_cmpx_lt_i16_e32 22, v18
	s_xor_b32 s88, exec_lo, s88
	s_cbranch_execz .LBB51_3409
; %bb.3396:                             ;   in Loop: Header=BB51_17 Depth=1
	s_mov_b32 s89, exec_lo
                                        ; implicit-def: $vgpr0
	v_cmpx_lt_i16_e32 23, v18
	s_xor_b32 s89, exec_lo, s89
	s_cbranch_execz .LBB51_3406
; %bb.3397:                             ;   in Loop: Header=BB51_17 Depth=1
	;; [unrolled: 6-line block ×3, first 2 shown]
	flat_load_u8 v2, v[2:3]
	s_mov_b32 s91, 0
	s_mov_b32 s92, exec_lo
	s_wait_loadcnt_dscnt 0x0
	v_cmpx_lt_i16_e32 0x7f, v2
	s_xor_b32 s92, exec_lo, s92
	s_cbranch_execnz .LBB51_3638
; %bb.3399:                             ;   in Loop: Header=BB51_17 Depth=1
	s_or_saveexec_b32 s92, s92
	v_mov_b32_e32 v0, 0x7f800001
	s_xor_b32 exec_lo, exec_lo, s92
	s_cbranch_execnz .LBB51_3641
.LBB51_3400:                            ;   in Loop: Header=BB51_17 Depth=1
	s_or_b32 exec_lo, exec_lo, s92
	s_and_saveexec_b32 s92, s91
	s_cbranch_execz .LBB51_3402
.LBB51_3401:                            ;   in Loop: Header=BB51_17 Depth=1
	v_and_b32_e32 v0, 0xffff, v2
	s_delay_alu instid0(VALU_DEP_1) | instskip(SKIP_1) | instid1(VALU_DEP_2)
	v_and_b32_e32 v3, 3, v0
	v_bfe_u32 v20, v0, 2, 5
	v_clz_i32_u32_e32 v18, v3
	s_delay_alu instid0(VALU_DEP_2) | instskip(NEXT) | instid1(VALU_DEP_2)
	v_cmp_eq_u32_e32 vcc_lo, 0, v20
	v_min_u32_e32 v18, 32, v18
	s_delay_alu instid0(VALU_DEP_1) | instskip(NEXT) | instid1(VALU_DEP_1)
	v_subrev_nc_u32_e32 v19, 29, v18
	v_dual_lshlrev_b32 v0, v19, v0 :: v_dual_sub_nc_u32 v18, 30, v18
	s_delay_alu instid0(VALU_DEP_1) | instskip(NEXT) | instid1(VALU_DEP_1)
	v_dual_lshlrev_b32 v2, 24, v2 :: v_dual_bitop2_b32 v0, 3, v0 bitop3:0x40
	v_dual_cndmask_b32 v0, v3, v0, vcc_lo :: v_dual_cndmask_b32 v18, v20, v18, vcc_lo
	s_delay_alu instid0(VALU_DEP_2) | instskip(NEXT) | instid1(VALU_DEP_2)
	v_and_b32_e32 v2, 0x80000000, v2
	v_lshlrev_b32_e32 v0, 21, v0
	s_delay_alu instid0(VALU_DEP_3) | instskip(NEXT) | instid1(VALU_DEP_1)
	v_lshl_add_u32 v3, v18, 23, 0x37800000
	v_or3_b32 v0, v2, v3, v0
.LBB51_3402:                            ;   in Loop: Header=BB51_17 Depth=1
	s_or_b32 exec_lo, exec_lo, s92
                                        ; implicit-def: $vgpr2_vgpr3
.LBB51_3403:                            ;   in Loop: Header=BB51_17 Depth=1
	s_and_not1_saveexec_b32 s90, s90
	s_cbranch_execz .LBB51_3405
; %bb.3404:                             ;   in Loop: Header=BB51_17 Depth=1
	flat_load_u8 v0, v[2:3]
	s_wait_loadcnt_dscnt 0x0
	v_lshlrev_b32_e32 v0, 24, v0
	s_wait_xcnt 0x0
	s_delay_alu instid0(VALU_DEP_1) | instskip(NEXT) | instid1(VALU_DEP_1)
	v_and_b32_e32 v2, 0x7f000000, v0
	v_clz_i32_u32_e32 v3, v2
	v_cmp_ne_u32_e32 vcc_lo, 0, v2
	v_add_nc_u32_e32 v19, 0x1000000, v2
	s_delay_alu instid0(VALU_DEP_3) | instskip(NEXT) | instid1(VALU_DEP_1)
	v_min_u32_e32 v3, 32, v3
	v_sub_nc_u32_e64 v3, v3, 4 clamp
	s_delay_alu instid0(VALU_DEP_1) | instskip(NEXT) | instid1(VALU_DEP_1)
	v_dual_lshlrev_b32 v18, v3, v2 :: v_dual_lshlrev_b32 v3, 23, v3
	v_lshrrev_b32_e32 v18, 4, v18
	s_delay_alu instid0(VALU_DEP_1) | instskip(SKIP_1) | instid1(VALU_DEP_2)
	v_sub_nc_u32_e32 v3, v18, v3
	v_ashrrev_i32_e32 v18, 8, v19
	v_add_nc_u32_e32 v3, 0x3c000000, v3
	s_delay_alu instid0(VALU_DEP_1) | instskip(NEXT) | instid1(VALU_DEP_1)
	v_and_or_b32 v3, 0x7f800000, v18, v3
	v_cndmask_b32_e32 v2, 0, v3, vcc_lo
	s_delay_alu instid0(VALU_DEP_1)
	v_and_or_b32 v0, 0x80000000, v0, v2
.LBB51_3405:                            ;   in Loop: Header=BB51_17 Depth=1
	s_or_b32 exec_lo, exec_lo, s90
                                        ; implicit-def: $vgpr2_vgpr3
.LBB51_3406:                            ;   in Loop: Header=BB51_17 Depth=1
	s_and_not1_saveexec_b32 s89, s89
	s_cbranch_execz .LBB51_3408
; %bb.3407:                             ;   in Loop: Header=BB51_17 Depth=1
	flat_load_u8 v0, v[2:3]
	s_wait_loadcnt_dscnt 0x0
	v_lshlrev_b32_e32 v2, 25, v0
	v_lshlrev_b16 v0, 8, v0
	s_delay_alu instid0(VALU_DEP_1) | instskip(SKIP_1) | instid1(VALU_DEP_2)
	v_and_or_b32 v18, 0x7f00, v0, 0.5
	v_bfe_i32 v0, v0, 0, 16
	v_add_f32_e32 v18, -0.5, v18
	v_lshrrev_b32_e32 v3, 4, v2
	v_cmp_gt_u32_e32 vcc_lo, 0x8000000, v2
	s_delay_alu instid0(VALU_DEP_2) | instskip(NEXT) | instid1(VALU_DEP_1)
	v_or_b32_e32 v3, 0x70000000, v3
	v_mul_f32_e32 v3, 0x7800000, v3
	s_delay_alu instid0(VALU_DEP_1) | instskip(NEXT) | instid1(VALU_DEP_1)
	v_cndmask_b32_e32 v2, v3, v18, vcc_lo
	v_and_or_b32 v0, 0x80000000, v0, v2
.LBB51_3408:                            ;   in Loop: Header=BB51_17 Depth=1
	s_or_b32 exec_lo, exec_lo, s89
	s_delay_alu instid0(SALU_CYCLE_1)
	s_or_b32 s89, s79, exec_lo
                                        ; implicit-def: $vgpr18
                                        ; implicit-def: $vgpr2_vgpr3
.LBB51_3409:                            ;   in Loop: Header=BB51_17 Depth=1
	s_and_not1_saveexec_b32 s88, s88
	s_cbranch_execz .LBB51_3419
; %bb.3410:                             ;   in Loop: Header=BB51_17 Depth=1
	s_mov_b32 s90, s89
	s_mov_b32 s91, exec_lo
                                        ; implicit-def: $vgpr0
	v_cmpx_lt_i16_e32 14, v18
	s_xor_b32 s91, exec_lo, s91
	s_cbranch_execz .LBB51_3414
; %bb.3411:                             ;   in Loop: Header=BB51_17 Depth=1
	s_mov_b32 s90, s89
	s_mov_b32 s92, exec_lo
                                        ; implicit-def: $vgpr0
	v_cmpx_eq_u16_e32 15, v18
	s_cbranch_execz .LBB51_3413
; %bb.3412:                             ;   in Loop: Header=BB51_17 Depth=1
	flat_load_u16 v0, v[2:3]
	s_or_b32 s90, s89, exec_lo
	s_wait_loadcnt_dscnt 0x0
	v_lshlrev_b32_e32 v0, 16, v0
.LBB51_3413:                            ;   in Loop: Header=BB51_17 Depth=1
	s_wait_xcnt 0x0
	s_or_b32 exec_lo, exec_lo, s92
	s_delay_alu instid0(SALU_CYCLE_1) | instskip(SKIP_1) | instid1(SALU_CYCLE_1)
	s_and_not1_b32 s92, s89, exec_lo
	s_and_b32 s90, s90, exec_lo
                                        ; implicit-def: $vgpr18
                                        ; implicit-def: $vgpr2_vgpr3
	s_or_b32 s90, s92, s90
.LBB51_3414:                            ;   in Loop: Header=BB51_17 Depth=1
	s_and_not1_saveexec_b32 s91, s91
	s_cbranch_execz .LBB51_3418
; %bb.3415:                             ;   in Loop: Header=BB51_17 Depth=1
	s_mov_b32 s92, s90
	s_mov_b32 s93, exec_lo
                                        ; implicit-def: $vgpr0
	v_cmpx_eq_u16_e32 11, v18
	s_cbranch_execz .LBB51_3417
; %bb.3416:                             ;   in Loop: Header=BB51_17 Depth=1
	flat_load_u8 v0, v[2:3]
	s_or_b32 s92, s90, exec_lo
	s_wait_loadcnt_dscnt 0x0
	v_cmp_ne_u16_e32 vcc_lo, 0, v0
	v_cndmask_b32_e64 v0, 0, 1.0, vcc_lo
.LBB51_3417:                            ;   in Loop: Header=BB51_17 Depth=1
	s_wait_xcnt 0x0
	s_or_b32 exec_lo, exec_lo, s93
	s_delay_alu instid0(SALU_CYCLE_1) | instskip(SKIP_1) | instid1(SALU_CYCLE_1)
	s_and_not1_b32 s90, s90, exec_lo
	s_and_b32 s92, s92, exec_lo
	s_or_b32 s90, s90, s92
.LBB51_3418:                            ;   in Loop: Header=BB51_17 Depth=1
	s_or_b32 exec_lo, exec_lo, s91
	s_delay_alu instid0(SALU_CYCLE_1) | instskip(SKIP_1) | instid1(SALU_CYCLE_1)
	s_and_not1_b32 s89, s89, exec_lo
	s_and_b32 s90, s90, exec_lo
	s_or_b32 s89, s89, s90
.LBB51_3419:                            ;   in Loop: Header=BB51_17 Depth=1
	s_or_b32 exec_lo, exec_lo, s88
	s_delay_alu instid0(SALU_CYCLE_1) | instskip(SKIP_1) | instid1(SALU_CYCLE_1)
	s_and_not1_b32 s79, s79, exec_lo
	s_and_b32 s88, s89, exec_lo
	s_or_b32 s79, s79, s88
.LBB51_3420:                            ;   in Loop: Header=BB51_17 Depth=1
	s_or_b32 exec_lo, exec_lo, s78
	s_delay_alu instid0(SALU_CYCLE_1)
	s_and_b32 s78, s79, exec_lo
                                        ; implicit-def: $vgpr18
                                        ; implicit-def: $vgpr2_vgpr3
	s_and_not1_saveexec_b32 s74, s74
	s_cbranch_execz .LBB51_1677
.LBB51_3421:                            ;   in Loop: Header=BB51_17 Depth=1
	s_mov_b32 s79, exec_lo
                                        ; implicit-def: $vgpr0
	v_cmpx_lt_i16_e32 4, v18
	s_xor_b32 s79, exec_lo, s79
	s_cbranch_execz .LBB51_3443
; %bb.3422:                             ;   in Loop: Header=BB51_17 Depth=1
	s_mov_b32 s88, exec_lo
                                        ; implicit-def: $vgpr0
	v_cmpx_lt_i16_e32 7, v18
	s_xor_b32 s88, exec_lo, s88
	s_cbranch_execz .LBB51_3432
; %bb.3423:                             ;   in Loop: Header=BB51_17 Depth=1
	;; [unrolled: 6-line block ×4, first 2 shown]
	flat_load_b64 v[2:3], v[2:3]
	s_wait_loadcnt_dscnt 0x0
	v_cvt_f32_f64_e32 v0, v[2:3]
                                        ; implicit-def: $vgpr2_vgpr3
.LBB51_3426:                            ;   in Loop: Header=BB51_17 Depth=1
	s_wait_xcnt 0x0
	s_and_not1_saveexec_b32 s90, s90
	s_cbranch_execz .LBB51_3428
; %bb.3427:                             ;   in Loop: Header=BB51_17 Depth=1
	flat_load_b32 v0, v[2:3]
.LBB51_3428:                            ;   in Loop: Header=BB51_17 Depth=1
	s_wait_xcnt 0x0
	s_or_b32 exec_lo, exec_lo, s90
                                        ; implicit-def: $vgpr2_vgpr3
.LBB51_3429:                            ;   in Loop: Header=BB51_17 Depth=1
	s_and_not1_saveexec_b32 s89, s89
	s_cbranch_execz .LBB51_3431
; %bb.3430:                             ;   in Loop: Header=BB51_17 Depth=1
	s_wait_loadcnt_dscnt 0x0
	flat_load_b32 v0, v[2:3]
	s_wait_loadcnt_dscnt 0x0
	v_cvt_f32_f16_e32 v0, v0
.LBB51_3431:                            ;   in Loop: Header=BB51_17 Depth=1
	s_wait_xcnt 0x0
	s_or_b32 exec_lo, exec_lo, s89
                                        ; implicit-def: $vgpr2_vgpr3
                                        ; implicit-def: $vgpr18
.LBB51_3432:                            ;   in Loop: Header=BB51_17 Depth=1
	s_and_not1_saveexec_b32 s88, s88
	s_cbranch_execz .LBB51_3442
; %bb.3433:                             ;   in Loop: Header=BB51_17 Depth=1
	s_mov_b32 s89, exec_lo
                                        ; implicit-def: $vgpr0
	v_cmpx_lt_i16_e32 5, v18
	s_xor_b32 s89, exec_lo, s89
	s_cbranch_execz .LBB51_3439
; %bb.3434:                             ;   in Loop: Header=BB51_17 Depth=1
	s_mov_b32 s90, exec_lo
                                        ; implicit-def: $vgpr0
	v_cmpx_lt_i16_e32 6, v18
	s_xor_b32 s90, exec_lo, s90
	s_cbranch_execz .LBB51_3436
; %bb.3435:                             ;   in Loop: Header=BB51_17 Depth=1
	flat_load_b64 v[2:3], v[2:3]
	s_wait_loadcnt_dscnt 0x0
	v_cvt_f32_f64_e32 v0, v[2:3]
                                        ; implicit-def: $vgpr2_vgpr3
.LBB51_3436:                            ;   in Loop: Header=BB51_17 Depth=1
	s_wait_xcnt 0x0
	s_and_not1_saveexec_b32 s90, s90
	s_cbranch_execz .LBB51_3438
; %bb.3437:                             ;   in Loop: Header=BB51_17 Depth=1
	s_wait_loadcnt_dscnt 0x0
	flat_load_b32 v0, v[2:3]
.LBB51_3438:                            ;   in Loop: Header=BB51_17 Depth=1
	s_wait_xcnt 0x0
	s_or_b32 exec_lo, exec_lo, s90
                                        ; implicit-def: $vgpr2_vgpr3
.LBB51_3439:                            ;   in Loop: Header=BB51_17 Depth=1
	s_and_not1_saveexec_b32 s89, s89
	s_cbranch_execz .LBB51_3441
; %bb.3440:                             ;   in Loop: Header=BB51_17 Depth=1
	s_wait_loadcnt_dscnt 0x0
	flat_load_u16 v0, v[2:3]
	s_wait_loadcnt_dscnt 0x0
	v_cvt_f32_f16_e32 v0, v0
.LBB51_3441:                            ;   in Loop: Header=BB51_17 Depth=1
	s_wait_xcnt 0x0
	s_or_b32 exec_lo, exec_lo, s89
.LBB51_3442:                            ;   in Loop: Header=BB51_17 Depth=1
	s_delay_alu instid0(SALU_CYCLE_1)
	s_or_b32 exec_lo, exec_lo, s88
                                        ; implicit-def: $vgpr18
                                        ; implicit-def: $vgpr2_vgpr3
.LBB51_3443:                            ;   in Loop: Header=BB51_17 Depth=1
	s_and_not1_saveexec_b32 s79, s79
	s_cbranch_execz .LBB51_3461
; %bb.3444:                             ;   in Loop: Header=BB51_17 Depth=1
	s_mov_b32 s88, exec_lo
                                        ; implicit-def: $vgpr0
	v_cmpx_lt_i16_e32 1, v18
	s_xor_b32 s88, exec_lo, s88
	s_cbranch_execz .LBB51_3454
; %bb.3445:                             ;   in Loop: Header=BB51_17 Depth=1
	s_mov_b32 s89, exec_lo
                                        ; implicit-def: $vgpr0
	v_cmpx_lt_i16_e32 2, v18
	s_xor_b32 s89, exec_lo, s89
	;; [unrolled: 6-line block ×3, first 2 shown]
	s_cbranch_execz .LBB51_3448
; %bb.3447:                             ;   in Loop: Header=BB51_17 Depth=1
	flat_load_b64 v[2:3], v[2:3]
	s_wait_loadcnt_dscnt 0x0
	v_xor_b32_e32 v0, v2, v3
	v_cls_i32_e32 v18, v3
	s_delay_alu instid0(VALU_DEP_2) | instskip(NEXT) | instid1(VALU_DEP_1)
	v_ashrrev_i32_e32 v0, 31, v0
	v_add_nc_u32_e32 v0, 32, v0
	s_delay_alu instid0(VALU_DEP_1) | instskip(SKIP_1) | instid1(VALU_DEP_1)
	v_add_min_u32_e64 v0, v18, -1, v0
	s_wait_xcnt 0x0
	v_lshlrev_b64_e32 v[2:3], v0, v[2:3]
	v_sub_nc_u32_e32 v0, 32, v0
	s_delay_alu instid0(VALU_DEP_2) | instskip(NEXT) | instid1(VALU_DEP_1)
	v_min_u32_e32 v2, 1, v2
	v_or_b32_e32 v2, v3, v2
	s_delay_alu instid0(VALU_DEP_1) | instskip(NEXT) | instid1(VALU_DEP_1)
	v_cvt_f32_i32_e32 v2, v2
	v_ldexp_f32 v0, v2, v0
                                        ; implicit-def: $vgpr2_vgpr3
.LBB51_3448:                            ;   in Loop: Header=BB51_17 Depth=1
	s_and_not1_saveexec_b32 s90, s90
	s_cbranch_execz .LBB51_3450
; %bb.3449:                             ;   in Loop: Header=BB51_17 Depth=1
	s_wait_loadcnt_dscnt 0x0
	flat_load_b32 v0, v[2:3]
	s_wait_loadcnt_dscnt 0x0
	v_cvt_f32_i32_e32 v0, v0
.LBB51_3450:                            ;   in Loop: Header=BB51_17 Depth=1
	s_wait_xcnt 0x0
	s_or_b32 exec_lo, exec_lo, s90
                                        ; implicit-def: $vgpr2_vgpr3
.LBB51_3451:                            ;   in Loop: Header=BB51_17 Depth=1
	s_and_not1_saveexec_b32 s89, s89
	s_cbranch_execz .LBB51_3453
; %bb.3452:                             ;   in Loop: Header=BB51_17 Depth=1
	s_wait_loadcnt_dscnt 0x0
	flat_load_i16 v0, v[2:3]
	s_wait_loadcnt_dscnt 0x0
	v_cvt_f32_i32_e32 v0, v0
.LBB51_3453:                            ;   in Loop: Header=BB51_17 Depth=1
	s_wait_xcnt 0x0
	s_or_b32 exec_lo, exec_lo, s89
                                        ; implicit-def: $vgpr2_vgpr3
                                        ; implicit-def: $vgpr18
.LBB51_3454:                            ;   in Loop: Header=BB51_17 Depth=1
	s_and_not1_saveexec_b32 s88, s88
	s_cbranch_execz .LBB51_3460
; %bb.3455:                             ;   in Loop: Header=BB51_17 Depth=1
	s_mov_b32 s89, exec_lo
                                        ; implicit-def: $vgpr0
	v_cmpx_lt_i16_e32 0, v18
	s_xor_b32 s89, exec_lo, s89
	s_cbranch_execz .LBB51_3457
; %bb.3456:                             ;   in Loop: Header=BB51_17 Depth=1
	s_wait_loadcnt_dscnt 0x0
	flat_load_i8 v0, v[2:3]
                                        ; implicit-def: $vgpr2_vgpr3
	s_wait_loadcnt_dscnt 0x0
	v_cvt_f32_i32_e32 v0, v0
.LBB51_3457:                            ;   in Loop: Header=BB51_17 Depth=1
	s_wait_xcnt 0x0
	s_and_not1_saveexec_b32 s89, s89
	s_cbranch_execz .LBB51_3459
; %bb.3458:                             ;   in Loop: Header=BB51_17 Depth=1
	s_wait_loadcnt_dscnt 0x0
	flat_load_u8 v0, v[2:3]
	s_wait_loadcnt_dscnt 0x0
	v_cvt_f32_ubyte0_e32 v0, v0
.LBB51_3459:                            ;   in Loop: Header=BB51_17 Depth=1
	s_wait_xcnt 0x0
	s_or_b32 exec_lo, exec_lo, s89
.LBB51_3460:                            ;   in Loop: Header=BB51_17 Depth=1
	s_delay_alu instid0(SALU_CYCLE_1)
	s_or_b32 exec_lo, exec_lo, s88
.LBB51_3461:                            ;   in Loop: Header=BB51_17 Depth=1
	s_delay_alu instid0(SALU_CYCLE_1) | instskip(NEXT) | instid1(SALU_CYCLE_1)
	s_or_b32 exec_lo, exec_lo, s79
	s_or_b32 s78, s78, exec_lo
	s_or_b32 exec_lo, exec_lo, s74
	s_mov_b32 s79, 0
	s_and_saveexec_b32 s74, s78
	s_cbranch_execnz .LBB51_1678
	s_branch .LBB51_1679
.LBB51_3462:                            ;   in Loop: Header=BB51_17 Depth=1
	s_mov_b32 s60, -1
	s_mov_b32 s62, exec_lo
	v_cmpx_eq_u16_e32 0x80, v2
; %bb.3463:                             ;   in Loop: Header=BB51_17 Depth=1
	s_xor_b32 s60, exec_lo, -1
; %bb.3464:                             ;   in Loop: Header=BB51_17 Depth=1
	s_or_b32 exec_lo, exec_lo, s62
	s_delay_alu instid0(SALU_CYCLE_1)
	s_and_b32 s60, s60, exec_lo
	s_or_saveexec_b32 s61, s61
	v_mov_b32_e32 v0, 0x7f800001
	s_xor_b32 exec_lo, exec_lo, s61
	s_cbranch_execz .LBB51_2820
.LBB51_3465:                            ;   in Loop: Header=BB51_17 Depth=1
	v_cmp_ne_u16_e32 vcc_lo, 0, v2
	v_mov_b32_e32 v0, 0
	s_and_not1_b32 s60, s60, exec_lo
	s_and_b32 s62, vcc_lo, exec_lo
	s_delay_alu instid0(SALU_CYCLE_1)
	s_or_b32 s60, s60, s62
	s_or_b32 exec_lo, exec_lo, s61
	s_and_saveexec_b32 s61, s60
	s_cbranch_execnz .LBB51_2821
	s_branch .LBB51_2822
.LBB51_3466:                            ;   in Loop: Header=BB51_17 Depth=1
	s_mov_b32 s62, -1
	s_mov_b32 s72, exec_lo
	v_cmpx_eq_u16_e32 0x80, v2
; %bb.3467:                             ;   in Loop: Header=BB51_17 Depth=1
	s_xor_b32 s62, exec_lo, -1
; %bb.3468:                             ;   in Loop: Header=BB51_17 Depth=1
	s_or_b32 exec_lo, exec_lo, s72
	s_delay_alu instid0(SALU_CYCLE_1)
	s_and_b32 s62, s62, exec_lo
	s_or_saveexec_b32 s63, s63
	v_mov_b32_e32 v0, 0x7f800001
	s_xor_b32 exec_lo, exec_lo, s63
	s_cbranch_execz .LBB51_2925
.LBB51_3469:                            ;   in Loop: Header=BB51_17 Depth=1
	v_cmp_ne_u16_e32 vcc_lo, 0, v2
	v_mov_b32_e32 v0, 0
	s_and_not1_b32 s62, s62, exec_lo
	s_and_b32 s72, vcc_lo, exec_lo
	s_delay_alu instid0(SALU_CYCLE_1)
	s_or_b32 s62, s62, s72
	s_or_b32 exec_lo, exec_lo, s63
	s_and_saveexec_b32 s63, s62
	s_cbranch_execnz .LBB51_2926
	s_branch .LBB51_2927
.LBB51_3470:                            ;   in Loop: Header=BB51_17 Depth=1
	s_mov_b32 s72, -1
	s_mov_b32 s74, exec_lo
	v_cmpx_eq_u16_e32 0x80, v2
; %bb.3471:                             ;   in Loop: Header=BB51_17 Depth=1
	s_xor_b32 s72, exec_lo, -1
; %bb.3472:                             ;   in Loop: Header=BB51_17 Depth=1
	s_or_b32 exec_lo, exec_lo, s74
	s_delay_alu instid0(SALU_CYCLE_1)
	s_and_b32 s72, s72, exec_lo
	s_or_saveexec_b32 s73, s73
	v_mov_b32_e32 v0, 0x7f800001
	s_xor_b32 exec_lo, exec_lo, s73
	s_cbranch_execz .LBB51_1278
.LBB51_3473:                            ;   in Loop: Header=BB51_17 Depth=1
	v_cmp_ne_u16_e32 vcc_lo, 0, v2
	v_mov_b32_e32 v0, 0
	s_and_not1_b32 s72, s72, exec_lo
	s_and_b32 s74, vcc_lo, exec_lo
	s_delay_alu instid0(SALU_CYCLE_1)
	s_or_b32 s72, s72, s74
	s_or_b32 exec_lo, exec_lo, s73
	s_and_saveexec_b32 s73, s72
	s_cbranch_execnz .LBB51_1279
	s_branch .LBB51_1280
.LBB51_3474:                            ;   in Loop: Header=BB51_17 Depth=1
	s_mov_b32 s74, -1
	s_mov_b32 s76, exec_lo
	v_cmpx_eq_u16_e32 0x80, v2
; %bb.3475:                             ;   in Loop: Header=BB51_17 Depth=1
	s_xor_b32 s74, exec_lo, -1
; %bb.3476:                             ;   in Loop: Header=BB51_17 Depth=1
	s_or_b32 exec_lo, exec_lo, s76
	s_delay_alu instid0(SALU_CYCLE_1)
	s_and_b32 s74, s74, exec_lo
	s_or_saveexec_b32 s75, s75
	v_mov_b32_e32 v0, 0x7f800001
	s_xor_b32 exec_lo, exec_lo, s75
	s_cbranch_execz .LBB51_1378
.LBB51_3477:                            ;   in Loop: Header=BB51_17 Depth=1
	v_cmp_ne_u16_e32 vcc_lo, 0, v2
	v_mov_b32_e32 v0, 0
	s_and_not1_b32 s74, s74, exec_lo
	s_and_b32 s76, vcc_lo, exec_lo
	s_delay_alu instid0(SALU_CYCLE_1)
	s_or_b32 s74, s74, s76
	s_or_b32 exec_lo, exec_lo, s75
	s_and_saveexec_b32 s75, s74
	s_cbranch_execnz .LBB51_1379
	s_branch .LBB51_1380
.LBB51_3478:                            ;   in Loop: Header=BB51_17 Depth=1
	s_mov_b32 s89, exec_lo
                                        ; implicit-def: $vgpr0
	v_cmpx_lt_i16_e32 25, v18
	s_xor_b32 s89, exec_lo, s89
	s_cbranch_execz .LBB51_3510
; %bb.3479:                             ;   in Loop: Header=BB51_17 Depth=1
	s_mov_b32 s91, exec_lo
                                        ; implicit-def: $vgpr0
	v_cmpx_lt_i16_e32 28, v18
	s_xor_b32 s91, exec_lo, s91
	s_cbranch_execz .LBB51_3495
; %bb.3480:                             ;   in Loop: Header=BB51_17 Depth=1
	s_mov_b32 s92, 0
	s_mov_b32 s90, exec_lo
                                        ; implicit-def: $vgpr0
	v_cmpx_lt_i16_e32 43, v18
	s_xor_b32 s90, exec_lo, s90
	s_cbranch_execz .LBB51_3490
; %bb.3481:                             ;   in Loop: Header=BB51_17 Depth=1
	s_mov_b32 s93, exec_lo
                                        ; implicit-def: $vgpr0
	v_cmpx_lt_i16_e32 45, v18
	s_xor_b32 s93, exec_lo, s93
	s_cbranch_execz .LBB51_3485
; %bb.3482:                             ;   in Loop: Header=BB51_17 Depth=1
	s_mov_b32 s94, exec_lo
                                        ; implicit-def: $vgpr0
	v_cmpx_eq_u16_e32 46, v18
	s_cbranch_execz .LBB51_3484
; %bb.3483:                             ;   in Loop: Header=BB51_17 Depth=1
	flat_load_b32 v0, v[2:3]
	s_mov_b32 s92, exec_lo
	s_wait_loadcnt_dscnt 0x0
	v_lshlrev_b32_e32 v0, 16, v0
.LBB51_3484:                            ;   in Loop: Header=BB51_17 Depth=1
	s_wait_xcnt 0x0
	s_or_b32 exec_lo, exec_lo, s94
	s_delay_alu instid0(SALU_CYCLE_1)
	s_and_b32 s92, s92, exec_lo
                                        ; implicit-def: $vgpr18
                                        ; implicit-def: $vgpr2_vgpr3
.LBB51_3485:                            ;   in Loop: Header=BB51_17 Depth=1
	s_and_not1_saveexec_b32 s93, s93
	s_cbranch_execz .LBB51_3489
; %bb.3486:                             ;   in Loop: Header=BB51_17 Depth=1
	s_mov_b32 s95, s92
	s_mov_b32 s94, exec_lo
                                        ; implicit-def: $vgpr0
	v_cmpx_eq_u16_e32 44, v18
	s_cbranch_execz .LBB51_3488
; %bb.3487:                             ;   in Loop: Header=BB51_17 Depth=1
	flat_load_u8 v0, v[2:3]
	s_or_b32 s95, s92, exec_lo
	s_wait_loadcnt_dscnt 0x0
	v_lshlrev_b32_e32 v2, 23, v0
	v_cmp_ne_u32_e32 vcc_lo, 0xff, v0
	s_delay_alu instid0(VALU_DEP_2) | instskip(SKIP_1) | instid1(VALU_DEP_2)
	v_cndmask_b32_e32 v2, 0x7f800001, v2, vcc_lo
	v_cmp_ne_u32_e32 vcc_lo, 0, v0
	v_cndmask_b32_e32 v0, 0x400000, v2, vcc_lo
.LBB51_3488:                            ;   in Loop: Header=BB51_17 Depth=1
	s_or_b32 exec_lo, exec_lo, s94
	s_delay_alu instid0(SALU_CYCLE_1) | instskip(SKIP_1) | instid1(SALU_CYCLE_1)
	s_and_not1_b32 s92, s92, exec_lo
	s_and_b32 s94, s95, exec_lo
	s_or_b32 s92, s92, s94
.LBB51_3489:                            ;   in Loop: Header=BB51_17 Depth=1
	s_or_b32 exec_lo, exec_lo, s93
	s_delay_alu instid0(SALU_CYCLE_1)
	s_and_b32 s92, s92, exec_lo
                                        ; implicit-def: $vgpr18
                                        ; implicit-def: $vgpr2_vgpr3
.LBB51_3490:                            ;   in Loop: Header=BB51_17 Depth=1
	s_and_not1_saveexec_b32 s90, s90
	s_cbranch_execz .LBB51_3494
; %bb.3491:                             ;   in Loop: Header=BB51_17 Depth=1
	s_mov_b32 s94, s92
	s_mov_b32 s93, exec_lo
                                        ; implicit-def: $vgpr0
	v_cmpx_eq_u16_e32 29, v18
	s_cbranch_execz .LBB51_3493
; %bb.3492:                             ;   in Loop: Header=BB51_17 Depth=1
	flat_load_b64 v[2:3], v[2:3]
	s_or_b32 s94, s92, exec_lo
	s_wait_loadcnt_dscnt 0x0
	v_clz_i32_u32_e32 v0, v3
	s_delay_alu instid0(VALU_DEP_1) | instskip(SKIP_1) | instid1(VALU_DEP_1)
	v_min_u32_e32 v0, 32, v0
	s_wait_xcnt 0x0
	v_lshlrev_b64_e32 v[2:3], v0, v[2:3]
	v_sub_nc_u32_e32 v0, 32, v0
	s_delay_alu instid0(VALU_DEP_2) | instskip(NEXT) | instid1(VALU_DEP_1)
	v_min_u32_e32 v2, 1, v2
	v_or_b32_e32 v2, v3, v2
	s_delay_alu instid0(VALU_DEP_1) | instskip(NEXT) | instid1(VALU_DEP_1)
	v_cvt_f32_u32_e32 v2, v2
	v_ldexp_f32 v0, v2, v0
.LBB51_3493:                            ;   in Loop: Header=BB51_17 Depth=1
	s_or_b32 exec_lo, exec_lo, s93
	s_delay_alu instid0(SALU_CYCLE_1) | instskip(SKIP_1) | instid1(SALU_CYCLE_1)
	s_and_not1_b32 s92, s92, exec_lo
	s_and_b32 s93, s94, exec_lo
	s_or_b32 s92, s92, s93
.LBB51_3494:                            ;   in Loop: Header=BB51_17 Depth=1
	s_or_b32 exec_lo, exec_lo, s90
	s_delay_alu instid0(SALU_CYCLE_1)
	s_and_b32 s90, s92, exec_lo
                                        ; implicit-def: $vgpr18
                                        ; implicit-def: $vgpr2_vgpr3
.LBB51_3495:                            ;   in Loop: Header=BB51_17 Depth=1
	s_and_not1_saveexec_b32 s91, s91
	s_cbranch_execz .LBB51_3509
; %bb.3496:                             ;   in Loop: Header=BB51_17 Depth=1
	s_mov_b32 s92, exec_lo
                                        ; implicit-def: $vgpr0
	v_cmpx_lt_i16_e32 26, v18
	s_xor_b32 s92, exec_lo, s92
	s_cbranch_execz .LBB51_3502
; %bb.3497:                             ;   in Loop: Header=BB51_17 Depth=1
	s_mov_b32 s93, exec_lo
                                        ; implicit-def: $vgpr0
	v_cmpx_lt_i16_e32 27, v18
	s_xor_b32 s93, exec_lo, s93
	s_cbranch_execz .LBB51_3499
; %bb.3498:                             ;   in Loop: Header=BB51_17 Depth=1
	flat_load_b32 v0, v[2:3]
                                        ; implicit-def: $vgpr2_vgpr3
	s_wait_loadcnt_dscnt 0x0
	v_cvt_f32_u32_e32 v0, v0
.LBB51_3499:                            ;   in Loop: Header=BB51_17 Depth=1
	s_wait_xcnt 0x0
	s_and_not1_saveexec_b32 s93, s93
	s_cbranch_execz .LBB51_3501
; %bb.3500:                             ;   in Loop: Header=BB51_17 Depth=1
	flat_load_u16 v0, v[2:3]
	s_wait_loadcnt_dscnt 0x0
	v_cvt_f32_u32_e32 v0, v0
.LBB51_3501:                            ;   in Loop: Header=BB51_17 Depth=1
	s_wait_xcnt 0x0
	s_or_b32 exec_lo, exec_lo, s93
                                        ; implicit-def: $vgpr2_vgpr3
.LBB51_3502:                            ;   in Loop: Header=BB51_17 Depth=1
	s_and_not1_saveexec_b32 s92, s92
	s_cbranch_execz .LBB51_3508
; %bb.3503:                             ;   in Loop: Header=BB51_17 Depth=1
	flat_load_u8 v2, v[2:3]
	s_mov_b32 s93, 0
	s_mov_b32 s94, exec_lo
	s_wait_loadcnt_dscnt 0x0
	v_cmpx_lt_i16_e32 0x7f, v2
	s_xor_b32 s94, exec_lo, s94
	s_cbranch_execnz .LBB51_3642
; %bb.3504:                             ;   in Loop: Header=BB51_17 Depth=1
	s_or_saveexec_b32 s94, s94
	v_mov_b32_e32 v0, 0x7f800001
	s_xor_b32 exec_lo, exec_lo, s94
	s_cbranch_execnz .LBB51_3645
.LBB51_3505:                            ;   in Loop: Header=BB51_17 Depth=1
	s_or_b32 exec_lo, exec_lo, s94
	s_and_saveexec_b32 s94, s93
	s_cbranch_execz .LBB51_3507
.LBB51_3506:                            ;   in Loop: Header=BB51_17 Depth=1
	v_and_b32_e32 v0, 0xffff, v2
	s_delay_alu instid0(VALU_DEP_1) | instskip(SKIP_1) | instid1(VALU_DEP_2)
	v_and_b32_e32 v3, 7, v0
	v_bfe_u32 v20, v0, 3, 4
	v_clz_i32_u32_e32 v18, v3
	s_delay_alu instid0(VALU_DEP_2) | instskip(NEXT) | instid1(VALU_DEP_2)
	v_cmp_eq_u32_e32 vcc_lo, 0, v20
	v_min_u32_e32 v18, 32, v18
	s_delay_alu instid0(VALU_DEP_1) | instskip(NEXT) | instid1(VALU_DEP_1)
	v_subrev_nc_u32_e32 v19, 28, v18
	v_dual_lshlrev_b32 v0, v19, v0 :: v_dual_sub_nc_u32 v18, 29, v18
	s_delay_alu instid0(VALU_DEP_1) | instskip(NEXT) | instid1(VALU_DEP_1)
	v_dual_lshlrev_b32 v2, 24, v2 :: v_dual_bitop2_b32 v0, 7, v0 bitop3:0x40
	v_dual_cndmask_b32 v0, v3, v0, vcc_lo :: v_dual_cndmask_b32 v18, v20, v18, vcc_lo
	s_delay_alu instid0(VALU_DEP_2) | instskip(NEXT) | instid1(VALU_DEP_2)
	v_and_b32_e32 v2, 0x80000000, v2
	v_lshlrev_b32_e32 v0, 20, v0
	s_delay_alu instid0(VALU_DEP_3) | instskip(NEXT) | instid1(VALU_DEP_1)
	v_lshl_add_u32 v3, v18, 23, 0x3b800000
	v_or3_b32 v0, v2, v3, v0
.LBB51_3507:                            ;   in Loop: Header=BB51_17 Depth=1
	s_or_b32 exec_lo, exec_lo, s94
.LBB51_3508:                            ;   in Loop: Header=BB51_17 Depth=1
	s_delay_alu instid0(SALU_CYCLE_1) | instskip(NEXT) | instid1(SALU_CYCLE_1)
	s_or_b32 exec_lo, exec_lo, s92
	s_or_b32 s90, s90, exec_lo
.LBB51_3509:                            ;   in Loop: Header=BB51_17 Depth=1
	s_or_b32 exec_lo, exec_lo, s91
	s_delay_alu instid0(SALU_CYCLE_1)
	s_and_b32 s90, s90, exec_lo
                                        ; implicit-def: $vgpr18
                                        ; implicit-def: $vgpr2_vgpr3
.LBB51_3510:                            ;   in Loop: Header=BB51_17 Depth=1
	s_and_not1_saveexec_b32 s89, s89
	s_cbranch_execz .LBB51_3536
; %bb.3511:                             ;   in Loop: Header=BB51_17 Depth=1
	s_mov_b32 s92, s90
	s_mov_b32 s91, exec_lo
                                        ; implicit-def: $vgpr0
	v_cmpx_lt_i16_e32 22, v18
	s_xor_b32 s91, exec_lo, s91
	s_cbranch_execz .LBB51_3525
; %bb.3512:                             ;   in Loop: Header=BB51_17 Depth=1
	s_mov_b32 s92, exec_lo
                                        ; implicit-def: $vgpr0
	v_cmpx_lt_i16_e32 23, v18
	s_xor_b32 s92, exec_lo, s92
	s_cbranch_execz .LBB51_3522
; %bb.3513:                             ;   in Loop: Header=BB51_17 Depth=1
	;; [unrolled: 6-line block ×3, first 2 shown]
	flat_load_u8 v2, v[2:3]
	s_mov_b32 s94, 0
	s_mov_b32 s95, exec_lo
	s_wait_loadcnt_dscnt 0x0
	v_cmpx_lt_i16_e32 0x7f, v2
	s_xor_b32 s95, exec_lo, s95
	s_cbranch_execnz .LBB51_3646
; %bb.3515:                             ;   in Loop: Header=BB51_17 Depth=1
	s_or_saveexec_b32 s95, s95
	v_mov_b32_e32 v0, 0x7f800001
	s_xor_b32 exec_lo, exec_lo, s95
	s_cbranch_execnz .LBB51_3649
.LBB51_3516:                            ;   in Loop: Header=BB51_17 Depth=1
	s_or_b32 exec_lo, exec_lo, s95
	s_and_saveexec_b32 s95, s94
	s_cbranch_execz .LBB51_3518
.LBB51_3517:                            ;   in Loop: Header=BB51_17 Depth=1
	v_and_b32_e32 v0, 0xffff, v2
	s_delay_alu instid0(VALU_DEP_1) | instskip(SKIP_1) | instid1(VALU_DEP_2)
	v_and_b32_e32 v3, 3, v0
	v_bfe_u32 v20, v0, 2, 5
	v_clz_i32_u32_e32 v18, v3
	s_delay_alu instid0(VALU_DEP_2) | instskip(NEXT) | instid1(VALU_DEP_2)
	v_cmp_eq_u32_e32 vcc_lo, 0, v20
	v_min_u32_e32 v18, 32, v18
	s_delay_alu instid0(VALU_DEP_1) | instskip(NEXT) | instid1(VALU_DEP_1)
	v_subrev_nc_u32_e32 v19, 29, v18
	v_dual_lshlrev_b32 v0, v19, v0 :: v_dual_sub_nc_u32 v18, 30, v18
	s_delay_alu instid0(VALU_DEP_1) | instskip(NEXT) | instid1(VALU_DEP_1)
	v_dual_lshlrev_b32 v2, 24, v2 :: v_dual_bitop2_b32 v0, 3, v0 bitop3:0x40
	v_dual_cndmask_b32 v0, v3, v0, vcc_lo :: v_dual_cndmask_b32 v18, v20, v18, vcc_lo
	s_delay_alu instid0(VALU_DEP_2) | instskip(NEXT) | instid1(VALU_DEP_2)
	v_and_b32_e32 v2, 0x80000000, v2
	v_lshlrev_b32_e32 v0, 21, v0
	s_delay_alu instid0(VALU_DEP_3) | instskip(NEXT) | instid1(VALU_DEP_1)
	v_lshl_add_u32 v3, v18, 23, 0x37800000
	v_or3_b32 v0, v2, v3, v0
.LBB51_3518:                            ;   in Loop: Header=BB51_17 Depth=1
	s_or_b32 exec_lo, exec_lo, s95
                                        ; implicit-def: $vgpr2_vgpr3
.LBB51_3519:                            ;   in Loop: Header=BB51_17 Depth=1
	s_and_not1_saveexec_b32 s93, s93
	s_cbranch_execz .LBB51_3521
; %bb.3520:                             ;   in Loop: Header=BB51_17 Depth=1
	flat_load_u8 v0, v[2:3]
	s_wait_loadcnt_dscnt 0x0
	v_lshlrev_b32_e32 v0, 24, v0
	s_wait_xcnt 0x0
	s_delay_alu instid0(VALU_DEP_1) | instskip(NEXT) | instid1(VALU_DEP_1)
	v_and_b32_e32 v2, 0x7f000000, v0
	v_clz_i32_u32_e32 v3, v2
	v_cmp_ne_u32_e32 vcc_lo, 0, v2
	v_add_nc_u32_e32 v19, 0x1000000, v2
	s_delay_alu instid0(VALU_DEP_3) | instskip(NEXT) | instid1(VALU_DEP_1)
	v_min_u32_e32 v3, 32, v3
	v_sub_nc_u32_e64 v3, v3, 4 clamp
	s_delay_alu instid0(VALU_DEP_1) | instskip(NEXT) | instid1(VALU_DEP_1)
	v_dual_lshlrev_b32 v18, v3, v2 :: v_dual_lshlrev_b32 v3, 23, v3
	v_lshrrev_b32_e32 v18, 4, v18
	s_delay_alu instid0(VALU_DEP_1) | instskip(SKIP_1) | instid1(VALU_DEP_2)
	v_sub_nc_u32_e32 v3, v18, v3
	v_ashrrev_i32_e32 v18, 8, v19
	v_add_nc_u32_e32 v3, 0x3c000000, v3
	s_delay_alu instid0(VALU_DEP_1) | instskip(NEXT) | instid1(VALU_DEP_1)
	v_and_or_b32 v3, 0x7f800000, v18, v3
	v_cndmask_b32_e32 v2, 0, v3, vcc_lo
	s_delay_alu instid0(VALU_DEP_1)
	v_and_or_b32 v0, 0x80000000, v0, v2
.LBB51_3521:                            ;   in Loop: Header=BB51_17 Depth=1
	s_or_b32 exec_lo, exec_lo, s93
                                        ; implicit-def: $vgpr2_vgpr3
.LBB51_3522:                            ;   in Loop: Header=BB51_17 Depth=1
	s_and_not1_saveexec_b32 s92, s92
	s_cbranch_execz .LBB51_3524
; %bb.3523:                             ;   in Loop: Header=BB51_17 Depth=1
	flat_load_u8 v0, v[2:3]
	s_wait_loadcnt_dscnt 0x0
	v_lshlrev_b32_e32 v2, 25, v0
	v_lshlrev_b16 v0, 8, v0
	s_delay_alu instid0(VALU_DEP_1) | instskip(SKIP_1) | instid1(VALU_DEP_2)
	v_and_or_b32 v18, 0x7f00, v0, 0.5
	v_bfe_i32 v0, v0, 0, 16
	v_add_f32_e32 v18, -0.5, v18
	v_lshrrev_b32_e32 v3, 4, v2
	v_cmp_gt_u32_e32 vcc_lo, 0x8000000, v2
	s_delay_alu instid0(VALU_DEP_2) | instskip(NEXT) | instid1(VALU_DEP_1)
	v_or_b32_e32 v3, 0x70000000, v3
	v_mul_f32_e32 v3, 0x7800000, v3
	s_delay_alu instid0(VALU_DEP_1) | instskip(NEXT) | instid1(VALU_DEP_1)
	v_cndmask_b32_e32 v2, v3, v18, vcc_lo
	v_and_or_b32 v0, 0x80000000, v0, v2
.LBB51_3524:                            ;   in Loop: Header=BB51_17 Depth=1
	s_or_b32 exec_lo, exec_lo, s92
	s_delay_alu instid0(SALU_CYCLE_1)
	s_or_b32 s92, s90, exec_lo
                                        ; implicit-def: $vgpr18
                                        ; implicit-def: $vgpr2_vgpr3
.LBB51_3525:                            ;   in Loop: Header=BB51_17 Depth=1
	s_and_not1_saveexec_b32 s91, s91
	s_cbranch_execz .LBB51_3535
; %bb.3526:                             ;   in Loop: Header=BB51_17 Depth=1
	s_mov_b32 s93, s92
	s_mov_b32 s94, exec_lo
                                        ; implicit-def: $vgpr0
	v_cmpx_lt_i16_e32 14, v18
	s_xor_b32 s94, exec_lo, s94
	s_cbranch_execz .LBB51_3530
; %bb.3527:                             ;   in Loop: Header=BB51_17 Depth=1
	s_mov_b32 s93, s92
	s_mov_b32 s95, exec_lo
                                        ; implicit-def: $vgpr0
	v_cmpx_eq_u16_e32 15, v18
	s_cbranch_execz .LBB51_3529
; %bb.3528:                             ;   in Loop: Header=BB51_17 Depth=1
	flat_load_u16 v0, v[2:3]
	s_or_b32 s93, s92, exec_lo
	s_wait_loadcnt_dscnt 0x0
	v_lshlrev_b32_e32 v0, 16, v0
.LBB51_3529:                            ;   in Loop: Header=BB51_17 Depth=1
	s_wait_xcnt 0x0
	s_or_b32 exec_lo, exec_lo, s95
	s_delay_alu instid0(SALU_CYCLE_1) | instskip(SKIP_1) | instid1(SALU_CYCLE_1)
	s_and_not1_b32 s95, s92, exec_lo
	s_and_b32 s93, s93, exec_lo
                                        ; implicit-def: $vgpr18
                                        ; implicit-def: $vgpr2_vgpr3
	s_or_b32 s93, s95, s93
.LBB51_3530:                            ;   in Loop: Header=BB51_17 Depth=1
	s_and_not1_saveexec_b32 s94, s94
	s_cbranch_execz .LBB51_3534
; %bb.3531:                             ;   in Loop: Header=BB51_17 Depth=1
	s_mov_b32 s95, s93
	s_mov_b32 vcc_hi, exec_lo
                                        ; implicit-def: $vgpr0
	v_cmpx_eq_u16_e32 11, v18
	s_cbranch_execz .LBB51_3533
; %bb.3532:                             ;   in Loop: Header=BB51_17 Depth=1
	flat_load_u8 v0, v[2:3]
	s_or_b32 s95, s93, exec_lo
	s_wait_loadcnt_dscnt 0x0
	v_cmp_ne_u16_e32 vcc_lo, 0, v0
	v_cndmask_b32_e64 v0, 0, 1.0, vcc_lo
.LBB51_3533:                            ;   in Loop: Header=BB51_17 Depth=1
	s_wait_xcnt 0x0
	s_or_b32 exec_lo, exec_lo, vcc_hi
	s_delay_alu instid0(SALU_CYCLE_1) | instskip(SKIP_1) | instid1(SALU_CYCLE_1)
	s_and_not1_b32 s93, s93, exec_lo
	s_and_b32 s95, s95, exec_lo
	s_or_b32 s93, s93, s95
.LBB51_3534:                            ;   in Loop: Header=BB51_17 Depth=1
	s_or_b32 exec_lo, exec_lo, s94
	s_delay_alu instid0(SALU_CYCLE_1) | instskip(SKIP_1) | instid1(SALU_CYCLE_1)
	s_and_not1_b32 s92, s92, exec_lo
	s_and_b32 s93, s93, exec_lo
	s_or_b32 s92, s92, s93
.LBB51_3535:                            ;   in Loop: Header=BB51_17 Depth=1
	s_or_b32 exec_lo, exec_lo, s91
	s_delay_alu instid0(SALU_CYCLE_1) | instskip(SKIP_1) | instid1(SALU_CYCLE_1)
	s_and_not1_b32 s90, s90, exec_lo
	s_and_b32 s91, s92, exec_lo
	s_or_b32 s90, s90, s91
.LBB51_3536:                            ;   in Loop: Header=BB51_17 Depth=1
	s_or_b32 exec_lo, exec_lo, s89
	s_delay_alu instid0(SALU_CYCLE_1)
	s_and_b32 s89, s90, exec_lo
                                        ; implicit-def: $vgpr18
                                        ; implicit-def: $vgpr2_vgpr3
	s_and_not1_saveexec_b32 s88, s88
	s_cbranch_execz .LBB51_1788
.LBB51_3537:                            ;   in Loop: Header=BB51_17 Depth=1
	s_mov_b32 s90, exec_lo
                                        ; implicit-def: $vgpr0
	v_cmpx_lt_i16_e32 4, v18
	s_xor_b32 s90, exec_lo, s90
	s_cbranch_execz .LBB51_3559
; %bb.3538:                             ;   in Loop: Header=BB51_17 Depth=1
	s_mov_b32 s91, exec_lo
                                        ; implicit-def: $vgpr0
	v_cmpx_lt_i16_e32 7, v18
	s_xor_b32 s91, exec_lo, s91
	s_cbranch_execz .LBB51_3548
; %bb.3539:                             ;   in Loop: Header=BB51_17 Depth=1
	;; [unrolled: 6-line block ×4, first 2 shown]
	flat_load_b64 v[2:3], v[2:3]
	s_wait_loadcnt_dscnt 0x0
	v_cvt_f32_f64_e32 v0, v[2:3]
                                        ; implicit-def: $vgpr2_vgpr3
.LBB51_3542:                            ;   in Loop: Header=BB51_17 Depth=1
	s_wait_xcnt 0x0
	s_and_not1_saveexec_b32 s93, s93
	s_cbranch_execz .LBB51_3544
; %bb.3543:                             ;   in Loop: Header=BB51_17 Depth=1
	flat_load_b32 v0, v[2:3]
.LBB51_3544:                            ;   in Loop: Header=BB51_17 Depth=1
	s_wait_xcnt 0x0
	s_or_b32 exec_lo, exec_lo, s93
                                        ; implicit-def: $vgpr2_vgpr3
.LBB51_3545:                            ;   in Loop: Header=BB51_17 Depth=1
	s_and_not1_saveexec_b32 s92, s92
	s_cbranch_execz .LBB51_3547
; %bb.3546:                             ;   in Loop: Header=BB51_17 Depth=1
	s_wait_loadcnt_dscnt 0x0
	flat_load_b32 v0, v[2:3]
	s_wait_loadcnt_dscnt 0x0
	v_cvt_f32_f16_e32 v0, v0
.LBB51_3547:                            ;   in Loop: Header=BB51_17 Depth=1
	s_wait_xcnt 0x0
	s_or_b32 exec_lo, exec_lo, s92
                                        ; implicit-def: $vgpr2_vgpr3
                                        ; implicit-def: $vgpr18
.LBB51_3548:                            ;   in Loop: Header=BB51_17 Depth=1
	s_and_not1_saveexec_b32 s91, s91
	s_cbranch_execz .LBB51_3558
; %bb.3549:                             ;   in Loop: Header=BB51_17 Depth=1
	s_mov_b32 s92, exec_lo
                                        ; implicit-def: $vgpr0
	v_cmpx_lt_i16_e32 5, v18
	s_xor_b32 s92, exec_lo, s92
	s_cbranch_execz .LBB51_3555
; %bb.3550:                             ;   in Loop: Header=BB51_17 Depth=1
	s_mov_b32 s93, exec_lo
                                        ; implicit-def: $vgpr0
	v_cmpx_lt_i16_e32 6, v18
	s_xor_b32 s93, exec_lo, s93
	s_cbranch_execz .LBB51_3552
; %bb.3551:                             ;   in Loop: Header=BB51_17 Depth=1
	flat_load_b64 v[2:3], v[2:3]
	s_wait_loadcnt_dscnt 0x0
	v_cvt_f32_f64_e32 v0, v[2:3]
                                        ; implicit-def: $vgpr2_vgpr3
.LBB51_3552:                            ;   in Loop: Header=BB51_17 Depth=1
	s_wait_xcnt 0x0
	s_and_not1_saveexec_b32 s93, s93
	s_cbranch_execz .LBB51_3554
; %bb.3553:                             ;   in Loop: Header=BB51_17 Depth=1
	s_wait_loadcnt_dscnt 0x0
	flat_load_b32 v0, v[2:3]
.LBB51_3554:                            ;   in Loop: Header=BB51_17 Depth=1
	s_wait_xcnt 0x0
	s_or_b32 exec_lo, exec_lo, s93
                                        ; implicit-def: $vgpr2_vgpr3
.LBB51_3555:                            ;   in Loop: Header=BB51_17 Depth=1
	s_and_not1_saveexec_b32 s92, s92
	s_cbranch_execz .LBB51_3557
; %bb.3556:                             ;   in Loop: Header=BB51_17 Depth=1
	s_wait_loadcnt_dscnt 0x0
	flat_load_u16 v0, v[2:3]
	s_wait_loadcnt_dscnt 0x0
	v_cvt_f32_f16_e32 v0, v0
.LBB51_3557:                            ;   in Loop: Header=BB51_17 Depth=1
	s_wait_xcnt 0x0
	s_or_b32 exec_lo, exec_lo, s92
.LBB51_3558:                            ;   in Loop: Header=BB51_17 Depth=1
	s_delay_alu instid0(SALU_CYCLE_1)
	s_or_b32 exec_lo, exec_lo, s91
                                        ; implicit-def: $vgpr18
                                        ; implicit-def: $vgpr2_vgpr3
.LBB51_3559:                            ;   in Loop: Header=BB51_17 Depth=1
	s_and_not1_saveexec_b32 s90, s90
	s_cbranch_execz .LBB51_3577
; %bb.3560:                             ;   in Loop: Header=BB51_17 Depth=1
	s_mov_b32 s91, exec_lo
                                        ; implicit-def: $vgpr0
	v_cmpx_lt_i16_e32 1, v18
	s_xor_b32 s91, exec_lo, s91
	s_cbranch_execz .LBB51_3570
; %bb.3561:                             ;   in Loop: Header=BB51_17 Depth=1
	s_mov_b32 s92, exec_lo
                                        ; implicit-def: $vgpr0
	v_cmpx_lt_i16_e32 2, v18
	s_xor_b32 s92, exec_lo, s92
	;; [unrolled: 6-line block ×3, first 2 shown]
	s_cbranch_execz .LBB51_3564
; %bb.3563:                             ;   in Loop: Header=BB51_17 Depth=1
	flat_load_b64 v[2:3], v[2:3]
	s_wait_loadcnt_dscnt 0x0
	v_xor_b32_e32 v0, v2, v3
	v_cls_i32_e32 v18, v3
	s_delay_alu instid0(VALU_DEP_2) | instskip(NEXT) | instid1(VALU_DEP_1)
	v_ashrrev_i32_e32 v0, 31, v0
	v_add_nc_u32_e32 v0, 32, v0
	s_delay_alu instid0(VALU_DEP_1) | instskip(SKIP_1) | instid1(VALU_DEP_1)
	v_add_min_u32_e64 v0, v18, -1, v0
	s_wait_xcnt 0x0
	v_lshlrev_b64_e32 v[2:3], v0, v[2:3]
	v_sub_nc_u32_e32 v0, 32, v0
	s_delay_alu instid0(VALU_DEP_2) | instskip(NEXT) | instid1(VALU_DEP_1)
	v_min_u32_e32 v2, 1, v2
	v_or_b32_e32 v2, v3, v2
	s_delay_alu instid0(VALU_DEP_1) | instskip(NEXT) | instid1(VALU_DEP_1)
	v_cvt_f32_i32_e32 v2, v2
	v_ldexp_f32 v0, v2, v0
                                        ; implicit-def: $vgpr2_vgpr3
.LBB51_3564:                            ;   in Loop: Header=BB51_17 Depth=1
	s_and_not1_saveexec_b32 s93, s93
	s_cbranch_execz .LBB51_3566
; %bb.3565:                             ;   in Loop: Header=BB51_17 Depth=1
	s_wait_loadcnt_dscnt 0x0
	flat_load_b32 v0, v[2:3]
	s_wait_loadcnt_dscnt 0x0
	v_cvt_f32_i32_e32 v0, v0
.LBB51_3566:                            ;   in Loop: Header=BB51_17 Depth=1
	s_wait_xcnt 0x0
	s_or_b32 exec_lo, exec_lo, s93
                                        ; implicit-def: $vgpr2_vgpr3
.LBB51_3567:                            ;   in Loop: Header=BB51_17 Depth=1
	s_and_not1_saveexec_b32 s92, s92
	s_cbranch_execz .LBB51_3569
; %bb.3568:                             ;   in Loop: Header=BB51_17 Depth=1
	s_wait_loadcnt_dscnt 0x0
	flat_load_i16 v0, v[2:3]
	s_wait_loadcnt_dscnt 0x0
	v_cvt_f32_i32_e32 v0, v0
.LBB51_3569:                            ;   in Loop: Header=BB51_17 Depth=1
	s_wait_xcnt 0x0
	s_or_b32 exec_lo, exec_lo, s92
                                        ; implicit-def: $vgpr2_vgpr3
                                        ; implicit-def: $vgpr18
.LBB51_3570:                            ;   in Loop: Header=BB51_17 Depth=1
	s_and_not1_saveexec_b32 s91, s91
	s_cbranch_execz .LBB51_3576
; %bb.3571:                             ;   in Loop: Header=BB51_17 Depth=1
	s_mov_b32 s92, exec_lo
                                        ; implicit-def: $vgpr0
	v_cmpx_lt_i16_e32 0, v18
	s_xor_b32 s92, exec_lo, s92
	s_cbranch_execz .LBB51_3573
; %bb.3572:                             ;   in Loop: Header=BB51_17 Depth=1
	s_wait_loadcnt_dscnt 0x0
	flat_load_i8 v0, v[2:3]
                                        ; implicit-def: $vgpr2_vgpr3
	s_wait_loadcnt_dscnt 0x0
	v_cvt_f32_i32_e32 v0, v0
.LBB51_3573:                            ;   in Loop: Header=BB51_17 Depth=1
	s_wait_xcnt 0x0
	s_and_not1_saveexec_b32 s92, s92
	s_cbranch_execz .LBB51_3575
; %bb.3574:                             ;   in Loop: Header=BB51_17 Depth=1
	s_wait_loadcnt_dscnt 0x0
	flat_load_u8 v0, v[2:3]
	s_wait_loadcnt_dscnt 0x0
	v_cvt_f32_ubyte0_e32 v0, v0
.LBB51_3575:                            ;   in Loop: Header=BB51_17 Depth=1
	s_wait_xcnt 0x0
	s_or_b32 exec_lo, exec_lo, s92
.LBB51_3576:                            ;   in Loop: Header=BB51_17 Depth=1
	s_delay_alu instid0(SALU_CYCLE_1)
	s_or_b32 exec_lo, exec_lo, s91
.LBB51_3577:                            ;   in Loop: Header=BB51_17 Depth=1
	s_delay_alu instid0(SALU_CYCLE_1) | instskip(NEXT) | instid1(SALU_CYCLE_1)
	s_or_b32 exec_lo, exec_lo, s90
	s_or_b32 s89, s89, exec_lo
	s_or_b32 exec_lo, exec_lo, s88
	s_mov_b32 s90, 0
	s_and_saveexec_b32 s88, s89
	s_cbranch_execnz .LBB51_1789
	s_branch .LBB51_1790
.LBB51_3578:                            ;   in Loop: Header=BB51_17 Depth=1
	s_mov_b32 s63, -1
	s_mov_b32 s73, exec_lo
	v_cmpx_eq_u16_e32 0x80, v2
; %bb.3579:                             ;   in Loop: Header=BB51_17 Depth=1
	s_xor_b32 s63, exec_lo, -1
; %bb.3580:                             ;   in Loop: Header=BB51_17 Depth=1
	s_or_b32 exec_lo, exec_lo, s73
	s_delay_alu instid0(SALU_CYCLE_1)
	s_and_b32 s63, s63, exec_lo
	s_or_saveexec_b32 s72, s72
	v_mov_b32_e32 v0, 0x7f800001
	s_xor_b32 exec_lo, exec_lo, s72
	s_cbranch_execz .LBB51_2936
.LBB51_3581:                            ;   in Loop: Header=BB51_17 Depth=1
	v_cmp_ne_u16_e32 vcc_lo, 0, v2
	v_mov_b32_e32 v0, 0
	s_and_not1_b32 s63, s63, exec_lo
	s_and_b32 s73, vcc_lo, exec_lo
	s_delay_alu instid0(SALU_CYCLE_1)
	s_or_b32 s63, s63, s73
	s_or_b32 exec_lo, exec_lo, s72
	s_and_saveexec_b32 s72, s63
	s_cbranch_execnz .LBB51_2937
	s_branch .LBB51_2938
.LBB51_3582:                            ;   in Loop: Header=BB51_17 Depth=1
	s_mov_b32 s73, -1
	s_mov_b32 s75, exec_lo
	v_cmpx_eq_u16_e32 0x80, v2
; %bb.3583:                             ;   in Loop: Header=BB51_17 Depth=1
	s_xor_b32 s73, exec_lo, -1
; %bb.3584:                             ;   in Loop: Header=BB51_17 Depth=1
	s_or_b32 exec_lo, exec_lo, s75
	s_delay_alu instid0(SALU_CYCLE_1)
	s_and_b32 s73, s73, exec_lo
	s_or_saveexec_b32 s74, s74
	v_mov_b32_e32 v0, 0x7f800001
	s_xor_b32 exec_lo, exec_lo, s74
	s_cbranch_execz .LBB51_3041
.LBB51_3585:                            ;   in Loop: Header=BB51_17 Depth=1
	v_cmp_ne_u16_e32 vcc_lo, 0, v2
	v_mov_b32_e32 v0, 0
	s_and_not1_b32 s73, s73, exec_lo
	s_and_b32 s75, vcc_lo, exec_lo
	s_delay_alu instid0(SALU_CYCLE_1)
	s_or_b32 s73, s73, s75
	s_or_b32 exec_lo, exec_lo, s74
	s_and_saveexec_b32 s74, s73
	s_cbranch_execnz .LBB51_3042
	s_branch .LBB51_3043
.LBB51_3586:                            ;   in Loop: Header=BB51_17 Depth=1
	s_mov_b32 s75, -1
	s_mov_b32 s77, exec_lo
	v_cmpx_eq_u16_e32 0x80, v2
; %bb.3587:                             ;   in Loop: Header=BB51_17 Depth=1
	s_xor_b32 s75, exec_lo, -1
; %bb.3588:                             ;   in Loop: Header=BB51_17 Depth=1
	s_or_b32 exec_lo, exec_lo, s77
	s_delay_alu instid0(SALU_CYCLE_1)
	s_and_b32 s75, s75, exec_lo
	s_or_saveexec_b32 s76, s76
	v_mov_b32_e32 v0, 0x7f800001
	s_xor_b32 exec_lo, exec_lo, s76
	s_cbranch_execz .LBB51_1389
.LBB51_3589:                            ;   in Loop: Header=BB51_17 Depth=1
	v_cmp_ne_u16_e32 vcc_lo, 0, v2
	v_mov_b32_e32 v0, 0
	s_and_not1_b32 s75, s75, exec_lo
	s_and_b32 s77, vcc_lo, exec_lo
	s_delay_alu instid0(SALU_CYCLE_1)
	s_or_b32 s75, s75, s77
	s_or_b32 exec_lo, exec_lo, s76
	s_and_saveexec_b32 s76, s75
	s_cbranch_execnz .LBB51_1390
	s_branch .LBB51_1391
.LBB51_3590:                            ;   in Loop: Header=BB51_17 Depth=1
	s_mov_b32 s77, -1
	s_mov_b32 s79, exec_lo
	v_cmpx_eq_u16_e32 0x80, v2
; %bb.3591:                             ;   in Loop: Header=BB51_17 Depth=1
	s_xor_b32 s77, exec_lo, -1
; %bb.3592:                             ;   in Loop: Header=BB51_17 Depth=1
	s_or_b32 exec_lo, exec_lo, s79
	s_delay_alu instid0(SALU_CYCLE_1)
	s_and_b32 s77, s77, exec_lo
	s_or_saveexec_b32 s78, s78
	v_mov_b32_e32 v0, 0x7f800001
	s_xor_b32 exec_lo, exec_lo, s78
	s_cbranch_execz .LBB51_1489
.LBB51_3593:                            ;   in Loop: Header=BB51_17 Depth=1
	v_cmp_ne_u16_e32 vcc_lo, 0, v2
	v_mov_b32_e32 v0, 0
	s_and_not1_b32 s77, s77, exec_lo
	s_and_b32 s79, vcc_lo, exec_lo
	s_delay_alu instid0(SALU_CYCLE_1)
	s_or_b32 s77, s77, s79
	s_or_b32 exec_lo, exec_lo, s78
	s_and_saveexec_b32 s78, s77
	s_cbranch_execnz .LBB51_1490
	s_branch .LBB51_1491
.LBB51_3594:                            ;   in Loop: Header=BB51_17 Depth=1
	s_mov_b32 s74, -1
	s_mov_b32 s76, exec_lo
	v_cmpx_eq_u16_e32 0x80, v2
; %bb.3595:                             ;   in Loop: Header=BB51_17 Depth=1
	s_xor_b32 s74, exec_lo, -1
; %bb.3596:                             ;   in Loop: Header=BB51_17 Depth=1
	s_or_b32 exec_lo, exec_lo, s76
	s_delay_alu instid0(SALU_CYCLE_1)
	s_and_b32 s74, s74, exec_lo
	s_or_saveexec_b32 s75, s75
	v_mov_b32_e32 v0, 0x7f800001
	s_xor_b32 exec_lo, exec_lo, s75
	s_cbranch_execz .LBB51_3052
.LBB51_3597:                            ;   in Loop: Header=BB51_17 Depth=1
	v_cmp_ne_u16_e32 vcc_lo, 0, v2
	v_mov_b32_e32 v0, 0
	s_and_not1_b32 s74, s74, exec_lo
	s_and_b32 s76, vcc_lo, exec_lo
	s_delay_alu instid0(SALU_CYCLE_1)
	s_or_b32 s74, s74, s76
	s_or_b32 exec_lo, exec_lo, s75
	s_and_saveexec_b32 s75, s74
	s_cbranch_execnz .LBB51_3053
	s_branch .LBB51_3054
.LBB51_3598:                            ;   in Loop: Header=BB51_17 Depth=1
	s_mov_b32 s76, -1
	s_mov_b32 s78, exec_lo
	v_cmpx_eq_u16_e32 0x80, v2
; %bb.3599:                             ;   in Loop: Header=BB51_17 Depth=1
	s_xor_b32 s76, exec_lo, -1
; %bb.3600:                             ;   in Loop: Header=BB51_17 Depth=1
	s_or_b32 exec_lo, exec_lo, s78
	s_delay_alu instid0(SALU_CYCLE_1)
	s_and_b32 s76, s76, exec_lo
	s_or_saveexec_b32 s77, s77
	v_mov_b32_e32 v0, 0x7f800001
	s_xor_b32 exec_lo, exec_lo, s77
	s_cbranch_execz .LBB51_3157
.LBB51_3601:                            ;   in Loop: Header=BB51_17 Depth=1
	v_cmp_ne_u16_e32 vcc_lo, 0, v2
	v_mov_b32_e32 v0, 0
	s_and_not1_b32 s76, s76, exec_lo
	s_and_b32 s78, vcc_lo, exec_lo
	s_delay_alu instid0(SALU_CYCLE_1)
	s_or_b32 s76, s76, s78
	s_or_b32 exec_lo, exec_lo, s77
	s_and_saveexec_b32 s77, s76
	s_cbranch_execnz .LBB51_3158
	s_branch .LBB51_3159
.LBB51_3602:                            ;   in Loop: Header=BB51_17 Depth=1
	s_mov_b32 s78, -1
	s_mov_b32 s88, exec_lo
	v_cmpx_eq_u16_e32 0x80, v2
; %bb.3603:                             ;   in Loop: Header=BB51_17 Depth=1
	s_xor_b32 s78, exec_lo, -1
; %bb.3604:                             ;   in Loop: Header=BB51_17 Depth=1
	s_or_b32 exec_lo, exec_lo, s88
	s_delay_alu instid0(SALU_CYCLE_1)
	s_and_b32 s78, s78, exec_lo
	s_or_saveexec_b32 s79, s79
	v_mov_b32_e32 v0, 0x7f800001
	s_xor_b32 exec_lo, exec_lo, s79
	s_cbranch_execz .LBB51_1500
.LBB51_3605:                            ;   in Loop: Header=BB51_17 Depth=1
	v_cmp_ne_u16_e32 vcc_lo, 0, v2
	v_mov_b32_e32 v0, 0
	s_and_not1_b32 s78, s78, exec_lo
	s_and_b32 s88, vcc_lo, exec_lo
	s_delay_alu instid0(SALU_CYCLE_1)
	s_or_b32 s78, s78, s88
	s_or_b32 exec_lo, exec_lo, s79
	s_and_saveexec_b32 s79, s78
	s_cbranch_execnz .LBB51_1501
	s_branch .LBB51_1502
.LBB51_3606:                            ;   in Loop: Header=BB51_17 Depth=1
	s_mov_b32 s88, -1
	s_mov_b32 s90, exec_lo
	v_cmpx_eq_u16_e32 0x80, v2
; %bb.3607:                             ;   in Loop: Header=BB51_17 Depth=1
	s_xor_b32 s88, exec_lo, -1
; %bb.3608:                             ;   in Loop: Header=BB51_17 Depth=1
	s_or_b32 exec_lo, exec_lo, s90
	s_delay_alu instid0(SALU_CYCLE_1)
	s_and_b32 s88, s88, exec_lo
	s_or_saveexec_b32 s89, s89
	v_mov_b32_e32 v0, 0x7f800001
	s_xor_b32 exec_lo, exec_lo, s89
	s_cbranch_execz .LBB51_1600
.LBB51_3609:                            ;   in Loop: Header=BB51_17 Depth=1
	v_cmp_ne_u16_e32 vcc_lo, 0, v2
	v_mov_b32_e32 v0, 0
	s_and_not1_b32 s88, s88, exec_lo
	s_and_b32 s90, vcc_lo, exec_lo
	s_delay_alu instid0(SALU_CYCLE_1)
	s_or_b32 s88, s88, s90
	s_or_b32 exec_lo, exec_lo, s89
	s_and_saveexec_b32 s89, s88
	s_cbranch_execnz .LBB51_1601
	s_branch .LBB51_1602
.LBB51_3610:                            ;   in Loop: Header=BB51_17 Depth=1
	s_mov_b32 s77, -1
	s_mov_b32 s79, exec_lo
	v_cmpx_eq_u16_e32 0x80, v2
; %bb.3611:                             ;   in Loop: Header=BB51_17 Depth=1
	s_xor_b32 s77, exec_lo, -1
; %bb.3612:                             ;   in Loop: Header=BB51_17 Depth=1
	s_or_b32 exec_lo, exec_lo, s79
	s_delay_alu instid0(SALU_CYCLE_1)
	s_and_b32 s77, s77, exec_lo
	s_or_saveexec_b32 s78, s78
	v_mov_b32_e32 v0, 0x7f800001
	s_xor_b32 exec_lo, exec_lo, s78
	s_cbranch_execz .LBB51_3168
.LBB51_3613:                            ;   in Loop: Header=BB51_17 Depth=1
	v_cmp_ne_u16_e32 vcc_lo, 0, v2
	v_mov_b32_e32 v0, 0
	s_and_not1_b32 s77, s77, exec_lo
	s_and_b32 s79, vcc_lo, exec_lo
	s_delay_alu instid0(SALU_CYCLE_1)
	s_or_b32 s77, s77, s79
	s_or_b32 exec_lo, exec_lo, s78
	s_and_saveexec_b32 s78, s77
	s_cbranch_execnz .LBB51_3169
	s_branch .LBB51_3170
.LBB51_3614:                            ;   in Loop: Header=BB51_17 Depth=1
	s_mov_b32 s79, -1
	s_mov_b32 s89, exec_lo
	v_cmpx_eq_u16_e32 0x80, v2
; %bb.3615:                             ;   in Loop: Header=BB51_17 Depth=1
	s_xor_b32 s79, exec_lo, -1
; %bb.3616:                             ;   in Loop: Header=BB51_17 Depth=1
	s_or_b32 exec_lo, exec_lo, s89
	s_delay_alu instid0(SALU_CYCLE_1)
	s_and_b32 s79, s79, exec_lo
	s_or_saveexec_b32 s88, s88
	v_mov_b32_e32 v0, 0x7f800001
	s_xor_b32 exec_lo, exec_lo, s88
	s_cbranch_execz .LBB51_3273
.LBB51_3617:                            ;   in Loop: Header=BB51_17 Depth=1
	v_cmp_ne_u16_e32 vcc_lo, 0, v2
	v_mov_b32_e32 v0, 0
	s_and_not1_b32 s79, s79, exec_lo
	s_and_b32 s89, vcc_lo, exec_lo
	s_delay_alu instid0(SALU_CYCLE_1)
	s_or_b32 s79, s79, s89
	s_or_b32 exec_lo, exec_lo, s88
	s_and_saveexec_b32 s88, s79
	s_cbranch_execnz .LBB51_3274
	s_branch .LBB51_3275
.LBB51_3618:                            ;   in Loop: Header=BB51_17 Depth=1
	s_mov_b32 s89, -1
	s_mov_b32 s91, exec_lo
	v_cmpx_eq_u16_e32 0x80, v2
; %bb.3619:                             ;   in Loop: Header=BB51_17 Depth=1
	s_xor_b32 s89, exec_lo, -1
; %bb.3620:                             ;   in Loop: Header=BB51_17 Depth=1
	s_or_b32 exec_lo, exec_lo, s91
	s_delay_alu instid0(SALU_CYCLE_1)
	s_and_b32 s89, s89, exec_lo
	s_or_saveexec_b32 s90, s90
	v_mov_b32_e32 v0, 0x7f800001
	s_xor_b32 exec_lo, exec_lo, s90
	s_cbranch_execz .LBB51_1611
.LBB51_3621:                            ;   in Loop: Header=BB51_17 Depth=1
	v_cmp_ne_u16_e32 vcc_lo, 0, v2
	v_mov_b32_e32 v0, 0
	s_and_not1_b32 s89, s89, exec_lo
	s_and_b32 s91, vcc_lo, exec_lo
	s_delay_alu instid0(SALU_CYCLE_1)
	s_or_b32 s89, s89, s91
	s_or_b32 exec_lo, exec_lo, s90
	s_and_saveexec_b32 s90, s89
	s_cbranch_execnz .LBB51_1612
	s_branch .LBB51_1613
.LBB51_3622:                            ;   in Loop: Header=BB51_17 Depth=1
	s_mov_b32 s91, -1
	s_mov_b32 s93, exec_lo
	v_cmpx_eq_u16_e32 0x80, v2
; %bb.3623:                             ;   in Loop: Header=BB51_17 Depth=1
	s_xor_b32 s91, exec_lo, -1
; %bb.3624:                             ;   in Loop: Header=BB51_17 Depth=1
	s_or_b32 exec_lo, exec_lo, s93
	s_delay_alu instid0(SALU_CYCLE_1)
	s_and_b32 s91, s91, exec_lo
	s_or_saveexec_b32 s92, s92
	v_mov_b32_e32 v0, 0x7f800001
	s_xor_b32 exec_lo, exec_lo, s92
	s_cbranch_execz .LBB51_1711
.LBB51_3625:                            ;   in Loop: Header=BB51_17 Depth=1
	v_cmp_ne_u16_e32 vcc_lo, 0, v2
	v_mov_b32_e32 v0, 0
	s_and_not1_b32 s91, s91, exec_lo
	s_and_b32 s93, vcc_lo, exec_lo
	s_delay_alu instid0(SALU_CYCLE_1)
	s_or_b32 s91, s91, s93
	s_or_b32 exec_lo, exec_lo, s92
	s_and_saveexec_b32 s92, s91
	s_cbranch_execnz .LBB51_1712
	s_branch .LBB51_1713
.LBB51_3626:                            ;   in Loop: Header=BB51_17 Depth=1
	s_mov_b32 s88, -1
	s_mov_b32 s90, exec_lo
	v_cmpx_eq_u16_e32 0x80, v2
; %bb.3627:                             ;   in Loop: Header=BB51_17 Depth=1
	s_xor_b32 s88, exec_lo, -1
; %bb.3628:                             ;   in Loop: Header=BB51_17 Depth=1
	s_or_b32 exec_lo, exec_lo, s90
	s_delay_alu instid0(SALU_CYCLE_1)
	s_and_b32 s88, s88, exec_lo
	s_or_saveexec_b32 s89, s89
	v_mov_b32_e32 v0, 0x7f800001
	s_xor_b32 exec_lo, exec_lo, s89
	s_cbranch_execz .LBB51_3284
.LBB51_3629:                            ;   in Loop: Header=BB51_17 Depth=1
	v_cmp_ne_u16_e32 vcc_lo, 0, v2
	v_mov_b32_e32 v0, 0
	s_and_not1_b32 s88, s88, exec_lo
	s_and_b32 s90, vcc_lo, exec_lo
	s_delay_alu instid0(SALU_CYCLE_1)
	s_or_b32 s88, s88, s90
	s_or_b32 exec_lo, exec_lo, s89
	s_and_saveexec_b32 s89, s88
	s_cbranch_execnz .LBB51_3285
	s_branch .LBB51_3286
.LBB51_3630:                            ;   in Loop: Header=BB51_17 Depth=1
	s_mov_b32 s90, -1
	s_mov_b32 s92, exec_lo
	v_cmpx_eq_u16_e32 0x80, v2
; %bb.3631:                             ;   in Loop: Header=BB51_17 Depth=1
	s_xor_b32 s90, exec_lo, -1
; %bb.3632:                             ;   in Loop: Header=BB51_17 Depth=1
	s_or_b32 exec_lo, exec_lo, s92
	s_delay_alu instid0(SALU_CYCLE_1)
	s_and_b32 s90, s90, exec_lo
	s_or_saveexec_b32 s91, s91
	v_mov_b32_e32 v0, 0x7f800001
	s_xor_b32 exec_lo, exec_lo, s91
	s_cbranch_execz .LBB51_3389
.LBB51_3633:                            ;   in Loop: Header=BB51_17 Depth=1
	v_cmp_ne_u16_e32 vcc_lo, 0, v2
	v_mov_b32_e32 v0, 0
	s_and_not1_b32 s90, s90, exec_lo
	s_and_b32 s92, vcc_lo, exec_lo
	s_delay_alu instid0(SALU_CYCLE_1)
	s_or_b32 s90, s90, s92
	s_or_b32 exec_lo, exec_lo, s91
	s_and_saveexec_b32 s91, s90
	s_cbranch_execnz .LBB51_3390
	s_branch .LBB51_3391
.LBB51_3634:                            ;   in Loop: Header=BB51_17 Depth=1
	s_mov_b32 s92, -1
	s_mov_b32 s94, exec_lo
	v_cmpx_eq_u16_e32 0x80, v2
; %bb.3635:                             ;   in Loop: Header=BB51_17 Depth=1
	s_xor_b32 s92, exec_lo, -1
; %bb.3636:                             ;   in Loop: Header=BB51_17 Depth=1
	s_or_b32 exec_lo, exec_lo, s94
	s_delay_alu instid0(SALU_CYCLE_1)
	s_and_b32 s92, s92, exec_lo
	s_or_saveexec_b32 s93, s93
	v_mov_b32_e32 v0, 0x7f800001
	s_xor_b32 exec_lo, exec_lo, s93
	s_cbranch_execz .LBB51_1722
.LBB51_3637:                            ;   in Loop: Header=BB51_17 Depth=1
	v_cmp_ne_u16_e32 vcc_lo, 0, v2
	v_mov_b32_e32 v0, 0
	s_and_not1_b32 s92, s92, exec_lo
	s_and_b32 s94, vcc_lo, exec_lo
	s_delay_alu instid0(SALU_CYCLE_1)
	s_or_b32 s92, s92, s94
	s_or_b32 exec_lo, exec_lo, s93
	s_and_saveexec_b32 s93, s92
	s_cbranch_execnz .LBB51_1723
	s_branch .LBB51_1724
.LBB51_3638:                            ;   in Loop: Header=BB51_17 Depth=1
	s_mov_b32 s91, -1
	s_mov_b32 s93, exec_lo
	v_cmpx_eq_u16_e32 0x80, v2
; %bb.3639:                             ;   in Loop: Header=BB51_17 Depth=1
	s_xor_b32 s91, exec_lo, -1
; %bb.3640:                             ;   in Loop: Header=BB51_17 Depth=1
	s_or_b32 exec_lo, exec_lo, s93
	s_delay_alu instid0(SALU_CYCLE_1)
	s_and_b32 s91, s91, exec_lo
	s_or_saveexec_b32 s92, s92
	v_mov_b32_e32 v0, 0x7f800001
	s_xor_b32 exec_lo, exec_lo, s92
	s_cbranch_execz .LBB51_3400
.LBB51_3641:                            ;   in Loop: Header=BB51_17 Depth=1
	v_cmp_ne_u16_e32 vcc_lo, 0, v2
	v_mov_b32_e32 v0, 0
	s_and_not1_b32 s91, s91, exec_lo
	s_and_b32 s93, vcc_lo, exec_lo
	s_delay_alu instid0(SALU_CYCLE_1)
	s_or_b32 s91, s91, s93
	s_or_b32 exec_lo, exec_lo, s92
	s_and_saveexec_b32 s92, s91
	s_cbranch_execnz .LBB51_3401
	s_branch .LBB51_3402
.LBB51_3642:                            ;   in Loop: Header=BB51_17 Depth=1
	s_mov_b32 s93, -1
	s_mov_b32 s95, exec_lo
	v_cmpx_eq_u16_e32 0x80, v2
; %bb.3643:                             ;   in Loop: Header=BB51_17 Depth=1
	s_xor_b32 s93, exec_lo, -1
; %bb.3644:                             ;   in Loop: Header=BB51_17 Depth=1
	s_or_b32 exec_lo, exec_lo, s95
	s_delay_alu instid0(SALU_CYCLE_1)
	s_and_b32 s93, s93, exec_lo
	s_or_saveexec_b32 s94, s94
	v_mov_b32_e32 v0, 0x7f800001
	s_xor_b32 exec_lo, exec_lo, s94
	s_cbranch_execz .LBB51_3505
.LBB51_3645:                            ;   in Loop: Header=BB51_17 Depth=1
	v_cmp_ne_u16_e32 vcc_lo, 0, v2
	v_mov_b32_e32 v0, 0
	s_and_not1_b32 s93, s93, exec_lo
	s_and_b32 s95, vcc_lo, exec_lo
	s_delay_alu instid0(SALU_CYCLE_1)
	s_or_b32 s93, s93, s95
	s_or_b32 exec_lo, exec_lo, s94
	s_and_saveexec_b32 s94, s93
	s_cbranch_execnz .LBB51_3506
	s_branch .LBB51_3507
.LBB51_3646:                            ;   in Loop: Header=BB51_17 Depth=1
	s_mov_b32 s94, -1
	s_mov_b32 vcc_hi, exec_lo
	v_cmpx_eq_u16_e32 0x80, v2
; %bb.3647:                             ;   in Loop: Header=BB51_17 Depth=1
	s_xor_b32 s94, exec_lo, -1
; %bb.3648:                             ;   in Loop: Header=BB51_17 Depth=1
	s_or_b32 exec_lo, exec_lo, vcc_hi
	s_delay_alu instid0(SALU_CYCLE_1)
	s_and_b32 s94, s94, exec_lo
	s_or_saveexec_b32 s95, s95
	v_mov_b32_e32 v0, 0x7f800001
	s_xor_b32 exec_lo, exec_lo, s95
	s_cbranch_execz .LBB51_3516
.LBB51_3649:                            ;   in Loop: Header=BB51_17 Depth=1
	v_cmp_ne_u16_e32 vcc_lo, 0, v2
	v_mov_b32_e32 v0, 0
	s_and_not1_b32 s94, s94, exec_lo
	s_and_b32 vcc_lo, vcc_lo, exec_lo
	s_delay_alu instid0(SALU_CYCLE_1)
	s_or_b32 s94, s94, vcc_lo
	s_or_b32 exec_lo, exec_lo, s95
	s_and_saveexec_b32 s95, s94
	s_cbranch_execnz .LBB51_3517
	s_branch .LBB51_3518
.LBB51_3650:
	s_or_b32 exec_lo, exec_lo, s0
	s_xor_b32 s1, s4, -1
	s_xor_b32 s2, s2, -1
	s_mov_b32 s0, 0
	s_and_saveexec_b32 s4, s2
	s_delay_alu instid0(SALU_CYCLE_1)
	s_xor_b32 s6, exec_lo, s4
	s_cbranch_execnz .LBB51_3655
; %bb.3651:
	s_and_not1_saveexec_b32 s1, s6
	s_cbranch_execnz .LBB51_7877
.LBB51_3652:
	s_or_b32 exec_lo, exec_lo, s1
	s_and_saveexec_b32 s1, s0
.LBB51_3653:
	; divergent unreachable
.LBB51_3654:
	s_delay_alu instid0(SALU_CYCLE_1)
	s_or_b32 exec_lo, exec_lo, s1
	v_readlane_b32 s30, v40, 12
	v_readlane_b32 s31, v40, 13
	;; [unrolled: 1-line block ×14, first 2 shown]
	s_mov_b32 s32, s33
	v_readlane_b32 s0, v40, 14
	s_or_saveexec_b32 s1, -1
	scratch_load_b32 v40, off, s33 offset:256 ; 4-byte Folded Reload
	s_wait_xcnt 0x0
	s_mov_b32 exec_lo, s1
	s_mov_b32 s33, s0
	s_wait_loadcnt_dscnt 0x0
	s_set_pc_i64 s[30:31]
.LBB51_3655:
	s_and_saveexec_b32 s2, s1
	s_delay_alu instid0(SALU_CYCLE_1)
	s_xor_b32 s7, exec_lo, s2
	s_cbranch_execz .LBB51_7875
; %bb.3656:
	v_cmp_lt_i32_e64 s2, v103, v8
	s_get_pc_i64 s[4:5]
	s_add_nc_u64 s[4:5], s[4:5], _ZN3c104guts5applyIRZZZN2at6native12_GLOBAL__N_124softplus_backward_kernelERNS2_18TensorIteratorBaseERKNS_6ScalarES9_ENKUlvE_clEvENKUlvE0_clEvEUlffE_RSt5tupleIJffEEEEDaOT_OT0_@rel64+4
                                        ; implicit-def: $vgpr102
	s_and_saveexec_b32 s1, s2
	s_cbranch_execz .LBB51_3658
; %bb.3657:
	scratch_load_b64 v[2:3], off, s33
	s_wait_loadcnt_dscnt 0x100
	v_dual_mov_b32 v0, v15 :: v_dual_mov_b32 v1, v17
	s_swap_pc_i64 s[30:31], s[4:5]
	s_delay_alu instid0(VALU_DEP_1)
	v_mov_b32_e32 v102, v0
.LBB51_3658:
	s_wait_xcnt 0x0
	s_or_b32 exec_lo, exec_lo, s1
	v_add_nc_u32_e32 v7, 0x200, v103
                                        ; implicit-def: $vgpr100
	s_delay_alu instid0(VALU_DEP_1)
	v_cmp_lt_i32_e64 s1, v7, v8
	s_and_saveexec_b32 s8, s1
	s_cbranch_execz .LBB51_3660
; %bb.3659:
	scratch_load_b64 v[2:3], off, s33 offset:8
	s_wait_loadcnt_dscnt 0x100
	v_dual_mov_b32 v0, v15 :: v_dual_mov_b32 v1, v17
	s_swap_pc_i64 s[30:31], s[4:5]
	s_delay_alu instid0(VALU_DEP_1)
	v_mov_b32_e32 v100, v0
.LBB51_3660:
	s_wait_xcnt 0x0
	s_or_b32 exec_lo, exec_lo, s8
	s_wait_loadcnt_dscnt 0x0
	v_or_b32_e32 v0, 0x400, v103
	s_mov_b32 s8, exec_lo
                                        ; implicit-def: $vgpr98
	s_delay_alu instid0(VALU_DEP_1)
	v_cmpx_lt_i32_e64 v0, v8
	s_cbranch_execz .LBB51_3662
; %bb.3661:
	scratch_load_b64 v[2:3], off, s33 offset:16
	v_dual_mov_b32 v0, v15 :: v_dual_mov_b32 v1, v17
	s_swap_pc_i64 s[30:31], s[4:5]
	s_delay_alu instid0(VALU_DEP_1)
	v_mov_b32_e32 v98, v0
.LBB51_3662:
	s_wait_xcnt 0x0
	s_or_b32 exec_lo, exec_lo, s8
	v_add_nc_u32_e32 v0, 0x600, v103
	s_mov_b32 s8, exec_lo
                                        ; implicit-def: $vgpr96
	s_delay_alu instid0(VALU_DEP_1)
	v_cmpx_lt_i32_e64 v0, v8
	s_cbranch_execz .LBB51_3664
; %bb.3663:
	scratch_load_b64 v[2:3], off, s33 offset:24
	v_dual_mov_b32 v0, v15 :: v_dual_mov_b32 v1, v17
	s_swap_pc_i64 s[30:31], s[4:5]
	s_delay_alu instid0(VALU_DEP_1)
	v_mov_b32_e32 v96, v0
.LBB51_3664:
	s_wait_xcnt 0x0
	s_or_b32 exec_lo, exec_lo, s8
	v_or_b32_e32 v0, 0x800, v103
	s_mov_b32 s8, exec_lo
                                        ; implicit-def: $vgpr86
	s_delay_alu instid0(VALU_DEP_1)
	v_cmpx_lt_i32_e64 v0, v8
	s_cbranch_execz .LBB51_3666
; %bb.3665:
	scratch_load_b64 v[2:3], off, s33 offset:32
	v_dual_mov_b32 v0, v15 :: v_dual_mov_b32 v1, v17
	s_swap_pc_i64 s[30:31], s[4:5]
	s_delay_alu instid0(VALU_DEP_1)
	v_mov_b32_e32 v86, v0
.LBB51_3666:
	s_wait_xcnt 0x0
	s_or_b32 exec_lo, exec_lo, s8
	v_add_nc_u32_e32 v0, 0xa00, v103
	s_mov_b32 s8, exec_lo
                                        ; implicit-def: $vgpr84
	s_delay_alu instid0(VALU_DEP_1)
	v_cmpx_lt_i32_e64 v0, v8
	s_cbranch_execz .LBB51_3668
; %bb.3667:
	scratch_load_b64 v[2:3], off, s33 offset:40
	v_dual_mov_b32 v0, v15 :: v_dual_mov_b32 v1, v17
	s_swap_pc_i64 s[30:31], s[4:5]
	s_delay_alu instid0(VALU_DEP_1)
	v_mov_b32_e32 v84, v0
.LBB51_3668:
	s_wait_xcnt 0x0
	s_or_b32 exec_lo, exec_lo, s8
	v_or_b32_e32 v0, 0xc00, v103
	s_mov_b32 s8, exec_lo
                                        ; implicit-def: $vgpr82
	s_delay_alu instid0(VALU_DEP_1)
	v_cmpx_lt_i32_e64 v0, v8
	s_cbranch_execz .LBB51_3670
; %bb.3669:
	scratch_load_b64 v[2:3], off, s33 offset:48
	v_dual_mov_b32 v0, v15 :: v_dual_mov_b32 v1, v17
	s_swap_pc_i64 s[30:31], s[4:5]
	s_delay_alu instid0(VALU_DEP_1)
	v_mov_b32_e32 v82, v0
.LBB51_3670:
	s_wait_xcnt 0x0
	s_or_b32 exec_lo, exec_lo, s8
	v_add_nc_u32_e32 v0, 0xe00, v103
	s_mov_b32 s8, exec_lo
                                        ; implicit-def: $vgpr80
	s_delay_alu instid0(VALU_DEP_1)
	v_cmpx_lt_i32_e64 v0, v8
	s_cbranch_execz .LBB51_3672
; %bb.3671:
	scratch_load_b64 v[2:3], off, s33 offset:56
	v_dual_mov_b32 v0, v15 :: v_dual_mov_b32 v1, v17
	s_swap_pc_i64 s[30:31], s[4:5]
	s_delay_alu instid0(VALU_DEP_1)
	v_mov_b32_e32 v80, v0
.LBB51_3672:
	s_wait_xcnt 0x0
	s_or_b32 exec_lo, exec_lo, s8
	v_or_b32_e32 v0, 0x1000, v103
	s_mov_b32 s8, exec_lo
                                        ; implicit-def: $vgpr70
	s_delay_alu instid0(VALU_DEP_1)
	v_cmpx_lt_i32_e64 v0, v8
	s_cbranch_execz .LBB51_3674
; %bb.3673:
	scratch_load_b64 v[2:3], off, s33 offset:64
	v_dual_mov_b32 v0, v15 :: v_dual_mov_b32 v1, v17
	s_swap_pc_i64 s[30:31], s[4:5]
	s_delay_alu instid0(VALU_DEP_1)
	v_mov_b32_e32 v70, v0
.LBB51_3674:
	s_wait_xcnt 0x0
	s_or_b32 exec_lo, exec_lo, s8
	v_add_nc_u32_e32 v0, 0x1200, v103
	s_mov_b32 s8, exec_lo
                                        ; implicit-def: $vgpr68
	s_delay_alu instid0(VALU_DEP_1)
	v_cmpx_lt_i32_e64 v0, v8
	s_cbranch_execz .LBB51_3676
; %bb.3675:
	scratch_load_b64 v[2:3], off, s33 offset:72
	v_dual_mov_b32 v0, v15 :: v_dual_mov_b32 v1, v17
	s_swap_pc_i64 s[30:31], s[4:5]
	s_delay_alu instid0(VALU_DEP_1)
	v_mov_b32_e32 v68, v0
.LBB51_3676:
	s_wait_xcnt 0x0
	s_or_b32 exec_lo, exec_lo, s8
	v_or_b32_e32 v0, 0x1400, v103
	s_mov_b32 s8, exec_lo
                                        ; implicit-def: $vgpr66
	s_delay_alu instid0(VALU_DEP_1)
	v_cmpx_lt_i32_e64 v0, v8
	s_cbranch_execz .LBB51_3678
; %bb.3677:
	scratch_load_b64 v[2:3], off, s33 offset:80
	v_dual_mov_b32 v0, v15 :: v_dual_mov_b32 v1, v17
	s_swap_pc_i64 s[30:31], s[4:5]
	s_delay_alu instid0(VALU_DEP_1)
	v_mov_b32_e32 v66, v0
.LBB51_3678:
	s_wait_xcnt 0x0
	s_or_b32 exec_lo, exec_lo, s8
	v_add_nc_u32_e32 v0, 0x1600, v103
	s_mov_b32 s8, exec_lo
                                        ; implicit-def: $vgpr64
	s_delay_alu instid0(VALU_DEP_1)
	v_cmpx_lt_i32_e64 v0, v8
	s_cbranch_execz .LBB51_3680
; %bb.3679:
	scratch_load_b64 v[2:3], off, s33 offset:88
	v_dual_mov_b32 v0, v15 :: v_dual_mov_b32 v1, v17
	s_swap_pc_i64 s[30:31], s[4:5]
	s_delay_alu instid0(VALU_DEP_1)
	v_mov_b32_e32 v64, v0
.LBB51_3680:
	s_wait_xcnt 0x0
	s_or_b32 exec_lo, exec_lo, s8
	v_or_b32_e32 v0, 0x1800, v103
	s_mov_b32 s8, exec_lo
                                        ; implicit-def: $vgpr54
	s_delay_alu instid0(VALU_DEP_1)
	v_cmpx_lt_i32_e64 v0, v8
	s_cbranch_execz .LBB51_3682
; %bb.3681:
	scratch_load_b64 v[2:3], off, s33 offset:96
	v_dual_mov_b32 v0, v15 :: v_dual_mov_b32 v1, v17
	s_swap_pc_i64 s[30:31], s[4:5]
	s_delay_alu instid0(VALU_DEP_1)
	v_mov_b32_e32 v54, v0
.LBB51_3682:
	s_wait_xcnt 0x0
	s_or_b32 exec_lo, exec_lo, s8
	v_add_nc_u32_e32 v0, 0x1a00, v103
	s_mov_b32 s8, exec_lo
                                        ; implicit-def: $vgpr52
	s_delay_alu instid0(VALU_DEP_1)
	v_cmpx_lt_i32_e64 v0, v8
	s_cbranch_execz .LBB51_3684
; %bb.3683:
	scratch_load_b64 v[2:3], off, s33 offset:104
	v_dual_mov_b32 v0, v15 :: v_dual_mov_b32 v1, v17
	s_swap_pc_i64 s[30:31], s[4:5]
	s_delay_alu instid0(VALU_DEP_1)
	v_mov_b32_e32 v52, v0
.LBB51_3684:
	s_wait_xcnt 0x0
	s_or_b32 exec_lo, exec_lo, s8
	v_or_b32_e32 v0, 0x1c00, v103
	s_mov_b32 s8, exec_lo
                                        ; implicit-def: $vgpr50
	s_delay_alu instid0(VALU_DEP_1)
	v_cmpx_lt_i32_e64 v0, v8
	s_cbranch_execz .LBB51_3686
; %bb.3685:
	scratch_load_b64 v[2:3], off, s33 offset:112
	v_dual_mov_b32 v0, v15 :: v_dual_mov_b32 v1, v17
	s_swap_pc_i64 s[30:31], s[4:5]
	s_delay_alu instid0(VALU_DEP_1)
	v_mov_b32_e32 v50, v0
.LBB51_3686:
	s_wait_xcnt 0x0
	s_or_b32 exec_lo, exec_lo, s8
	v_add_nc_u32_e32 v0, 0x1e00, v103
	s_mov_b32 s8, exec_lo
                                        ; implicit-def: $vgpr48
	s_delay_alu instid0(VALU_DEP_1)
	v_cmpx_lt_i32_e64 v0, v8
	s_cbranch_execz .LBB51_3688
; %bb.3687:
	scratch_load_b64 v[2:3], off, s33 offset:120
	v_dual_mov_b32 v0, v15 :: v_dual_mov_b32 v1, v17
	s_swap_pc_i64 s[30:31], s[4:5]
	s_delay_alu instid0(VALU_DEP_1)
	v_mov_b32_e32 v48, v0
.LBB51_3688:
	s_wait_xcnt 0x0
	s_or_b32 exec_lo, exec_lo, s8
	v_or_b32_e32 v0, 0x2000, v103
	s_mov_b32 s8, exec_lo
                                        ; implicit-def: $vgpr38
	s_delay_alu instid0(VALU_DEP_1)
	v_cmpx_lt_i32_e64 v0, v8
	s_cbranch_execz .LBB51_3690
; %bb.3689:
	scratch_load_b64 v[2:3], off, s33 offset:128
	v_dual_mov_b32 v0, v15 :: v_dual_mov_b32 v1, v17
	s_swap_pc_i64 s[30:31], s[4:5]
	s_delay_alu instid0(VALU_DEP_1)
	v_mov_b32_e32 v38, v0
.LBB51_3690:
	s_wait_xcnt 0x0
	s_or_b32 exec_lo, exec_lo, s8
	v_add_nc_u32_e32 v0, 0x2200, v103
	s_mov_b32 s8, exec_lo
                                        ; implicit-def: $vgpr36
	s_delay_alu instid0(VALU_DEP_1)
	v_cmpx_lt_i32_e64 v0, v8
	s_cbranch_execz .LBB51_3692
; %bb.3691:
	scratch_load_b64 v[2:3], off, s33 offset:136
	v_dual_mov_b32 v0, v15 :: v_dual_mov_b32 v1, v17
	s_swap_pc_i64 s[30:31], s[4:5]
	s_delay_alu instid0(VALU_DEP_1)
	v_mov_b32_e32 v36, v0
.LBB51_3692:
	s_wait_xcnt 0x0
	s_or_b32 exec_lo, exec_lo, s8
	v_or_b32_e32 v0, 0x2400, v103
	s_mov_b32 s8, exec_lo
                                        ; implicit-def: $vgpr34
	s_delay_alu instid0(VALU_DEP_1)
	v_cmpx_lt_i32_e64 v0, v8
	s_cbranch_execz .LBB51_3694
; %bb.3693:
	scratch_load_b64 v[2:3], off, s33 offset:144
	v_dual_mov_b32 v0, v15 :: v_dual_mov_b32 v1, v17
	s_swap_pc_i64 s[30:31], s[4:5]
	s_delay_alu instid0(VALU_DEP_1)
	v_mov_b32_e32 v34, v0
.LBB51_3694:
	s_wait_xcnt 0x0
	s_or_b32 exec_lo, exec_lo, s8
	v_add_nc_u32_e32 v0, 0x2600, v103
	s_mov_b32 s8, exec_lo
                                        ; implicit-def: $vgpr32
	s_delay_alu instid0(VALU_DEP_1)
	v_cmpx_lt_i32_e64 v0, v8
	s_cbranch_execz .LBB51_3696
; %bb.3695:
	scratch_load_b64 v[2:3], off, s33 offset:152
	v_dual_mov_b32 v0, v15 :: v_dual_mov_b32 v1, v17
	s_swap_pc_i64 s[30:31], s[4:5]
	s_delay_alu instid0(VALU_DEP_1)
	v_mov_b32_e32 v32, v0
.LBB51_3696:
	s_wait_xcnt 0x0
	s_or_b32 exec_lo, exec_lo, s8
	v_or_b32_e32 v0, 0x2800, v103
	s_mov_b32 s8, exec_lo
                                        ; implicit-def: $vgpr30
	s_delay_alu instid0(VALU_DEP_1)
	v_cmpx_lt_i32_e64 v0, v8
	s_cbranch_execz .LBB51_3698
; %bb.3697:
	scratch_load_b64 v[2:3], off, s33 offset:160
	v_dual_mov_b32 v0, v15 :: v_dual_mov_b32 v1, v17
	s_swap_pc_i64 s[30:31], s[4:5]
	s_delay_alu instid0(VALU_DEP_1)
	v_mov_b32_e32 v30, v0
.LBB51_3698:
	s_wait_xcnt 0x0
	s_or_b32 exec_lo, exec_lo, s8
	v_add_nc_u32_e32 v0, 0x2a00, v103
	s_mov_b32 s8, exec_lo
                                        ; implicit-def: $vgpr28
	s_delay_alu instid0(VALU_DEP_1)
	v_cmpx_lt_i32_e64 v0, v8
	s_cbranch_execz .LBB51_3700
; %bb.3699:
	scratch_load_b64 v[2:3], off, s33 offset:168
	v_dual_mov_b32 v0, v15 :: v_dual_mov_b32 v1, v17
	s_swap_pc_i64 s[30:31], s[4:5]
	s_delay_alu instid0(VALU_DEP_1)
	v_mov_b32_e32 v28, v0
.LBB51_3700:
	s_wait_xcnt 0x0
	s_or_b32 exec_lo, exec_lo, s8
	v_or_b32_e32 v0, 0x2c00, v103
	s_mov_b32 s8, exec_lo
                                        ; implicit-def: $vgpr26
	s_delay_alu instid0(VALU_DEP_1)
	v_cmpx_lt_i32_e64 v0, v8
	s_cbranch_execz .LBB51_3702
; %bb.3701:
	scratch_load_b64 v[2:3], off, s33 offset:176
	v_dual_mov_b32 v0, v15 :: v_dual_mov_b32 v1, v17
	s_swap_pc_i64 s[30:31], s[4:5]
	s_delay_alu instid0(VALU_DEP_1)
	v_mov_b32_e32 v26, v0
.LBB51_3702:
	s_wait_xcnt 0x0
	s_or_b32 exec_lo, exec_lo, s8
	v_add_nc_u32_e32 v0, 0x2e00, v103
	s_mov_b32 s8, exec_lo
                                        ; implicit-def: $vgpr24
	s_delay_alu instid0(VALU_DEP_1)
	v_cmpx_lt_i32_e64 v0, v8
	s_cbranch_execz .LBB51_3704
; %bb.3703:
	scratch_load_b64 v[2:3], off, s33 offset:184
	v_dual_mov_b32 v0, v15 :: v_dual_mov_b32 v1, v17
	s_swap_pc_i64 s[30:31], s[4:5]
	s_delay_alu instid0(VALU_DEP_1)
	v_mov_b32_e32 v24, v0
.LBB51_3704:
	s_wait_xcnt 0x0
	s_or_b32 exec_lo, exec_lo, s8
	v_or_b32_e32 v0, 0x3000, v103
	s_mov_b32 s8, exec_lo
                                        ; implicit-def: $vgpr22
	s_delay_alu instid0(VALU_DEP_1)
	v_cmpx_lt_i32_e64 v0, v8
	s_cbranch_execz .LBB51_3706
; %bb.3705:
	scratch_load_b64 v[2:3], off, s33 offset:192
	v_dual_mov_b32 v0, v15 :: v_dual_mov_b32 v1, v17
	s_swap_pc_i64 s[30:31], s[4:5]
	s_delay_alu instid0(VALU_DEP_1)
	v_mov_b32_e32 v22, v0
.LBB51_3706:
	s_wait_xcnt 0x0
	s_or_b32 exec_lo, exec_lo, s8
	v_add_nc_u32_e32 v0, 0x3200, v103
	s_mov_b32 s8, exec_lo
                                        ; implicit-def: $vgpr20
	s_delay_alu instid0(VALU_DEP_1)
	v_cmpx_lt_i32_e64 v0, v8
	s_cbranch_execz .LBB51_3708
; %bb.3707:
	scratch_load_b64 v[2:3], off, s33 offset:200
	v_dual_mov_b32 v0, v15 :: v_dual_mov_b32 v1, v17
	s_swap_pc_i64 s[30:31], s[4:5]
	s_delay_alu instid0(VALU_DEP_1)
	v_mov_b32_e32 v20, v0
.LBB51_3708:
	s_wait_xcnt 0x0
	s_or_b32 exec_lo, exec_lo, s8
	v_or_b32_e32 v0, 0x3400, v103
	s_mov_b32 s8, exec_lo
                                        ; implicit-def: $vgpr18
	s_delay_alu instid0(VALU_DEP_1)
	v_cmpx_lt_i32_e64 v0, v8
	s_cbranch_execz .LBB51_3710
; %bb.3709:
	scratch_load_b64 v[2:3], off, s33 offset:208
	v_dual_mov_b32 v0, v15 :: v_dual_mov_b32 v1, v17
	s_swap_pc_i64 s[30:31], s[4:5]
	s_delay_alu instid0(VALU_DEP_1)
	v_mov_b32_e32 v18, v0
.LBB51_3710:
	s_wait_xcnt 0x0
	s_or_b32 exec_lo, exec_lo, s8
	v_add_nc_u32_e32 v0, 0x3600, v103
	s_mov_b32 s8, exec_lo
                                        ; implicit-def: $vgpr16
	s_delay_alu instid0(VALU_DEP_1)
	v_cmpx_lt_i32_e64 v0, v8
	s_cbranch_execz .LBB51_3712
; %bb.3711:
	scratch_load_b64 v[2:3], off, s33 offset:216
	v_dual_mov_b32 v0, v15 :: v_dual_mov_b32 v1, v17
	s_swap_pc_i64 s[30:31], s[4:5]
	s_delay_alu instid0(VALU_DEP_1)
	v_mov_b32_e32 v16, v0
.LBB51_3712:
	s_wait_xcnt 0x0
	s_or_b32 exec_lo, exec_lo, s8
	v_or_b32_e32 v0, 0x3800, v103
	s_mov_b32 s8, exec_lo
                                        ; implicit-def: $vgpr112
	s_delay_alu instid0(VALU_DEP_1)
	v_cmpx_lt_i32_e64 v0, v8
	s_cbranch_execz .LBB51_3714
; %bb.3713:
	scratch_load_b64 v[2:3], off, s33 offset:224
	v_dual_mov_b32 v0, v15 :: v_dual_mov_b32 v1, v17
	s_swap_pc_i64 s[30:31], s[4:5]
	s_delay_alu instid0(VALU_DEP_1)
	v_mov_b32_e32 v112, v0
.LBB51_3714:
	s_wait_xcnt 0x0
	s_or_b32 exec_lo, exec_lo, s8
	v_add_nc_u32_e32 v0, 0x3a00, v103
	s_mov_b32 s8, exec_lo
                                        ; implicit-def: $vgpr116
	s_delay_alu instid0(VALU_DEP_1)
	v_cmpx_lt_i32_e64 v0, v8
	s_cbranch_execz .LBB51_3716
; %bb.3715:
	scratch_load_b64 v[2:3], off, s33 offset:232
	v_dual_mov_b32 v0, v15 :: v_dual_mov_b32 v1, v17
	s_swap_pc_i64 s[30:31], s[4:5]
	s_delay_alu instid0(VALU_DEP_1)
	v_mov_b32_e32 v116, v0
.LBB51_3716:
	s_wait_xcnt 0x0
	s_or_b32 exec_lo, exec_lo, s8
	v_or_b32_e32 v0, 0x3c00, v103
	s_mov_b32 s8, exec_lo
                                        ; implicit-def: $vgpr10
	s_delay_alu instid0(VALU_DEP_1)
	v_cmpx_lt_i32_e64 v0, v8
	s_cbranch_execz .LBB51_3718
; %bb.3717:
	scratch_load_b64 v[2:3], off, s33 offset:240
	v_dual_mov_b32 v0, v15 :: v_dual_mov_b32 v1, v17
	s_swap_pc_i64 s[30:31], s[4:5]
	s_delay_alu instid0(VALU_DEP_1)
	v_mov_b32_e32 v10, v0
.LBB51_3718:
	s_wait_xcnt 0x0
	s_or_b32 exec_lo, exec_lo, s8
	v_add_nc_u32_e32 v0, 0x3e00, v103
	s_delay_alu instid0(VALU_DEP_1)
	v_cmp_lt_i32_e32 vcc_lo, v0, v8
                                        ; implicit-def: $vgpr0
	s_and_saveexec_b32 s8, vcc_lo
	s_cbranch_execz .LBB51_3720
; %bb.3719:
	scratch_load_b64 v[2:3], off, s33 offset:248
	v_dual_mov_b32 v0, v15 :: v_dual_mov_b32 v1, v17
	s_swap_pc_i64 s[30:31], s[4:5]
.LBB51_3720:
	s_wait_xcnt 0x0
	s_or_b32 exec_lo, exec_lo, s8
	s_mov_b32 s8, -1
	s_mov_b32 s5, 0
	s_mov_b32 s4, 0
	;; [unrolled: 1-line block ×3, first 2 shown]
	s_and_saveexec_b32 s0, s2
	s_delay_alu instid0(SALU_CYCLE_1)
	s_xor_b32 s2, exec_lo, s0
	s_cbranch_execz .LBB51_3846
; %bb.3721:
	v_dual_mov_b32 v3, 0 :: v_dual_bitop2_b32 v1, s3, v103 bitop3:0x54
	s_mov_b32 s0, 0
	s_mov_b32 s8, 0
	s_mov_b32 s4, exec_lo
	s_delay_alu instid0(VALU_DEP_1) | instskip(SKIP_1) | instid1(VALU_DEP_2)
	v_mul_lo_u32 v2, v1, v14
	v_and_b32_e32 v1, 0xff, v13
	v_add_nc_u64_e32 v[2:3], v[114:115], v[2:3]
	s_delay_alu instid0(VALU_DEP_2)
	v_cmpx_lt_i16_e32 10, v1
	s_xor_b32 s4, exec_lo, s4
	s_cbranch_execz .LBB51_3803
; %bb.3722:
	s_mov_b32 s9, 0
	s_mov_b32 s10, exec_lo
	v_cmpx_lt_i16_e32 25, v1
	s_xor_b32 s10, exec_lo, s10
	s_cbranch_execz .LBB51_3758
; %bb.3723:
	s_mov_b32 s11, 0
	s_mov_b32 s8, exec_lo
	v_cmpx_lt_i16_e32 28, v1
	s_xor_b32 s8, exec_lo, s8
	s_cbranch_execz .LBB51_3741
; %bb.3724:
	s_mov_b32 s13, 0
	s_mov_b32 s12, 0
	s_mov_b32 s9, exec_lo
	v_cmpx_lt_i16_e32 43, v1
	s_xor_b32 s9, exec_lo, s9
	s_cbranch_execz .LBB51_3736
; %bb.3725:
	s_mov_b32 s0, exec_lo
	v_cmpx_lt_i16_e32 45, v1
	s_xor_b32 s0, exec_lo, s0
	s_cbranch_execz .LBB51_3729
; %bb.3726:
	s_mov_b32 s13, -1
	s_mov_b32 s14, 0
	s_mov_b32 s12, exec_lo
	v_cmpx_eq_u16_e32 46, v1
	s_cbranch_execz .LBB51_3728
; %bb.3727:
	v_bfe_u32 v1, v102, 16, 1
	v_cmp_o_f32_e32 vcc_lo, v102, v102
	s_mov_b32 s11, exec_lo
	s_and_b32 s14, s1, exec_lo
	s_xor_b32 s13, exec_lo, -1
	v_add3_u32 v1, v102, v1, 0x7fff
	s_delay_alu instid0(VALU_DEP_1) | instskip(NEXT) | instid1(VALU_DEP_1)
	v_lshrrev_b32_e32 v1, 16, v1
	v_cndmask_b32_e32 v1, 0x7fc0, v1, vcc_lo
	flat_store_b32 v[2:3], v1
.LBB51_3728:
	s_wait_xcnt 0x0
	s_or_b32 exec_lo, exec_lo, s12
	s_delay_alu instid0(SALU_CYCLE_1)
	s_and_b32 s12, s14, exec_lo
	s_and_b32 s13, s13, exec_lo
	;; [unrolled: 1-line block ×3, first 2 shown]
                                        ; implicit-def: $vgpr1
                                        ; implicit-def: $vgpr2_vgpr3
                                        ; implicit-def: $vgpr102
.LBB51_3729:
	s_and_not1_saveexec_b32 s14, s0
	s_cbranch_execz .LBB51_3735
; %bb.3730:
	s_mov_b32 s16, -1
	s_mov_b32 s0, s11
	s_mov_b32 s17, s12
	s_mov_b32 s15, exec_lo
	v_cmpx_eq_u16_e32 44, v1
	s_cbranch_execz .LBB51_3734
; %bb.3731:
	v_bfe_u32 v4, v102, 23, 8
	v_mov_b32_e32 v1, 0xff
	s_mov_b32 s16, exec_lo
	s_delay_alu instid0(VALU_DEP_2)
	v_cmpx_ne_u32_e32 0xff, v4
	s_cbranch_execz .LBB51_3733
; %bb.3732:
	v_and_b32_e32 v1, 0x400000, v102
	v_and_or_b32 v4, 0x3fffff, v102, v4
	s_delay_alu instid0(VALU_DEP_2) | instskip(NEXT) | instid1(VALU_DEP_2)
	v_cmp_ne_u32_e32 vcc_lo, 0, v1
	v_cmp_ne_u32_e64 s0, 0, v4
	v_lshrrev_b32_e32 v1, 23, v102
	s_and_b32 s0, vcc_lo, s0
	s_delay_alu instid0(SALU_CYCLE_1) | instskip(NEXT) | instid1(VALU_DEP_1)
	v_cndmask_b32_e64 v4, 0, 1, s0
	v_add_nc_u32_e32 v1, v1, v4
.LBB51_3733:
	s_or_b32 exec_lo, exec_lo, s16
	s_delay_alu instid0(SALU_CYCLE_1)
	s_and_not1_b32 s0, s12, exec_lo
	s_and_b32 s16, s1, exec_lo
	flat_store_b8 v[2:3], v1
	s_or_b32 s17, s0, s16
	s_xor_b32 s16, exec_lo, -1
	s_or_b32 s0, s11, exec_lo
.LBB51_3734:
	s_wait_xcnt 0x0
	s_or_b32 exec_lo, exec_lo, s15
	s_delay_alu instid0(SALU_CYCLE_1)
	s_and_not1_b32 s12, s12, exec_lo
	s_and_b32 s15, s17, exec_lo
	s_and_not1_b32 s13, s13, exec_lo
	s_or_b32 s12, s12, s15
	s_and_b32 s15, s16, exec_lo
	s_and_not1_b32 s11, s11, exec_lo
	s_and_b32 s0, s0, exec_lo
	s_or_b32 s13, s13, s15
	s_or_b32 s11, s11, s0
.LBB51_3735:
	s_or_b32 exec_lo, exec_lo, s14
	s_delay_alu instid0(SALU_CYCLE_1)
	s_and_b32 s12, s12, exec_lo
	s_and_b32 s13, s13, exec_lo
	;; [unrolled: 1-line block ×3, first 2 shown]
                                        ; implicit-def: $vgpr1
                                        ; implicit-def: $vgpr102
                                        ; implicit-def: $vgpr2_vgpr3
.LBB51_3736:
	s_and_not1_saveexec_b32 s9, s9
	s_cbranch_execz .LBB51_3740
; %bb.3737:
	s_mov_b32 s15, -1
	s_mov_b32 s14, s0
	s_mov_b32 s16, s12
	s_mov_b32 s11, exec_lo
	v_cmpx_eq_u16_e32 29, v1
	s_cbranch_execz .LBB51_3739
; %bb.3738:
	v_trunc_f32_e32 v1, v102
	s_and_not1_b32 s14, s12, exec_lo
	s_and_b32 s15, s1, exec_lo
	s_delay_alu instid0(SALU_CYCLE_1) | instskip(NEXT) | instid1(VALU_DEP_1)
	s_or_b32 s16, s14, s15
	v_mul_f32_e32 v4, 0x2f800000, v1
	s_xor_b32 s15, exec_lo, -1
	s_or_b32 s14, s0, exec_lo
	s_delay_alu instid0(VALU_DEP_1) | instskip(NEXT) | instid1(VALU_DEP_1)
	v_floor_f32_e32 v4, v4
	v_fmamk_f32 v1, v4, 0xcf800000, v1
	v_cvt_u32_f32_e32 v5, v4
	s_delay_alu instid0(VALU_DEP_2)
	v_cvt_u32_f32_e32 v4, v1
	flat_store_b64 v[2:3], v[4:5]
.LBB51_3739:
	s_wait_xcnt 0x0
	s_or_b32 exec_lo, exec_lo, s11
	s_delay_alu instid0(SALU_CYCLE_1)
	s_and_not1_b32 s11, s12, exec_lo
	s_and_b32 s12, s16, exec_lo
	s_and_not1_b32 s0, s0, exec_lo
	s_or_b32 s12, s11, s12
	s_and_not1_b32 s11, s13, exec_lo
	s_and_b32 s13, s15, exec_lo
	s_and_b32 s14, s14, exec_lo
	s_or_b32 s13, s11, s13
	s_or_b32 s0, s0, s14
.LBB51_3740:
	s_or_b32 exec_lo, exec_lo, s9
	s_delay_alu instid0(SALU_CYCLE_1)
	s_and_b32 s11, s12, exec_lo
	s_and_b32 s9, s13, exec_lo
	;; [unrolled: 1-line block ×3, first 2 shown]
                                        ; implicit-def: $vgpr2_vgpr3
                                        ; implicit-def: $vgpr1
                                        ; implicit-def: $vgpr102
.LBB51_3741:
	s_and_not1_saveexec_b32 s8, s8
	s_cbranch_execz .LBB51_3757
; %bb.3742:
	s_mov_b32 s12, exec_lo
	v_cmpx_lt_i16_e32 26, v1
	s_xor_b32 s12, exec_lo, s12
	s_cbranch_execz .LBB51_3748
; %bb.3743:
	v_cmp_lt_i16_e32 vcc_lo, 27, v1
	v_cvt_u32_f32_e32 v1, v102
	s_and_saveexec_b32 s13, vcc_lo
	s_delay_alu instid0(SALU_CYCLE_1)
	s_xor_b32 s13, exec_lo, s13
	s_cbranch_execz .LBB51_3745
; %bb.3744:
	flat_store_b32 v[2:3], v1
                                        ; implicit-def: $vgpr2_vgpr3
                                        ; implicit-def: $vgpr1
.LBB51_3745:
	s_wait_xcnt 0x0
	s_and_not1_saveexec_b32 s13, s13
	s_cbranch_execz .LBB51_3747
; %bb.3746:
	flat_store_b16 v[2:3], v1
.LBB51_3747:
	s_wait_xcnt 0x0
	s_or_b32 exec_lo, exec_lo, s13
                                        ; implicit-def: $vgpr2_vgpr3
                                        ; implicit-def: $vgpr102
.LBB51_3748:
	s_and_not1_saveexec_b32 s12, s12
	s_cbranch_execz .LBB51_3756
; %bb.3749:
	v_and_b32_e32 v1, 0x7fffffff, v102
	v_mov_b32_e32 v4, 0x80
	s_mov_b32 s13, exec_lo
	s_delay_alu instid0(VALU_DEP_2)
	v_cmpx_gt_u32_e32 0x43800000, v1
	s_cbranch_execz .LBB51_3755
; %bb.3750:
	v_cmp_lt_u32_e32 vcc_lo, 0x3bffffff, v1
	s_mov_b32 s14, 0
                                        ; implicit-def: $vgpr1
	s_and_saveexec_b32 s15, vcc_lo
	s_delay_alu instid0(SALU_CYCLE_1)
	s_xor_b32 s15, exec_lo, s15
	s_cbranch_execnz .LBB51_7879
; %bb.3751:
	s_and_not1_saveexec_b32 s15, s15
	s_cbranch_execnz .LBB51_7880
.LBB51_3752:
	s_or_b32 exec_lo, exec_lo, s15
	v_mov_b32_e32 v4, 0
	s_and_saveexec_b32 s15, s14
.LBB51_3753:
	v_lshrrev_b32_e32 v4, 24, v102
	s_delay_alu instid0(VALU_DEP_1)
	v_and_or_b32 v4, 0x80, v4, v1
.LBB51_3754:
	s_or_b32 exec_lo, exec_lo, s15
.LBB51_3755:
	s_delay_alu instid0(SALU_CYCLE_1)
	s_or_b32 exec_lo, exec_lo, s13
	flat_store_b8 v[2:3], v4
.LBB51_3756:
	s_wait_xcnt 0x0
	s_or_b32 exec_lo, exec_lo, s12
	s_delay_alu instid0(SALU_CYCLE_1)
	s_and_not1_b32 s11, s11, exec_lo
	s_and_b32 s12, s1, exec_lo
	s_or_b32 s0, s0, exec_lo
	s_or_b32 s11, s11, s12
.LBB51_3757:
	s_or_b32 exec_lo, exec_lo, s8
	s_delay_alu instid0(SALU_CYCLE_1)
	s_and_b32 s8, s11, exec_lo
	s_and_b32 s9, s9, exec_lo
	;; [unrolled: 1-line block ×3, first 2 shown]
                                        ; implicit-def: $vgpr1
                                        ; implicit-def: $vgpr102
                                        ; implicit-def: $vgpr2_vgpr3
.LBB51_3758:
	s_and_not1_saveexec_b32 s10, s10
	s_cbranch_execz .LBB51_3802
; %bb.3759:
	s_mov_b32 s12, s0
	s_mov_b32 s13, s8
	s_mov_b32 s11, exec_lo
	v_cmpx_lt_i16_e32 22, v1
	s_xor_b32 s11, exec_lo, s11
	s_cbranch_execz .LBB51_3791
; %bb.3760:
	s_mov_b32 s12, exec_lo
	v_cmpx_lt_i16_e32 23, v1
	s_xor_b32 s12, exec_lo, s12
	s_cbranch_execz .LBB51_3780
; %bb.3761:
	s_mov_b32 s13, exec_lo
	v_cmpx_lt_i16_e32 24, v1
	s_xor_b32 s13, exec_lo, s13
	s_cbranch_execz .LBB51_3769
; %bb.3762:
	v_and_b32_e32 v1, 0x7fffffff, v102
	v_mov_b32_e32 v4, 0x80
	s_mov_b32 s14, exec_lo
	s_delay_alu instid0(VALU_DEP_2)
	v_cmpx_gt_u32_e32 0x47800000, v1
	s_cbranch_execz .LBB51_3768
; %bb.3763:
	v_cmp_lt_u32_e32 vcc_lo, 0x37ffffff, v1
	s_mov_b32 s15, 0
                                        ; implicit-def: $vgpr1
	s_and_saveexec_b32 s16, vcc_lo
	s_delay_alu instid0(SALU_CYCLE_1)
	s_xor_b32 s16, exec_lo, s16
	s_cbranch_execnz .LBB51_7881
; %bb.3764:
	s_and_not1_saveexec_b32 s16, s16
	s_cbranch_execnz .LBB51_7882
.LBB51_3765:
	s_or_b32 exec_lo, exec_lo, s16
	v_mov_b32_e32 v4, 0
	s_and_saveexec_b32 s16, s15
.LBB51_3766:
	v_lshrrev_b32_e32 v4, 24, v102
	s_delay_alu instid0(VALU_DEP_1)
	v_and_or_b32 v4, 0x80, v4, v1
.LBB51_3767:
	s_or_b32 exec_lo, exec_lo, s16
.LBB51_3768:
	s_delay_alu instid0(SALU_CYCLE_1)
	s_or_b32 exec_lo, exec_lo, s14
	flat_store_b8 v[2:3], v4
                                        ; implicit-def: $vgpr102
                                        ; implicit-def: $vgpr2_vgpr3
.LBB51_3769:
	s_wait_xcnt 0x0
	s_and_not1_saveexec_b32 s13, s13
	s_cbranch_execz .LBB51_3779
; %bb.3770:
	v_and_b32_e32 v4, 0x7fffffff, v102
	s_mov_b32 s14, exec_lo
                                        ; implicit-def: $vgpr1
	s_delay_alu instid0(VALU_DEP_1)
	v_cmpx_gt_u32_e32 0x43f00000, v4
	s_xor_b32 s14, exec_lo, s14
	s_cbranch_execz .LBB51_3776
; %bb.3771:
	s_mov_b32 s15, exec_lo
                                        ; implicit-def: $vgpr1
	v_cmpx_lt_u32_e32 0x3c7fffff, v4
	s_xor_b32 s15, exec_lo, s15
; %bb.3772:
	v_bfe_u32 v1, v102, 20, 1
	s_delay_alu instid0(VALU_DEP_1) | instskip(NEXT) | instid1(VALU_DEP_1)
	v_add3_u32 v1, v102, v1, 0x407ffff
	v_and_b32_e32 v4, 0xff00000, v1
	v_lshrrev_b32_e32 v1, 20, v1
	s_delay_alu instid0(VALU_DEP_2) | instskip(NEXT) | instid1(VALU_DEP_2)
	v_cmp_ne_u32_e32 vcc_lo, 0x7f00000, v4
	v_cndmask_b32_e32 v1, 0x7e, v1, vcc_lo
; %bb.3773:
	s_and_not1_saveexec_b32 s15, s15
; %bb.3774:
	v_add_f32_e64 v1, 0x46800000, |v102|
; %bb.3775:
	s_or_b32 exec_lo, exec_lo, s15
                                        ; implicit-def: $vgpr4
.LBB51_3776:
	s_and_not1_saveexec_b32 s14, s14
; %bb.3777:
	v_mov_b32_e32 v1, 0x7f
	v_cmp_lt_u32_e32 vcc_lo, 0x7f800000, v4
	s_delay_alu instid0(VALU_DEP_2)
	v_cndmask_b32_e32 v1, 0x7e, v1, vcc_lo
; %bb.3778:
	s_or_b32 exec_lo, exec_lo, s14
	v_lshrrev_b32_e32 v4, 24, v102
	s_delay_alu instid0(VALU_DEP_1)
	v_and_or_b32 v1, 0x80, v4, v1
	flat_store_b8 v[2:3], v1
.LBB51_3779:
	s_wait_xcnt 0x0
	s_or_b32 exec_lo, exec_lo, s13
                                        ; implicit-def: $vgpr102
                                        ; implicit-def: $vgpr2_vgpr3
.LBB51_3780:
	s_and_not1_saveexec_b32 s12, s12
	s_cbranch_execz .LBB51_3790
; %bb.3781:
	v_and_b32_e32 v4, 0x7fffffff, v102
	s_mov_b32 s13, exec_lo
                                        ; implicit-def: $vgpr1
	s_delay_alu instid0(VALU_DEP_1)
	v_cmpx_gt_u32_e32 0x47800000, v4
	s_xor_b32 s13, exec_lo, s13
	s_cbranch_execz .LBB51_3787
; %bb.3782:
	s_mov_b32 s14, exec_lo
                                        ; implicit-def: $vgpr1
	v_cmpx_lt_u32_e32 0x387fffff, v4
	s_xor_b32 s14, exec_lo, s14
; %bb.3783:
	v_bfe_u32 v1, v102, 21, 1
	s_delay_alu instid0(VALU_DEP_1) | instskip(NEXT) | instid1(VALU_DEP_1)
	v_add3_u32 v1, v102, v1, 0x80fffff
	v_lshrrev_b32_e32 v1, 21, v1
; %bb.3784:
	s_and_not1_saveexec_b32 s14, s14
; %bb.3785:
	v_add_f32_e64 v1, 0x43000000, |v102|
; %bb.3786:
	s_or_b32 exec_lo, exec_lo, s14
                                        ; implicit-def: $vgpr4
.LBB51_3787:
	s_and_not1_saveexec_b32 s13, s13
; %bb.3788:
	v_mov_b32_e32 v1, 0x7f
	v_cmp_lt_u32_e32 vcc_lo, 0x7f800000, v4
	s_delay_alu instid0(VALU_DEP_2)
	v_cndmask_b32_e32 v1, 0x7c, v1, vcc_lo
; %bb.3789:
	s_or_b32 exec_lo, exec_lo, s13
	v_lshrrev_b32_e32 v4, 24, v102
	s_delay_alu instid0(VALU_DEP_1)
	v_and_or_b32 v1, 0x80, v4, v1
	flat_store_b8 v[2:3], v1
.LBB51_3790:
	s_wait_xcnt 0x0
	s_or_b32 exec_lo, exec_lo, s12
	s_delay_alu instid0(SALU_CYCLE_1) | instskip(SKIP_1) | instid1(SALU_CYCLE_1)
	s_and_not1_b32 s12, s8, exec_lo
	s_and_b32 s13, s1, exec_lo
                                        ; implicit-def: $vgpr1
                                        ; implicit-def: $vgpr102
                                        ; implicit-def: $vgpr2_vgpr3
	s_or_b32 s13, s12, s13
	s_or_b32 s12, s0, exec_lo
.LBB51_3791:
	s_or_saveexec_b32 s11, s11
	s_mov_b32 s14, s9
	s_xor_b32 exec_lo, exec_lo, s11
	s_cbranch_execz .LBB51_3801
; %bb.3792:
	s_mov_b32 s15, s12
	s_mov_b32 s16, s9
	;; [unrolled: 1-line block ×3, first 2 shown]
	s_mov_b32 s17, exec_lo
	v_cmpx_lt_i16_e32 14, v1
	s_xor_b32 s17, exec_lo, s17
	s_cbranch_execz .LBB51_3796
; %bb.3793:
	s_mov_b32 s16, -1
	s_mov_b32 s15, s12
	s_mov_b32 s18, s13
	s_mov_b32 s14, exec_lo
	v_cmpx_eq_u16_e32 15, v1
	s_cbranch_execz .LBB51_3795
; %bb.3794:
	v_bfe_u32 v1, v102, 16, 1
	v_cmp_o_f32_e32 vcc_lo, v102, v102
	s_and_not1_b32 s15, s13, exec_lo
	s_and_b32 s16, s1, exec_lo
	s_delay_alu instid0(SALU_CYCLE_1) | instskip(SKIP_3) | instid1(VALU_DEP_1)
	s_or_b32 s18, s15, s16
	v_add3_u32 v1, v102, v1, 0x7fff
	s_xor_b32 s16, exec_lo, -1
	s_or_b32 s15, s12, exec_lo
	v_lshrrev_b32_e32 v1, 16, v1
	s_delay_alu instid0(VALU_DEP_1)
	v_cndmask_b32_e32 v1, 0x7fc0, v1, vcc_lo
	flat_store_b16 v[2:3], v1
.LBB51_3795:
	s_wait_xcnt 0x0
	s_or_b32 exec_lo, exec_lo, s14
	s_delay_alu instid0(SALU_CYCLE_1)
	s_and_not1_b32 s14, s13, exec_lo
	s_and_b32 s18, s18, exec_lo
	s_and_b32 s16, s16, exec_lo
	s_or_b32 s14, s14, s18
	s_and_not1_b32 s18, s9, exec_lo
	s_and_not1_b32 s19, s12, exec_lo
	s_and_b32 s15, s15, exec_lo
	s_or_b32 s16, s18, s16
	s_or_b32 s15, s19, s15
                                        ; implicit-def: $vgpr1
                                        ; implicit-def: $vgpr102
                                        ; implicit-def: $vgpr2_vgpr3
.LBB51_3796:
	s_and_not1_saveexec_b32 s17, s17
	s_cbranch_execz .LBB51_3800
; %bb.3797:
	s_mov_b32 s19, -1
	s_mov_b32 s18, s15
	s_mov_b32 s21, s14
	s_mov_b32 s20, exec_lo
	v_cmpx_eq_u16_e32 11, v1
	s_cbranch_execz .LBB51_3799
; %bb.3798:
	v_cmp_neq_f32_e32 vcc_lo, 0, v102
	s_and_not1_b32 s18, s14, exec_lo
	s_and_b32 s19, s1, exec_lo
	s_delay_alu instid0(SALU_CYCLE_1)
	s_or_b32 s21, s18, s19
	v_cndmask_b32_e64 v1, 0, 1, vcc_lo
	s_xor_b32 s19, exec_lo, -1
	s_or_b32 s18, s15, exec_lo
	flat_store_b8 v[2:3], v1
.LBB51_3799:
	s_wait_xcnt 0x0
	s_or_b32 exec_lo, exec_lo, s20
	s_delay_alu instid0(SALU_CYCLE_1)
	s_and_not1_b32 s14, s14, exec_lo
	s_and_b32 s20, s21, exec_lo
	s_and_not1_b32 s16, s16, exec_lo
	s_and_b32 s19, s19, exec_lo
	;; [unrolled: 2-line block ×3, first 2 shown]
	s_or_b32 s14, s14, s20
	s_or_b32 s16, s16, s19
	;; [unrolled: 1-line block ×3, first 2 shown]
.LBB51_3800:
	s_or_b32 exec_lo, exec_lo, s17
	s_delay_alu instid0(SALU_CYCLE_1)
	s_and_not1_b32 s13, s13, exec_lo
	s_and_b32 s14, s14, exec_lo
	s_and_b32 s16, s16, exec_lo
	s_or_b32 s13, s13, s14
	s_and_not1_b32 s14, s9, exec_lo
	s_and_not1_b32 s12, s12, exec_lo
	s_and_b32 s15, s15, exec_lo
	s_or_b32 s14, s14, s16
	s_or_b32 s12, s12, s15
.LBB51_3801:
	s_or_b32 exec_lo, exec_lo, s11
	s_delay_alu instid0(SALU_CYCLE_1)
	s_and_not1_b32 s8, s8, exec_lo
	s_and_b32 s11, s13, exec_lo
	s_and_not1_b32 s9, s9, exec_lo
	s_or_b32 s8, s8, s11
	s_and_b32 s11, s14, exec_lo
	s_and_not1_b32 s0, s0, exec_lo
	s_and_b32 s12, s12, exec_lo
	s_or_b32 s9, s9, s11
	s_or_b32 s0, s0, s12
.LBB51_3802:
	s_or_b32 exec_lo, exec_lo, s10
	s_delay_alu instid0(SALU_CYCLE_1)
	s_and_b32 s10, s8, exec_lo
	s_and_b32 s8, s9, exec_lo
	;; [unrolled: 1-line block ×3, first 2 shown]
                                        ; implicit-def: $vgpr1
                                        ; implicit-def: $vgpr102
                                        ; implicit-def: $vgpr2_vgpr3
.LBB51_3803:
	s_and_not1_saveexec_b32 s4, s4
	s_cbranch_execz .LBB51_3845
; %bb.3804:
	s_mov_b32 s9, exec_lo
	v_cmpx_lt_i16_e32 4, v1
	s_xor_b32 s9, exec_lo, s9
	s_cbranch_execz .LBB51_3826
; %bb.3805:
	s_mov_b32 s11, exec_lo
	v_cmpx_lt_i16_e32 7, v1
	s_xor_b32 s11, exec_lo, s11
	;; [unrolled: 5-line block ×4, first 2 shown]
	s_cbranch_execz .LBB51_3809
; %bb.3808:
	v_cvt_f64_f32_e32 v[128:129], v102
	v_mov_b32_e32 v130, 0
                                        ; implicit-def: $vgpr102
	s_delay_alu instid0(VALU_DEP_1)
	v_mov_b32_e32 v131, v130
	flat_store_b128 v[2:3], v[128:131]
                                        ; implicit-def: $vgpr2_vgpr3
.LBB51_3809:
	s_wait_xcnt 0x0
	s_and_not1_saveexec_b32 s13, s13
	s_cbranch_execz .LBB51_3811
; %bb.3810:
	v_mov_b32_e32 v103, 0
	flat_store_b64 v[2:3], v[102:103]
.LBB51_3811:
	s_wait_xcnt 0x0
	s_or_b32 exec_lo, exec_lo, s13
                                        ; implicit-def: $vgpr102
                                        ; implicit-def: $vgpr2_vgpr3
.LBB51_3812:
	s_and_not1_saveexec_b32 s12, s12
	s_cbranch_execz .LBB51_3814
; %bb.3813:
	v_cvt_f16_f32_e32 v1, v102
	s_delay_alu instid0(VALU_DEP_1)
	v_and_b32_e32 v1, 0xffff, v1
	flat_store_b32 v[2:3], v1
.LBB51_3814:
	s_wait_xcnt 0x0
	s_or_b32 exec_lo, exec_lo, s12
                                        ; implicit-def: $vgpr102
                                        ; implicit-def: $vgpr2_vgpr3
                                        ; implicit-def: $vgpr1
.LBB51_3815:
	s_and_not1_saveexec_b32 s11, s11
	s_cbranch_execz .LBB51_3825
; %bb.3816:
	s_mov_b32 s12, exec_lo
	v_cmpx_lt_i16_e32 5, v1
	s_xor_b32 s12, exec_lo, s12
	s_cbranch_execz .LBB51_3822
; %bb.3817:
	s_mov_b32 s13, exec_lo
	v_cmpx_lt_i16_e32 6, v1
	s_xor_b32 s13, exec_lo, s13
	s_cbranch_execz .LBB51_3819
; %bb.3818:
	v_cvt_f64_f32_e32 v[4:5], v102
                                        ; implicit-def: $vgpr102
	flat_store_b64 v[2:3], v[4:5]
                                        ; implicit-def: $vgpr2_vgpr3
.LBB51_3819:
	s_wait_xcnt 0x0
	s_and_not1_saveexec_b32 s13, s13
	s_cbranch_execz .LBB51_3821
; %bb.3820:
	flat_store_b32 v[2:3], v102
.LBB51_3821:
	s_wait_xcnt 0x0
	s_or_b32 exec_lo, exec_lo, s13
                                        ; implicit-def: $vgpr102
                                        ; implicit-def: $vgpr2_vgpr3
.LBB51_3822:
	s_and_not1_saveexec_b32 s12, s12
	s_cbranch_execz .LBB51_3824
; %bb.3823:
	v_cvt_f16_f32_e32 v1, v102
	flat_store_b16 v[2:3], v1
.LBB51_3824:
	s_wait_xcnt 0x0
	s_or_b32 exec_lo, exec_lo, s12
.LBB51_3825:
	s_delay_alu instid0(SALU_CYCLE_1)
	s_or_b32 exec_lo, exec_lo, s11
                                        ; implicit-def: $vgpr1
                                        ; implicit-def: $vgpr102
                                        ; implicit-def: $vgpr2_vgpr3
.LBB51_3826:
	s_and_not1_saveexec_b32 s9, s9
	s_cbranch_execz .LBB51_3844
; %bb.3827:
	s_mov_b32 s11, exec_lo
	v_cmpx_lt_i16_e32 1, v1
	s_xor_b32 s11, exec_lo, s11
	s_cbranch_execz .LBB51_3837
; %bb.3828:
	s_mov_b32 s12, exec_lo
	v_cmpx_lt_i16_e32 2, v1
	s_xor_b32 s12, exec_lo, s12
	;; [unrolled: 5-line block ×3, first 2 shown]
	s_cbranch_execz .LBB51_3831
; %bb.3830:
	v_trunc_f32_e32 v1, v102
	s_delay_alu instid0(VALU_DEP_1) | instskip(NEXT) | instid1(VALU_DEP_1)
	v_mul_f32_e64 v4, 0x2f800000, |v1|
	v_floor_f32_e32 v5, v4
	v_ashrrev_i32_e32 v4, 31, v1
	s_delay_alu instid0(VALU_DEP_2) | instskip(SKIP_1) | instid1(VALU_DEP_3)
	v_fma_f32 v6, 0xcf800000, v5, |v1|
	v_cvt_u32_f32_e32 v1, v5
	v_mov_b32_e32 v5, v4
	s_delay_alu instid0(VALU_DEP_3) | instskip(NEXT) | instid1(VALU_DEP_3)
	v_cvt_u32_f32_e32 v6, v6
	v_xor_b32_e32 v103, v1, v4
	s_delay_alu instid0(VALU_DEP_2) | instskip(NEXT) | instid1(VALU_DEP_1)
	v_xor_b32_e32 v102, v6, v4
	v_sub_nc_u64_e32 v[4:5], v[102:103], v[4:5]
                                        ; implicit-def: $vgpr102
	flat_store_b64 v[2:3], v[4:5]
                                        ; implicit-def: $vgpr2_vgpr3
.LBB51_3831:
	s_wait_xcnt 0x0
	s_and_not1_saveexec_b32 s13, s13
	s_cbranch_execz .LBB51_3833
; %bb.3832:
	v_cvt_i32_f32_e32 v1, v102
	flat_store_b32 v[2:3], v1
.LBB51_3833:
	s_wait_xcnt 0x0
	s_or_b32 exec_lo, exec_lo, s13
                                        ; implicit-def: $vgpr102
                                        ; implicit-def: $vgpr2_vgpr3
.LBB51_3834:
	s_and_not1_saveexec_b32 s12, s12
	s_cbranch_execz .LBB51_3836
; %bb.3835:
	v_cvt_i32_f32_e32 v1, v102
	flat_store_b16 v[2:3], v1
.LBB51_3836:
	s_wait_xcnt 0x0
	s_or_b32 exec_lo, exec_lo, s12
                                        ; implicit-def: $vgpr102
                                        ; implicit-def: $vgpr2_vgpr3
                                        ; implicit-def: $vgpr1
.LBB51_3837:
	s_and_not1_saveexec_b32 s11, s11
	s_cbranch_execz .LBB51_3843
; %bb.3838:
	s_mov_b32 s12, exec_lo
	v_cmpx_lt_i16_e32 0, v1
	s_xor_b32 s12, exec_lo, s12
	s_cbranch_execz .LBB51_3840
; %bb.3839:
	v_cvt_i32_f32_e32 v1, v102
                                        ; implicit-def: $vgpr102
	flat_store_b8 v[2:3], v1
                                        ; implicit-def: $vgpr2_vgpr3
.LBB51_3840:
	s_wait_xcnt 0x0
	s_and_not1_saveexec_b32 s12, s12
	s_cbranch_execz .LBB51_3842
; %bb.3841:
	v_trunc_f32_e32 v1, v102
	s_delay_alu instid0(VALU_DEP_1) | instskip(NEXT) | instid1(VALU_DEP_1)
	v_mul_f32_e64 v4, 0x2f800000, |v1|
	v_floor_f32_e32 v4, v4
	s_delay_alu instid0(VALU_DEP_1) | instskip(SKIP_1) | instid1(VALU_DEP_2)
	v_fma_f32 v4, 0xcf800000, v4, |v1|
	v_ashrrev_i32_e32 v1, 31, v1
	v_cvt_u32_f32_e32 v4, v4
	s_delay_alu instid0(VALU_DEP_1) | instskip(NEXT) | instid1(VALU_DEP_1)
	v_xor_b32_e32 v4, v4, v1
	v_sub_nc_u32_e32 v1, v4, v1
	flat_store_b8 v[2:3], v1
.LBB51_3842:
	s_wait_xcnt 0x0
	s_or_b32 exec_lo, exec_lo, s12
.LBB51_3843:
	s_delay_alu instid0(SALU_CYCLE_1)
	s_or_b32 exec_lo, exec_lo, s11
.LBB51_3844:
	s_delay_alu instid0(SALU_CYCLE_1) | instskip(NEXT) | instid1(SALU_CYCLE_1)
	s_or_b32 exec_lo, exec_lo, s9
	s_and_not1_b32 s9, s10, exec_lo
	s_and_b32 s1, s1, exec_lo
	s_or_b32 s0, s0, exec_lo
	s_or_b32 s10, s9, s1
.LBB51_3845:
	s_or_b32 exec_lo, exec_lo, s4
	v_mov_b32_e32 v103, v7
	s_and_b32 s10, s10, exec_lo
	s_and_b32 s4, s8, exec_lo
	s_or_not1_b32 s8, s0, exec_lo
.LBB51_3846:
	s_or_b32 exec_lo, exec_lo, s2
	s_mov_b32 s9, 0
	s_mov_b32 s0, 0
                                        ; implicit-def: $vgpr4
                                        ; implicit-def: $vgpr2_vgpr3
	s_and_saveexec_b32 s1, s8
	s_cbranch_execnz .LBB51_3850
; %bb.3847:
	s_or_b32 exec_lo, exec_lo, s1
	s_mov_b32 s1, 0
	s_and_saveexec_b32 s2, s4
	s_cbranch_execnz .LBB51_7831
.LBB51_3848:
	s_or_b32 exec_lo, exec_lo, s2
	s_and_saveexec_b32 s2, s5
	s_delay_alu instid0(SALU_CYCLE_1)
	s_xor_b32 s2, exec_lo, s2
	s_cbranch_execnz .LBB51_7832
.LBB51_3849:
	s_or_b32 exec_lo, exec_lo, s2
	s_and_saveexec_b32 s2, s9
	s_cbranch_execnz .LBB51_7833
	s_branch .LBB51_7874
.LBB51_3850:
	s_mov_b32 s12, -1
	s_mov_b32 s8, 0
	s_mov_b32 s2, s4
	s_and_saveexec_b32 s5, s10
	s_cbranch_execz .LBB51_3978
; %bb.3851:
	v_dual_add_nc_u32 v1, s3, v103 :: v_dual_mov_b32 v3, 0
	s_mov_b32 s9, s4
	s_mov_b32 s2, exec_lo
	s_delay_alu instid0(VALU_DEP_1) | instskip(SKIP_1) | instid1(VALU_DEP_2)
	v_mul_lo_u32 v2, v1, v14
	v_and_b32_e32 v1, 0xff, v13
	v_add_nc_u64_e32 v[2:3], v[114:115], v[2:3]
	s_delay_alu instid0(VALU_DEP_2)
	v_cmpx_lt_i16_e32 10, v1
	s_xor_b32 s2, exec_lo, s2
	s_cbranch_execz .LBB51_3933
; %bb.3852:
	s_mov_b32 s9, s4
	s_mov_b32 s10, exec_lo
	v_cmpx_lt_i16_e32 25, v1
	s_xor_b32 s10, exec_lo, s10
	s_cbranch_execz .LBB51_3888
; %bb.3853:
	s_mov_b32 s11, s4
	s_mov_b32 s9, exec_lo
	;; [unrolled: 6-line block ×3, first 2 shown]
	v_cmpx_lt_i16_e32 43, v1
	s_xor_b32 s11, exec_lo, s11
	s_cbranch_execz .LBB51_3866
; %bb.3855:
	s_mov_b32 s12, 0
	s_mov_b32 s13, s4
	s_mov_b32 s0, exec_lo
	v_cmpx_lt_i16_e32 45, v1
	s_xor_b32 s0, exec_lo, s0
	s_cbranch_execz .LBB51_3859
; %bb.3856:
	s_mov_b32 s14, -1
	s_mov_b32 s13, exec_lo
	v_cmpx_eq_u16_e32 46, v1
	s_cbranch_execz .LBB51_3858
; %bb.3857:
	v_bfe_u32 v1, v100, 16, 1
	v_cmp_o_f32_e32 vcc_lo, v100, v100
	s_mov_b32 s12, exec_lo
	s_xor_b32 s14, exec_lo, -1
	s_delay_alu instid0(VALU_DEP_2) | instskip(NEXT) | instid1(VALU_DEP_1)
	v_add3_u32 v1, v100, v1, 0x7fff
	v_lshrrev_b32_e32 v1, 16, v1
	s_delay_alu instid0(VALU_DEP_1)
	v_cndmask_b32_e32 v1, 0x7fc0, v1, vcc_lo
	flat_store_b32 v[2:3], v1
.LBB51_3858:
	s_wait_xcnt 0x0
	s_or_b32 exec_lo, exec_lo, s13
	s_delay_alu instid0(SALU_CYCLE_1)
	s_and_not1_b32 s13, s4, exec_lo
	s_and_b32 s14, s14, exec_lo
	s_and_b32 s12, s12, exec_lo
	s_or_b32 s13, s13, s14
                                        ; implicit-def: $vgpr1
                                        ; implicit-def: $vgpr2_vgpr3
                                        ; implicit-def: $vgpr100
.LBB51_3859:
	s_and_not1_saveexec_b32 s14, s0
	s_cbranch_execz .LBB51_3865
; %bb.3860:
	s_mov_b32 s16, -1
	s_mov_b32 s0, s12
	s_mov_b32 s15, exec_lo
	v_cmpx_eq_u16_e32 44, v1
	s_cbranch_execz .LBB51_3864
; %bb.3861:
	v_bfe_u32 v4, v100, 23, 8
	v_mov_b32_e32 v1, 0xff
	s_mov_b32 s16, exec_lo
	s_delay_alu instid0(VALU_DEP_2)
	v_cmpx_ne_u32_e32 0xff, v4
	s_cbranch_execz .LBB51_3863
; %bb.3862:
	v_and_b32_e32 v1, 0x400000, v100
	v_and_or_b32 v4, 0x3fffff, v100, v4
	s_delay_alu instid0(VALU_DEP_2) | instskip(NEXT) | instid1(VALU_DEP_2)
	v_cmp_ne_u32_e32 vcc_lo, 0, v1
	v_cmp_ne_u32_e64 s0, 0, v4
	v_lshrrev_b32_e32 v1, 23, v100
	s_and_b32 s0, vcc_lo, s0
	s_delay_alu instid0(SALU_CYCLE_1) | instskip(NEXT) | instid1(VALU_DEP_1)
	v_cndmask_b32_e64 v4, 0, 1, s0
	v_add_nc_u32_e32 v1, v1, v4
.LBB51_3863:
	s_or_b32 exec_lo, exec_lo, s16
	s_delay_alu instid0(SALU_CYCLE_1)
	s_xor_b32 s16, exec_lo, -1
	s_or_b32 s0, s12, exec_lo
	flat_store_b8 v[2:3], v1
.LBB51_3864:
	s_wait_xcnt 0x0
	s_or_b32 exec_lo, exec_lo, s15
	s_delay_alu instid0(SALU_CYCLE_1)
	s_and_not1_b32 s13, s13, exec_lo
	s_and_b32 s15, s16, exec_lo
	s_and_not1_b32 s12, s12, exec_lo
	s_and_b32 s0, s0, exec_lo
	s_or_b32 s13, s13, s15
	s_or_b32 s12, s12, s0
.LBB51_3865:
	s_or_b32 exec_lo, exec_lo, s14
	s_delay_alu instid0(SALU_CYCLE_1) | instskip(SKIP_1) | instid1(SALU_CYCLE_1)
	s_and_not1_b32 s0, s4, exec_lo
	s_and_b32 s13, s13, exec_lo
                                        ; implicit-def: $vgpr1
                                        ; implicit-def: $vgpr100
                                        ; implicit-def: $vgpr2_vgpr3
	s_or_b32 s13, s0, s13
	s_and_b32 s0, s12, exec_lo
.LBB51_3866:
	s_and_not1_saveexec_b32 s11, s11
	s_cbranch_execz .LBB51_3870
; %bb.3867:
	s_mov_b32 s15, -1
	s_mov_b32 s14, s0
	s_mov_b32 s12, exec_lo
	v_cmpx_eq_u16_e32 29, v1
	s_cbranch_execz .LBB51_3869
; %bb.3868:
	v_trunc_f32_e32 v1, v100
	s_xor_b32 s15, exec_lo, -1
	s_or_b32 s14, s0, exec_lo
	s_delay_alu instid0(VALU_DEP_1) | instskip(NEXT) | instid1(VALU_DEP_1)
	v_mul_f32_e32 v4, 0x2f800000, v1
	v_floor_f32_e32 v4, v4
	s_delay_alu instid0(VALU_DEP_1) | instskip(SKIP_1) | instid1(VALU_DEP_2)
	v_fmamk_f32 v1, v4, 0xcf800000, v1
	v_cvt_u32_f32_e32 v5, v4
	v_cvt_u32_f32_e32 v4, v1
	flat_store_b64 v[2:3], v[4:5]
.LBB51_3869:
	s_wait_xcnt 0x0
	s_or_b32 exec_lo, exec_lo, s12
	s_delay_alu instid0(SALU_CYCLE_1)
	s_and_not1_b32 s12, s13, exec_lo
	s_and_b32 s13, s15, exec_lo
	s_and_not1_b32 s0, s0, exec_lo
	s_and_b32 s14, s14, exec_lo
	s_or_b32 s13, s12, s13
	s_or_b32 s0, s0, s14
.LBB51_3870:
	s_or_b32 exec_lo, exec_lo, s11
	s_delay_alu instid0(SALU_CYCLE_1)
	s_and_not1_b32 s11, s4, exec_lo
	s_and_b32 s12, s13, exec_lo
	s_and_b32 s0, s0, exec_lo
	s_or_b32 s11, s11, s12
                                        ; implicit-def: $vgpr2_vgpr3
                                        ; implicit-def: $vgpr1
                                        ; implicit-def: $vgpr100
.LBB51_3871:
	s_and_not1_saveexec_b32 s9, s9
	s_cbranch_execz .LBB51_3887
; %bb.3872:
	s_mov_b32 s12, exec_lo
	v_cmpx_lt_i16_e32 26, v1
	s_xor_b32 s12, exec_lo, s12
	s_cbranch_execz .LBB51_3878
; %bb.3873:
	v_cmp_lt_i16_e32 vcc_lo, 27, v1
	v_cvt_u32_f32_e32 v1, v100
	s_and_saveexec_b32 s13, vcc_lo
	s_delay_alu instid0(SALU_CYCLE_1)
	s_xor_b32 s13, exec_lo, s13
	s_cbranch_execz .LBB51_3875
; %bb.3874:
	flat_store_b32 v[2:3], v1
                                        ; implicit-def: $vgpr2_vgpr3
                                        ; implicit-def: $vgpr1
.LBB51_3875:
	s_wait_xcnt 0x0
	s_and_not1_saveexec_b32 s13, s13
	s_cbranch_execz .LBB51_3877
; %bb.3876:
	flat_store_b16 v[2:3], v1
.LBB51_3877:
	s_wait_xcnt 0x0
	s_or_b32 exec_lo, exec_lo, s13
                                        ; implicit-def: $vgpr2_vgpr3
                                        ; implicit-def: $vgpr100
.LBB51_3878:
	s_and_not1_saveexec_b32 s12, s12
	s_cbranch_execz .LBB51_3886
; %bb.3879:
	v_and_b32_e32 v1, 0x7fffffff, v100
	v_mov_b32_e32 v4, 0x80
	s_mov_b32 s13, exec_lo
	s_delay_alu instid0(VALU_DEP_2)
	v_cmpx_gt_u32_e32 0x43800000, v1
	s_cbranch_execz .LBB51_3885
; %bb.3880:
	v_cmp_lt_u32_e32 vcc_lo, 0x3bffffff, v1
	s_mov_b32 s14, 0
                                        ; implicit-def: $vgpr1
	s_and_saveexec_b32 s15, vcc_lo
	s_delay_alu instid0(SALU_CYCLE_1)
	s_xor_b32 s15, exec_lo, s15
	s_cbranch_execnz .LBB51_7883
; %bb.3881:
	s_and_not1_saveexec_b32 s15, s15
	s_cbranch_execnz .LBB51_7884
.LBB51_3882:
	s_or_b32 exec_lo, exec_lo, s15
	v_mov_b32_e32 v4, 0
	s_and_saveexec_b32 s15, s14
.LBB51_3883:
	v_lshrrev_b32_e32 v4, 24, v100
	s_delay_alu instid0(VALU_DEP_1)
	v_and_or_b32 v4, 0x80, v4, v1
.LBB51_3884:
	s_or_b32 exec_lo, exec_lo, s15
.LBB51_3885:
	s_delay_alu instid0(SALU_CYCLE_1)
	s_or_b32 exec_lo, exec_lo, s13
	flat_store_b8 v[2:3], v4
.LBB51_3886:
	s_wait_xcnt 0x0
	s_or_b32 exec_lo, exec_lo, s12
	s_delay_alu instid0(SALU_CYCLE_1)
	s_or_b32 s0, s0, exec_lo
.LBB51_3887:
	s_or_b32 exec_lo, exec_lo, s9
	s_delay_alu instid0(SALU_CYCLE_1)
	s_and_not1_b32 s9, s4, exec_lo
	s_and_b32 s11, s11, exec_lo
	s_and_b32 s0, s0, exec_lo
	s_or_b32 s9, s9, s11
                                        ; implicit-def: $vgpr1
                                        ; implicit-def: $vgpr100
                                        ; implicit-def: $vgpr2_vgpr3
.LBB51_3888:
	s_and_not1_saveexec_b32 s10, s10
	s_cbranch_execz .LBB51_3932
; %bb.3889:
	s_mov_b32 s12, s0
	s_mov_b32 s11, exec_lo
	v_cmpx_lt_i16_e32 22, v1
	s_xor_b32 s11, exec_lo, s11
	s_cbranch_execz .LBB51_3921
; %bb.3890:
	s_mov_b32 s12, exec_lo
	v_cmpx_lt_i16_e32 23, v1
	s_xor_b32 s12, exec_lo, s12
	s_cbranch_execz .LBB51_3910
; %bb.3891:
	;; [unrolled: 5-line block ×3, first 2 shown]
	v_and_b32_e32 v1, 0x7fffffff, v100
	v_mov_b32_e32 v4, 0x80
	s_mov_b32 s14, exec_lo
	s_delay_alu instid0(VALU_DEP_2)
	v_cmpx_gt_u32_e32 0x47800000, v1
	s_cbranch_execz .LBB51_3898
; %bb.3893:
	v_cmp_lt_u32_e32 vcc_lo, 0x37ffffff, v1
	s_mov_b32 s15, 0
                                        ; implicit-def: $vgpr1
	s_and_saveexec_b32 s16, vcc_lo
	s_delay_alu instid0(SALU_CYCLE_1)
	s_xor_b32 s16, exec_lo, s16
	s_cbranch_execnz .LBB51_7885
; %bb.3894:
	s_and_not1_saveexec_b32 s16, s16
	s_cbranch_execnz .LBB51_7886
.LBB51_3895:
	s_or_b32 exec_lo, exec_lo, s16
	v_mov_b32_e32 v4, 0
	s_and_saveexec_b32 s16, s15
.LBB51_3896:
	v_lshrrev_b32_e32 v4, 24, v100
	s_delay_alu instid0(VALU_DEP_1)
	v_and_or_b32 v4, 0x80, v4, v1
.LBB51_3897:
	s_or_b32 exec_lo, exec_lo, s16
.LBB51_3898:
	s_delay_alu instid0(SALU_CYCLE_1)
	s_or_b32 exec_lo, exec_lo, s14
	flat_store_b8 v[2:3], v4
                                        ; implicit-def: $vgpr100
                                        ; implicit-def: $vgpr2_vgpr3
.LBB51_3899:
	s_wait_xcnt 0x0
	s_and_not1_saveexec_b32 s13, s13
	s_cbranch_execz .LBB51_3909
; %bb.3900:
	v_and_b32_e32 v4, 0x7fffffff, v100
	s_mov_b32 s14, exec_lo
                                        ; implicit-def: $vgpr1
	s_delay_alu instid0(VALU_DEP_1)
	v_cmpx_gt_u32_e32 0x43f00000, v4
	s_xor_b32 s14, exec_lo, s14
	s_cbranch_execz .LBB51_3906
; %bb.3901:
	s_mov_b32 s15, exec_lo
                                        ; implicit-def: $vgpr1
	v_cmpx_lt_u32_e32 0x3c7fffff, v4
	s_xor_b32 s15, exec_lo, s15
; %bb.3902:
	v_bfe_u32 v1, v100, 20, 1
	s_delay_alu instid0(VALU_DEP_1) | instskip(NEXT) | instid1(VALU_DEP_1)
	v_add3_u32 v1, v100, v1, 0x407ffff
	v_and_b32_e32 v4, 0xff00000, v1
	v_lshrrev_b32_e32 v1, 20, v1
	s_delay_alu instid0(VALU_DEP_2) | instskip(NEXT) | instid1(VALU_DEP_2)
	v_cmp_ne_u32_e32 vcc_lo, 0x7f00000, v4
	v_cndmask_b32_e32 v1, 0x7e, v1, vcc_lo
; %bb.3903:
	s_and_not1_saveexec_b32 s15, s15
; %bb.3904:
	v_add_f32_e64 v1, 0x46800000, |v100|
; %bb.3905:
	s_or_b32 exec_lo, exec_lo, s15
                                        ; implicit-def: $vgpr4
.LBB51_3906:
	s_and_not1_saveexec_b32 s14, s14
; %bb.3907:
	v_mov_b32_e32 v1, 0x7f
	v_cmp_lt_u32_e32 vcc_lo, 0x7f800000, v4
	s_delay_alu instid0(VALU_DEP_2)
	v_cndmask_b32_e32 v1, 0x7e, v1, vcc_lo
; %bb.3908:
	s_or_b32 exec_lo, exec_lo, s14
	v_lshrrev_b32_e32 v4, 24, v100
	s_delay_alu instid0(VALU_DEP_1)
	v_and_or_b32 v1, 0x80, v4, v1
	flat_store_b8 v[2:3], v1
.LBB51_3909:
	s_wait_xcnt 0x0
	s_or_b32 exec_lo, exec_lo, s13
                                        ; implicit-def: $vgpr100
                                        ; implicit-def: $vgpr2_vgpr3
.LBB51_3910:
	s_and_not1_saveexec_b32 s12, s12
	s_cbranch_execz .LBB51_3920
; %bb.3911:
	v_and_b32_e32 v4, 0x7fffffff, v100
	s_mov_b32 s13, exec_lo
                                        ; implicit-def: $vgpr1
	s_delay_alu instid0(VALU_DEP_1)
	v_cmpx_gt_u32_e32 0x47800000, v4
	s_xor_b32 s13, exec_lo, s13
	s_cbranch_execz .LBB51_3917
; %bb.3912:
	s_mov_b32 s14, exec_lo
                                        ; implicit-def: $vgpr1
	v_cmpx_lt_u32_e32 0x387fffff, v4
	s_xor_b32 s14, exec_lo, s14
; %bb.3913:
	v_bfe_u32 v1, v100, 21, 1
	s_delay_alu instid0(VALU_DEP_1) | instskip(NEXT) | instid1(VALU_DEP_1)
	v_add3_u32 v1, v100, v1, 0x80fffff
	v_lshrrev_b32_e32 v1, 21, v1
; %bb.3914:
	s_and_not1_saveexec_b32 s14, s14
; %bb.3915:
	v_add_f32_e64 v1, 0x43000000, |v100|
; %bb.3916:
	s_or_b32 exec_lo, exec_lo, s14
                                        ; implicit-def: $vgpr4
.LBB51_3917:
	s_and_not1_saveexec_b32 s13, s13
; %bb.3918:
	v_mov_b32_e32 v1, 0x7f
	v_cmp_lt_u32_e32 vcc_lo, 0x7f800000, v4
	s_delay_alu instid0(VALU_DEP_2)
	v_cndmask_b32_e32 v1, 0x7c, v1, vcc_lo
; %bb.3919:
	s_or_b32 exec_lo, exec_lo, s13
	v_lshrrev_b32_e32 v4, 24, v100
	s_delay_alu instid0(VALU_DEP_1)
	v_and_or_b32 v1, 0x80, v4, v1
	flat_store_b8 v[2:3], v1
.LBB51_3920:
	s_wait_xcnt 0x0
	s_or_b32 exec_lo, exec_lo, s12
	s_delay_alu instid0(SALU_CYCLE_1)
	s_or_b32 s12, s0, exec_lo
                                        ; implicit-def: $vgpr1
                                        ; implicit-def: $vgpr100
                                        ; implicit-def: $vgpr2_vgpr3
.LBB51_3921:
	s_or_saveexec_b32 s11, s11
	s_mov_b32 s13, s9
	s_xor_b32 exec_lo, exec_lo, s11
	s_cbranch_execz .LBB51_3931
; %bb.3922:
	s_mov_b32 s13, s12
	s_mov_b32 s14, s9
	s_mov_b32 s15, exec_lo
	v_cmpx_lt_i16_e32 14, v1
	s_xor_b32 s15, exec_lo, s15
	s_cbranch_execz .LBB51_3926
; %bb.3923:
	s_mov_b32 s16, -1
	s_mov_b32 s13, s12
	s_mov_b32 s14, exec_lo
	v_cmpx_eq_u16_e32 15, v1
	s_cbranch_execz .LBB51_3925
; %bb.3924:
	v_bfe_u32 v1, v100, 16, 1
	v_cmp_o_f32_e32 vcc_lo, v100, v100
	s_xor_b32 s16, exec_lo, -1
	s_or_b32 s13, s12, exec_lo
	s_delay_alu instid0(VALU_DEP_2) | instskip(NEXT) | instid1(VALU_DEP_1)
	v_add3_u32 v1, v100, v1, 0x7fff
	v_lshrrev_b32_e32 v1, 16, v1
	s_delay_alu instid0(VALU_DEP_1)
	v_cndmask_b32_e32 v1, 0x7fc0, v1, vcc_lo
	flat_store_b16 v[2:3], v1
.LBB51_3925:
	s_wait_xcnt 0x0
	s_or_b32 exec_lo, exec_lo, s14
	s_delay_alu instid0(SALU_CYCLE_1)
	s_and_not1_b32 s14, s9, exec_lo
	s_and_b32 s16, s16, exec_lo
	s_and_not1_b32 s17, s12, exec_lo
	s_and_b32 s13, s13, exec_lo
	s_or_b32 s14, s14, s16
	s_or_b32 s13, s17, s13
                                        ; implicit-def: $vgpr1
                                        ; implicit-def: $vgpr100
                                        ; implicit-def: $vgpr2_vgpr3
.LBB51_3926:
	s_and_not1_saveexec_b32 s15, s15
	s_cbranch_execz .LBB51_3930
; %bb.3927:
	s_mov_b32 s17, -1
	s_mov_b32 s16, s13
	s_mov_b32 s18, exec_lo
	v_cmpx_eq_u16_e32 11, v1
	s_cbranch_execz .LBB51_3929
; %bb.3928:
	v_cmp_neq_f32_e32 vcc_lo, 0, v100
	s_xor_b32 s17, exec_lo, -1
	s_or_b32 s16, s13, exec_lo
	v_cndmask_b32_e64 v1, 0, 1, vcc_lo
	flat_store_b8 v[2:3], v1
.LBB51_3929:
	s_wait_xcnt 0x0
	s_or_b32 exec_lo, exec_lo, s18
	s_delay_alu instid0(SALU_CYCLE_1)
	s_and_not1_b32 s14, s14, exec_lo
	s_and_b32 s17, s17, exec_lo
	s_and_not1_b32 s13, s13, exec_lo
	s_and_b32 s16, s16, exec_lo
	s_or_b32 s14, s14, s17
	s_or_b32 s13, s13, s16
.LBB51_3930:
	s_or_b32 exec_lo, exec_lo, s15
	s_delay_alu instid0(SALU_CYCLE_1)
	s_and_not1_b32 s15, s9, exec_lo
	s_and_b32 s14, s14, exec_lo
	s_and_not1_b32 s12, s12, exec_lo
	s_and_b32 s16, s13, exec_lo
	s_or_b32 s13, s15, s14
	s_or_b32 s12, s12, s16
.LBB51_3931:
	s_or_b32 exec_lo, exec_lo, s11
	s_delay_alu instid0(SALU_CYCLE_1)
	s_and_not1_b32 s9, s9, exec_lo
	s_and_b32 s11, s13, exec_lo
	s_and_not1_b32 s0, s0, exec_lo
	s_and_b32 s12, s12, exec_lo
	s_or_b32 s9, s9, s11
	s_or_b32 s0, s0, s12
.LBB51_3932:
	s_or_b32 exec_lo, exec_lo, s10
	s_delay_alu instid0(SALU_CYCLE_1)
	s_and_not1_b32 s10, s4, exec_lo
	s_and_b32 s9, s9, exec_lo
	s_and_b32 s0, s0, exec_lo
	s_or_b32 s9, s10, s9
                                        ; implicit-def: $vgpr1
                                        ; implicit-def: $vgpr100
                                        ; implicit-def: $vgpr2_vgpr3
.LBB51_3933:
	s_and_not1_saveexec_b32 s2, s2
	s_cbranch_execz .LBB51_3975
; %bb.3934:
	s_mov_b32 s10, exec_lo
	v_cmpx_lt_i16_e32 4, v1
	s_xor_b32 s10, exec_lo, s10
	s_cbranch_execz .LBB51_3956
; %bb.3935:
	s_mov_b32 s11, exec_lo
	v_cmpx_lt_i16_e32 7, v1
	s_xor_b32 s11, exec_lo, s11
	;; [unrolled: 5-line block ×4, first 2 shown]
	s_cbranch_execz .LBB51_3939
; %bb.3938:
	v_cvt_f64_f32_e32 v[4:5], v100
	v_mov_b32_e32 v6, 0
                                        ; implicit-def: $vgpr100
	s_delay_alu instid0(VALU_DEP_1)
	v_mov_b32_e32 v7, v6
	flat_store_b128 v[2:3], v[4:7]
                                        ; implicit-def: $vgpr2_vgpr3
.LBB51_3939:
	s_wait_xcnt 0x0
	s_and_not1_saveexec_b32 s13, s13
	s_cbranch_execz .LBB51_3941
; %bb.3940:
	v_mov_b32_e32 v101, 0
	flat_store_b64 v[2:3], v[100:101]
.LBB51_3941:
	s_wait_xcnt 0x0
	s_or_b32 exec_lo, exec_lo, s13
                                        ; implicit-def: $vgpr100
                                        ; implicit-def: $vgpr2_vgpr3
.LBB51_3942:
	s_and_not1_saveexec_b32 s12, s12
	s_cbranch_execz .LBB51_3944
; %bb.3943:
	v_cvt_f16_f32_e32 v1, v100
	s_delay_alu instid0(VALU_DEP_1)
	v_and_b32_e32 v1, 0xffff, v1
	flat_store_b32 v[2:3], v1
.LBB51_3944:
	s_wait_xcnt 0x0
	s_or_b32 exec_lo, exec_lo, s12
                                        ; implicit-def: $vgpr100
                                        ; implicit-def: $vgpr2_vgpr3
                                        ; implicit-def: $vgpr1
.LBB51_3945:
	s_and_not1_saveexec_b32 s11, s11
	s_cbranch_execz .LBB51_3955
; %bb.3946:
	s_mov_b32 s12, exec_lo
	v_cmpx_lt_i16_e32 5, v1
	s_xor_b32 s12, exec_lo, s12
	s_cbranch_execz .LBB51_3952
; %bb.3947:
	s_mov_b32 s13, exec_lo
	v_cmpx_lt_i16_e32 6, v1
	s_xor_b32 s13, exec_lo, s13
	s_cbranch_execz .LBB51_3949
; %bb.3948:
	v_cvt_f64_f32_e32 v[4:5], v100
                                        ; implicit-def: $vgpr100
	flat_store_b64 v[2:3], v[4:5]
                                        ; implicit-def: $vgpr2_vgpr3
.LBB51_3949:
	s_wait_xcnt 0x0
	s_and_not1_saveexec_b32 s13, s13
	s_cbranch_execz .LBB51_3951
; %bb.3950:
	flat_store_b32 v[2:3], v100
.LBB51_3951:
	s_wait_xcnt 0x0
	s_or_b32 exec_lo, exec_lo, s13
                                        ; implicit-def: $vgpr100
                                        ; implicit-def: $vgpr2_vgpr3
.LBB51_3952:
	s_and_not1_saveexec_b32 s12, s12
	s_cbranch_execz .LBB51_3954
; %bb.3953:
	v_cvt_f16_f32_e32 v1, v100
	flat_store_b16 v[2:3], v1
.LBB51_3954:
	s_wait_xcnt 0x0
	s_or_b32 exec_lo, exec_lo, s12
.LBB51_3955:
	s_delay_alu instid0(SALU_CYCLE_1)
	s_or_b32 exec_lo, exec_lo, s11
                                        ; implicit-def: $vgpr1
                                        ; implicit-def: $vgpr100
                                        ; implicit-def: $vgpr2_vgpr3
.LBB51_3956:
	s_and_not1_saveexec_b32 s10, s10
	s_cbranch_execz .LBB51_3974
; %bb.3957:
	s_mov_b32 s11, exec_lo
	v_cmpx_lt_i16_e32 1, v1
	s_xor_b32 s11, exec_lo, s11
	s_cbranch_execz .LBB51_3967
; %bb.3958:
	s_mov_b32 s12, exec_lo
	v_cmpx_lt_i16_e32 2, v1
	s_xor_b32 s12, exec_lo, s12
	s_cbranch_execz .LBB51_3964
; %bb.3959:
	s_mov_b32 s13, exec_lo
	v_cmpx_lt_i16_e32 3, v1
	s_xor_b32 s13, exec_lo, s13
	s_cbranch_execz .LBB51_3961
; %bb.3960:
	v_trunc_f32_e32 v1, v100
                                        ; implicit-def: $vgpr100
	s_delay_alu instid0(VALU_DEP_1) | instskip(NEXT) | instid1(VALU_DEP_1)
	v_mul_f32_e64 v4, 0x2f800000, |v1|
	v_floor_f32_e32 v5, v4
	v_ashrrev_i32_e32 v4, 31, v1
	s_delay_alu instid0(VALU_DEP_2) | instskip(SKIP_1) | instid1(VALU_DEP_3)
	v_fma_f32 v6, 0xcf800000, v5, |v1|
	v_cvt_u32_f32_e32 v1, v5
	v_mov_b32_e32 v5, v4
	s_delay_alu instid0(VALU_DEP_3) | instskip(NEXT) | instid1(VALU_DEP_3)
	v_cvt_u32_f32_e32 v6, v6
	v_xor_b32_e32 v7, v1, v4
	s_delay_alu instid0(VALU_DEP_2) | instskip(NEXT) | instid1(VALU_DEP_1)
	v_xor_b32_e32 v6, v6, v4
	v_sub_nc_u64_e32 v[4:5], v[6:7], v[4:5]
	flat_store_b64 v[2:3], v[4:5]
                                        ; implicit-def: $vgpr2_vgpr3
.LBB51_3961:
	s_wait_xcnt 0x0
	s_and_not1_saveexec_b32 s13, s13
	s_cbranch_execz .LBB51_3963
; %bb.3962:
	v_cvt_i32_f32_e32 v1, v100
	flat_store_b32 v[2:3], v1
.LBB51_3963:
	s_wait_xcnt 0x0
	s_or_b32 exec_lo, exec_lo, s13
                                        ; implicit-def: $vgpr100
                                        ; implicit-def: $vgpr2_vgpr3
.LBB51_3964:
	s_and_not1_saveexec_b32 s12, s12
	s_cbranch_execz .LBB51_3966
; %bb.3965:
	v_cvt_i32_f32_e32 v1, v100
	flat_store_b16 v[2:3], v1
.LBB51_3966:
	s_wait_xcnt 0x0
	s_or_b32 exec_lo, exec_lo, s12
                                        ; implicit-def: $vgpr100
                                        ; implicit-def: $vgpr2_vgpr3
                                        ; implicit-def: $vgpr1
.LBB51_3967:
	s_and_not1_saveexec_b32 s11, s11
	s_cbranch_execz .LBB51_3973
; %bb.3968:
	s_mov_b32 s12, exec_lo
	v_cmpx_lt_i16_e32 0, v1
	s_xor_b32 s12, exec_lo, s12
	s_cbranch_execz .LBB51_3970
; %bb.3969:
	v_cvt_i32_f32_e32 v1, v100
                                        ; implicit-def: $vgpr100
	flat_store_b8 v[2:3], v1
                                        ; implicit-def: $vgpr2_vgpr3
.LBB51_3970:
	s_wait_xcnt 0x0
	s_and_not1_saveexec_b32 s12, s12
	s_cbranch_execz .LBB51_3972
; %bb.3971:
	v_trunc_f32_e32 v1, v100
	s_delay_alu instid0(VALU_DEP_1) | instskip(NEXT) | instid1(VALU_DEP_1)
	v_mul_f32_e64 v4, 0x2f800000, |v1|
	v_floor_f32_e32 v4, v4
	s_delay_alu instid0(VALU_DEP_1) | instskip(SKIP_1) | instid1(VALU_DEP_2)
	v_fma_f32 v4, 0xcf800000, v4, |v1|
	v_ashrrev_i32_e32 v1, 31, v1
	v_cvt_u32_f32_e32 v4, v4
	s_delay_alu instid0(VALU_DEP_1) | instskip(NEXT) | instid1(VALU_DEP_1)
	v_xor_b32_e32 v4, v4, v1
	v_sub_nc_u32_e32 v1, v4, v1
	flat_store_b8 v[2:3], v1
.LBB51_3972:
	s_wait_xcnt 0x0
	s_or_b32 exec_lo, exec_lo, s12
.LBB51_3973:
	s_delay_alu instid0(SALU_CYCLE_1)
	s_or_b32 exec_lo, exec_lo, s11
.LBB51_3974:
	s_delay_alu instid0(SALU_CYCLE_1) | instskip(NEXT) | instid1(SALU_CYCLE_1)
	s_or_b32 exec_lo, exec_lo, s10
	s_or_b32 s0, s0, exec_lo
.LBB51_3975:
	s_or_b32 exec_lo, exec_lo, s2
	s_mov_b32 s10, 0
	s_mov_b32 s2, 0
	s_and_saveexec_b32 s11, s0
; %bb.3976:
	v_add_nc_u32_e32 v103, 0x200, v103
	s_mov_b32 s10, exec_lo
	s_delay_alu instid0(VALU_DEP_1)
	v_cmp_lt_i32_e32 vcc_lo, v103, v8
	s_and_b32 s2, vcc_lo, exec_lo
; %bb.3977:
	s_or_b32 exec_lo, exec_lo, s11
	s_delay_alu instid0(SALU_CYCLE_1)
	s_and_not1_b32 s11, s4, exec_lo
	s_and_b32 s9, s9, exec_lo
	s_and_b32 s0, s2, exec_lo
	s_or_b32 s2, s11, s9
	s_or_not1_b32 s12, s10, exec_lo
.LBB51_3978:
	s_or_b32 exec_lo, exec_lo, s5
	s_mov_b32 s9, 0
	s_mov_b32 s11, 0
                                        ; implicit-def: $vgpr4
                                        ; implicit-def: $vgpr2_vgpr3
	s_and_saveexec_b32 s5, s12
	s_cbranch_execz .LBB51_7830
; %bb.3979:
	s_mov_b32 s12, -1
	s_mov_b32 s10, 0
	s_mov_b32 s8, s2
	;; [unrolled: 1-line block ×3, first 2 shown]
	s_and_saveexec_b32 s9, s0
	s_cbranch_execz .LBB51_4107
; %bb.3980:
	v_dual_add_nc_u32 v1, s3, v103 :: v_dual_mov_b32 v3, 0
	s_mov_b32 s0, 0
	s_mov_b32 s11, s2
	s_mov_b32 s8, exec_lo
	s_delay_alu instid0(VALU_DEP_1) | instskip(SKIP_1) | instid1(VALU_DEP_2)
	v_mul_lo_u32 v2, v1, v14
	v_and_b32_e32 v1, 0xff, v13
	v_add_nc_u64_e32 v[2:3], v[114:115], v[2:3]
	s_delay_alu instid0(VALU_DEP_2)
	v_cmpx_lt_i16_e32 10, v1
	s_xor_b32 s8, exec_lo, s8
	s_cbranch_execz .LBB51_4062
; %bb.3981:
	s_mov_b32 s11, s2
	s_mov_b32 s12, exec_lo
	v_cmpx_lt_i16_e32 25, v1
	s_xor_b32 s12, exec_lo, s12
	s_cbranch_execz .LBB51_4017
; %bb.3982:
	s_mov_b32 s13, s2
	s_mov_b32 s11, exec_lo
	;; [unrolled: 6-line block ×3, first 2 shown]
	v_cmpx_lt_i16_e32 43, v1
	s_xor_b32 s13, exec_lo, s13
	s_cbranch_execz .LBB51_3995
; %bb.3984:
	s_mov_b32 s14, 0
	s_mov_b32 s15, s2
	s_mov_b32 s0, exec_lo
	v_cmpx_lt_i16_e32 45, v1
	s_xor_b32 s0, exec_lo, s0
	s_cbranch_execz .LBB51_3988
; %bb.3985:
	s_mov_b32 s16, -1
	s_mov_b32 s15, exec_lo
	v_cmpx_eq_u16_e32 46, v1
	s_cbranch_execz .LBB51_3987
; %bb.3986:
	v_bfe_u32 v1, v98, 16, 1
	v_cmp_o_f32_e32 vcc_lo, v98, v98
	s_mov_b32 s14, exec_lo
	s_xor_b32 s16, exec_lo, -1
	s_delay_alu instid0(VALU_DEP_2) | instskip(NEXT) | instid1(VALU_DEP_1)
	v_add3_u32 v1, v98, v1, 0x7fff
	v_lshrrev_b32_e32 v1, 16, v1
	s_delay_alu instid0(VALU_DEP_1)
	v_cndmask_b32_e32 v1, 0x7fc0, v1, vcc_lo
	flat_store_b32 v[2:3], v1
.LBB51_3987:
	s_wait_xcnt 0x0
	s_or_b32 exec_lo, exec_lo, s15
	s_delay_alu instid0(SALU_CYCLE_1)
	s_and_not1_b32 s15, s2, exec_lo
	s_and_b32 s16, s16, exec_lo
	s_and_b32 s14, s14, exec_lo
	s_or_b32 s15, s15, s16
                                        ; implicit-def: $vgpr1
                                        ; implicit-def: $vgpr2_vgpr3
                                        ; implicit-def: $vgpr98
.LBB51_3988:
	s_and_not1_saveexec_b32 s16, s0
	s_cbranch_execz .LBB51_3994
; %bb.3989:
	s_mov_b32 s18, -1
	s_mov_b32 s0, s14
	s_mov_b32 s17, exec_lo
	v_cmpx_eq_u16_e32 44, v1
	s_cbranch_execz .LBB51_3993
; %bb.3990:
	v_bfe_u32 v4, v98, 23, 8
	v_mov_b32_e32 v1, 0xff
	s_mov_b32 s18, exec_lo
	s_delay_alu instid0(VALU_DEP_2)
	v_cmpx_ne_u32_e32 0xff, v4
	s_cbranch_execz .LBB51_3992
; %bb.3991:
	v_and_b32_e32 v1, 0x400000, v98
	v_and_or_b32 v4, 0x3fffff, v98, v4
	s_delay_alu instid0(VALU_DEP_2) | instskip(NEXT) | instid1(VALU_DEP_2)
	v_cmp_ne_u32_e32 vcc_lo, 0, v1
	v_cmp_ne_u32_e64 s0, 0, v4
	v_lshrrev_b32_e32 v1, 23, v98
	s_and_b32 s0, vcc_lo, s0
	s_delay_alu instid0(SALU_CYCLE_1) | instskip(NEXT) | instid1(VALU_DEP_1)
	v_cndmask_b32_e64 v4, 0, 1, s0
	v_add_nc_u32_e32 v1, v1, v4
.LBB51_3992:
	s_or_b32 exec_lo, exec_lo, s18
	s_delay_alu instid0(SALU_CYCLE_1)
	s_xor_b32 s18, exec_lo, -1
	s_or_b32 s0, s14, exec_lo
	flat_store_b8 v[2:3], v1
.LBB51_3993:
	s_wait_xcnt 0x0
	s_or_b32 exec_lo, exec_lo, s17
	s_delay_alu instid0(SALU_CYCLE_1)
	s_and_not1_b32 s15, s15, exec_lo
	s_and_b32 s17, s18, exec_lo
	s_and_not1_b32 s14, s14, exec_lo
	s_and_b32 s0, s0, exec_lo
	s_or_b32 s15, s15, s17
	s_or_b32 s14, s14, s0
.LBB51_3994:
	s_or_b32 exec_lo, exec_lo, s16
	s_delay_alu instid0(SALU_CYCLE_1) | instskip(SKIP_1) | instid1(SALU_CYCLE_1)
	s_and_not1_b32 s0, s2, exec_lo
	s_and_b32 s15, s15, exec_lo
                                        ; implicit-def: $vgpr1
                                        ; implicit-def: $vgpr98
                                        ; implicit-def: $vgpr2_vgpr3
	s_or_b32 s15, s0, s15
	s_and_b32 s0, s14, exec_lo
.LBB51_3995:
	s_and_not1_saveexec_b32 s13, s13
	s_cbranch_execz .LBB51_3999
; %bb.3996:
	s_mov_b32 s17, -1
	s_mov_b32 s16, s0
	s_mov_b32 s14, exec_lo
	v_cmpx_eq_u16_e32 29, v1
	s_cbranch_execz .LBB51_3998
; %bb.3997:
	v_trunc_f32_e32 v1, v98
	s_xor_b32 s17, exec_lo, -1
	s_or_b32 s16, s0, exec_lo
	s_delay_alu instid0(VALU_DEP_1) | instskip(NEXT) | instid1(VALU_DEP_1)
	v_mul_f32_e32 v4, 0x2f800000, v1
	v_floor_f32_e32 v4, v4
	s_delay_alu instid0(VALU_DEP_1) | instskip(SKIP_1) | instid1(VALU_DEP_2)
	v_fmamk_f32 v1, v4, 0xcf800000, v1
	v_cvt_u32_f32_e32 v5, v4
	v_cvt_u32_f32_e32 v4, v1
	flat_store_b64 v[2:3], v[4:5]
.LBB51_3998:
	s_wait_xcnt 0x0
	s_or_b32 exec_lo, exec_lo, s14
	s_delay_alu instid0(SALU_CYCLE_1)
	s_and_not1_b32 s14, s15, exec_lo
	s_and_b32 s15, s17, exec_lo
	s_and_not1_b32 s0, s0, exec_lo
	s_and_b32 s16, s16, exec_lo
	s_or_b32 s15, s14, s15
	s_or_b32 s0, s0, s16
.LBB51_3999:
	s_or_b32 exec_lo, exec_lo, s13
	s_delay_alu instid0(SALU_CYCLE_1)
	s_and_not1_b32 s13, s2, exec_lo
	s_and_b32 s14, s15, exec_lo
	s_and_b32 s0, s0, exec_lo
	s_or_b32 s13, s13, s14
                                        ; implicit-def: $vgpr2_vgpr3
                                        ; implicit-def: $vgpr1
                                        ; implicit-def: $vgpr98
.LBB51_4000:
	s_and_not1_saveexec_b32 s11, s11
	s_cbranch_execz .LBB51_4016
; %bb.4001:
	s_mov_b32 s14, exec_lo
	v_cmpx_lt_i16_e32 26, v1
	s_xor_b32 s14, exec_lo, s14
	s_cbranch_execz .LBB51_4007
; %bb.4002:
	v_cmp_lt_i16_e32 vcc_lo, 27, v1
	v_cvt_u32_f32_e32 v1, v98
	s_and_saveexec_b32 s15, vcc_lo
	s_delay_alu instid0(SALU_CYCLE_1)
	s_xor_b32 s15, exec_lo, s15
	s_cbranch_execz .LBB51_4004
; %bb.4003:
	flat_store_b32 v[2:3], v1
                                        ; implicit-def: $vgpr2_vgpr3
                                        ; implicit-def: $vgpr1
.LBB51_4004:
	s_wait_xcnt 0x0
	s_and_not1_saveexec_b32 s15, s15
	s_cbranch_execz .LBB51_4006
; %bb.4005:
	flat_store_b16 v[2:3], v1
.LBB51_4006:
	s_wait_xcnt 0x0
	s_or_b32 exec_lo, exec_lo, s15
                                        ; implicit-def: $vgpr2_vgpr3
                                        ; implicit-def: $vgpr98
.LBB51_4007:
	s_and_not1_saveexec_b32 s14, s14
	s_cbranch_execz .LBB51_4015
; %bb.4008:
	v_and_b32_e32 v1, 0x7fffffff, v98
	v_mov_b32_e32 v4, 0x80
	s_mov_b32 s15, exec_lo
	s_delay_alu instid0(VALU_DEP_2)
	v_cmpx_gt_u32_e32 0x43800000, v1
	s_cbranch_execz .LBB51_4014
; %bb.4009:
	v_cmp_lt_u32_e32 vcc_lo, 0x3bffffff, v1
	s_mov_b32 s16, 0
                                        ; implicit-def: $vgpr1
	s_and_saveexec_b32 s17, vcc_lo
	s_delay_alu instid0(SALU_CYCLE_1)
	s_xor_b32 s17, exec_lo, s17
	s_cbranch_execnz .LBB51_7887
; %bb.4010:
	s_and_not1_saveexec_b32 s17, s17
	s_cbranch_execnz .LBB51_7888
.LBB51_4011:
	s_or_b32 exec_lo, exec_lo, s17
	v_mov_b32_e32 v4, 0
	s_and_saveexec_b32 s17, s16
.LBB51_4012:
	v_lshrrev_b32_e32 v4, 24, v98
	s_delay_alu instid0(VALU_DEP_1)
	v_and_or_b32 v4, 0x80, v4, v1
.LBB51_4013:
	s_or_b32 exec_lo, exec_lo, s17
.LBB51_4014:
	s_delay_alu instid0(SALU_CYCLE_1)
	s_or_b32 exec_lo, exec_lo, s15
	flat_store_b8 v[2:3], v4
.LBB51_4015:
	s_wait_xcnt 0x0
	s_or_b32 exec_lo, exec_lo, s14
	s_delay_alu instid0(SALU_CYCLE_1)
	s_or_b32 s0, s0, exec_lo
.LBB51_4016:
	s_or_b32 exec_lo, exec_lo, s11
	s_delay_alu instid0(SALU_CYCLE_1)
	s_and_not1_b32 s11, s2, exec_lo
	s_and_b32 s13, s13, exec_lo
	s_and_b32 s0, s0, exec_lo
	s_or_b32 s11, s11, s13
                                        ; implicit-def: $vgpr1
                                        ; implicit-def: $vgpr98
                                        ; implicit-def: $vgpr2_vgpr3
.LBB51_4017:
	s_and_not1_saveexec_b32 s12, s12
	s_cbranch_execz .LBB51_4061
; %bb.4018:
	s_mov_b32 s14, s0
	s_mov_b32 s13, exec_lo
	v_cmpx_lt_i16_e32 22, v1
	s_xor_b32 s13, exec_lo, s13
	s_cbranch_execz .LBB51_4050
; %bb.4019:
	s_mov_b32 s14, exec_lo
	v_cmpx_lt_i16_e32 23, v1
	s_xor_b32 s14, exec_lo, s14
	s_cbranch_execz .LBB51_4039
; %bb.4020:
	;; [unrolled: 5-line block ×3, first 2 shown]
	v_and_b32_e32 v1, 0x7fffffff, v98
	v_mov_b32_e32 v4, 0x80
	s_mov_b32 s16, exec_lo
	s_delay_alu instid0(VALU_DEP_2)
	v_cmpx_gt_u32_e32 0x47800000, v1
	s_cbranch_execz .LBB51_4027
; %bb.4022:
	v_cmp_lt_u32_e32 vcc_lo, 0x37ffffff, v1
	s_mov_b32 s17, 0
                                        ; implicit-def: $vgpr1
	s_and_saveexec_b32 s18, vcc_lo
	s_delay_alu instid0(SALU_CYCLE_1)
	s_xor_b32 s18, exec_lo, s18
	s_cbranch_execnz .LBB51_7889
; %bb.4023:
	s_and_not1_saveexec_b32 s18, s18
	s_cbranch_execnz .LBB51_7890
.LBB51_4024:
	s_or_b32 exec_lo, exec_lo, s18
	v_mov_b32_e32 v4, 0
	s_and_saveexec_b32 s18, s17
.LBB51_4025:
	v_lshrrev_b32_e32 v4, 24, v98
	s_delay_alu instid0(VALU_DEP_1)
	v_and_or_b32 v4, 0x80, v4, v1
.LBB51_4026:
	s_or_b32 exec_lo, exec_lo, s18
.LBB51_4027:
	s_delay_alu instid0(SALU_CYCLE_1)
	s_or_b32 exec_lo, exec_lo, s16
	flat_store_b8 v[2:3], v4
                                        ; implicit-def: $vgpr98
                                        ; implicit-def: $vgpr2_vgpr3
.LBB51_4028:
	s_wait_xcnt 0x0
	s_and_not1_saveexec_b32 s15, s15
	s_cbranch_execz .LBB51_4038
; %bb.4029:
	v_and_b32_e32 v4, 0x7fffffff, v98
	s_mov_b32 s16, exec_lo
                                        ; implicit-def: $vgpr1
	s_delay_alu instid0(VALU_DEP_1)
	v_cmpx_gt_u32_e32 0x43f00000, v4
	s_xor_b32 s16, exec_lo, s16
	s_cbranch_execz .LBB51_4035
; %bb.4030:
	s_mov_b32 s17, exec_lo
                                        ; implicit-def: $vgpr1
	v_cmpx_lt_u32_e32 0x3c7fffff, v4
	s_xor_b32 s17, exec_lo, s17
; %bb.4031:
	v_bfe_u32 v1, v98, 20, 1
	s_delay_alu instid0(VALU_DEP_1) | instskip(NEXT) | instid1(VALU_DEP_1)
	v_add3_u32 v1, v98, v1, 0x407ffff
	v_and_b32_e32 v4, 0xff00000, v1
	v_lshrrev_b32_e32 v1, 20, v1
	s_delay_alu instid0(VALU_DEP_2) | instskip(NEXT) | instid1(VALU_DEP_2)
	v_cmp_ne_u32_e32 vcc_lo, 0x7f00000, v4
	v_cndmask_b32_e32 v1, 0x7e, v1, vcc_lo
; %bb.4032:
	s_and_not1_saveexec_b32 s17, s17
; %bb.4033:
	v_add_f32_e64 v1, 0x46800000, |v98|
; %bb.4034:
	s_or_b32 exec_lo, exec_lo, s17
                                        ; implicit-def: $vgpr4
.LBB51_4035:
	s_and_not1_saveexec_b32 s16, s16
; %bb.4036:
	v_mov_b32_e32 v1, 0x7f
	v_cmp_lt_u32_e32 vcc_lo, 0x7f800000, v4
	s_delay_alu instid0(VALU_DEP_2)
	v_cndmask_b32_e32 v1, 0x7e, v1, vcc_lo
; %bb.4037:
	s_or_b32 exec_lo, exec_lo, s16
	v_lshrrev_b32_e32 v4, 24, v98
	s_delay_alu instid0(VALU_DEP_1)
	v_and_or_b32 v1, 0x80, v4, v1
	flat_store_b8 v[2:3], v1
.LBB51_4038:
	s_wait_xcnt 0x0
	s_or_b32 exec_lo, exec_lo, s15
                                        ; implicit-def: $vgpr98
                                        ; implicit-def: $vgpr2_vgpr3
.LBB51_4039:
	s_and_not1_saveexec_b32 s14, s14
	s_cbranch_execz .LBB51_4049
; %bb.4040:
	v_and_b32_e32 v4, 0x7fffffff, v98
	s_mov_b32 s15, exec_lo
                                        ; implicit-def: $vgpr1
	s_delay_alu instid0(VALU_DEP_1)
	v_cmpx_gt_u32_e32 0x47800000, v4
	s_xor_b32 s15, exec_lo, s15
	s_cbranch_execz .LBB51_4046
; %bb.4041:
	s_mov_b32 s16, exec_lo
                                        ; implicit-def: $vgpr1
	v_cmpx_lt_u32_e32 0x387fffff, v4
	s_xor_b32 s16, exec_lo, s16
; %bb.4042:
	v_bfe_u32 v1, v98, 21, 1
	s_delay_alu instid0(VALU_DEP_1) | instskip(NEXT) | instid1(VALU_DEP_1)
	v_add3_u32 v1, v98, v1, 0x80fffff
	v_lshrrev_b32_e32 v1, 21, v1
; %bb.4043:
	s_and_not1_saveexec_b32 s16, s16
; %bb.4044:
	v_add_f32_e64 v1, 0x43000000, |v98|
; %bb.4045:
	s_or_b32 exec_lo, exec_lo, s16
                                        ; implicit-def: $vgpr4
.LBB51_4046:
	s_and_not1_saveexec_b32 s15, s15
; %bb.4047:
	v_mov_b32_e32 v1, 0x7f
	v_cmp_lt_u32_e32 vcc_lo, 0x7f800000, v4
	s_delay_alu instid0(VALU_DEP_2)
	v_cndmask_b32_e32 v1, 0x7c, v1, vcc_lo
; %bb.4048:
	s_or_b32 exec_lo, exec_lo, s15
	v_lshrrev_b32_e32 v4, 24, v98
	s_delay_alu instid0(VALU_DEP_1)
	v_and_or_b32 v1, 0x80, v4, v1
	flat_store_b8 v[2:3], v1
.LBB51_4049:
	s_wait_xcnt 0x0
	s_or_b32 exec_lo, exec_lo, s14
	s_delay_alu instid0(SALU_CYCLE_1)
	s_or_b32 s14, s0, exec_lo
                                        ; implicit-def: $vgpr1
                                        ; implicit-def: $vgpr98
                                        ; implicit-def: $vgpr2_vgpr3
.LBB51_4050:
	s_or_saveexec_b32 s13, s13
	s_mov_b32 s15, s11
	s_xor_b32 exec_lo, exec_lo, s13
	s_cbranch_execz .LBB51_4060
; %bb.4051:
	s_mov_b32 s15, s14
	s_mov_b32 s16, s11
	s_mov_b32 s17, exec_lo
	v_cmpx_lt_i16_e32 14, v1
	s_xor_b32 s17, exec_lo, s17
	s_cbranch_execz .LBB51_4055
; %bb.4052:
	s_mov_b32 s18, -1
	s_mov_b32 s15, s14
	s_mov_b32 s16, exec_lo
	v_cmpx_eq_u16_e32 15, v1
	s_cbranch_execz .LBB51_4054
; %bb.4053:
	v_bfe_u32 v1, v98, 16, 1
	v_cmp_o_f32_e32 vcc_lo, v98, v98
	s_xor_b32 s18, exec_lo, -1
	s_or_b32 s15, s14, exec_lo
	s_delay_alu instid0(VALU_DEP_2) | instskip(NEXT) | instid1(VALU_DEP_1)
	v_add3_u32 v1, v98, v1, 0x7fff
	v_lshrrev_b32_e32 v1, 16, v1
	s_delay_alu instid0(VALU_DEP_1)
	v_cndmask_b32_e32 v1, 0x7fc0, v1, vcc_lo
	flat_store_b16 v[2:3], v1
.LBB51_4054:
	s_wait_xcnt 0x0
	s_or_b32 exec_lo, exec_lo, s16
	s_delay_alu instid0(SALU_CYCLE_1)
	s_and_not1_b32 s16, s11, exec_lo
	s_and_b32 s18, s18, exec_lo
	s_and_not1_b32 s19, s14, exec_lo
	s_and_b32 s15, s15, exec_lo
	s_or_b32 s16, s16, s18
	s_or_b32 s15, s19, s15
                                        ; implicit-def: $vgpr1
                                        ; implicit-def: $vgpr98
                                        ; implicit-def: $vgpr2_vgpr3
.LBB51_4055:
	s_and_not1_saveexec_b32 s17, s17
	s_cbranch_execz .LBB51_4059
; %bb.4056:
	s_mov_b32 s19, -1
	s_mov_b32 s18, s15
	s_mov_b32 s20, exec_lo
	v_cmpx_eq_u16_e32 11, v1
	s_cbranch_execz .LBB51_4058
; %bb.4057:
	v_cmp_neq_f32_e32 vcc_lo, 0, v98
	s_xor_b32 s19, exec_lo, -1
	s_or_b32 s18, s15, exec_lo
	v_cndmask_b32_e64 v1, 0, 1, vcc_lo
	flat_store_b8 v[2:3], v1
.LBB51_4058:
	s_wait_xcnt 0x0
	s_or_b32 exec_lo, exec_lo, s20
	s_delay_alu instid0(SALU_CYCLE_1)
	s_and_not1_b32 s16, s16, exec_lo
	s_and_b32 s19, s19, exec_lo
	s_and_not1_b32 s15, s15, exec_lo
	s_and_b32 s18, s18, exec_lo
	s_or_b32 s16, s16, s19
	s_or_b32 s15, s15, s18
.LBB51_4059:
	s_or_b32 exec_lo, exec_lo, s17
	s_delay_alu instid0(SALU_CYCLE_1)
	s_and_not1_b32 s17, s11, exec_lo
	s_and_b32 s16, s16, exec_lo
	s_and_not1_b32 s14, s14, exec_lo
	s_and_b32 s18, s15, exec_lo
	s_or_b32 s15, s17, s16
	s_or_b32 s14, s14, s18
.LBB51_4060:
	s_or_b32 exec_lo, exec_lo, s13
	s_delay_alu instid0(SALU_CYCLE_1)
	s_and_not1_b32 s11, s11, exec_lo
	s_and_b32 s13, s15, exec_lo
	s_and_not1_b32 s0, s0, exec_lo
	s_and_b32 s14, s14, exec_lo
	s_or_b32 s11, s11, s13
	s_or_b32 s0, s0, s14
.LBB51_4061:
	s_or_b32 exec_lo, exec_lo, s12
	s_delay_alu instid0(SALU_CYCLE_1)
	s_and_not1_b32 s12, s2, exec_lo
	s_and_b32 s11, s11, exec_lo
	s_and_b32 s0, s0, exec_lo
	s_or_b32 s11, s12, s11
                                        ; implicit-def: $vgpr1
                                        ; implicit-def: $vgpr98
                                        ; implicit-def: $vgpr2_vgpr3
.LBB51_4062:
	s_and_not1_saveexec_b32 s8, s8
	s_cbranch_execz .LBB51_4104
; %bb.4063:
	s_mov_b32 s12, exec_lo
	v_cmpx_lt_i16_e32 4, v1
	s_xor_b32 s12, exec_lo, s12
	s_cbranch_execz .LBB51_4085
; %bb.4064:
	s_mov_b32 s13, exec_lo
	v_cmpx_lt_i16_e32 7, v1
	s_xor_b32 s13, exec_lo, s13
	;; [unrolled: 5-line block ×4, first 2 shown]
	s_cbranch_execz .LBB51_4068
; %bb.4067:
	v_cvt_f64_f32_e32 v[4:5], v98
	v_mov_b32_e32 v6, 0
                                        ; implicit-def: $vgpr98
	s_delay_alu instid0(VALU_DEP_1)
	v_mov_b32_e32 v7, v6
	flat_store_b128 v[2:3], v[4:7]
                                        ; implicit-def: $vgpr2_vgpr3
.LBB51_4068:
	s_wait_xcnt 0x0
	s_and_not1_saveexec_b32 s15, s15
	s_cbranch_execz .LBB51_4070
; %bb.4069:
	v_mov_b32_e32 v99, 0
	flat_store_b64 v[2:3], v[98:99]
.LBB51_4070:
	s_wait_xcnt 0x0
	s_or_b32 exec_lo, exec_lo, s15
                                        ; implicit-def: $vgpr98
                                        ; implicit-def: $vgpr2_vgpr3
.LBB51_4071:
	s_and_not1_saveexec_b32 s14, s14
	s_cbranch_execz .LBB51_4073
; %bb.4072:
	v_cvt_f16_f32_e32 v1, v98
	s_delay_alu instid0(VALU_DEP_1)
	v_and_b32_e32 v1, 0xffff, v1
	flat_store_b32 v[2:3], v1
.LBB51_4073:
	s_wait_xcnt 0x0
	s_or_b32 exec_lo, exec_lo, s14
                                        ; implicit-def: $vgpr98
                                        ; implicit-def: $vgpr2_vgpr3
                                        ; implicit-def: $vgpr1
.LBB51_4074:
	s_and_not1_saveexec_b32 s13, s13
	s_cbranch_execz .LBB51_4084
; %bb.4075:
	s_mov_b32 s14, exec_lo
	v_cmpx_lt_i16_e32 5, v1
	s_xor_b32 s14, exec_lo, s14
	s_cbranch_execz .LBB51_4081
; %bb.4076:
	s_mov_b32 s15, exec_lo
	v_cmpx_lt_i16_e32 6, v1
	s_xor_b32 s15, exec_lo, s15
	s_cbranch_execz .LBB51_4078
; %bb.4077:
	v_cvt_f64_f32_e32 v[4:5], v98
                                        ; implicit-def: $vgpr98
	flat_store_b64 v[2:3], v[4:5]
                                        ; implicit-def: $vgpr2_vgpr3
.LBB51_4078:
	s_wait_xcnt 0x0
	s_and_not1_saveexec_b32 s15, s15
	s_cbranch_execz .LBB51_4080
; %bb.4079:
	flat_store_b32 v[2:3], v98
.LBB51_4080:
	s_wait_xcnt 0x0
	s_or_b32 exec_lo, exec_lo, s15
                                        ; implicit-def: $vgpr98
                                        ; implicit-def: $vgpr2_vgpr3
.LBB51_4081:
	s_and_not1_saveexec_b32 s14, s14
	s_cbranch_execz .LBB51_4083
; %bb.4082:
	v_cvt_f16_f32_e32 v1, v98
	flat_store_b16 v[2:3], v1
.LBB51_4083:
	s_wait_xcnt 0x0
	s_or_b32 exec_lo, exec_lo, s14
.LBB51_4084:
	s_delay_alu instid0(SALU_CYCLE_1)
	s_or_b32 exec_lo, exec_lo, s13
                                        ; implicit-def: $vgpr1
                                        ; implicit-def: $vgpr98
                                        ; implicit-def: $vgpr2_vgpr3
.LBB51_4085:
	s_and_not1_saveexec_b32 s12, s12
	s_cbranch_execz .LBB51_4103
; %bb.4086:
	s_mov_b32 s13, exec_lo
	v_cmpx_lt_i16_e32 1, v1
	s_xor_b32 s13, exec_lo, s13
	s_cbranch_execz .LBB51_4096
; %bb.4087:
	s_mov_b32 s14, exec_lo
	v_cmpx_lt_i16_e32 2, v1
	s_xor_b32 s14, exec_lo, s14
	;; [unrolled: 5-line block ×3, first 2 shown]
	s_cbranch_execz .LBB51_4090
; %bb.4089:
	v_trunc_f32_e32 v1, v98
                                        ; implicit-def: $vgpr98
	s_delay_alu instid0(VALU_DEP_1) | instskip(NEXT) | instid1(VALU_DEP_1)
	v_mul_f32_e64 v4, 0x2f800000, |v1|
	v_floor_f32_e32 v5, v4
	v_ashrrev_i32_e32 v4, 31, v1
	s_delay_alu instid0(VALU_DEP_2) | instskip(SKIP_1) | instid1(VALU_DEP_3)
	v_fma_f32 v6, 0xcf800000, v5, |v1|
	v_cvt_u32_f32_e32 v1, v5
	v_mov_b32_e32 v5, v4
	s_delay_alu instid0(VALU_DEP_3) | instskip(NEXT) | instid1(VALU_DEP_3)
	v_cvt_u32_f32_e32 v6, v6
	v_xor_b32_e32 v7, v1, v4
	s_delay_alu instid0(VALU_DEP_2) | instskip(NEXT) | instid1(VALU_DEP_1)
	v_xor_b32_e32 v6, v6, v4
	v_sub_nc_u64_e32 v[4:5], v[6:7], v[4:5]
	flat_store_b64 v[2:3], v[4:5]
                                        ; implicit-def: $vgpr2_vgpr3
.LBB51_4090:
	s_wait_xcnt 0x0
	s_and_not1_saveexec_b32 s15, s15
	s_cbranch_execz .LBB51_4092
; %bb.4091:
	v_cvt_i32_f32_e32 v1, v98
	flat_store_b32 v[2:3], v1
.LBB51_4092:
	s_wait_xcnt 0x0
	s_or_b32 exec_lo, exec_lo, s15
                                        ; implicit-def: $vgpr98
                                        ; implicit-def: $vgpr2_vgpr3
.LBB51_4093:
	s_and_not1_saveexec_b32 s14, s14
	s_cbranch_execz .LBB51_4095
; %bb.4094:
	v_cvt_i32_f32_e32 v1, v98
	flat_store_b16 v[2:3], v1
.LBB51_4095:
	s_wait_xcnt 0x0
	s_or_b32 exec_lo, exec_lo, s14
                                        ; implicit-def: $vgpr98
                                        ; implicit-def: $vgpr2_vgpr3
                                        ; implicit-def: $vgpr1
.LBB51_4096:
	s_and_not1_saveexec_b32 s13, s13
	s_cbranch_execz .LBB51_4102
; %bb.4097:
	s_mov_b32 s14, exec_lo
	v_cmpx_lt_i16_e32 0, v1
	s_xor_b32 s14, exec_lo, s14
	s_cbranch_execz .LBB51_4099
; %bb.4098:
	v_cvt_i32_f32_e32 v1, v98
                                        ; implicit-def: $vgpr98
	flat_store_b8 v[2:3], v1
                                        ; implicit-def: $vgpr2_vgpr3
.LBB51_4099:
	s_wait_xcnt 0x0
	s_and_not1_saveexec_b32 s14, s14
	s_cbranch_execz .LBB51_4101
; %bb.4100:
	v_trunc_f32_e32 v1, v98
	s_delay_alu instid0(VALU_DEP_1) | instskip(NEXT) | instid1(VALU_DEP_1)
	v_mul_f32_e64 v4, 0x2f800000, |v1|
	v_floor_f32_e32 v4, v4
	s_delay_alu instid0(VALU_DEP_1) | instskip(SKIP_1) | instid1(VALU_DEP_2)
	v_fma_f32 v4, 0xcf800000, v4, |v1|
	v_ashrrev_i32_e32 v1, 31, v1
	v_cvt_u32_f32_e32 v4, v4
	s_delay_alu instid0(VALU_DEP_1) | instskip(NEXT) | instid1(VALU_DEP_1)
	v_xor_b32_e32 v4, v4, v1
	v_sub_nc_u32_e32 v1, v4, v1
	flat_store_b8 v[2:3], v1
.LBB51_4101:
	s_wait_xcnt 0x0
	s_or_b32 exec_lo, exec_lo, s14
.LBB51_4102:
	s_delay_alu instid0(SALU_CYCLE_1)
	s_or_b32 exec_lo, exec_lo, s13
.LBB51_4103:
	s_delay_alu instid0(SALU_CYCLE_1) | instskip(NEXT) | instid1(SALU_CYCLE_1)
	s_or_b32 exec_lo, exec_lo, s12
	s_or_b32 s0, s0, exec_lo
.LBB51_4104:
	s_or_b32 exec_lo, exec_lo, s8
	s_mov_b32 s12, 0
	s_mov_b32 s8, 0
	s_and_saveexec_b32 s13, s0
; %bb.4105:
	v_add_nc_u32_e32 v103, 0x200, v103
	s_mov_b32 s12, exec_lo
	s_delay_alu instid0(VALU_DEP_1)
	v_cmp_lt_i32_e32 vcc_lo, v103, v8
	s_and_b32 s8, vcc_lo, exec_lo
; %bb.4106:
	s_or_b32 exec_lo, exec_lo, s13
	s_delay_alu instid0(SALU_CYCLE_1)
	s_and_not1_b32 s0, s2, exec_lo
	s_and_b32 s11, s11, exec_lo
	s_and_b32 s13, s8, exec_lo
	s_or_b32 s8, s0, s11
	s_or_not1_b32 s12, s12, exec_lo
.LBB51_4107:
	s_or_b32 exec_lo, exec_lo, s9
	s_mov_b32 s0, 0
	s_mov_b32 s11, 0
                                        ; implicit-def: $vgpr4
                                        ; implicit-def: $vgpr2_vgpr3
	s_and_saveexec_b32 s9, s12
	s_cbranch_execz .LBB51_7829
; %bb.4108:
	s_mov_b32 s14, -1
	s_mov_b32 s12, 0
	s_mov_b32 s10, s8
	s_and_saveexec_b32 s11, s13
	s_cbranch_execz .LBB51_4236
; %bb.4109:
	v_dual_add_nc_u32 v1, s3, v103 :: v_dual_mov_b32 v3, 0
	s_mov_b32 s13, s8
	s_mov_b32 s10, exec_lo
	s_delay_alu instid0(VALU_DEP_1) | instskip(SKIP_1) | instid1(VALU_DEP_2)
	v_mul_lo_u32 v2, v1, v14
	v_and_b32_e32 v1, 0xff, v13
	v_add_nc_u64_e32 v[2:3], v[114:115], v[2:3]
	s_delay_alu instid0(VALU_DEP_2)
	v_cmpx_lt_i16_e32 10, v1
	s_xor_b32 s10, exec_lo, s10
	s_cbranch_execz .LBB51_4191
; %bb.4110:
	s_mov_b32 s13, s8
	s_mov_b32 s14, exec_lo
	v_cmpx_lt_i16_e32 25, v1
	s_xor_b32 s14, exec_lo, s14
	s_cbranch_execz .LBB51_4146
; %bb.4111:
	s_mov_b32 s15, s8
	s_mov_b32 s13, exec_lo
	;; [unrolled: 6-line block ×3, first 2 shown]
	v_cmpx_lt_i16_e32 43, v1
	s_xor_b32 s15, exec_lo, s15
	s_cbranch_execz .LBB51_4124
; %bb.4113:
	s_mov_b32 s16, 0
	s_mov_b32 s17, s8
	s_mov_b32 s0, exec_lo
	v_cmpx_lt_i16_e32 45, v1
	s_xor_b32 s0, exec_lo, s0
	s_cbranch_execz .LBB51_4117
; %bb.4114:
	s_mov_b32 s18, -1
	s_mov_b32 s17, exec_lo
	v_cmpx_eq_u16_e32 46, v1
	s_cbranch_execz .LBB51_4116
; %bb.4115:
	v_bfe_u32 v1, v96, 16, 1
	v_cmp_o_f32_e32 vcc_lo, v96, v96
	s_mov_b32 s16, exec_lo
	s_xor_b32 s18, exec_lo, -1
	s_delay_alu instid0(VALU_DEP_2) | instskip(NEXT) | instid1(VALU_DEP_1)
	v_add3_u32 v1, v96, v1, 0x7fff
	v_lshrrev_b32_e32 v1, 16, v1
	s_delay_alu instid0(VALU_DEP_1)
	v_cndmask_b32_e32 v1, 0x7fc0, v1, vcc_lo
	flat_store_b32 v[2:3], v1
.LBB51_4116:
	s_wait_xcnt 0x0
	s_or_b32 exec_lo, exec_lo, s17
	s_delay_alu instid0(SALU_CYCLE_1)
	s_and_not1_b32 s17, s8, exec_lo
	s_and_b32 s18, s18, exec_lo
	s_and_b32 s16, s16, exec_lo
	s_or_b32 s17, s17, s18
                                        ; implicit-def: $vgpr1
                                        ; implicit-def: $vgpr2_vgpr3
                                        ; implicit-def: $vgpr96
.LBB51_4117:
	s_and_not1_saveexec_b32 s18, s0
	s_cbranch_execz .LBB51_4123
; %bb.4118:
	s_mov_b32 s20, -1
	s_mov_b32 s0, s16
	s_mov_b32 s19, exec_lo
	v_cmpx_eq_u16_e32 44, v1
	s_cbranch_execz .LBB51_4122
; %bb.4119:
	v_bfe_u32 v4, v96, 23, 8
	v_mov_b32_e32 v1, 0xff
	s_mov_b32 s20, exec_lo
	s_delay_alu instid0(VALU_DEP_2)
	v_cmpx_ne_u32_e32 0xff, v4
	s_cbranch_execz .LBB51_4121
; %bb.4120:
	v_and_b32_e32 v1, 0x400000, v96
	v_and_or_b32 v4, 0x3fffff, v96, v4
	s_delay_alu instid0(VALU_DEP_2) | instskip(NEXT) | instid1(VALU_DEP_2)
	v_cmp_ne_u32_e32 vcc_lo, 0, v1
	v_cmp_ne_u32_e64 s0, 0, v4
	v_lshrrev_b32_e32 v1, 23, v96
	s_and_b32 s0, vcc_lo, s0
	s_delay_alu instid0(SALU_CYCLE_1) | instskip(NEXT) | instid1(VALU_DEP_1)
	v_cndmask_b32_e64 v4, 0, 1, s0
	v_add_nc_u32_e32 v1, v1, v4
.LBB51_4121:
	s_or_b32 exec_lo, exec_lo, s20
	s_delay_alu instid0(SALU_CYCLE_1)
	s_xor_b32 s20, exec_lo, -1
	s_or_b32 s0, s16, exec_lo
	flat_store_b8 v[2:3], v1
.LBB51_4122:
	s_wait_xcnt 0x0
	s_or_b32 exec_lo, exec_lo, s19
	s_delay_alu instid0(SALU_CYCLE_1)
	s_and_not1_b32 s17, s17, exec_lo
	s_and_b32 s19, s20, exec_lo
	s_and_not1_b32 s16, s16, exec_lo
	s_and_b32 s0, s0, exec_lo
	s_or_b32 s17, s17, s19
	s_or_b32 s16, s16, s0
.LBB51_4123:
	s_or_b32 exec_lo, exec_lo, s18
	s_delay_alu instid0(SALU_CYCLE_1) | instskip(SKIP_1) | instid1(SALU_CYCLE_1)
	s_and_not1_b32 s0, s8, exec_lo
	s_and_b32 s17, s17, exec_lo
                                        ; implicit-def: $vgpr1
                                        ; implicit-def: $vgpr96
                                        ; implicit-def: $vgpr2_vgpr3
	s_or_b32 s17, s0, s17
	s_and_b32 s0, s16, exec_lo
.LBB51_4124:
	s_and_not1_saveexec_b32 s15, s15
	s_cbranch_execz .LBB51_4128
; %bb.4125:
	s_mov_b32 s19, -1
	s_mov_b32 s18, s0
	s_mov_b32 s16, exec_lo
	v_cmpx_eq_u16_e32 29, v1
	s_cbranch_execz .LBB51_4127
; %bb.4126:
	v_trunc_f32_e32 v1, v96
	s_xor_b32 s19, exec_lo, -1
	s_or_b32 s18, s0, exec_lo
	s_delay_alu instid0(VALU_DEP_1) | instskip(NEXT) | instid1(VALU_DEP_1)
	v_mul_f32_e32 v4, 0x2f800000, v1
	v_floor_f32_e32 v4, v4
	s_delay_alu instid0(VALU_DEP_1) | instskip(SKIP_1) | instid1(VALU_DEP_2)
	v_fmamk_f32 v1, v4, 0xcf800000, v1
	v_cvt_u32_f32_e32 v5, v4
	v_cvt_u32_f32_e32 v4, v1
	flat_store_b64 v[2:3], v[4:5]
.LBB51_4127:
	s_wait_xcnt 0x0
	s_or_b32 exec_lo, exec_lo, s16
	s_delay_alu instid0(SALU_CYCLE_1)
	s_and_not1_b32 s16, s17, exec_lo
	s_and_b32 s17, s19, exec_lo
	s_and_not1_b32 s0, s0, exec_lo
	s_and_b32 s18, s18, exec_lo
	s_or_b32 s17, s16, s17
	s_or_b32 s0, s0, s18
.LBB51_4128:
	s_or_b32 exec_lo, exec_lo, s15
	s_delay_alu instid0(SALU_CYCLE_1)
	s_and_not1_b32 s15, s8, exec_lo
	s_and_b32 s16, s17, exec_lo
	s_and_b32 s0, s0, exec_lo
	s_or_b32 s15, s15, s16
                                        ; implicit-def: $vgpr2_vgpr3
                                        ; implicit-def: $vgpr1
                                        ; implicit-def: $vgpr96
.LBB51_4129:
	s_and_not1_saveexec_b32 s13, s13
	s_cbranch_execz .LBB51_4145
; %bb.4130:
	s_mov_b32 s16, exec_lo
	v_cmpx_lt_i16_e32 26, v1
	s_xor_b32 s16, exec_lo, s16
	s_cbranch_execz .LBB51_4136
; %bb.4131:
	v_cmp_lt_i16_e32 vcc_lo, 27, v1
	v_cvt_u32_f32_e32 v1, v96
	s_and_saveexec_b32 s17, vcc_lo
	s_delay_alu instid0(SALU_CYCLE_1)
	s_xor_b32 s17, exec_lo, s17
	s_cbranch_execz .LBB51_4133
; %bb.4132:
	flat_store_b32 v[2:3], v1
                                        ; implicit-def: $vgpr2_vgpr3
                                        ; implicit-def: $vgpr1
.LBB51_4133:
	s_wait_xcnt 0x0
	s_and_not1_saveexec_b32 s17, s17
	s_cbranch_execz .LBB51_4135
; %bb.4134:
	flat_store_b16 v[2:3], v1
.LBB51_4135:
	s_wait_xcnt 0x0
	s_or_b32 exec_lo, exec_lo, s17
                                        ; implicit-def: $vgpr2_vgpr3
                                        ; implicit-def: $vgpr96
.LBB51_4136:
	s_and_not1_saveexec_b32 s16, s16
	s_cbranch_execz .LBB51_4144
; %bb.4137:
	v_and_b32_e32 v1, 0x7fffffff, v96
	v_mov_b32_e32 v4, 0x80
	s_mov_b32 s17, exec_lo
	s_delay_alu instid0(VALU_DEP_2)
	v_cmpx_gt_u32_e32 0x43800000, v1
	s_cbranch_execz .LBB51_4143
; %bb.4138:
	v_cmp_lt_u32_e32 vcc_lo, 0x3bffffff, v1
	s_mov_b32 s18, 0
                                        ; implicit-def: $vgpr1
	s_and_saveexec_b32 s19, vcc_lo
	s_delay_alu instid0(SALU_CYCLE_1)
	s_xor_b32 s19, exec_lo, s19
	s_cbranch_execnz .LBB51_7891
; %bb.4139:
	s_and_not1_saveexec_b32 s19, s19
	s_cbranch_execnz .LBB51_7892
.LBB51_4140:
	s_or_b32 exec_lo, exec_lo, s19
	v_mov_b32_e32 v4, 0
	s_and_saveexec_b32 s19, s18
.LBB51_4141:
	v_lshrrev_b32_e32 v4, 24, v96
	s_delay_alu instid0(VALU_DEP_1)
	v_and_or_b32 v4, 0x80, v4, v1
.LBB51_4142:
	s_or_b32 exec_lo, exec_lo, s19
.LBB51_4143:
	s_delay_alu instid0(SALU_CYCLE_1)
	s_or_b32 exec_lo, exec_lo, s17
	flat_store_b8 v[2:3], v4
.LBB51_4144:
	s_wait_xcnt 0x0
	s_or_b32 exec_lo, exec_lo, s16
	s_delay_alu instid0(SALU_CYCLE_1)
	s_or_b32 s0, s0, exec_lo
.LBB51_4145:
	s_or_b32 exec_lo, exec_lo, s13
	s_delay_alu instid0(SALU_CYCLE_1)
	s_and_not1_b32 s13, s8, exec_lo
	s_and_b32 s15, s15, exec_lo
	s_and_b32 s0, s0, exec_lo
	s_or_b32 s13, s13, s15
                                        ; implicit-def: $vgpr1
                                        ; implicit-def: $vgpr96
                                        ; implicit-def: $vgpr2_vgpr3
.LBB51_4146:
	s_and_not1_saveexec_b32 s14, s14
	s_cbranch_execz .LBB51_4190
; %bb.4147:
	s_mov_b32 s16, s0
	s_mov_b32 s15, exec_lo
	v_cmpx_lt_i16_e32 22, v1
	s_xor_b32 s15, exec_lo, s15
	s_cbranch_execz .LBB51_4179
; %bb.4148:
	s_mov_b32 s16, exec_lo
	v_cmpx_lt_i16_e32 23, v1
	s_xor_b32 s16, exec_lo, s16
	s_cbranch_execz .LBB51_4168
; %bb.4149:
	;; [unrolled: 5-line block ×3, first 2 shown]
	v_and_b32_e32 v1, 0x7fffffff, v96
	v_mov_b32_e32 v4, 0x80
	s_mov_b32 s18, exec_lo
	s_delay_alu instid0(VALU_DEP_2)
	v_cmpx_gt_u32_e32 0x47800000, v1
	s_cbranch_execz .LBB51_4156
; %bb.4151:
	v_cmp_lt_u32_e32 vcc_lo, 0x37ffffff, v1
	s_mov_b32 s19, 0
                                        ; implicit-def: $vgpr1
	s_and_saveexec_b32 s20, vcc_lo
	s_delay_alu instid0(SALU_CYCLE_1)
	s_xor_b32 s20, exec_lo, s20
	s_cbranch_execnz .LBB51_7893
; %bb.4152:
	s_and_not1_saveexec_b32 s20, s20
	s_cbranch_execnz .LBB51_7894
.LBB51_4153:
	s_or_b32 exec_lo, exec_lo, s20
	v_mov_b32_e32 v4, 0
	s_and_saveexec_b32 s20, s19
.LBB51_4154:
	v_lshrrev_b32_e32 v4, 24, v96
	s_delay_alu instid0(VALU_DEP_1)
	v_and_or_b32 v4, 0x80, v4, v1
.LBB51_4155:
	s_or_b32 exec_lo, exec_lo, s20
.LBB51_4156:
	s_delay_alu instid0(SALU_CYCLE_1)
	s_or_b32 exec_lo, exec_lo, s18
	flat_store_b8 v[2:3], v4
                                        ; implicit-def: $vgpr96
                                        ; implicit-def: $vgpr2_vgpr3
.LBB51_4157:
	s_wait_xcnt 0x0
	s_and_not1_saveexec_b32 s17, s17
	s_cbranch_execz .LBB51_4167
; %bb.4158:
	v_and_b32_e32 v4, 0x7fffffff, v96
	s_mov_b32 s18, exec_lo
                                        ; implicit-def: $vgpr1
	s_delay_alu instid0(VALU_DEP_1)
	v_cmpx_gt_u32_e32 0x43f00000, v4
	s_xor_b32 s18, exec_lo, s18
	s_cbranch_execz .LBB51_4164
; %bb.4159:
	s_mov_b32 s19, exec_lo
                                        ; implicit-def: $vgpr1
	v_cmpx_lt_u32_e32 0x3c7fffff, v4
	s_xor_b32 s19, exec_lo, s19
; %bb.4160:
	v_bfe_u32 v1, v96, 20, 1
	s_delay_alu instid0(VALU_DEP_1) | instskip(NEXT) | instid1(VALU_DEP_1)
	v_add3_u32 v1, v96, v1, 0x407ffff
	v_and_b32_e32 v4, 0xff00000, v1
	v_lshrrev_b32_e32 v1, 20, v1
	s_delay_alu instid0(VALU_DEP_2) | instskip(NEXT) | instid1(VALU_DEP_2)
	v_cmp_ne_u32_e32 vcc_lo, 0x7f00000, v4
	v_cndmask_b32_e32 v1, 0x7e, v1, vcc_lo
; %bb.4161:
	s_and_not1_saveexec_b32 s19, s19
; %bb.4162:
	v_add_f32_e64 v1, 0x46800000, |v96|
; %bb.4163:
	s_or_b32 exec_lo, exec_lo, s19
                                        ; implicit-def: $vgpr4
.LBB51_4164:
	s_and_not1_saveexec_b32 s18, s18
; %bb.4165:
	v_mov_b32_e32 v1, 0x7f
	v_cmp_lt_u32_e32 vcc_lo, 0x7f800000, v4
	s_delay_alu instid0(VALU_DEP_2)
	v_cndmask_b32_e32 v1, 0x7e, v1, vcc_lo
; %bb.4166:
	s_or_b32 exec_lo, exec_lo, s18
	v_lshrrev_b32_e32 v4, 24, v96
	s_delay_alu instid0(VALU_DEP_1)
	v_and_or_b32 v1, 0x80, v4, v1
	flat_store_b8 v[2:3], v1
.LBB51_4167:
	s_wait_xcnt 0x0
	s_or_b32 exec_lo, exec_lo, s17
                                        ; implicit-def: $vgpr96
                                        ; implicit-def: $vgpr2_vgpr3
.LBB51_4168:
	s_and_not1_saveexec_b32 s16, s16
	s_cbranch_execz .LBB51_4178
; %bb.4169:
	v_and_b32_e32 v4, 0x7fffffff, v96
	s_mov_b32 s17, exec_lo
                                        ; implicit-def: $vgpr1
	s_delay_alu instid0(VALU_DEP_1)
	v_cmpx_gt_u32_e32 0x47800000, v4
	s_xor_b32 s17, exec_lo, s17
	s_cbranch_execz .LBB51_4175
; %bb.4170:
	s_mov_b32 s18, exec_lo
                                        ; implicit-def: $vgpr1
	v_cmpx_lt_u32_e32 0x387fffff, v4
	s_xor_b32 s18, exec_lo, s18
; %bb.4171:
	v_bfe_u32 v1, v96, 21, 1
	s_delay_alu instid0(VALU_DEP_1) | instskip(NEXT) | instid1(VALU_DEP_1)
	v_add3_u32 v1, v96, v1, 0x80fffff
	v_lshrrev_b32_e32 v1, 21, v1
; %bb.4172:
	s_and_not1_saveexec_b32 s18, s18
; %bb.4173:
	v_add_f32_e64 v1, 0x43000000, |v96|
; %bb.4174:
	s_or_b32 exec_lo, exec_lo, s18
                                        ; implicit-def: $vgpr4
.LBB51_4175:
	s_and_not1_saveexec_b32 s17, s17
; %bb.4176:
	v_mov_b32_e32 v1, 0x7f
	v_cmp_lt_u32_e32 vcc_lo, 0x7f800000, v4
	s_delay_alu instid0(VALU_DEP_2)
	v_cndmask_b32_e32 v1, 0x7c, v1, vcc_lo
; %bb.4177:
	s_or_b32 exec_lo, exec_lo, s17
	v_lshrrev_b32_e32 v4, 24, v96
	s_delay_alu instid0(VALU_DEP_1)
	v_and_or_b32 v1, 0x80, v4, v1
	flat_store_b8 v[2:3], v1
.LBB51_4178:
	s_wait_xcnt 0x0
	s_or_b32 exec_lo, exec_lo, s16
	s_delay_alu instid0(SALU_CYCLE_1)
	s_or_b32 s16, s0, exec_lo
                                        ; implicit-def: $vgpr1
                                        ; implicit-def: $vgpr96
                                        ; implicit-def: $vgpr2_vgpr3
.LBB51_4179:
	s_or_saveexec_b32 s15, s15
	s_mov_b32 s17, s13
	s_xor_b32 exec_lo, exec_lo, s15
	s_cbranch_execz .LBB51_4189
; %bb.4180:
	s_mov_b32 s17, s16
	s_mov_b32 s18, s13
	s_mov_b32 s19, exec_lo
	v_cmpx_lt_i16_e32 14, v1
	s_xor_b32 s19, exec_lo, s19
	s_cbranch_execz .LBB51_4184
; %bb.4181:
	s_mov_b32 s20, -1
	s_mov_b32 s17, s16
	s_mov_b32 s18, exec_lo
	v_cmpx_eq_u16_e32 15, v1
	s_cbranch_execz .LBB51_4183
; %bb.4182:
	v_bfe_u32 v1, v96, 16, 1
	v_cmp_o_f32_e32 vcc_lo, v96, v96
	s_xor_b32 s20, exec_lo, -1
	s_or_b32 s17, s16, exec_lo
	s_delay_alu instid0(VALU_DEP_2) | instskip(NEXT) | instid1(VALU_DEP_1)
	v_add3_u32 v1, v96, v1, 0x7fff
	v_lshrrev_b32_e32 v1, 16, v1
	s_delay_alu instid0(VALU_DEP_1)
	v_cndmask_b32_e32 v1, 0x7fc0, v1, vcc_lo
	flat_store_b16 v[2:3], v1
.LBB51_4183:
	s_wait_xcnt 0x0
	s_or_b32 exec_lo, exec_lo, s18
	s_delay_alu instid0(SALU_CYCLE_1)
	s_and_not1_b32 s18, s13, exec_lo
	s_and_b32 s20, s20, exec_lo
	s_and_not1_b32 s21, s16, exec_lo
	s_and_b32 s17, s17, exec_lo
	s_or_b32 s18, s18, s20
	s_or_b32 s17, s21, s17
                                        ; implicit-def: $vgpr1
                                        ; implicit-def: $vgpr96
                                        ; implicit-def: $vgpr2_vgpr3
.LBB51_4184:
	s_and_not1_saveexec_b32 s19, s19
	s_cbranch_execz .LBB51_4188
; %bb.4185:
	s_mov_b32 s21, -1
	s_mov_b32 s20, s17
	s_mov_b32 s22, exec_lo
	v_cmpx_eq_u16_e32 11, v1
	s_cbranch_execz .LBB51_4187
; %bb.4186:
	v_cmp_neq_f32_e32 vcc_lo, 0, v96
	s_xor_b32 s21, exec_lo, -1
	s_or_b32 s20, s17, exec_lo
	v_cndmask_b32_e64 v1, 0, 1, vcc_lo
	flat_store_b8 v[2:3], v1
.LBB51_4187:
	s_wait_xcnt 0x0
	s_or_b32 exec_lo, exec_lo, s22
	s_delay_alu instid0(SALU_CYCLE_1)
	s_and_not1_b32 s18, s18, exec_lo
	s_and_b32 s21, s21, exec_lo
	s_and_not1_b32 s17, s17, exec_lo
	s_and_b32 s20, s20, exec_lo
	s_or_b32 s18, s18, s21
	s_or_b32 s17, s17, s20
.LBB51_4188:
	s_or_b32 exec_lo, exec_lo, s19
	s_delay_alu instid0(SALU_CYCLE_1)
	s_and_not1_b32 s19, s13, exec_lo
	s_and_b32 s18, s18, exec_lo
	s_and_not1_b32 s16, s16, exec_lo
	s_and_b32 s20, s17, exec_lo
	s_or_b32 s17, s19, s18
	s_or_b32 s16, s16, s20
.LBB51_4189:
	s_or_b32 exec_lo, exec_lo, s15
	s_delay_alu instid0(SALU_CYCLE_1)
	s_and_not1_b32 s13, s13, exec_lo
	s_and_b32 s15, s17, exec_lo
	s_and_not1_b32 s0, s0, exec_lo
	s_and_b32 s16, s16, exec_lo
	s_or_b32 s13, s13, s15
	s_or_b32 s0, s0, s16
.LBB51_4190:
	s_or_b32 exec_lo, exec_lo, s14
	s_delay_alu instid0(SALU_CYCLE_1)
	s_and_not1_b32 s14, s8, exec_lo
	s_and_b32 s13, s13, exec_lo
	s_and_b32 s0, s0, exec_lo
	s_or_b32 s13, s14, s13
                                        ; implicit-def: $vgpr1
                                        ; implicit-def: $vgpr96
                                        ; implicit-def: $vgpr2_vgpr3
.LBB51_4191:
	s_and_not1_saveexec_b32 s10, s10
	s_cbranch_execz .LBB51_4233
; %bb.4192:
	s_mov_b32 s14, exec_lo
	v_cmpx_lt_i16_e32 4, v1
	s_xor_b32 s14, exec_lo, s14
	s_cbranch_execz .LBB51_4214
; %bb.4193:
	s_mov_b32 s15, exec_lo
	v_cmpx_lt_i16_e32 7, v1
	s_xor_b32 s15, exec_lo, s15
	;; [unrolled: 5-line block ×4, first 2 shown]
	s_cbranch_execz .LBB51_4197
; %bb.4196:
	v_cvt_f64_f32_e32 v[4:5], v96
	v_mov_b32_e32 v6, 0
                                        ; implicit-def: $vgpr96
	s_delay_alu instid0(VALU_DEP_1)
	v_mov_b32_e32 v7, v6
	flat_store_b128 v[2:3], v[4:7]
                                        ; implicit-def: $vgpr2_vgpr3
.LBB51_4197:
	s_wait_xcnt 0x0
	s_and_not1_saveexec_b32 s17, s17
	s_cbranch_execz .LBB51_4199
; %bb.4198:
	v_mov_b32_e32 v97, 0
	flat_store_b64 v[2:3], v[96:97]
.LBB51_4199:
	s_wait_xcnt 0x0
	s_or_b32 exec_lo, exec_lo, s17
                                        ; implicit-def: $vgpr96
                                        ; implicit-def: $vgpr2_vgpr3
.LBB51_4200:
	s_and_not1_saveexec_b32 s16, s16
	s_cbranch_execz .LBB51_4202
; %bb.4201:
	v_cvt_f16_f32_e32 v1, v96
	s_delay_alu instid0(VALU_DEP_1)
	v_and_b32_e32 v1, 0xffff, v1
	flat_store_b32 v[2:3], v1
.LBB51_4202:
	s_wait_xcnt 0x0
	s_or_b32 exec_lo, exec_lo, s16
                                        ; implicit-def: $vgpr96
                                        ; implicit-def: $vgpr2_vgpr3
                                        ; implicit-def: $vgpr1
.LBB51_4203:
	s_and_not1_saveexec_b32 s15, s15
	s_cbranch_execz .LBB51_4213
; %bb.4204:
	s_mov_b32 s16, exec_lo
	v_cmpx_lt_i16_e32 5, v1
	s_xor_b32 s16, exec_lo, s16
	s_cbranch_execz .LBB51_4210
; %bb.4205:
	s_mov_b32 s17, exec_lo
	v_cmpx_lt_i16_e32 6, v1
	s_xor_b32 s17, exec_lo, s17
	s_cbranch_execz .LBB51_4207
; %bb.4206:
	v_cvt_f64_f32_e32 v[4:5], v96
                                        ; implicit-def: $vgpr96
	flat_store_b64 v[2:3], v[4:5]
                                        ; implicit-def: $vgpr2_vgpr3
.LBB51_4207:
	s_wait_xcnt 0x0
	s_and_not1_saveexec_b32 s17, s17
	s_cbranch_execz .LBB51_4209
; %bb.4208:
	flat_store_b32 v[2:3], v96
.LBB51_4209:
	s_wait_xcnt 0x0
	s_or_b32 exec_lo, exec_lo, s17
                                        ; implicit-def: $vgpr96
                                        ; implicit-def: $vgpr2_vgpr3
.LBB51_4210:
	s_and_not1_saveexec_b32 s16, s16
	s_cbranch_execz .LBB51_4212
; %bb.4211:
	v_cvt_f16_f32_e32 v1, v96
	flat_store_b16 v[2:3], v1
.LBB51_4212:
	s_wait_xcnt 0x0
	s_or_b32 exec_lo, exec_lo, s16
.LBB51_4213:
	s_delay_alu instid0(SALU_CYCLE_1)
	s_or_b32 exec_lo, exec_lo, s15
                                        ; implicit-def: $vgpr1
                                        ; implicit-def: $vgpr96
                                        ; implicit-def: $vgpr2_vgpr3
.LBB51_4214:
	s_and_not1_saveexec_b32 s14, s14
	s_cbranch_execz .LBB51_4232
; %bb.4215:
	s_mov_b32 s15, exec_lo
	v_cmpx_lt_i16_e32 1, v1
	s_xor_b32 s15, exec_lo, s15
	s_cbranch_execz .LBB51_4225
; %bb.4216:
	s_mov_b32 s16, exec_lo
	v_cmpx_lt_i16_e32 2, v1
	s_xor_b32 s16, exec_lo, s16
	;; [unrolled: 5-line block ×3, first 2 shown]
	s_cbranch_execz .LBB51_4219
; %bb.4218:
	v_trunc_f32_e32 v1, v96
                                        ; implicit-def: $vgpr96
	s_delay_alu instid0(VALU_DEP_1) | instskip(NEXT) | instid1(VALU_DEP_1)
	v_mul_f32_e64 v4, 0x2f800000, |v1|
	v_floor_f32_e32 v5, v4
	v_ashrrev_i32_e32 v4, 31, v1
	s_delay_alu instid0(VALU_DEP_2) | instskip(SKIP_1) | instid1(VALU_DEP_3)
	v_fma_f32 v6, 0xcf800000, v5, |v1|
	v_cvt_u32_f32_e32 v1, v5
	v_mov_b32_e32 v5, v4
	s_delay_alu instid0(VALU_DEP_3) | instskip(NEXT) | instid1(VALU_DEP_3)
	v_cvt_u32_f32_e32 v6, v6
	v_xor_b32_e32 v7, v1, v4
	s_delay_alu instid0(VALU_DEP_2) | instskip(NEXT) | instid1(VALU_DEP_1)
	v_xor_b32_e32 v6, v6, v4
	v_sub_nc_u64_e32 v[4:5], v[6:7], v[4:5]
	flat_store_b64 v[2:3], v[4:5]
                                        ; implicit-def: $vgpr2_vgpr3
.LBB51_4219:
	s_wait_xcnt 0x0
	s_and_not1_saveexec_b32 s17, s17
	s_cbranch_execz .LBB51_4221
; %bb.4220:
	v_cvt_i32_f32_e32 v1, v96
	flat_store_b32 v[2:3], v1
.LBB51_4221:
	s_wait_xcnt 0x0
	s_or_b32 exec_lo, exec_lo, s17
                                        ; implicit-def: $vgpr96
                                        ; implicit-def: $vgpr2_vgpr3
.LBB51_4222:
	s_and_not1_saveexec_b32 s16, s16
	s_cbranch_execz .LBB51_4224
; %bb.4223:
	v_cvt_i32_f32_e32 v1, v96
	flat_store_b16 v[2:3], v1
.LBB51_4224:
	s_wait_xcnt 0x0
	s_or_b32 exec_lo, exec_lo, s16
                                        ; implicit-def: $vgpr96
                                        ; implicit-def: $vgpr2_vgpr3
                                        ; implicit-def: $vgpr1
.LBB51_4225:
	s_and_not1_saveexec_b32 s15, s15
	s_cbranch_execz .LBB51_4231
; %bb.4226:
	s_mov_b32 s16, exec_lo
	v_cmpx_lt_i16_e32 0, v1
	s_xor_b32 s16, exec_lo, s16
	s_cbranch_execz .LBB51_4228
; %bb.4227:
	v_cvt_i32_f32_e32 v1, v96
                                        ; implicit-def: $vgpr96
	flat_store_b8 v[2:3], v1
                                        ; implicit-def: $vgpr2_vgpr3
.LBB51_4228:
	s_wait_xcnt 0x0
	s_and_not1_saveexec_b32 s16, s16
	s_cbranch_execz .LBB51_4230
; %bb.4229:
	v_trunc_f32_e32 v1, v96
	s_delay_alu instid0(VALU_DEP_1) | instskip(NEXT) | instid1(VALU_DEP_1)
	v_mul_f32_e64 v4, 0x2f800000, |v1|
	v_floor_f32_e32 v4, v4
	s_delay_alu instid0(VALU_DEP_1) | instskip(SKIP_1) | instid1(VALU_DEP_2)
	v_fma_f32 v4, 0xcf800000, v4, |v1|
	v_ashrrev_i32_e32 v1, 31, v1
	v_cvt_u32_f32_e32 v4, v4
	s_delay_alu instid0(VALU_DEP_1) | instskip(NEXT) | instid1(VALU_DEP_1)
	v_xor_b32_e32 v4, v4, v1
	v_sub_nc_u32_e32 v1, v4, v1
	flat_store_b8 v[2:3], v1
.LBB51_4230:
	s_wait_xcnt 0x0
	s_or_b32 exec_lo, exec_lo, s16
.LBB51_4231:
	s_delay_alu instid0(SALU_CYCLE_1)
	s_or_b32 exec_lo, exec_lo, s15
.LBB51_4232:
	s_delay_alu instid0(SALU_CYCLE_1) | instskip(NEXT) | instid1(SALU_CYCLE_1)
	s_or_b32 exec_lo, exec_lo, s14
	s_or_b32 s0, s0, exec_lo
.LBB51_4233:
	s_or_b32 exec_lo, exec_lo, s10
	s_mov_b32 s14, 0
	s_mov_b32 s10, 0
	s_and_saveexec_b32 s15, s0
; %bb.4234:
	v_add_nc_u32_e32 v103, 0x200, v103
	s_mov_b32 s14, exec_lo
	s_delay_alu instid0(VALU_DEP_1)
	v_cmp_lt_i32_e32 vcc_lo, v103, v8
	s_and_b32 s10, vcc_lo, exec_lo
; %bb.4235:
	s_or_b32 exec_lo, exec_lo, s15
	s_delay_alu instid0(SALU_CYCLE_1)
	s_and_not1_b32 s15, s8, exec_lo
	s_and_b32 s13, s13, exec_lo
	s_and_b32 s0, s10, exec_lo
	s_or_b32 s10, s15, s13
	s_or_not1_b32 s14, s14, exec_lo
.LBB51_4236:
	s_or_b32 exec_lo, exec_lo, s11
	s_mov_b32 s13, 0
	s_mov_b32 s15, 0
                                        ; implicit-def: $vgpr4
                                        ; implicit-def: $vgpr2_vgpr3
	s_and_saveexec_b32 s11, s14
	s_cbranch_execz .LBB51_7828
; %bb.4237:
	s_mov_b32 s16, -1
	s_mov_b32 s14, 0
	s_mov_b32 s12, s10
	;; [unrolled: 1-line block ×3, first 2 shown]
	s_and_saveexec_b32 s13, s0
	s_cbranch_execz .LBB51_4365
; %bb.4238:
	v_dual_add_nc_u32 v1, s3, v103 :: v_dual_mov_b32 v3, 0
	s_mov_b32 s0, 0
	s_mov_b32 s15, s10
	s_mov_b32 s12, exec_lo
	s_delay_alu instid0(VALU_DEP_1) | instskip(SKIP_1) | instid1(VALU_DEP_2)
	v_mul_lo_u32 v2, v1, v14
	v_and_b32_e32 v1, 0xff, v13
	v_add_nc_u64_e32 v[2:3], v[114:115], v[2:3]
	s_delay_alu instid0(VALU_DEP_2)
	v_cmpx_lt_i16_e32 10, v1
	s_xor_b32 s12, exec_lo, s12
	s_cbranch_execz .LBB51_4320
; %bb.4239:
	s_mov_b32 s15, s10
	s_mov_b32 s16, exec_lo
	v_cmpx_lt_i16_e32 25, v1
	s_xor_b32 s16, exec_lo, s16
	s_cbranch_execz .LBB51_4275
; %bb.4240:
	s_mov_b32 s17, s10
	s_mov_b32 s15, exec_lo
	;; [unrolled: 6-line block ×3, first 2 shown]
	v_cmpx_lt_i16_e32 43, v1
	s_xor_b32 s17, exec_lo, s17
	s_cbranch_execz .LBB51_4253
; %bb.4242:
	s_mov_b32 s18, 0
	s_mov_b32 s19, s10
	s_mov_b32 s0, exec_lo
	v_cmpx_lt_i16_e32 45, v1
	s_xor_b32 s0, exec_lo, s0
	s_cbranch_execz .LBB51_4246
; %bb.4243:
	s_mov_b32 s20, -1
	s_mov_b32 s19, exec_lo
	v_cmpx_eq_u16_e32 46, v1
	s_cbranch_execz .LBB51_4245
; %bb.4244:
	v_bfe_u32 v1, v86, 16, 1
	v_cmp_o_f32_e32 vcc_lo, v86, v86
	s_mov_b32 s18, exec_lo
	s_xor_b32 s20, exec_lo, -1
	s_delay_alu instid0(VALU_DEP_2) | instskip(NEXT) | instid1(VALU_DEP_1)
	v_add3_u32 v1, v86, v1, 0x7fff
	v_lshrrev_b32_e32 v1, 16, v1
	s_delay_alu instid0(VALU_DEP_1)
	v_cndmask_b32_e32 v1, 0x7fc0, v1, vcc_lo
	flat_store_b32 v[2:3], v1
.LBB51_4245:
	s_wait_xcnt 0x0
	s_or_b32 exec_lo, exec_lo, s19
	s_delay_alu instid0(SALU_CYCLE_1)
	s_and_not1_b32 s19, s10, exec_lo
	s_and_b32 s20, s20, exec_lo
	s_and_b32 s18, s18, exec_lo
	s_or_b32 s19, s19, s20
                                        ; implicit-def: $vgpr1
                                        ; implicit-def: $vgpr2_vgpr3
                                        ; implicit-def: $vgpr86
.LBB51_4246:
	s_and_not1_saveexec_b32 s20, s0
	s_cbranch_execz .LBB51_4252
; %bb.4247:
	s_mov_b32 s22, -1
	s_mov_b32 s0, s18
	s_mov_b32 s21, exec_lo
	v_cmpx_eq_u16_e32 44, v1
	s_cbranch_execz .LBB51_4251
; %bb.4248:
	v_bfe_u32 v4, v86, 23, 8
	v_mov_b32_e32 v1, 0xff
	s_mov_b32 s22, exec_lo
	s_delay_alu instid0(VALU_DEP_2)
	v_cmpx_ne_u32_e32 0xff, v4
	s_cbranch_execz .LBB51_4250
; %bb.4249:
	v_and_b32_e32 v1, 0x400000, v86
	v_and_or_b32 v4, 0x3fffff, v86, v4
	s_delay_alu instid0(VALU_DEP_2) | instskip(NEXT) | instid1(VALU_DEP_2)
	v_cmp_ne_u32_e32 vcc_lo, 0, v1
	v_cmp_ne_u32_e64 s0, 0, v4
	v_lshrrev_b32_e32 v1, 23, v86
	s_and_b32 s0, vcc_lo, s0
	s_delay_alu instid0(SALU_CYCLE_1) | instskip(NEXT) | instid1(VALU_DEP_1)
	v_cndmask_b32_e64 v4, 0, 1, s0
	v_add_nc_u32_e32 v1, v1, v4
.LBB51_4250:
	s_or_b32 exec_lo, exec_lo, s22
	s_delay_alu instid0(SALU_CYCLE_1)
	s_xor_b32 s22, exec_lo, -1
	s_or_b32 s0, s18, exec_lo
	flat_store_b8 v[2:3], v1
.LBB51_4251:
	s_wait_xcnt 0x0
	s_or_b32 exec_lo, exec_lo, s21
	s_delay_alu instid0(SALU_CYCLE_1)
	s_and_not1_b32 s19, s19, exec_lo
	s_and_b32 s21, s22, exec_lo
	s_and_not1_b32 s18, s18, exec_lo
	s_and_b32 s0, s0, exec_lo
	s_or_b32 s19, s19, s21
	s_or_b32 s18, s18, s0
.LBB51_4252:
	s_or_b32 exec_lo, exec_lo, s20
	s_delay_alu instid0(SALU_CYCLE_1) | instskip(SKIP_1) | instid1(SALU_CYCLE_1)
	s_and_not1_b32 s0, s10, exec_lo
	s_and_b32 s19, s19, exec_lo
                                        ; implicit-def: $vgpr1
                                        ; implicit-def: $vgpr86
                                        ; implicit-def: $vgpr2_vgpr3
	s_or_b32 s19, s0, s19
	s_and_b32 s0, s18, exec_lo
.LBB51_4253:
	s_and_not1_saveexec_b32 s17, s17
	s_cbranch_execz .LBB51_4257
; %bb.4254:
	s_mov_b32 s21, -1
	s_mov_b32 s20, s0
	s_mov_b32 s18, exec_lo
	v_cmpx_eq_u16_e32 29, v1
	s_cbranch_execz .LBB51_4256
; %bb.4255:
	v_trunc_f32_e32 v1, v86
	s_xor_b32 s21, exec_lo, -1
	s_or_b32 s20, s0, exec_lo
	s_delay_alu instid0(VALU_DEP_1) | instskip(NEXT) | instid1(VALU_DEP_1)
	v_mul_f32_e32 v4, 0x2f800000, v1
	v_floor_f32_e32 v4, v4
	s_delay_alu instid0(VALU_DEP_1) | instskip(SKIP_1) | instid1(VALU_DEP_2)
	v_fmamk_f32 v1, v4, 0xcf800000, v1
	v_cvt_u32_f32_e32 v5, v4
	v_cvt_u32_f32_e32 v4, v1
	flat_store_b64 v[2:3], v[4:5]
.LBB51_4256:
	s_wait_xcnt 0x0
	s_or_b32 exec_lo, exec_lo, s18
	s_delay_alu instid0(SALU_CYCLE_1)
	s_and_not1_b32 s18, s19, exec_lo
	s_and_b32 s19, s21, exec_lo
	s_and_not1_b32 s0, s0, exec_lo
	s_and_b32 s20, s20, exec_lo
	s_or_b32 s19, s18, s19
	s_or_b32 s0, s0, s20
.LBB51_4257:
	s_or_b32 exec_lo, exec_lo, s17
	s_delay_alu instid0(SALU_CYCLE_1)
	s_and_not1_b32 s17, s10, exec_lo
	s_and_b32 s18, s19, exec_lo
	s_and_b32 s0, s0, exec_lo
	s_or_b32 s17, s17, s18
                                        ; implicit-def: $vgpr2_vgpr3
                                        ; implicit-def: $vgpr1
                                        ; implicit-def: $vgpr86
.LBB51_4258:
	s_and_not1_saveexec_b32 s15, s15
	s_cbranch_execz .LBB51_4274
; %bb.4259:
	s_mov_b32 s18, exec_lo
	v_cmpx_lt_i16_e32 26, v1
	s_xor_b32 s18, exec_lo, s18
	s_cbranch_execz .LBB51_4265
; %bb.4260:
	v_cmp_lt_i16_e32 vcc_lo, 27, v1
	v_cvt_u32_f32_e32 v1, v86
	s_and_saveexec_b32 s19, vcc_lo
	s_delay_alu instid0(SALU_CYCLE_1)
	s_xor_b32 s19, exec_lo, s19
	s_cbranch_execz .LBB51_4262
; %bb.4261:
	flat_store_b32 v[2:3], v1
                                        ; implicit-def: $vgpr2_vgpr3
                                        ; implicit-def: $vgpr1
.LBB51_4262:
	s_wait_xcnt 0x0
	s_and_not1_saveexec_b32 s19, s19
	s_cbranch_execz .LBB51_4264
; %bb.4263:
	flat_store_b16 v[2:3], v1
.LBB51_4264:
	s_wait_xcnt 0x0
	s_or_b32 exec_lo, exec_lo, s19
                                        ; implicit-def: $vgpr2_vgpr3
                                        ; implicit-def: $vgpr86
.LBB51_4265:
	s_and_not1_saveexec_b32 s18, s18
	s_cbranch_execz .LBB51_4273
; %bb.4266:
	v_and_b32_e32 v1, 0x7fffffff, v86
	v_mov_b32_e32 v4, 0x80
	s_mov_b32 s19, exec_lo
	s_delay_alu instid0(VALU_DEP_2)
	v_cmpx_gt_u32_e32 0x43800000, v1
	s_cbranch_execz .LBB51_4272
; %bb.4267:
	v_cmp_lt_u32_e32 vcc_lo, 0x3bffffff, v1
	s_mov_b32 s20, 0
                                        ; implicit-def: $vgpr1
	s_and_saveexec_b32 s21, vcc_lo
	s_delay_alu instid0(SALU_CYCLE_1)
	s_xor_b32 s21, exec_lo, s21
	s_cbranch_execnz .LBB51_7895
; %bb.4268:
	s_and_not1_saveexec_b32 s21, s21
	s_cbranch_execnz .LBB51_7896
.LBB51_4269:
	s_or_b32 exec_lo, exec_lo, s21
	v_mov_b32_e32 v4, 0
	s_and_saveexec_b32 s21, s20
.LBB51_4270:
	v_lshrrev_b32_e32 v4, 24, v86
	s_delay_alu instid0(VALU_DEP_1)
	v_and_or_b32 v4, 0x80, v4, v1
.LBB51_4271:
	s_or_b32 exec_lo, exec_lo, s21
.LBB51_4272:
	s_delay_alu instid0(SALU_CYCLE_1)
	s_or_b32 exec_lo, exec_lo, s19
	flat_store_b8 v[2:3], v4
.LBB51_4273:
	s_wait_xcnt 0x0
	s_or_b32 exec_lo, exec_lo, s18
	s_delay_alu instid0(SALU_CYCLE_1)
	s_or_b32 s0, s0, exec_lo
.LBB51_4274:
	s_or_b32 exec_lo, exec_lo, s15
	s_delay_alu instid0(SALU_CYCLE_1)
	s_and_not1_b32 s15, s10, exec_lo
	s_and_b32 s17, s17, exec_lo
	s_and_b32 s0, s0, exec_lo
	s_or_b32 s15, s15, s17
                                        ; implicit-def: $vgpr1
                                        ; implicit-def: $vgpr86
                                        ; implicit-def: $vgpr2_vgpr3
.LBB51_4275:
	s_and_not1_saveexec_b32 s16, s16
	s_cbranch_execz .LBB51_4319
; %bb.4276:
	s_mov_b32 s18, s0
	s_mov_b32 s17, exec_lo
	v_cmpx_lt_i16_e32 22, v1
	s_xor_b32 s17, exec_lo, s17
	s_cbranch_execz .LBB51_4308
; %bb.4277:
	s_mov_b32 s18, exec_lo
	v_cmpx_lt_i16_e32 23, v1
	s_xor_b32 s18, exec_lo, s18
	s_cbranch_execz .LBB51_4297
; %bb.4278:
	;; [unrolled: 5-line block ×3, first 2 shown]
	v_and_b32_e32 v1, 0x7fffffff, v86
	v_mov_b32_e32 v4, 0x80
	s_mov_b32 s20, exec_lo
	s_delay_alu instid0(VALU_DEP_2)
	v_cmpx_gt_u32_e32 0x47800000, v1
	s_cbranch_execz .LBB51_4285
; %bb.4280:
	v_cmp_lt_u32_e32 vcc_lo, 0x37ffffff, v1
	s_mov_b32 s21, 0
                                        ; implicit-def: $vgpr1
	s_and_saveexec_b32 s22, vcc_lo
	s_delay_alu instid0(SALU_CYCLE_1)
	s_xor_b32 s22, exec_lo, s22
	s_cbranch_execnz .LBB51_7897
; %bb.4281:
	s_and_not1_saveexec_b32 s22, s22
	s_cbranch_execnz .LBB51_7898
.LBB51_4282:
	s_or_b32 exec_lo, exec_lo, s22
	v_mov_b32_e32 v4, 0
	s_and_saveexec_b32 s22, s21
.LBB51_4283:
	v_lshrrev_b32_e32 v4, 24, v86
	s_delay_alu instid0(VALU_DEP_1)
	v_and_or_b32 v4, 0x80, v4, v1
.LBB51_4284:
	s_or_b32 exec_lo, exec_lo, s22
.LBB51_4285:
	s_delay_alu instid0(SALU_CYCLE_1)
	s_or_b32 exec_lo, exec_lo, s20
	flat_store_b8 v[2:3], v4
                                        ; implicit-def: $vgpr86
                                        ; implicit-def: $vgpr2_vgpr3
.LBB51_4286:
	s_wait_xcnt 0x0
	s_and_not1_saveexec_b32 s19, s19
	s_cbranch_execz .LBB51_4296
; %bb.4287:
	v_and_b32_e32 v4, 0x7fffffff, v86
	s_mov_b32 s20, exec_lo
                                        ; implicit-def: $vgpr1
	s_delay_alu instid0(VALU_DEP_1)
	v_cmpx_gt_u32_e32 0x43f00000, v4
	s_xor_b32 s20, exec_lo, s20
	s_cbranch_execz .LBB51_4293
; %bb.4288:
	s_mov_b32 s21, exec_lo
                                        ; implicit-def: $vgpr1
	v_cmpx_lt_u32_e32 0x3c7fffff, v4
	s_xor_b32 s21, exec_lo, s21
; %bb.4289:
	v_bfe_u32 v1, v86, 20, 1
	s_delay_alu instid0(VALU_DEP_1) | instskip(NEXT) | instid1(VALU_DEP_1)
	v_add3_u32 v1, v86, v1, 0x407ffff
	v_and_b32_e32 v4, 0xff00000, v1
	v_lshrrev_b32_e32 v1, 20, v1
	s_delay_alu instid0(VALU_DEP_2) | instskip(NEXT) | instid1(VALU_DEP_2)
	v_cmp_ne_u32_e32 vcc_lo, 0x7f00000, v4
	v_cndmask_b32_e32 v1, 0x7e, v1, vcc_lo
; %bb.4290:
	s_and_not1_saveexec_b32 s21, s21
; %bb.4291:
	v_add_f32_e64 v1, 0x46800000, |v86|
; %bb.4292:
	s_or_b32 exec_lo, exec_lo, s21
                                        ; implicit-def: $vgpr4
.LBB51_4293:
	s_and_not1_saveexec_b32 s20, s20
; %bb.4294:
	v_mov_b32_e32 v1, 0x7f
	v_cmp_lt_u32_e32 vcc_lo, 0x7f800000, v4
	s_delay_alu instid0(VALU_DEP_2)
	v_cndmask_b32_e32 v1, 0x7e, v1, vcc_lo
; %bb.4295:
	s_or_b32 exec_lo, exec_lo, s20
	v_lshrrev_b32_e32 v4, 24, v86
	s_delay_alu instid0(VALU_DEP_1)
	v_and_or_b32 v1, 0x80, v4, v1
	flat_store_b8 v[2:3], v1
.LBB51_4296:
	s_wait_xcnt 0x0
	s_or_b32 exec_lo, exec_lo, s19
                                        ; implicit-def: $vgpr86
                                        ; implicit-def: $vgpr2_vgpr3
.LBB51_4297:
	s_and_not1_saveexec_b32 s18, s18
	s_cbranch_execz .LBB51_4307
; %bb.4298:
	v_and_b32_e32 v4, 0x7fffffff, v86
	s_mov_b32 s19, exec_lo
                                        ; implicit-def: $vgpr1
	s_delay_alu instid0(VALU_DEP_1)
	v_cmpx_gt_u32_e32 0x47800000, v4
	s_xor_b32 s19, exec_lo, s19
	s_cbranch_execz .LBB51_4304
; %bb.4299:
	s_mov_b32 s20, exec_lo
                                        ; implicit-def: $vgpr1
	v_cmpx_lt_u32_e32 0x387fffff, v4
	s_xor_b32 s20, exec_lo, s20
; %bb.4300:
	v_bfe_u32 v1, v86, 21, 1
	s_delay_alu instid0(VALU_DEP_1) | instskip(NEXT) | instid1(VALU_DEP_1)
	v_add3_u32 v1, v86, v1, 0x80fffff
	v_lshrrev_b32_e32 v1, 21, v1
; %bb.4301:
	s_and_not1_saveexec_b32 s20, s20
; %bb.4302:
	v_add_f32_e64 v1, 0x43000000, |v86|
; %bb.4303:
	s_or_b32 exec_lo, exec_lo, s20
                                        ; implicit-def: $vgpr4
.LBB51_4304:
	s_and_not1_saveexec_b32 s19, s19
; %bb.4305:
	v_mov_b32_e32 v1, 0x7f
	v_cmp_lt_u32_e32 vcc_lo, 0x7f800000, v4
	s_delay_alu instid0(VALU_DEP_2)
	v_cndmask_b32_e32 v1, 0x7c, v1, vcc_lo
; %bb.4306:
	s_or_b32 exec_lo, exec_lo, s19
	v_lshrrev_b32_e32 v4, 24, v86
	s_delay_alu instid0(VALU_DEP_1)
	v_and_or_b32 v1, 0x80, v4, v1
	flat_store_b8 v[2:3], v1
.LBB51_4307:
	s_wait_xcnt 0x0
	s_or_b32 exec_lo, exec_lo, s18
	s_delay_alu instid0(SALU_CYCLE_1)
	s_or_b32 s18, s0, exec_lo
                                        ; implicit-def: $vgpr1
                                        ; implicit-def: $vgpr86
                                        ; implicit-def: $vgpr2_vgpr3
.LBB51_4308:
	s_or_saveexec_b32 s17, s17
	s_mov_b32 s19, s15
	s_xor_b32 exec_lo, exec_lo, s17
	s_cbranch_execz .LBB51_4318
; %bb.4309:
	s_mov_b32 s19, s18
	s_mov_b32 s20, s15
	s_mov_b32 s21, exec_lo
	v_cmpx_lt_i16_e32 14, v1
	s_xor_b32 s21, exec_lo, s21
	s_cbranch_execz .LBB51_4313
; %bb.4310:
	s_mov_b32 s22, -1
	s_mov_b32 s19, s18
	s_mov_b32 s20, exec_lo
	v_cmpx_eq_u16_e32 15, v1
	s_cbranch_execz .LBB51_4312
; %bb.4311:
	v_bfe_u32 v1, v86, 16, 1
	v_cmp_o_f32_e32 vcc_lo, v86, v86
	s_xor_b32 s22, exec_lo, -1
	s_or_b32 s19, s18, exec_lo
	s_delay_alu instid0(VALU_DEP_2) | instskip(NEXT) | instid1(VALU_DEP_1)
	v_add3_u32 v1, v86, v1, 0x7fff
	v_lshrrev_b32_e32 v1, 16, v1
	s_delay_alu instid0(VALU_DEP_1)
	v_cndmask_b32_e32 v1, 0x7fc0, v1, vcc_lo
	flat_store_b16 v[2:3], v1
.LBB51_4312:
	s_wait_xcnt 0x0
	s_or_b32 exec_lo, exec_lo, s20
	s_delay_alu instid0(SALU_CYCLE_1)
	s_and_not1_b32 s20, s15, exec_lo
	s_and_b32 s22, s22, exec_lo
	s_and_not1_b32 s23, s18, exec_lo
	s_and_b32 s19, s19, exec_lo
	s_or_b32 s20, s20, s22
	s_or_b32 s19, s23, s19
                                        ; implicit-def: $vgpr1
                                        ; implicit-def: $vgpr86
                                        ; implicit-def: $vgpr2_vgpr3
.LBB51_4313:
	s_and_not1_saveexec_b32 s21, s21
	s_cbranch_execz .LBB51_4317
; %bb.4314:
	s_mov_b32 s23, -1
	s_mov_b32 s22, s19
	s_mov_b32 s24, exec_lo
	v_cmpx_eq_u16_e32 11, v1
	s_cbranch_execz .LBB51_4316
; %bb.4315:
	v_cmp_neq_f32_e32 vcc_lo, 0, v86
	s_xor_b32 s23, exec_lo, -1
	s_or_b32 s22, s19, exec_lo
	v_cndmask_b32_e64 v1, 0, 1, vcc_lo
	flat_store_b8 v[2:3], v1
.LBB51_4316:
	s_wait_xcnt 0x0
	s_or_b32 exec_lo, exec_lo, s24
	s_delay_alu instid0(SALU_CYCLE_1)
	s_and_not1_b32 s20, s20, exec_lo
	s_and_b32 s23, s23, exec_lo
	s_and_not1_b32 s19, s19, exec_lo
	s_and_b32 s22, s22, exec_lo
	s_or_b32 s20, s20, s23
	s_or_b32 s19, s19, s22
.LBB51_4317:
	s_or_b32 exec_lo, exec_lo, s21
	s_delay_alu instid0(SALU_CYCLE_1)
	s_and_not1_b32 s21, s15, exec_lo
	s_and_b32 s20, s20, exec_lo
	s_and_not1_b32 s18, s18, exec_lo
	s_and_b32 s22, s19, exec_lo
	s_or_b32 s19, s21, s20
	s_or_b32 s18, s18, s22
.LBB51_4318:
	s_or_b32 exec_lo, exec_lo, s17
	s_delay_alu instid0(SALU_CYCLE_1)
	s_and_not1_b32 s15, s15, exec_lo
	s_and_b32 s17, s19, exec_lo
	s_and_not1_b32 s0, s0, exec_lo
	s_and_b32 s18, s18, exec_lo
	s_or_b32 s15, s15, s17
	s_or_b32 s0, s0, s18
.LBB51_4319:
	s_or_b32 exec_lo, exec_lo, s16
	s_delay_alu instid0(SALU_CYCLE_1)
	s_and_not1_b32 s16, s10, exec_lo
	s_and_b32 s15, s15, exec_lo
	s_and_b32 s0, s0, exec_lo
	s_or_b32 s15, s16, s15
                                        ; implicit-def: $vgpr1
                                        ; implicit-def: $vgpr86
                                        ; implicit-def: $vgpr2_vgpr3
.LBB51_4320:
	s_and_not1_saveexec_b32 s12, s12
	s_cbranch_execz .LBB51_4362
; %bb.4321:
	s_mov_b32 s16, exec_lo
	v_cmpx_lt_i16_e32 4, v1
	s_xor_b32 s16, exec_lo, s16
	s_cbranch_execz .LBB51_4343
; %bb.4322:
	s_mov_b32 s17, exec_lo
	v_cmpx_lt_i16_e32 7, v1
	s_xor_b32 s17, exec_lo, s17
	;; [unrolled: 5-line block ×4, first 2 shown]
	s_cbranch_execz .LBB51_4326
; %bb.4325:
	v_cvt_f64_f32_e32 v[4:5], v86
	v_mov_b32_e32 v6, 0
                                        ; implicit-def: $vgpr86
	s_delay_alu instid0(VALU_DEP_1)
	v_mov_b32_e32 v7, v6
	flat_store_b128 v[2:3], v[4:7]
                                        ; implicit-def: $vgpr2_vgpr3
.LBB51_4326:
	s_wait_xcnt 0x0
	s_and_not1_saveexec_b32 s19, s19
	s_cbranch_execz .LBB51_4328
; %bb.4327:
	v_mov_b32_e32 v87, 0
	flat_store_b64 v[2:3], v[86:87]
.LBB51_4328:
	s_wait_xcnt 0x0
	s_or_b32 exec_lo, exec_lo, s19
                                        ; implicit-def: $vgpr86
                                        ; implicit-def: $vgpr2_vgpr3
.LBB51_4329:
	s_and_not1_saveexec_b32 s18, s18
	s_cbranch_execz .LBB51_4331
; %bb.4330:
	v_cvt_f16_f32_e32 v1, v86
	s_delay_alu instid0(VALU_DEP_1)
	v_and_b32_e32 v1, 0xffff, v1
	flat_store_b32 v[2:3], v1
.LBB51_4331:
	s_wait_xcnt 0x0
	s_or_b32 exec_lo, exec_lo, s18
                                        ; implicit-def: $vgpr86
                                        ; implicit-def: $vgpr2_vgpr3
                                        ; implicit-def: $vgpr1
.LBB51_4332:
	s_and_not1_saveexec_b32 s17, s17
	s_cbranch_execz .LBB51_4342
; %bb.4333:
	s_mov_b32 s18, exec_lo
	v_cmpx_lt_i16_e32 5, v1
	s_xor_b32 s18, exec_lo, s18
	s_cbranch_execz .LBB51_4339
; %bb.4334:
	s_mov_b32 s19, exec_lo
	v_cmpx_lt_i16_e32 6, v1
	s_xor_b32 s19, exec_lo, s19
	s_cbranch_execz .LBB51_4336
; %bb.4335:
	v_cvt_f64_f32_e32 v[4:5], v86
                                        ; implicit-def: $vgpr86
	flat_store_b64 v[2:3], v[4:5]
                                        ; implicit-def: $vgpr2_vgpr3
.LBB51_4336:
	s_wait_xcnt 0x0
	s_and_not1_saveexec_b32 s19, s19
	s_cbranch_execz .LBB51_4338
; %bb.4337:
	flat_store_b32 v[2:3], v86
.LBB51_4338:
	s_wait_xcnt 0x0
	s_or_b32 exec_lo, exec_lo, s19
                                        ; implicit-def: $vgpr86
                                        ; implicit-def: $vgpr2_vgpr3
.LBB51_4339:
	s_and_not1_saveexec_b32 s18, s18
	s_cbranch_execz .LBB51_4341
; %bb.4340:
	v_cvt_f16_f32_e32 v1, v86
	flat_store_b16 v[2:3], v1
.LBB51_4341:
	s_wait_xcnt 0x0
	s_or_b32 exec_lo, exec_lo, s18
.LBB51_4342:
	s_delay_alu instid0(SALU_CYCLE_1)
	s_or_b32 exec_lo, exec_lo, s17
                                        ; implicit-def: $vgpr1
                                        ; implicit-def: $vgpr86
                                        ; implicit-def: $vgpr2_vgpr3
.LBB51_4343:
	s_and_not1_saveexec_b32 s16, s16
	s_cbranch_execz .LBB51_4361
; %bb.4344:
	s_mov_b32 s17, exec_lo
	v_cmpx_lt_i16_e32 1, v1
	s_xor_b32 s17, exec_lo, s17
	s_cbranch_execz .LBB51_4354
; %bb.4345:
	s_mov_b32 s18, exec_lo
	v_cmpx_lt_i16_e32 2, v1
	s_xor_b32 s18, exec_lo, s18
	;; [unrolled: 5-line block ×3, first 2 shown]
	s_cbranch_execz .LBB51_4348
; %bb.4347:
	v_trunc_f32_e32 v1, v86
                                        ; implicit-def: $vgpr86
	s_delay_alu instid0(VALU_DEP_1) | instskip(NEXT) | instid1(VALU_DEP_1)
	v_mul_f32_e64 v4, 0x2f800000, |v1|
	v_floor_f32_e32 v5, v4
	v_ashrrev_i32_e32 v4, 31, v1
	s_delay_alu instid0(VALU_DEP_2) | instskip(SKIP_1) | instid1(VALU_DEP_3)
	v_fma_f32 v6, 0xcf800000, v5, |v1|
	v_cvt_u32_f32_e32 v1, v5
	v_mov_b32_e32 v5, v4
	s_delay_alu instid0(VALU_DEP_3) | instskip(NEXT) | instid1(VALU_DEP_3)
	v_cvt_u32_f32_e32 v6, v6
	v_xor_b32_e32 v7, v1, v4
	s_delay_alu instid0(VALU_DEP_2) | instskip(NEXT) | instid1(VALU_DEP_1)
	v_xor_b32_e32 v6, v6, v4
	v_sub_nc_u64_e32 v[4:5], v[6:7], v[4:5]
	flat_store_b64 v[2:3], v[4:5]
                                        ; implicit-def: $vgpr2_vgpr3
.LBB51_4348:
	s_wait_xcnt 0x0
	s_and_not1_saveexec_b32 s19, s19
	s_cbranch_execz .LBB51_4350
; %bb.4349:
	v_cvt_i32_f32_e32 v1, v86
	flat_store_b32 v[2:3], v1
.LBB51_4350:
	s_wait_xcnt 0x0
	s_or_b32 exec_lo, exec_lo, s19
                                        ; implicit-def: $vgpr86
                                        ; implicit-def: $vgpr2_vgpr3
.LBB51_4351:
	s_and_not1_saveexec_b32 s18, s18
	s_cbranch_execz .LBB51_4353
; %bb.4352:
	v_cvt_i32_f32_e32 v1, v86
	flat_store_b16 v[2:3], v1
.LBB51_4353:
	s_wait_xcnt 0x0
	s_or_b32 exec_lo, exec_lo, s18
                                        ; implicit-def: $vgpr86
                                        ; implicit-def: $vgpr2_vgpr3
                                        ; implicit-def: $vgpr1
.LBB51_4354:
	s_and_not1_saveexec_b32 s17, s17
	s_cbranch_execz .LBB51_4360
; %bb.4355:
	s_mov_b32 s18, exec_lo
	v_cmpx_lt_i16_e32 0, v1
	s_xor_b32 s18, exec_lo, s18
	s_cbranch_execz .LBB51_4357
; %bb.4356:
	v_cvt_i32_f32_e32 v1, v86
                                        ; implicit-def: $vgpr86
	flat_store_b8 v[2:3], v1
                                        ; implicit-def: $vgpr2_vgpr3
.LBB51_4357:
	s_wait_xcnt 0x0
	s_and_not1_saveexec_b32 s18, s18
	s_cbranch_execz .LBB51_4359
; %bb.4358:
	v_trunc_f32_e32 v1, v86
	s_delay_alu instid0(VALU_DEP_1) | instskip(NEXT) | instid1(VALU_DEP_1)
	v_mul_f32_e64 v4, 0x2f800000, |v1|
	v_floor_f32_e32 v4, v4
	s_delay_alu instid0(VALU_DEP_1) | instskip(SKIP_1) | instid1(VALU_DEP_2)
	v_fma_f32 v4, 0xcf800000, v4, |v1|
	v_ashrrev_i32_e32 v1, 31, v1
	v_cvt_u32_f32_e32 v4, v4
	s_delay_alu instid0(VALU_DEP_1) | instskip(NEXT) | instid1(VALU_DEP_1)
	v_xor_b32_e32 v4, v4, v1
	v_sub_nc_u32_e32 v1, v4, v1
	flat_store_b8 v[2:3], v1
.LBB51_4359:
	s_wait_xcnt 0x0
	s_or_b32 exec_lo, exec_lo, s18
.LBB51_4360:
	s_delay_alu instid0(SALU_CYCLE_1)
	s_or_b32 exec_lo, exec_lo, s17
.LBB51_4361:
	s_delay_alu instid0(SALU_CYCLE_1) | instskip(NEXT) | instid1(SALU_CYCLE_1)
	s_or_b32 exec_lo, exec_lo, s16
	s_or_b32 s0, s0, exec_lo
.LBB51_4362:
	s_or_b32 exec_lo, exec_lo, s12
	s_mov_b32 s16, 0
	s_mov_b32 s12, 0
	s_and_saveexec_b32 s17, s0
; %bb.4363:
	v_add_nc_u32_e32 v103, 0x200, v103
	s_mov_b32 s16, exec_lo
	s_delay_alu instid0(VALU_DEP_1)
	v_cmp_lt_i32_e32 vcc_lo, v103, v8
	s_and_b32 s12, vcc_lo, exec_lo
; %bb.4364:
	s_or_b32 exec_lo, exec_lo, s17
	s_delay_alu instid0(SALU_CYCLE_1)
	s_and_not1_b32 s0, s10, exec_lo
	s_and_b32 s15, s15, exec_lo
	s_and_b32 s17, s12, exec_lo
	s_or_b32 s12, s0, s15
	s_or_not1_b32 s16, s16, exec_lo
.LBB51_4365:
	s_or_b32 exec_lo, exec_lo, s13
	s_mov_b32 s0, 0
	s_mov_b32 s15, 0
                                        ; implicit-def: $vgpr4
                                        ; implicit-def: $vgpr2_vgpr3
	s_and_saveexec_b32 s13, s16
	s_cbranch_execz .LBB51_7827
; %bb.4366:
	s_mov_b32 s18, -1
	s_mov_b32 s16, 0
	s_mov_b32 s14, s12
	s_and_saveexec_b32 s15, s17
	s_cbranch_execz .LBB51_4494
; %bb.4367:
	v_dual_add_nc_u32 v1, s3, v103 :: v_dual_mov_b32 v3, 0
	s_mov_b32 s17, s12
	s_mov_b32 s14, exec_lo
	s_delay_alu instid0(VALU_DEP_1) | instskip(SKIP_1) | instid1(VALU_DEP_2)
	v_mul_lo_u32 v2, v1, v14
	v_and_b32_e32 v1, 0xff, v13
	v_add_nc_u64_e32 v[2:3], v[114:115], v[2:3]
	s_delay_alu instid0(VALU_DEP_2)
	v_cmpx_lt_i16_e32 10, v1
	s_xor_b32 s14, exec_lo, s14
	s_cbranch_execz .LBB51_4449
; %bb.4368:
	s_mov_b32 s17, s12
	s_mov_b32 s18, exec_lo
	v_cmpx_lt_i16_e32 25, v1
	s_xor_b32 s18, exec_lo, s18
	s_cbranch_execz .LBB51_4404
; %bb.4369:
	s_mov_b32 s19, s12
	s_mov_b32 s17, exec_lo
	;; [unrolled: 6-line block ×3, first 2 shown]
	v_cmpx_lt_i16_e32 43, v1
	s_xor_b32 s19, exec_lo, s19
	s_cbranch_execz .LBB51_4382
; %bb.4371:
	s_mov_b32 s20, 0
	s_mov_b32 s21, s12
	s_mov_b32 s0, exec_lo
	v_cmpx_lt_i16_e32 45, v1
	s_xor_b32 s0, exec_lo, s0
	s_cbranch_execz .LBB51_4375
; %bb.4372:
	s_mov_b32 s22, -1
	s_mov_b32 s21, exec_lo
	v_cmpx_eq_u16_e32 46, v1
	s_cbranch_execz .LBB51_4374
; %bb.4373:
	v_bfe_u32 v1, v84, 16, 1
	v_cmp_o_f32_e32 vcc_lo, v84, v84
	s_mov_b32 s20, exec_lo
	s_xor_b32 s22, exec_lo, -1
	s_delay_alu instid0(VALU_DEP_2) | instskip(NEXT) | instid1(VALU_DEP_1)
	v_add3_u32 v1, v84, v1, 0x7fff
	v_lshrrev_b32_e32 v1, 16, v1
	s_delay_alu instid0(VALU_DEP_1)
	v_cndmask_b32_e32 v1, 0x7fc0, v1, vcc_lo
	flat_store_b32 v[2:3], v1
.LBB51_4374:
	s_wait_xcnt 0x0
	s_or_b32 exec_lo, exec_lo, s21
	s_delay_alu instid0(SALU_CYCLE_1)
	s_and_not1_b32 s21, s12, exec_lo
	s_and_b32 s22, s22, exec_lo
	s_and_b32 s20, s20, exec_lo
	s_or_b32 s21, s21, s22
                                        ; implicit-def: $vgpr1
                                        ; implicit-def: $vgpr2_vgpr3
                                        ; implicit-def: $vgpr84
.LBB51_4375:
	s_and_not1_saveexec_b32 s22, s0
	s_cbranch_execz .LBB51_4381
; %bb.4376:
	s_mov_b32 s24, -1
	s_mov_b32 s0, s20
	s_mov_b32 s23, exec_lo
	v_cmpx_eq_u16_e32 44, v1
	s_cbranch_execz .LBB51_4380
; %bb.4377:
	v_bfe_u32 v4, v84, 23, 8
	v_mov_b32_e32 v1, 0xff
	s_mov_b32 s24, exec_lo
	s_delay_alu instid0(VALU_DEP_2)
	v_cmpx_ne_u32_e32 0xff, v4
	s_cbranch_execz .LBB51_4379
; %bb.4378:
	v_and_b32_e32 v1, 0x400000, v84
	v_and_or_b32 v4, 0x3fffff, v84, v4
	s_delay_alu instid0(VALU_DEP_2) | instskip(NEXT) | instid1(VALU_DEP_2)
	v_cmp_ne_u32_e32 vcc_lo, 0, v1
	v_cmp_ne_u32_e64 s0, 0, v4
	v_lshrrev_b32_e32 v1, 23, v84
	s_and_b32 s0, vcc_lo, s0
	s_delay_alu instid0(SALU_CYCLE_1) | instskip(NEXT) | instid1(VALU_DEP_1)
	v_cndmask_b32_e64 v4, 0, 1, s0
	v_add_nc_u32_e32 v1, v1, v4
.LBB51_4379:
	s_or_b32 exec_lo, exec_lo, s24
	s_delay_alu instid0(SALU_CYCLE_1)
	s_xor_b32 s24, exec_lo, -1
	s_or_b32 s0, s20, exec_lo
	flat_store_b8 v[2:3], v1
.LBB51_4380:
	s_wait_xcnt 0x0
	s_or_b32 exec_lo, exec_lo, s23
	s_delay_alu instid0(SALU_CYCLE_1)
	s_and_not1_b32 s21, s21, exec_lo
	s_and_b32 s23, s24, exec_lo
	s_and_not1_b32 s20, s20, exec_lo
	s_and_b32 s0, s0, exec_lo
	s_or_b32 s21, s21, s23
	s_or_b32 s20, s20, s0
.LBB51_4381:
	s_or_b32 exec_lo, exec_lo, s22
	s_delay_alu instid0(SALU_CYCLE_1) | instskip(SKIP_1) | instid1(SALU_CYCLE_1)
	s_and_not1_b32 s0, s12, exec_lo
	s_and_b32 s21, s21, exec_lo
                                        ; implicit-def: $vgpr1
                                        ; implicit-def: $vgpr84
                                        ; implicit-def: $vgpr2_vgpr3
	s_or_b32 s21, s0, s21
	s_and_b32 s0, s20, exec_lo
.LBB51_4382:
	s_and_not1_saveexec_b32 s19, s19
	s_cbranch_execz .LBB51_4386
; %bb.4383:
	s_mov_b32 s23, -1
	s_mov_b32 s22, s0
	s_mov_b32 s20, exec_lo
	v_cmpx_eq_u16_e32 29, v1
	s_cbranch_execz .LBB51_4385
; %bb.4384:
	v_trunc_f32_e32 v1, v84
	s_xor_b32 s23, exec_lo, -1
	s_or_b32 s22, s0, exec_lo
	s_delay_alu instid0(VALU_DEP_1) | instskip(NEXT) | instid1(VALU_DEP_1)
	v_mul_f32_e32 v4, 0x2f800000, v1
	v_floor_f32_e32 v4, v4
	s_delay_alu instid0(VALU_DEP_1) | instskip(SKIP_1) | instid1(VALU_DEP_2)
	v_fmamk_f32 v1, v4, 0xcf800000, v1
	v_cvt_u32_f32_e32 v5, v4
	v_cvt_u32_f32_e32 v4, v1
	flat_store_b64 v[2:3], v[4:5]
.LBB51_4385:
	s_wait_xcnt 0x0
	s_or_b32 exec_lo, exec_lo, s20
	s_delay_alu instid0(SALU_CYCLE_1)
	s_and_not1_b32 s20, s21, exec_lo
	s_and_b32 s21, s23, exec_lo
	s_and_not1_b32 s0, s0, exec_lo
	s_and_b32 s22, s22, exec_lo
	s_or_b32 s21, s20, s21
	s_or_b32 s0, s0, s22
.LBB51_4386:
	s_or_b32 exec_lo, exec_lo, s19
	s_delay_alu instid0(SALU_CYCLE_1)
	s_and_not1_b32 s19, s12, exec_lo
	s_and_b32 s20, s21, exec_lo
	s_and_b32 s0, s0, exec_lo
	s_or_b32 s19, s19, s20
                                        ; implicit-def: $vgpr2_vgpr3
                                        ; implicit-def: $vgpr1
                                        ; implicit-def: $vgpr84
.LBB51_4387:
	s_and_not1_saveexec_b32 s17, s17
	s_cbranch_execz .LBB51_4403
; %bb.4388:
	s_mov_b32 s20, exec_lo
	v_cmpx_lt_i16_e32 26, v1
	s_xor_b32 s20, exec_lo, s20
	s_cbranch_execz .LBB51_4394
; %bb.4389:
	v_cmp_lt_i16_e32 vcc_lo, 27, v1
	v_cvt_u32_f32_e32 v1, v84
	s_and_saveexec_b32 s21, vcc_lo
	s_delay_alu instid0(SALU_CYCLE_1)
	s_xor_b32 s21, exec_lo, s21
	s_cbranch_execz .LBB51_4391
; %bb.4390:
	flat_store_b32 v[2:3], v1
                                        ; implicit-def: $vgpr2_vgpr3
                                        ; implicit-def: $vgpr1
.LBB51_4391:
	s_wait_xcnt 0x0
	s_and_not1_saveexec_b32 s21, s21
	s_cbranch_execz .LBB51_4393
; %bb.4392:
	flat_store_b16 v[2:3], v1
.LBB51_4393:
	s_wait_xcnt 0x0
	s_or_b32 exec_lo, exec_lo, s21
                                        ; implicit-def: $vgpr2_vgpr3
                                        ; implicit-def: $vgpr84
.LBB51_4394:
	s_and_not1_saveexec_b32 s20, s20
	s_cbranch_execz .LBB51_4402
; %bb.4395:
	v_and_b32_e32 v1, 0x7fffffff, v84
	v_mov_b32_e32 v4, 0x80
	s_mov_b32 s21, exec_lo
	s_delay_alu instid0(VALU_DEP_2)
	v_cmpx_gt_u32_e32 0x43800000, v1
	s_cbranch_execz .LBB51_4401
; %bb.4396:
	v_cmp_lt_u32_e32 vcc_lo, 0x3bffffff, v1
	s_mov_b32 s22, 0
                                        ; implicit-def: $vgpr1
	s_and_saveexec_b32 s23, vcc_lo
	s_delay_alu instid0(SALU_CYCLE_1)
	s_xor_b32 s23, exec_lo, s23
	s_cbranch_execnz .LBB51_7899
; %bb.4397:
	s_and_not1_saveexec_b32 s23, s23
	s_cbranch_execnz .LBB51_7900
.LBB51_4398:
	s_or_b32 exec_lo, exec_lo, s23
	v_mov_b32_e32 v4, 0
	s_and_saveexec_b32 s23, s22
.LBB51_4399:
	v_lshrrev_b32_e32 v4, 24, v84
	s_delay_alu instid0(VALU_DEP_1)
	v_and_or_b32 v4, 0x80, v4, v1
.LBB51_4400:
	s_or_b32 exec_lo, exec_lo, s23
.LBB51_4401:
	s_delay_alu instid0(SALU_CYCLE_1)
	s_or_b32 exec_lo, exec_lo, s21
	flat_store_b8 v[2:3], v4
.LBB51_4402:
	s_wait_xcnt 0x0
	s_or_b32 exec_lo, exec_lo, s20
	s_delay_alu instid0(SALU_CYCLE_1)
	s_or_b32 s0, s0, exec_lo
.LBB51_4403:
	s_or_b32 exec_lo, exec_lo, s17
	s_delay_alu instid0(SALU_CYCLE_1)
	s_and_not1_b32 s17, s12, exec_lo
	s_and_b32 s19, s19, exec_lo
	s_and_b32 s0, s0, exec_lo
	s_or_b32 s17, s17, s19
                                        ; implicit-def: $vgpr1
                                        ; implicit-def: $vgpr84
                                        ; implicit-def: $vgpr2_vgpr3
.LBB51_4404:
	s_and_not1_saveexec_b32 s18, s18
	s_cbranch_execz .LBB51_4448
; %bb.4405:
	s_mov_b32 s20, s0
	s_mov_b32 s19, exec_lo
	v_cmpx_lt_i16_e32 22, v1
	s_xor_b32 s19, exec_lo, s19
	s_cbranch_execz .LBB51_4437
; %bb.4406:
	s_mov_b32 s20, exec_lo
	v_cmpx_lt_i16_e32 23, v1
	s_xor_b32 s20, exec_lo, s20
	s_cbranch_execz .LBB51_4426
; %bb.4407:
	;; [unrolled: 5-line block ×3, first 2 shown]
	v_and_b32_e32 v1, 0x7fffffff, v84
	v_mov_b32_e32 v4, 0x80
	s_mov_b32 s22, exec_lo
	s_delay_alu instid0(VALU_DEP_2)
	v_cmpx_gt_u32_e32 0x47800000, v1
	s_cbranch_execz .LBB51_4414
; %bb.4409:
	v_cmp_lt_u32_e32 vcc_lo, 0x37ffffff, v1
	s_mov_b32 s23, 0
                                        ; implicit-def: $vgpr1
	s_and_saveexec_b32 s24, vcc_lo
	s_delay_alu instid0(SALU_CYCLE_1)
	s_xor_b32 s24, exec_lo, s24
	s_cbranch_execnz .LBB51_7901
; %bb.4410:
	s_and_not1_saveexec_b32 s24, s24
	s_cbranch_execnz .LBB51_7902
.LBB51_4411:
	s_or_b32 exec_lo, exec_lo, s24
	v_mov_b32_e32 v4, 0
	s_and_saveexec_b32 s24, s23
.LBB51_4412:
	v_lshrrev_b32_e32 v4, 24, v84
	s_delay_alu instid0(VALU_DEP_1)
	v_and_or_b32 v4, 0x80, v4, v1
.LBB51_4413:
	s_or_b32 exec_lo, exec_lo, s24
.LBB51_4414:
	s_delay_alu instid0(SALU_CYCLE_1)
	s_or_b32 exec_lo, exec_lo, s22
	flat_store_b8 v[2:3], v4
                                        ; implicit-def: $vgpr84
                                        ; implicit-def: $vgpr2_vgpr3
.LBB51_4415:
	s_wait_xcnt 0x0
	s_and_not1_saveexec_b32 s21, s21
	s_cbranch_execz .LBB51_4425
; %bb.4416:
	v_and_b32_e32 v4, 0x7fffffff, v84
	s_mov_b32 s22, exec_lo
                                        ; implicit-def: $vgpr1
	s_delay_alu instid0(VALU_DEP_1)
	v_cmpx_gt_u32_e32 0x43f00000, v4
	s_xor_b32 s22, exec_lo, s22
	s_cbranch_execz .LBB51_4422
; %bb.4417:
	s_mov_b32 s23, exec_lo
                                        ; implicit-def: $vgpr1
	v_cmpx_lt_u32_e32 0x3c7fffff, v4
	s_xor_b32 s23, exec_lo, s23
; %bb.4418:
	v_bfe_u32 v1, v84, 20, 1
	s_delay_alu instid0(VALU_DEP_1) | instskip(NEXT) | instid1(VALU_DEP_1)
	v_add3_u32 v1, v84, v1, 0x407ffff
	v_and_b32_e32 v4, 0xff00000, v1
	v_lshrrev_b32_e32 v1, 20, v1
	s_delay_alu instid0(VALU_DEP_2) | instskip(NEXT) | instid1(VALU_DEP_2)
	v_cmp_ne_u32_e32 vcc_lo, 0x7f00000, v4
	v_cndmask_b32_e32 v1, 0x7e, v1, vcc_lo
; %bb.4419:
	s_and_not1_saveexec_b32 s23, s23
; %bb.4420:
	v_add_f32_e64 v1, 0x46800000, |v84|
; %bb.4421:
	s_or_b32 exec_lo, exec_lo, s23
                                        ; implicit-def: $vgpr4
.LBB51_4422:
	s_and_not1_saveexec_b32 s22, s22
; %bb.4423:
	v_mov_b32_e32 v1, 0x7f
	v_cmp_lt_u32_e32 vcc_lo, 0x7f800000, v4
	s_delay_alu instid0(VALU_DEP_2)
	v_cndmask_b32_e32 v1, 0x7e, v1, vcc_lo
; %bb.4424:
	s_or_b32 exec_lo, exec_lo, s22
	v_lshrrev_b32_e32 v4, 24, v84
	s_delay_alu instid0(VALU_DEP_1)
	v_and_or_b32 v1, 0x80, v4, v1
	flat_store_b8 v[2:3], v1
.LBB51_4425:
	s_wait_xcnt 0x0
	s_or_b32 exec_lo, exec_lo, s21
                                        ; implicit-def: $vgpr84
                                        ; implicit-def: $vgpr2_vgpr3
.LBB51_4426:
	s_and_not1_saveexec_b32 s20, s20
	s_cbranch_execz .LBB51_4436
; %bb.4427:
	v_and_b32_e32 v4, 0x7fffffff, v84
	s_mov_b32 s21, exec_lo
                                        ; implicit-def: $vgpr1
	s_delay_alu instid0(VALU_DEP_1)
	v_cmpx_gt_u32_e32 0x47800000, v4
	s_xor_b32 s21, exec_lo, s21
	s_cbranch_execz .LBB51_4433
; %bb.4428:
	s_mov_b32 s22, exec_lo
                                        ; implicit-def: $vgpr1
	v_cmpx_lt_u32_e32 0x387fffff, v4
	s_xor_b32 s22, exec_lo, s22
; %bb.4429:
	v_bfe_u32 v1, v84, 21, 1
	s_delay_alu instid0(VALU_DEP_1) | instskip(NEXT) | instid1(VALU_DEP_1)
	v_add3_u32 v1, v84, v1, 0x80fffff
	v_lshrrev_b32_e32 v1, 21, v1
; %bb.4430:
	s_and_not1_saveexec_b32 s22, s22
; %bb.4431:
	v_add_f32_e64 v1, 0x43000000, |v84|
; %bb.4432:
	s_or_b32 exec_lo, exec_lo, s22
                                        ; implicit-def: $vgpr4
.LBB51_4433:
	s_and_not1_saveexec_b32 s21, s21
; %bb.4434:
	v_mov_b32_e32 v1, 0x7f
	v_cmp_lt_u32_e32 vcc_lo, 0x7f800000, v4
	s_delay_alu instid0(VALU_DEP_2)
	v_cndmask_b32_e32 v1, 0x7c, v1, vcc_lo
; %bb.4435:
	s_or_b32 exec_lo, exec_lo, s21
	v_lshrrev_b32_e32 v4, 24, v84
	s_delay_alu instid0(VALU_DEP_1)
	v_and_or_b32 v1, 0x80, v4, v1
	flat_store_b8 v[2:3], v1
.LBB51_4436:
	s_wait_xcnt 0x0
	s_or_b32 exec_lo, exec_lo, s20
	s_delay_alu instid0(SALU_CYCLE_1)
	s_or_b32 s20, s0, exec_lo
                                        ; implicit-def: $vgpr1
                                        ; implicit-def: $vgpr84
                                        ; implicit-def: $vgpr2_vgpr3
.LBB51_4437:
	s_or_saveexec_b32 s19, s19
	s_mov_b32 s21, s17
	s_xor_b32 exec_lo, exec_lo, s19
	s_cbranch_execz .LBB51_4447
; %bb.4438:
	s_mov_b32 s21, s20
	s_mov_b32 s22, s17
	s_mov_b32 s23, exec_lo
	v_cmpx_lt_i16_e32 14, v1
	s_xor_b32 s23, exec_lo, s23
	s_cbranch_execz .LBB51_4442
; %bb.4439:
	s_mov_b32 s24, -1
	s_mov_b32 s21, s20
	s_mov_b32 s22, exec_lo
	v_cmpx_eq_u16_e32 15, v1
	s_cbranch_execz .LBB51_4441
; %bb.4440:
	v_bfe_u32 v1, v84, 16, 1
	v_cmp_o_f32_e32 vcc_lo, v84, v84
	s_xor_b32 s24, exec_lo, -1
	s_or_b32 s21, s20, exec_lo
	s_delay_alu instid0(VALU_DEP_2) | instskip(NEXT) | instid1(VALU_DEP_1)
	v_add3_u32 v1, v84, v1, 0x7fff
	v_lshrrev_b32_e32 v1, 16, v1
	s_delay_alu instid0(VALU_DEP_1)
	v_cndmask_b32_e32 v1, 0x7fc0, v1, vcc_lo
	flat_store_b16 v[2:3], v1
.LBB51_4441:
	s_wait_xcnt 0x0
	s_or_b32 exec_lo, exec_lo, s22
	s_delay_alu instid0(SALU_CYCLE_1)
	s_and_not1_b32 s22, s17, exec_lo
	s_and_b32 s24, s24, exec_lo
	s_and_not1_b32 s25, s20, exec_lo
	s_and_b32 s21, s21, exec_lo
	s_or_b32 s22, s22, s24
	s_or_b32 s21, s25, s21
                                        ; implicit-def: $vgpr1
                                        ; implicit-def: $vgpr84
                                        ; implicit-def: $vgpr2_vgpr3
.LBB51_4442:
	s_and_not1_saveexec_b32 s23, s23
	s_cbranch_execz .LBB51_4446
; %bb.4443:
	s_mov_b32 s25, -1
	s_mov_b32 s24, s21
	s_mov_b32 s26, exec_lo
	v_cmpx_eq_u16_e32 11, v1
	s_cbranch_execz .LBB51_4445
; %bb.4444:
	v_cmp_neq_f32_e32 vcc_lo, 0, v84
	s_xor_b32 s25, exec_lo, -1
	s_or_b32 s24, s21, exec_lo
	v_cndmask_b32_e64 v1, 0, 1, vcc_lo
	flat_store_b8 v[2:3], v1
.LBB51_4445:
	s_wait_xcnt 0x0
	s_or_b32 exec_lo, exec_lo, s26
	s_delay_alu instid0(SALU_CYCLE_1)
	s_and_not1_b32 s22, s22, exec_lo
	s_and_b32 s25, s25, exec_lo
	s_and_not1_b32 s21, s21, exec_lo
	s_and_b32 s24, s24, exec_lo
	s_or_b32 s22, s22, s25
	s_or_b32 s21, s21, s24
.LBB51_4446:
	s_or_b32 exec_lo, exec_lo, s23
	s_delay_alu instid0(SALU_CYCLE_1)
	s_and_not1_b32 s23, s17, exec_lo
	s_and_b32 s22, s22, exec_lo
	s_and_not1_b32 s20, s20, exec_lo
	s_and_b32 s24, s21, exec_lo
	s_or_b32 s21, s23, s22
	s_or_b32 s20, s20, s24
.LBB51_4447:
	s_or_b32 exec_lo, exec_lo, s19
	s_delay_alu instid0(SALU_CYCLE_1)
	s_and_not1_b32 s17, s17, exec_lo
	s_and_b32 s19, s21, exec_lo
	s_and_not1_b32 s0, s0, exec_lo
	s_and_b32 s20, s20, exec_lo
	s_or_b32 s17, s17, s19
	s_or_b32 s0, s0, s20
.LBB51_4448:
	s_or_b32 exec_lo, exec_lo, s18
	s_delay_alu instid0(SALU_CYCLE_1)
	s_and_not1_b32 s18, s12, exec_lo
	s_and_b32 s17, s17, exec_lo
	s_and_b32 s0, s0, exec_lo
	s_or_b32 s17, s18, s17
                                        ; implicit-def: $vgpr1
                                        ; implicit-def: $vgpr84
                                        ; implicit-def: $vgpr2_vgpr3
.LBB51_4449:
	s_and_not1_saveexec_b32 s14, s14
	s_cbranch_execz .LBB51_4491
; %bb.4450:
	s_mov_b32 s18, exec_lo
	v_cmpx_lt_i16_e32 4, v1
	s_xor_b32 s18, exec_lo, s18
	s_cbranch_execz .LBB51_4472
; %bb.4451:
	s_mov_b32 s19, exec_lo
	v_cmpx_lt_i16_e32 7, v1
	s_xor_b32 s19, exec_lo, s19
	;; [unrolled: 5-line block ×4, first 2 shown]
	s_cbranch_execz .LBB51_4455
; %bb.4454:
	v_cvt_f64_f32_e32 v[4:5], v84
	v_mov_b32_e32 v6, 0
                                        ; implicit-def: $vgpr84
	s_delay_alu instid0(VALU_DEP_1)
	v_mov_b32_e32 v7, v6
	flat_store_b128 v[2:3], v[4:7]
                                        ; implicit-def: $vgpr2_vgpr3
.LBB51_4455:
	s_wait_xcnt 0x0
	s_and_not1_saveexec_b32 s21, s21
	s_cbranch_execz .LBB51_4457
; %bb.4456:
	v_mov_b32_e32 v85, 0
	flat_store_b64 v[2:3], v[84:85]
.LBB51_4457:
	s_wait_xcnt 0x0
	s_or_b32 exec_lo, exec_lo, s21
                                        ; implicit-def: $vgpr84
                                        ; implicit-def: $vgpr2_vgpr3
.LBB51_4458:
	s_and_not1_saveexec_b32 s20, s20
	s_cbranch_execz .LBB51_4460
; %bb.4459:
	v_cvt_f16_f32_e32 v1, v84
	s_delay_alu instid0(VALU_DEP_1)
	v_and_b32_e32 v1, 0xffff, v1
	flat_store_b32 v[2:3], v1
.LBB51_4460:
	s_wait_xcnt 0x0
	s_or_b32 exec_lo, exec_lo, s20
                                        ; implicit-def: $vgpr84
                                        ; implicit-def: $vgpr2_vgpr3
                                        ; implicit-def: $vgpr1
.LBB51_4461:
	s_and_not1_saveexec_b32 s19, s19
	s_cbranch_execz .LBB51_4471
; %bb.4462:
	s_mov_b32 s20, exec_lo
	v_cmpx_lt_i16_e32 5, v1
	s_xor_b32 s20, exec_lo, s20
	s_cbranch_execz .LBB51_4468
; %bb.4463:
	s_mov_b32 s21, exec_lo
	v_cmpx_lt_i16_e32 6, v1
	s_xor_b32 s21, exec_lo, s21
	s_cbranch_execz .LBB51_4465
; %bb.4464:
	v_cvt_f64_f32_e32 v[4:5], v84
                                        ; implicit-def: $vgpr84
	flat_store_b64 v[2:3], v[4:5]
                                        ; implicit-def: $vgpr2_vgpr3
.LBB51_4465:
	s_wait_xcnt 0x0
	s_and_not1_saveexec_b32 s21, s21
	s_cbranch_execz .LBB51_4467
; %bb.4466:
	flat_store_b32 v[2:3], v84
.LBB51_4467:
	s_wait_xcnt 0x0
	s_or_b32 exec_lo, exec_lo, s21
                                        ; implicit-def: $vgpr84
                                        ; implicit-def: $vgpr2_vgpr3
.LBB51_4468:
	s_and_not1_saveexec_b32 s20, s20
	s_cbranch_execz .LBB51_4470
; %bb.4469:
	v_cvt_f16_f32_e32 v1, v84
	flat_store_b16 v[2:3], v1
.LBB51_4470:
	s_wait_xcnt 0x0
	s_or_b32 exec_lo, exec_lo, s20
.LBB51_4471:
	s_delay_alu instid0(SALU_CYCLE_1)
	s_or_b32 exec_lo, exec_lo, s19
                                        ; implicit-def: $vgpr1
                                        ; implicit-def: $vgpr84
                                        ; implicit-def: $vgpr2_vgpr3
.LBB51_4472:
	s_and_not1_saveexec_b32 s18, s18
	s_cbranch_execz .LBB51_4490
; %bb.4473:
	s_mov_b32 s19, exec_lo
	v_cmpx_lt_i16_e32 1, v1
	s_xor_b32 s19, exec_lo, s19
	s_cbranch_execz .LBB51_4483
; %bb.4474:
	s_mov_b32 s20, exec_lo
	v_cmpx_lt_i16_e32 2, v1
	s_xor_b32 s20, exec_lo, s20
	;; [unrolled: 5-line block ×3, first 2 shown]
	s_cbranch_execz .LBB51_4477
; %bb.4476:
	v_trunc_f32_e32 v1, v84
                                        ; implicit-def: $vgpr84
	s_delay_alu instid0(VALU_DEP_1) | instskip(NEXT) | instid1(VALU_DEP_1)
	v_mul_f32_e64 v4, 0x2f800000, |v1|
	v_floor_f32_e32 v5, v4
	v_ashrrev_i32_e32 v4, 31, v1
	s_delay_alu instid0(VALU_DEP_2) | instskip(SKIP_1) | instid1(VALU_DEP_3)
	v_fma_f32 v6, 0xcf800000, v5, |v1|
	v_cvt_u32_f32_e32 v1, v5
	v_mov_b32_e32 v5, v4
	s_delay_alu instid0(VALU_DEP_3) | instskip(NEXT) | instid1(VALU_DEP_3)
	v_cvt_u32_f32_e32 v6, v6
	v_xor_b32_e32 v7, v1, v4
	s_delay_alu instid0(VALU_DEP_2) | instskip(NEXT) | instid1(VALU_DEP_1)
	v_xor_b32_e32 v6, v6, v4
	v_sub_nc_u64_e32 v[4:5], v[6:7], v[4:5]
	flat_store_b64 v[2:3], v[4:5]
                                        ; implicit-def: $vgpr2_vgpr3
.LBB51_4477:
	s_wait_xcnt 0x0
	s_and_not1_saveexec_b32 s21, s21
	s_cbranch_execz .LBB51_4479
; %bb.4478:
	v_cvt_i32_f32_e32 v1, v84
	flat_store_b32 v[2:3], v1
.LBB51_4479:
	s_wait_xcnt 0x0
	s_or_b32 exec_lo, exec_lo, s21
                                        ; implicit-def: $vgpr84
                                        ; implicit-def: $vgpr2_vgpr3
.LBB51_4480:
	s_and_not1_saveexec_b32 s20, s20
	s_cbranch_execz .LBB51_4482
; %bb.4481:
	v_cvt_i32_f32_e32 v1, v84
	flat_store_b16 v[2:3], v1
.LBB51_4482:
	s_wait_xcnt 0x0
	s_or_b32 exec_lo, exec_lo, s20
                                        ; implicit-def: $vgpr84
                                        ; implicit-def: $vgpr2_vgpr3
                                        ; implicit-def: $vgpr1
.LBB51_4483:
	s_and_not1_saveexec_b32 s19, s19
	s_cbranch_execz .LBB51_4489
; %bb.4484:
	s_mov_b32 s20, exec_lo
	v_cmpx_lt_i16_e32 0, v1
	s_xor_b32 s20, exec_lo, s20
	s_cbranch_execz .LBB51_4486
; %bb.4485:
	v_cvt_i32_f32_e32 v1, v84
                                        ; implicit-def: $vgpr84
	flat_store_b8 v[2:3], v1
                                        ; implicit-def: $vgpr2_vgpr3
.LBB51_4486:
	s_wait_xcnt 0x0
	s_and_not1_saveexec_b32 s20, s20
	s_cbranch_execz .LBB51_4488
; %bb.4487:
	v_trunc_f32_e32 v1, v84
	s_delay_alu instid0(VALU_DEP_1) | instskip(NEXT) | instid1(VALU_DEP_1)
	v_mul_f32_e64 v4, 0x2f800000, |v1|
	v_floor_f32_e32 v4, v4
	s_delay_alu instid0(VALU_DEP_1) | instskip(SKIP_1) | instid1(VALU_DEP_2)
	v_fma_f32 v4, 0xcf800000, v4, |v1|
	v_ashrrev_i32_e32 v1, 31, v1
	v_cvt_u32_f32_e32 v4, v4
	s_delay_alu instid0(VALU_DEP_1) | instskip(NEXT) | instid1(VALU_DEP_1)
	v_xor_b32_e32 v4, v4, v1
	v_sub_nc_u32_e32 v1, v4, v1
	flat_store_b8 v[2:3], v1
.LBB51_4488:
	s_wait_xcnt 0x0
	s_or_b32 exec_lo, exec_lo, s20
.LBB51_4489:
	s_delay_alu instid0(SALU_CYCLE_1)
	s_or_b32 exec_lo, exec_lo, s19
.LBB51_4490:
	s_delay_alu instid0(SALU_CYCLE_1) | instskip(NEXT) | instid1(SALU_CYCLE_1)
	s_or_b32 exec_lo, exec_lo, s18
	s_or_b32 s0, s0, exec_lo
.LBB51_4491:
	s_or_b32 exec_lo, exec_lo, s14
	s_mov_b32 s18, 0
	s_mov_b32 s14, 0
	s_and_saveexec_b32 s19, s0
; %bb.4492:
	v_add_nc_u32_e32 v103, 0x200, v103
	s_mov_b32 s18, exec_lo
	s_delay_alu instid0(VALU_DEP_1)
	v_cmp_lt_i32_e32 vcc_lo, v103, v8
	s_and_b32 s14, vcc_lo, exec_lo
; %bb.4493:
	s_or_b32 exec_lo, exec_lo, s19
	s_delay_alu instid0(SALU_CYCLE_1)
	s_and_not1_b32 s19, s12, exec_lo
	s_and_b32 s17, s17, exec_lo
	s_and_b32 s0, s14, exec_lo
	s_or_b32 s14, s19, s17
	s_or_not1_b32 s18, s18, exec_lo
.LBB51_4494:
	s_or_b32 exec_lo, exec_lo, s15
	s_mov_b32 s17, 0
	s_mov_b32 s19, 0
                                        ; implicit-def: $vgpr4
                                        ; implicit-def: $vgpr2_vgpr3
	s_and_saveexec_b32 s15, s18
	s_cbranch_execz .LBB51_7826
; %bb.4495:
	s_mov_b32 s20, -1
	s_mov_b32 s18, 0
	s_mov_b32 s16, s14
	;; [unrolled: 1-line block ×3, first 2 shown]
	s_and_saveexec_b32 s17, s0
	s_cbranch_execz .LBB51_4623
; %bb.4496:
	v_dual_add_nc_u32 v1, s3, v103 :: v_dual_mov_b32 v3, 0
	s_mov_b32 s0, 0
	s_mov_b32 s19, s14
	s_mov_b32 s16, exec_lo
	s_delay_alu instid0(VALU_DEP_1) | instskip(SKIP_1) | instid1(VALU_DEP_2)
	v_mul_lo_u32 v2, v1, v14
	v_and_b32_e32 v1, 0xff, v13
	v_add_nc_u64_e32 v[2:3], v[114:115], v[2:3]
	s_delay_alu instid0(VALU_DEP_2)
	v_cmpx_lt_i16_e32 10, v1
	s_xor_b32 s16, exec_lo, s16
	s_cbranch_execz .LBB51_4578
; %bb.4497:
	s_mov_b32 s19, s14
	s_mov_b32 s20, exec_lo
	v_cmpx_lt_i16_e32 25, v1
	s_xor_b32 s20, exec_lo, s20
	s_cbranch_execz .LBB51_4533
; %bb.4498:
	s_mov_b32 s21, s14
	s_mov_b32 s19, exec_lo
	v_cmpx_lt_i16_e32 28, v1
	s_xor_b32 s19, exec_lo, s19
	s_cbranch_execz .LBB51_4516
; %bb.4499:
	s_mov_b32 s23, s14
	s_mov_b32 s21, exec_lo
	v_cmpx_lt_i16_e32 43, v1
	s_xor_b32 s21, exec_lo, s21
	s_cbranch_execz .LBB51_4511
; %bb.4500:
	s_mov_b32 s22, 0
	s_mov_b32 s23, s14
	s_mov_b32 s0, exec_lo
	v_cmpx_lt_i16_e32 45, v1
	s_xor_b32 s0, exec_lo, s0
	s_cbranch_execz .LBB51_4504
; %bb.4501:
	s_mov_b32 s24, -1
	s_mov_b32 s23, exec_lo
	v_cmpx_eq_u16_e32 46, v1
	s_cbranch_execz .LBB51_4503
; %bb.4502:
	v_bfe_u32 v1, v82, 16, 1
	v_cmp_o_f32_e32 vcc_lo, v82, v82
	s_mov_b32 s22, exec_lo
	s_xor_b32 s24, exec_lo, -1
	s_delay_alu instid0(VALU_DEP_2) | instskip(NEXT) | instid1(VALU_DEP_1)
	v_add3_u32 v1, v82, v1, 0x7fff
	v_lshrrev_b32_e32 v1, 16, v1
	s_delay_alu instid0(VALU_DEP_1)
	v_cndmask_b32_e32 v1, 0x7fc0, v1, vcc_lo
	flat_store_b32 v[2:3], v1
.LBB51_4503:
	s_wait_xcnt 0x0
	s_or_b32 exec_lo, exec_lo, s23
	s_delay_alu instid0(SALU_CYCLE_1)
	s_and_not1_b32 s23, s14, exec_lo
	s_and_b32 s24, s24, exec_lo
	s_and_b32 s22, s22, exec_lo
	s_or_b32 s23, s23, s24
                                        ; implicit-def: $vgpr1
                                        ; implicit-def: $vgpr2_vgpr3
                                        ; implicit-def: $vgpr82
.LBB51_4504:
	s_and_not1_saveexec_b32 s24, s0
	s_cbranch_execz .LBB51_4510
; %bb.4505:
	s_mov_b32 s26, -1
	s_mov_b32 s0, s22
	s_mov_b32 s25, exec_lo
	v_cmpx_eq_u16_e32 44, v1
	s_cbranch_execz .LBB51_4509
; %bb.4506:
	v_bfe_u32 v4, v82, 23, 8
	v_mov_b32_e32 v1, 0xff
	s_mov_b32 s26, exec_lo
	s_delay_alu instid0(VALU_DEP_2)
	v_cmpx_ne_u32_e32 0xff, v4
	s_cbranch_execz .LBB51_4508
; %bb.4507:
	v_and_b32_e32 v1, 0x400000, v82
	v_and_or_b32 v4, 0x3fffff, v82, v4
	s_delay_alu instid0(VALU_DEP_2) | instskip(NEXT) | instid1(VALU_DEP_2)
	v_cmp_ne_u32_e32 vcc_lo, 0, v1
	v_cmp_ne_u32_e64 s0, 0, v4
	v_lshrrev_b32_e32 v1, 23, v82
	s_and_b32 s0, vcc_lo, s0
	s_delay_alu instid0(SALU_CYCLE_1) | instskip(NEXT) | instid1(VALU_DEP_1)
	v_cndmask_b32_e64 v4, 0, 1, s0
	v_add_nc_u32_e32 v1, v1, v4
.LBB51_4508:
	s_or_b32 exec_lo, exec_lo, s26
	s_delay_alu instid0(SALU_CYCLE_1)
	s_xor_b32 s26, exec_lo, -1
	s_or_b32 s0, s22, exec_lo
	flat_store_b8 v[2:3], v1
.LBB51_4509:
	s_wait_xcnt 0x0
	s_or_b32 exec_lo, exec_lo, s25
	s_delay_alu instid0(SALU_CYCLE_1)
	s_and_not1_b32 s23, s23, exec_lo
	s_and_b32 s25, s26, exec_lo
	s_and_not1_b32 s22, s22, exec_lo
	s_and_b32 s0, s0, exec_lo
	s_or_b32 s23, s23, s25
	s_or_b32 s22, s22, s0
.LBB51_4510:
	s_or_b32 exec_lo, exec_lo, s24
	s_delay_alu instid0(SALU_CYCLE_1) | instskip(SKIP_1) | instid1(SALU_CYCLE_1)
	s_and_not1_b32 s0, s14, exec_lo
	s_and_b32 s23, s23, exec_lo
                                        ; implicit-def: $vgpr1
                                        ; implicit-def: $vgpr82
                                        ; implicit-def: $vgpr2_vgpr3
	s_or_b32 s23, s0, s23
	s_and_b32 s0, s22, exec_lo
.LBB51_4511:
	s_and_not1_saveexec_b32 s21, s21
	s_cbranch_execz .LBB51_4515
; %bb.4512:
	s_mov_b32 s25, -1
	s_mov_b32 s24, s0
	s_mov_b32 s22, exec_lo
	v_cmpx_eq_u16_e32 29, v1
	s_cbranch_execz .LBB51_4514
; %bb.4513:
	v_trunc_f32_e32 v1, v82
	s_xor_b32 s25, exec_lo, -1
	s_or_b32 s24, s0, exec_lo
	s_delay_alu instid0(VALU_DEP_1) | instskip(NEXT) | instid1(VALU_DEP_1)
	v_mul_f32_e32 v4, 0x2f800000, v1
	v_floor_f32_e32 v4, v4
	s_delay_alu instid0(VALU_DEP_1) | instskip(SKIP_1) | instid1(VALU_DEP_2)
	v_fmamk_f32 v1, v4, 0xcf800000, v1
	v_cvt_u32_f32_e32 v5, v4
	v_cvt_u32_f32_e32 v4, v1
	flat_store_b64 v[2:3], v[4:5]
.LBB51_4514:
	s_wait_xcnt 0x0
	s_or_b32 exec_lo, exec_lo, s22
	s_delay_alu instid0(SALU_CYCLE_1)
	s_and_not1_b32 s22, s23, exec_lo
	s_and_b32 s23, s25, exec_lo
	s_and_not1_b32 s0, s0, exec_lo
	s_and_b32 s24, s24, exec_lo
	s_or_b32 s23, s22, s23
	s_or_b32 s0, s0, s24
.LBB51_4515:
	s_or_b32 exec_lo, exec_lo, s21
	s_delay_alu instid0(SALU_CYCLE_1)
	s_and_not1_b32 s21, s14, exec_lo
	s_and_b32 s22, s23, exec_lo
	s_and_b32 s0, s0, exec_lo
	s_or_b32 s21, s21, s22
                                        ; implicit-def: $vgpr2_vgpr3
                                        ; implicit-def: $vgpr1
                                        ; implicit-def: $vgpr82
.LBB51_4516:
	s_and_not1_saveexec_b32 s19, s19
	s_cbranch_execz .LBB51_4532
; %bb.4517:
	s_mov_b32 s22, exec_lo
	v_cmpx_lt_i16_e32 26, v1
	s_xor_b32 s22, exec_lo, s22
	s_cbranch_execz .LBB51_4523
; %bb.4518:
	v_cmp_lt_i16_e32 vcc_lo, 27, v1
	v_cvt_u32_f32_e32 v1, v82
	s_and_saveexec_b32 s23, vcc_lo
	s_delay_alu instid0(SALU_CYCLE_1)
	s_xor_b32 s23, exec_lo, s23
	s_cbranch_execz .LBB51_4520
; %bb.4519:
	flat_store_b32 v[2:3], v1
                                        ; implicit-def: $vgpr2_vgpr3
                                        ; implicit-def: $vgpr1
.LBB51_4520:
	s_wait_xcnt 0x0
	s_and_not1_saveexec_b32 s23, s23
	s_cbranch_execz .LBB51_4522
; %bb.4521:
	flat_store_b16 v[2:3], v1
.LBB51_4522:
	s_wait_xcnt 0x0
	s_or_b32 exec_lo, exec_lo, s23
                                        ; implicit-def: $vgpr2_vgpr3
                                        ; implicit-def: $vgpr82
.LBB51_4523:
	s_and_not1_saveexec_b32 s22, s22
	s_cbranch_execz .LBB51_4531
; %bb.4524:
	v_and_b32_e32 v1, 0x7fffffff, v82
	v_mov_b32_e32 v4, 0x80
	s_mov_b32 s23, exec_lo
	s_delay_alu instid0(VALU_DEP_2)
	v_cmpx_gt_u32_e32 0x43800000, v1
	s_cbranch_execz .LBB51_4530
; %bb.4525:
	v_cmp_lt_u32_e32 vcc_lo, 0x3bffffff, v1
	s_mov_b32 s24, 0
                                        ; implicit-def: $vgpr1
	s_and_saveexec_b32 s25, vcc_lo
	s_delay_alu instid0(SALU_CYCLE_1)
	s_xor_b32 s25, exec_lo, s25
	s_cbranch_execnz .LBB51_7903
; %bb.4526:
	s_and_not1_saveexec_b32 s25, s25
	s_cbranch_execnz .LBB51_7904
.LBB51_4527:
	s_or_b32 exec_lo, exec_lo, s25
	v_mov_b32_e32 v4, 0
	s_and_saveexec_b32 s25, s24
.LBB51_4528:
	v_lshrrev_b32_e32 v4, 24, v82
	s_delay_alu instid0(VALU_DEP_1)
	v_and_or_b32 v4, 0x80, v4, v1
.LBB51_4529:
	s_or_b32 exec_lo, exec_lo, s25
.LBB51_4530:
	s_delay_alu instid0(SALU_CYCLE_1)
	s_or_b32 exec_lo, exec_lo, s23
	flat_store_b8 v[2:3], v4
.LBB51_4531:
	s_wait_xcnt 0x0
	s_or_b32 exec_lo, exec_lo, s22
	s_delay_alu instid0(SALU_CYCLE_1)
	s_or_b32 s0, s0, exec_lo
.LBB51_4532:
	s_or_b32 exec_lo, exec_lo, s19
	s_delay_alu instid0(SALU_CYCLE_1)
	s_and_not1_b32 s19, s14, exec_lo
	s_and_b32 s21, s21, exec_lo
	s_and_b32 s0, s0, exec_lo
	s_or_b32 s19, s19, s21
                                        ; implicit-def: $vgpr1
                                        ; implicit-def: $vgpr82
                                        ; implicit-def: $vgpr2_vgpr3
.LBB51_4533:
	s_and_not1_saveexec_b32 s20, s20
	s_cbranch_execz .LBB51_4577
; %bb.4534:
	s_mov_b32 s22, s0
	s_mov_b32 s21, exec_lo
	v_cmpx_lt_i16_e32 22, v1
	s_xor_b32 s21, exec_lo, s21
	s_cbranch_execz .LBB51_4566
; %bb.4535:
	s_mov_b32 s22, exec_lo
	v_cmpx_lt_i16_e32 23, v1
	s_xor_b32 s22, exec_lo, s22
	s_cbranch_execz .LBB51_4555
; %bb.4536:
	;; [unrolled: 5-line block ×3, first 2 shown]
	v_and_b32_e32 v1, 0x7fffffff, v82
	v_mov_b32_e32 v4, 0x80
	s_mov_b32 s24, exec_lo
	s_delay_alu instid0(VALU_DEP_2)
	v_cmpx_gt_u32_e32 0x47800000, v1
	s_cbranch_execz .LBB51_4543
; %bb.4538:
	v_cmp_lt_u32_e32 vcc_lo, 0x37ffffff, v1
	s_mov_b32 s25, 0
                                        ; implicit-def: $vgpr1
	s_and_saveexec_b32 s26, vcc_lo
	s_delay_alu instid0(SALU_CYCLE_1)
	s_xor_b32 s26, exec_lo, s26
	s_cbranch_execnz .LBB51_7905
; %bb.4539:
	s_and_not1_saveexec_b32 s26, s26
	s_cbranch_execnz .LBB51_7906
.LBB51_4540:
	s_or_b32 exec_lo, exec_lo, s26
	v_mov_b32_e32 v4, 0
	s_and_saveexec_b32 s26, s25
.LBB51_4541:
	v_lshrrev_b32_e32 v4, 24, v82
	s_delay_alu instid0(VALU_DEP_1)
	v_and_or_b32 v4, 0x80, v4, v1
.LBB51_4542:
	s_or_b32 exec_lo, exec_lo, s26
.LBB51_4543:
	s_delay_alu instid0(SALU_CYCLE_1)
	s_or_b32 exec_lo, exec_lo, s24
	flat_store_b8 v[2:3], v4
                                        ; implicit-def: $vgpr82
                                        ; implicit-def: $vgpr2_vgpr3
.LBB51_4544:
	s_wait_xcnt 0x0
	s_and_not1_saveexec_b32 s23, s23
	s_cbranch_execz .LBB51_4554
; %bb.4545:
	v_and_b32_e32 v4, 0x7fffffff, v82
	s_mov_b32 s24, exec_lo
                                        ; implicit-def: $vgpr1
	s_delay_alu instid0(VALU_DEP_1)
	v_cmpx_gt_u32_e32 0x43f00000, v4
	s_xor_b32 s24, exec_lo, s24
	s_cbranch_execz .LBB51_4551
; %bb.4546:
	s_mov_b32 s25, exec_lo
                                        ; implicit-def: $vgpr1
	v_cmpx_lt_u32_e32 0x3c7fffff, v4
	s_xor_b32 s25, exec_lo, s25
; %bb.4547:
	v_bfe_u32 v1, v82, 20, 1
	s_delay_alu instid0(VALU_DEP_1) | instskip(NEXT) | instid1(VALU_DEP_1)
	v_add3_u32 v1, v82, v1, 0x407ffff
	v_and_b32_e32 v4, 0xff00000, v1
	v_lshrrev_b32_e32 v1, 20, v1
	s_delay_alu instid0(VALU_DEP_2) | instskip(NEXT) | instid1(VALU_DEP_2)
	v_cmp_ne_u32_e32 vcc_lo, 0x7f00000, v4
	v_cndmask_b32_e32 v1, 0x7e, v1, vcc_lo
; %bb.4548:
	s_and_not1_saveexec_b32 s25, s25
; %bb.4549:
	v_add_f32_e64 v1, 0x46800000, |v82|
; %bb.4550:
	s_or_b32 exec_lo, exec_lo, s25
                                        ; implicit-def: $vgpr4
.LBB51_4551:
	s_and_not1_saveexec_b32 s24, s24
; %bb.4552:
	v_mov_b32_e32 v1, 0x7f
	v_cmp_lt_u32_e32 vcc_lo, 0x7f800000, v4
	s_delay_alu instid0(VALU_DEP_2)
	v_cndmask_b32_e32 v1, 0x7e, v1, vcc_lo
; %bb.4553:
	s_or_b32 exec_lo, exec_lo, s24
	v_lshrrev_b32_e32 v4, 24, v82
	s_delay_alu instid0(VALU_DEP_1)
	v_and_or_b32 v1, 0x80, v4, v1
	flat_store_b8 v[2:3], v1
.LBB51_4554:
	s_wait_xcnt 0x0
	s_or_b32 exec_lo, exec_lo, s23
                                        ; implicit-def: $vgpr82
                                        ; implicit-def: $vgpr2_vgpr3
.LBB51_4555:
	s_and_not1_saveexec_b32 s22, s22
	s_cbranch_execz .LBB51_4565
; %bb.4556:
	v_and_b32_e32 v4, 0x7fffffff, v82
	s_mov_b32 s23, exec_lo
                                        ; implicit-def: $vgpr1
	s_delay_alu instid0(VALU_DEP_1)
	v_cmpx_gt_u32_e32 0x47800000, v4
	s_xor_b32 s23, exec_lo, s23
	s_cbranch_execz .LBB51_4562
; %bb.4557:
	s_mov_b32 s24, exec_lo
                                        ; implicit-def: $vgpr1
	v_cmpx_lt_u32_e32 0x387fffff, v4
	s_xor_b32 s24, exec_lo, s24
; %bb.4558:
	v_bfe_u32 v1, v82, 21, 1
	s_delay_alu instid0(VALU_DEP_1) | instskip(NEXT) | instid1(VALU_DEP_1)
	v_add3_u32 v1, v82, v1, 0x80fffff
	v_lshrrev_b32_e32 v1, 21, v1
; %bb.4559:
	s_and_not1_saveexec_b32 s24, s24
; %bb.4560:
	v_add_f32_e64 v1, 0x43000000, |v82|
; %bb.4561:
	s_or_b32 exec_lo, exec_lo, s24
                                        ; implicit-def: $vgpr4
.LBB51_4562:
	s_and_not1_saveexec_b32 s23, s23
; %bb.4563:
	v_mov_b32_e32 v1, 0x7f
	v_cmp_lt_u32_e32 vcc_lo, 0x7f800000, v4
	s_delay_alu instid0(VALU_DEP_2)
	v_cndmask_b32_e32 v1, 0x7c, v1, vcc_lo
; %bb.4564:
	s_or_b32 exec_lo, exec_lo, s23
	v_lshrrev_b32_e32 v4, 24, v82
	s_delay_alu instid0(VALU_DEP_1)
	v_and_or_b32 v1, 0x80, v4, v1
	flat_store_b8 v[2:3], v1
.LBB51_4565:
	s_wait_xcnt 0x0
	s_or_b32 exec_lo, exec_lo, s22
	s_delay_alu instid0(SALU_CYCLE_1)
	s_or_b32 s22, s0, exec_lo
                                        ; implicit-def: $vgpr1
                                        ; implicit-def: $vgpr82
                                        ; implicit-def: $vgpr2_vgpr3
.LBB51_4566:
	s_or_saveexec_b32 s21, s21
	s_mov_b32 s23, s19
	s_xor_b32 exec_lo, exec_lo, s21
	s_cbranch_execz .LBB51_4576
; %bb.4567:
	s_mov_b32 s23, s22
	s_mov_b32 s24, s19
	s_mov_b32 s25, exec_lo
	v_cmpx_lt_i16_e32 14, v1
	s_xor_b32 s25, exec_lo, s25
	s_cbranch_execz .LBB51_4571
; %bb.4568:
	s_mov_b32 s26, -1
	s_mov_b32 s23, s22
	s_mov_b32 s24, exec_lo
	v_cmpx_eq_u16_e32 15, v1
	s_cbranch_execz .LBB51_4570
; %bb.4569:
	v_bfe_u32 v1, v82, 16, 1
	v_cmp_o_f32_e32 vcc_lo, v82, v82
	s_xor_b32 s26, exec_lo, -1
	s_or_b32 s23, s22, exec_lo
	s_delay_alu instid0(VALU_DEP_2) | instskip(NEXT) | instid1(VALU_DEP_1)
	v_add3_u32 v1, v82, v1, 0x7fff
	v_lshrrev_b32_e32 v1, 16, v1
	s_delay_alu instid0(VALU_DEP_1)
	v_cndmask_b32_e32 v1, 0x7fc0, v1, vcc_lo
	flat_store_b16 v[2:3], v1
.LBB51_4570:
	s_wait_xcnt 0x0
	s_or_b32 exec_lo, exec_lo, s24
	s_delay_alu instid0(SALU_CYCLE_1)
	s_and_not1_b32 s24, s19, exec_lo
	s_and_b32 s26, s26, exec_lo
	s_and_not1_b32 s27, s22, exec_lo
	s_and_b32 s23, s23, exec_lo
	s_or_b32 s24, s24, s26
	s_or_b32 s23, s27, s23
                                        ; implicit-def: $vgpr1
                                        ; implicit-def: $vgpr82
                                        ; implicit-def: $vgpr2_vgpr3
.LBB51_4571:
	s_and_not1_saveexec_b32 s25, s25
	s_cbranch_execz .LBB51_4575
; %bb.4572:
	s_mov_b32 s27, -1
	s_mov_b32 s26, s23
	s_mov_b32 s28, exec_lo
	v_cmpx_eq_u16_e32 11, v1
	s_cbranch_execz .LBB51_4574
; %bb.4573:
	v_cmp_neq_f32_e32 vcc_lo, 0, v82
	s_xor_b32 s27, exec_lo, -1
	s_or_b32 s26, s23, exec_lo
	v_cndmask_b32_e64 v1, 0, 1, vcc_lo
	flat_store_b8 v[2:3], v1
.LBB51_4574:
	s_wait_xcnt 0x0
	s_or_b32 exec_lo, exec_lo, s28
	s_delay_alu instid0(SALU_CYCLE_1)
	s_and_not1_b32 s24, s24, exec_lo
	s_and_b32 s27, s27, exec_lo
	s_and_not1_b32 s23, s23, exec_lo
	s_and_b32 s26, s26, exec_lo
	s_or_b32 s24, s24, s27
	s_or_b32 s23, s23, s26
.LBB51_4575:
	s_or_b32 exec_lo, exec_lo, s25
	s_delay_alu instid0(SALU_CYCLE_1)
	s_and_not1_b32 s25, s19, exec_lo
	s_and_b32 s24, s24, exec_lo
	s_and_not1_b32 s22, s22, exec_lo
	s_and_b32 s26, s23, exec_lo
	s_or_b32 s23, s25, s24
	s_or_b32 s22, s22, s26
.LBB51_4576:
	s_or_b32 exec_lo, exec_lo, s21
	s_delay_alu instid0(SALU_CYCLE_1)
	s_and_not1_b32 s19, s19, exec_lo
	s_and_b32 s21, s23, exec_lo
	s_and_not1_b32 s0, s0, exec_lo
	s_and_b32 s22, s22, exec_lo
	s_or_b32 s19, s19, s21
	s_or_b32 s0, s0, s22
.LBB51_4577:
	s_or_b32 exec_lo, exec_lo, s20
	s_delay_alu instid0(SALU_CYCLE_1)
	s_and_not1_b32 s20, s14, exec_lo
	s_and_b32 s19, s19, exec_lo
	s_and_b32 s0, s0, exec_lo
	s_or_b32 s19, s20, s19
                                        ; implicit-def: $vgpr1
                                        ; implicit-def: $vgpr82
                                        ; implicit-def: $vgpr2_vgpr3
.LBB51_4578:
	s_and_not1_saveexec_b32 s16, s16
	s_cbranch_execz .LBB51_4620
; %bb.4579:
	s_mov_b32 s20, exec_lo
	v_cmpx_lt_i16_e32 4, v1
	s_xor_b32 s20, exec_lo, s20
	s_cbranch_execz .LBB51_4601
; %bb.4580:
	s_mov_b32 s21, exec_lo
	v_cmpx_lt_i16_e32 7, v1
	s_xor_b32 s21, exec_lo, s21
	s_cbranch_execz .LBB51_4590
; %bb.4581:
	s_mov_b32 s22, exec_lo
	v_cmpx_lt_i16_e32 8, v1
	s_xor_b32 s22, exec_lo, s22
	s_cbranch_execz .LBB51_4587
; %bb.4582:
	s_mov_b32 s23, exec_lo
	v_cmpx_lt_i16_e32 9, v1
	s_xor_b32 s23, exec_lo, s23
	s_cbranch_execz .LBB51_4584
; %bb.4583:
	v_cvt_f64_f32_e32 v[4:5], v82
	v_mov_b32_e32 v6, 0
                                        ; implicit-def: $vgpr82
	s_delay_alu instid0(VALU_DEP_1)
	v_mov_b32_e32 v7, v6
	flat_store_b128 v[2:3], v[4:7]
                                        ; implicit-def: $vgpr2_vgpr3
.LBB51_4584:
	s_wait_xcnt 0x0
	s_and_not1_saveexec_b32 s23, s23
	s_cbranch_execz .LBB51_4586
; %bb.4585:
	v_mov_b32_e32 v83, 0
	flat_store_b64 v[2:3], v[82:83]
.LBB51_4586:
	s_wait_xcnt 0x0
	s_or_b32 exec_lo, exec_lo, s23
                                        ; implicit-def: $vgpr82
                                        ; implicit-def: $vgpr2_vgpr3
.LBB51_4587:
	s_and_not1_saveexec_b32 s22, s22
	s_cbranch_execz .LBB51_4589
; %bb.4588:
	v_cvt_f16_f32_e32 v1, v82
	s_delay_alu instid0(VALU_DEP_1)
	v_and_b32_e32 v1, 0xffff, v1
	flat_store_b32 v[2:3], v1
.LBB51_4589:
	s_wait_xcnt 0x0
	s_or_b32 exec_lo, exec_lo, s22
                                        ; implicit-def: $vgpr82
                                        ; implicit-def: $vgpr2_vgpr3
                                        ; implicit-def: $vgpr1
.LBB51_4590:
	s_and_not1_saveexec_b32 s21, s21
	s_cbranch_execz .LBB51_4600
; %bb.4591:
	s_mov_b32 s22, exec_lo
	v_cmpx_lt_i16_e32 5, v1
	s_xor_b32 s22, exec_lo, s22
	s_cbranch_execz .LBB51_4597
; %bb.4592:
	s_mov_b32 s23, exec_lo
	v_cmpx_lt_i16_e32 6, v1
	s_xor_b32 s23, exec_lo, s23
	s_cbranch_execz .LBB51_4594
; %bb.4593:
	v_cvt_f64_f32_e32 v[4:5], v82
                                        ; implicit-def: $vgpr82
	flat_store_b64 v[2:3], v[4:5]
                                        ; implicit-def: $vgpr2_vgpr3
.LBB51_4594:
	s_wait_xcnt 0x0
	s_and_not1_saveexec_b32 s23, s23
	s_cbranch_execz .LBB51_4596
; %bb.4595:
	flat_store_b32 v[2:3], v82
.LBB51_4596:
	s_wait_xcnt 0x0
	s_or_b32 exec_lo, exec_lo, s23
                                        ; implicit-def: $vgpr82
                                        ; implicit-def: $vgpr2_vgpr3
.LBB51_4597:
	s_and_not1_saveexec_b32 s22, s22
	s_cbranch_execz .LBB51_4599
; %bb.4598:
	v_cvt_f16_f32_e32 v1, v82
	flat_store_b16 v[2:3], v1
.LBB51_4599:
	s_wait_xcnt 0x0
	s_or_b32 exec_lo, exec_lo, s22
.LBB51_4600:
	s_delay_alu instid0(SALU_CYCLE_1)
	s_or_b32 exec_lo, exec_lo, s21
                                        ; implicit-def: $vgpr1
                                        ; implicit-def: $vgpr82
                                        ; implicit-def: $vgpr2_vgpr3
.LBB51_4601:
	s_and_not1_saveexec_b32 s20, s20
	s_cbranch_execz .LBB51_4619
; %bb.4602:
	s_mov_b32 s21, exec_lo
	v_cmpx_lt_i16_e32 1, v1
	s_xor_b32 s21, exec_lo, s21
	s_cbranch_execz .LBB51_4612
; %bb.4603:
	s_mov_b32 s22, exec_lo
	v_cmpx_lt_i16_e32 2, v1
	s_xor_b32 s22, exec_lo, s22
	;; [unrolled: 5-line block ×3, first 2 shown]
	s_cbranch_execz .LBB51_4606
; %bb.4605:
	v_trunc_f32_e32 v1, v82
                                        ; implicit-def: $vgpr82
	s_delay_alu instid0(VALU_DEP_1) | instskip(NEXT) | instid1(VALU_DEP_1)
	v_mul_f32_e64 v4, 0x2f800000, |v1|
	v_floor_f32_e32 v5, v4
	v_ashrrev_i32_e32 v4, 31, v1
	s_delay_alu instid0(VALU_DEP_2) | instskip(SKIP_1) | instid1(VALU_DEP_3)
	v_fma_f32 v6, 0xcf800000, v5, |v1|
	v_cvt_u32_f32_e32 v1, v5
	v_mov_b32_e32 v5, v4
	s_delay_alu instid0(VALU_DEP_3) | instskip(NEXT) | instid1(VALU_DEP_3)
	v_cvt_u32_f32_e32 v6, v6
	v_xor_b32_e32 v7, v1, v4
	s_delay_alu instid0(VALU_DEP_2) | instskip(NEXT) | instid1(VALU_DEP_1)
	v_xor_b32_e32 v6, v6, v4
	v_sub_nc_u64_e32 v[4:5], v[6:7], v[4:5]
	flat_store_b64 v[2:3], v[4:5]
                                        ; implicit-def: $vgpr2_vgpr3
.LBB51_4606:
	s_wait_xcnt 0x0
	s_and_not1_saveexec_b32 s23, s23
	s_cbranch_execz .LBB51_4608
; %bb.4607:
	v_cvt_i32_f32_e32 v1, v82
	flat_store_b32 v[2:3], v1
.LBB51_4608:
	s_wait_xcnt 0x0
	s_or_b32 exec_lo, exec_lo, s23
                                        ; implicit-def: $vgpr82
                                        ; implicit-def: $vgpr2_vgpr3
.LBB51_4609:
	s_and_not1_saveexec_b32 s22, s22
	s_cbranch_execz .LBB51_4611
; %bb.4610:
	v_cvt_i32_f32_e32 v1, v82
	flat_store_b16 v[2:3], v1
.LBB51_4611:
	s_wait_xcnt 0x0
	s_or_b32 exec_lo, exec_lo, s22
                                        ; implicit-def: $vgpr82
                                        ; implicit-def: $vgpr2_vgpr3
                                        ; implicit-def: $vgpr1
.LBB51_4612:
	s_and_not1_saveexec_b32 s21, s21
	s_cbranch_execz .LBB51_4618
; %bb.4613:
	s_mov_b32 s22, exec_lo
	v_cmpx_lt_i16_e32 0, v1
	s_xor_b32 s22, exec_lo, s22
	s_cbranch_execz .LBB51_4615
; %bb.4614:
	v_cvt_i32_f32_e32 v1, v82
                                        ; implicit-def: $vgpr82
	flat_store_b8 v[2:3], v1
                                        ; implicit-def: $vgpr2_vgpr3
.LBB51_4615:
	s_wait_xcnt 0x0
	s_and_not1_saveexec_b32 s22, s22
	s_cbranch_execz .LBB51_4617
; %bb.4616:
	v_trunc_f32_e32 v1, v82
	s_delay_alu instid0(VALU_DEP_1) | instskip(NEXT) | instid1(VALU_DEP_1)
	v_mul_f32_e64 v4, 0x2f800000, |v1|
	v_floor_f32_e32 v4, v4
	s_delay_alu instid0(VALU_DEP_1) | instskip(SKIP_1) | instid1(VALU_DEP_2)
	v_fma_f32 v4, 0xcf800000, v4, |v1|
	v_ashrrev_i32_e32 v1, 31, v1
	v_cvt_u32_f32_e32 v4, v4
	s_delay_alu instid0(VALU_DEP_1) | instskip(NEXT) | instid1(VALU_DEP_1)
	v_xor_b32_e32 v4, v4, v1
	v_sub_nc_u32_e32 v1, v4, v1
	flat_store_b8 v[2:3], v1
.LBB51_4617:
	s_wait_xcnt 0x0
	s_or_b32 exec_lo, exec_lo, s22
.LBB51_4618:
	s_delay_alu instid0(SALU_CYCLE_1)
	s_or_b32 exec_lo, exec_lo, s21
.LBB51_4619:
	s_delay_alu instid0(SALU_CYCLE_1) | instskip(NEXT) | instid1(SALU_CYCLE_1)
	s_or_b32 exec_lo, exec_lo, s20
	s_or_b32 s0, s0, exec_lo
.LBB51_4620:
	s_or_b32 exec_lo, exec_lo, s16
	s_mov_b32 s20, 0
	s_mov_b32 s16, 0
	s_and_saveexec_b32 s21, s0
; %bb.4621:
	v_add_nc_u32_e32 v103, 0x200, v103
	s_mov_b32 s20, exec_lo
	s_delay_alu instid0(VALU_DEP_1)
	v_cmp_lt_i32_e32 vcc_lo, v103, v8
	s_and_b32 s16, vcc_lo, exec_lo
; %bb.4622:
	s_or_b32 exec_lo, exec_lo, s21
	s_delay_alu instid0(SALU_CYCLE_1)
	s_and_not1_b32 s0, s14, exec_lo
	s_and_b32 s19, s19, exec_lo
	s_and_b32 s21, s16, exec_lo
	s_or_b32 s16, s0, s19
	s_or_not1_b32 s20, s20, exec_lo
.LBB51_4623:
	s_or_b32 exec_lo, exec_lo, s17
	s_mov_b32 s0, 0
	s_mov_b32 s19, 0
                                        ; implicit-def: $vgpr4
                                        ; implicit-def: $vgpr2_vgpr3
	s_and_saveexec_b32 s17, s20
	s_cbranch_execz .LBB51_7825
; %bb.4624:
	s_mov_b32 s22, -1
	s_mov_b32 s20, 0
	s_mov_b32 s18, s16
	s_and_saveexec_b32 s19, s21
	s_cbranch_execz .LBB51_4752
; %bb.4625:
	v_dual_add_nc_u32 v1, s3, v103 :: v_dual_mov_b32 v3, 0
	s_mov_b32 s21, s16
	s_mov_b32 s18, exec_lo
	s_delay_alu instid0(VALU_DEP_1) | instskip(SKIP_1) | instid1(VALU_DEP_2)
	v_mul_lo_u32 v2, v1, v14
	v_and_b32_e32 v1, 0xff, v13
	v_add_nc_u64_e32 v[2:3], v[114:115], v[2:3]
	s_delay_alu instid0(VALU_DEP_2)
	v_cmpx_lt_i16_e32 10, v1
	s_xor_b32 s18, exec_lo, s18
	s_cbranch_execz .LBB51_4707
; %bb.4626:
	s_mov_b32 s21, s16
	s_mov_b32 s22, exec_lo
	v_cmpx_lt_i16_e32 25, v1
	s_xor_b32 s22, exec_lo, s22
	s_cbranch_execz .LBB51_4662
; %bb.4627:
	s_mov_b32 s23, s16
	s_mov_b32 s21, exec_lo
	;; [unrolled: 6-line block ×3, first 2 shown]
	v_cmpx_lt_i16_e32 43, v1
	s_xor_b32 s23, exec_lo, s23
	s_cbranch_execz .LBB51_4640
; %bb.4629:
	s_mov_b32 s24, 0
	s_mov_b32 s25, s16
	s_mov_b32 s0, exec_lo
	v_cmpx_lt_i16_e32 45, v1
	s_xor_b32 s0, exec_lo, s0
	s_cbranch_execz .LBB51_4633
; %bb.4630:
	s_mov_b32 s26, -1
	s_mov_b32 s25, exec_lo
	v_cmpx_eq_u16_e32 46, v1
	s_cbranch_execz .LBB51_4632
; %bb.4631:
	v_bfe_u32 v1, v80, 16, 1
	v_cmp_o_f32_e32 vcc_lo, v80, v80
	s_mov_b32 s24, exec_lo
	s_xor_b32 s26, exec_lo, -1
	s_delay_alu instid0(VALU_DEP_2) | instskip(NEXT) | instid1(VALU_DEP_1)
	v_add3_u32 v1, v80, v1, 0x7fff
	v_lshrrev_b32_e32 v1, 16, v1
	s_delay_alu instid0(VALU_DEP_1)
	v_cndmask_b32_e32 v1, 0x7fc0, v1, vcc_lo
	flat_store_b32 v[2:3], v1
.LBB51_4632:
	s_wait_xcnt 0x0
	s_or_b32 exec_lo, exec_lo, s25
	s_delay_alu instid0(SALU_CYCLE_1)
	s_and_not1_b32 s25, s16, exec_lo
	s_and_b32 s26, s26, exec_lo
	s_and_b32 s24, s24, exec_lo
	s_or_b32 s25, s25, s26
                                        ; implicit-def: $vgpr1
                                        ; implicit-def: $vgpr2_vgpr3
                                        ; implicit-def: $vgpr80
.LBB51_4633:
	s_and_not1_saveexec_b32 s26, s0
	s_cbranch_execz .LBB51_4639
; %bb.4634:
	s_mov_b32 s28, -1
	s_mov_b32 s0, s24
	s_mov_b32 s27, exec_lo
	v_cmpx_eq_u16_e32 44, v1
	s_cbranch_execz .LBB51_4638
; %bb.4635:
	v_bfe_u32 v4, v80, 23, 8
	v_mov_b32_e32 v1, 0xff
	s_mov_b32 s28, exec_lo
	s_delay_alu instid0(VALU_DEP_2)
	v_cmpx_ne_u32_e32 0xff, v4
	s_cbranch_execz .LBB51_4637
; %bb.4636:
	v_and_b32_e32 v1, 0x400000, v80
	v_and_or_b32 v4, 0x3fffff, v80, v4
	s_delay_alu instid0(VALU_DEP_2) | instskip(NEXT) | instid1(VALU_DEP_2)
	v_cmp_ne_u32_e32 vcc_lo, 0, v1
	v_cmp_ne_u32_e64 s0, 0, v4
	v_lshrrev_b32_e32 v1, 23, v80
	s_and_b32 s0, vcc_lo, s0
	s_delay_alu instid0(SALU_CYCLE_1) | instskip(NEXT) | instid1(VALU_DEP_1)
	v_cndmask_b32_e64 v4, 0, 1, s0
	v_add_nc_u32_e32 v1, v1, v4
.LBB51_4637:
	s_or_b32 exec_lo, exec_lo, s28
	s_delay_alu instid0(SALU_CYCLE_1)
	s_xor_b32 s28, exec_lo, -1
	s_or_b32 s0, s24, exec_lo
	flat_store_b8 v[2:3], v1
.LBB51_4638:
	s_wait_xcnt 0x0
	s_or_b32 exec_lo, exec_lo, s27
	s_delay_alu instid0(SALU_CYCLE_1)
	s_and_not1_b32 s25, s25, exec_lo
	s_and_b32 s27, s28, exec_lo
	s_and_not1_b32 s24, s24, exec_lo
	s_and_b32 s0, s0, exec_lo
	s_or_b32 s25, s25, s27
	s_or_b32 s24, s24, s0
.LBB51_4639:
	s_or_b32 exec_lo, exec_lo, s26
	s_delay_alu instid0(SALU_CYCLE_1) | instskip(SKIP_1) | instid1(SALU_CYCLE_1)
	s_and_not1_b32 s0, s16, exec_lo
	s_and_b32 s25, s25, exec_lo
                                        ; implicit-def: $vgpr1
                                        ; implicit-def: $vgpr80
                                        ; implicit-def: $vgpr2_vgpr3
	s_or_b32 s25, s0, s25
	s_and_b32 s0, s24, exec_lo
.LBB51_4640:
	s_and_not1_saveexec_b32 s23, s23
	s_cbranch_execz .LBB51_4644
; %bb.4641:
	s_mov_b32 s27, -1
	s_mov_b32 s26, s0
	s_mov_b32 s24, exec_lo
	v_cmpx_eq_u16_e32 29, v1
	s_cbranch_execz .LBB51_4643
; %bb.4642:
	v_trunc_f32_e32 v1, v80
	s_xor_b32 s27, exec_lo, -1
	s_or_b32 s26, s0, exec_lo
	s_delay_alu instid0(VALU_DEP_1) | instskip(NEXT) | instid1(VALU_DEP_1)
	v_mul_f32_e32 v4, 0x2f800000, v1
	v_floor_f32_e32 v4, v4
	s_delay_alu instid0(VALU_DEP_1) | instskip(SKIP_1) | instid1(VALU_DEP_2)
	v_fmamk_f32 v1, v4, 0xcf800000, v1
	v_cvt_u32_f32_e32 v5, v4
	v_cvt_u32_f32_e32 v4, v1
	flat_store_b64 v[2:3], v[4:5]
.LBB51_4643:
	s_wait_xcnt 0x0
	s_or_b32 exec_lo, exec_lo, s24
	s_delay_alu instid0(SALU_CYCLE_1)
	s_and_not1_b32 s24, s25, exec_lo
	s_and_b32 s25, s27, exec_lo
	s_and_not1_b32 s0, s0, exec_lo
	s_and_b32 s26, s26, exec_lo
	s_or_b32 s25, s24, s25
	s_or_b32 s0, s0, s26
.LBB51_4644:
	s_or_b32 exec_lo, exec_lo, s23
	s_delay_alu instid0(SALU_CYCLE_1)
	s_and_not1_b32 s23, s16, exec_lo
	s_and_b32 s24, s25, exec_lo
	s_and_b32 s0, s0, exec_lo
	s_or_b32 s23, s23, s24
                                        ; implicit-def: $vgpr2_vgpr3
                                        ; implicit-def: $vgpr1
                                        ; implicit-def: $vgpr80
.LBB51_4645:
	s_and_not1_saveexec_b32 s21, s21
	s_cbranch_execz .LBB51_4661
; %bb.4646:
	s_mov_b32 s24, exec_lo
	v_cmpx_lt_i16_e32 26, v1
	s_xor_b32 s24, exec_lo, s24
	s_cbranch_execz .LBB51_4652
; %bb.4647:
	v_cmp_lt_i16_e32 vcc_lo, 27, v1
	v_cvt_u32_f32_e32 v1, v80
	s_and_saveexec_b32 s25, vcc_lo
	s_delay_alu instid0(SALU_CYCLE_1)
	s_xor_b32 s25, exec_lo, s25
	s_cbranch_execz .LBB51_4649
; %bb.4648:
	flat_store_b32 v[2:3], v1
                                        ; implicit-def: $vgpr2_vgpr3
                                        ; implicit-def: $vgpr1
.LBB51_4649:
	s_wait_xcnt 0x0
	s_and_not1_saveexec_b32 s25, s25
	s_cbranch_execz .LBB51_4651
; %bb.4650:
	flat_store_b16 v[2:3], v1
.LBB51_4651:
	s_wait_xcnt 0x0
	s_or_b32 exec_lo, exec_lo, s25
                                        ; implicit-def: $vgpr2_vgpr3
                                        ; implicit-def: $vgpr80
.LBB51_4652:
	s_and_not1_saveexec_b32 s24, s24
	s_cbranch_execz .LBB51_4660
; %bb.4653:
	v_and_b32_e32 v1, 0x7fffffff, v80
	v_mov_b32_e32 v4, 0x80
	s_mov_b32 s25, exec_lo
	s_delay_alu instid0(VALU_DEP_2)
	v_cmpx_gt_u32_e32 0x43800000, v1
	s_cbranch_execz .LBB51_4659
; %bb.4654:
	v_cmp_lt_u32_e32 vcc_lo, 0x3bffffff, v1
	s_mov_b32 s26, 0
                                        ; implicit-def: $vgpr1
	s_and_saveexec_b32 s27, vcc_lo
	s_delay_alu instid0(SALU_CYCLE_1)
	s_xor_b32 s27, exec_lo, s27
	s_cbranch_execnz .LBB51_7907
; %bb.4655:
	s_and_not1_saveexec_b32 s27, s27
	s_cbranch_execnz .LBB51_7908
.LBB51_4656:
	s_or_b32 exec_lo, exec_lo, s27
	v_mov_b32_e32 v4, 0
	s_and_saveexec_b32 s27, s26
.LBB51_4657:
	v_lshrrev_b32_e32 v4, 24, v80
	s_delay_alu instid0(VALU_DEP_1)
	v_and_or_b32 v4, 0x80, v4, v1
.LBB51_4658:
	s_or_b32 exec_lo, exec_lo, s27
.LBB51_4659:
	s_delay_alu instid0(SALU_CYCLE_1)
	s_or_b32 exec_lo, exec_lo, s25
	flat_store_b8 v[2:3], v4
.LBB51_4660:
	s_wait_xcnt 0x0
	s_or_b32 exec_lo, exec_lo, s24
	s_delay_alu instid0(SALU_CYCLE_1)
	s_or_b32 s0, s0, exec_lo
.LBB51_4661:
	s_or_b32 exec_lo, exec_lo, s21
	s_delay_alu instid0(SALU_CYCLE_1)
	s_and_not1_b32 s21, s16, exec_lo
	s_and_b32 s23, s23, exec_lo
	s_and_b32 s0, s0, exec_lo
	s_or_b32 s21, s21, s23
                                        ; implicit-def: $vgpr1
                                        ; implicit-def: $vgpr80
                                        ; implicit-def: $vgpr2_vgpr3
.LBB51_4662:
	s_and_not1_saveexec_b32 s22, s22
	s_cbranch_execz .LBB51_4706
; %bb.4663:
	s_mov_b32 s24, s0
	s_mov_b32 s23, exec_lo
	v_cmpx_lt_i16_e32 22, v1
	s_xor_b32 s23, exec_lo, s23
	s_cbranch_execz .LBB51_4695
; %bb.4664:
	s_mov_b32 s24, exec_lo
	v_cmpx_lt_i16_e32 23, v1
	s_xor_b32 s24, exec_lo, s24
	s_cbranch_execz .LBB51_4684
; %bb.4665:
	;; [unrolled: 5-line block ×3, first 2 shown]
	v_and_b32_e32 v1, 0x7fffffff, v80
	v_mov_b32_e32 v4, 0x80
	s_mov_b32 s26, exec_lo
	s_delay_alu instid0(VALU_DEP_2)
	v_cmpx_gt_u32_e32 0x47800000, v1
	s_cbranch_execz .LBB51_4672
; %bb.4667:
	v_cmp_lt_u32_e32 vcc_lo, 0x37ffffff, v1
	s_mov_b32 s27, 0
                                        ; implicit-def: $vgpr1
	s_and_saveexec_b32 s28, vcc_lo
	s_delay_alu instid0(SALU_CYCLE_1)
	s_xor_b32 s28, exec_lo, s28
	s_cbranch_execnz .LBB51_7909
; %bb.4668:
	s_and_not1_saveexec_b32 s28, s28
	s_cbranch_execnz .LBB51_7910
.LBB51_4669:
	s_or_b32 exec_lo, exec_lo, s28
	v_mov_b32_e32 v4, 0
	s_and_saveexec_b32 s28, s27
.LBB51_4670:
	v_lshrrev_b32_e32 v4, 24, v80
	s_delay_alu instid0(VALU_DEP_1)
	v_and_or_b32 v4, 0x80, v4, v1
.LBB51_4671:
	s_or_b32 exec_lo, exec_lo, s28
.LBB51_4672:
	s_delay_alu instid0(SALU_CYCLE_1)
	s_or_b32 exec_lo, exec_lo, s26
	flat_store_b8 v[2:3], v4
                                        ; implicit-def: $vgpr80
                                        ; implicit-def: $vgpr2_vgpr3
.LBB51_4673:
	s_wait_xcnt 0x0
	s_and_not1_saveexec_b32 s25, s25
	s_cbranch_execz .LBB51_4683
; %bb.4674:
	v_and_b32_e32 v4, 0x7fffffff, v80
	s_mov_b32 s26, exec_lo
                                        ; implicit-def: $vgpr1
	s_delay_alu instid0(VALU_DEP_1)
	v_cmpx_gt_u32_e32 0x43f00000, v4
	s_xor_b32 s26, exec_lo, s26
	s_cbranch_execz .LBB51_4680
; %bb.4675:
	s_mov_b32 s27, exec_lo
                                        ; implicit-def: $vgpr1
	v_cmpx_lt_u32_e32 0x3c7fffff, v4
	s_xor_b32 s27, exec_lo, s27
; %bb.4676:
	v_bfe_u32 v1, v80, 20, 1
	s_delay_alu instid0(VALU_DEP_1) | instskip(NEXT) | instid1(VALU_DEP_1)
	v_add3_u32 v1, v80, v1, 0x407ffff
	v_and_b32_e32 v4, 0xff00000, v1
	v_lshrrev_b32_e32 v1, 20, v1
	s_delay_alu instid0(VALU_DEP_2) | instskip(NEXT) | instid1(VALU_DEP_2)
	v_cmp_ne_u32_e32 vcc_lo, 0x7f00000, v4
	v_cndmask_b32_e32 v1, 0x7e, v1, vcc_lo
; %bb.4677:
	s_and_not1_saveexec_b32 s27, s27
; %bb.4678:
	v_add_f32_e64 v1, 0x46800000, |v80|
; %bb.4679:
	s_or_b32 exec_lo, exec_lo, s27
                                        ; implicit-def: $vgpr4
.LBB51_4680:
	s_and_not1_saveexec_b32 s26, s26
; %bb.4681:
	v_mov_b32_e32 v1, 0x7f
	v_cmp_lt_u32_e32 vcc_lo, 0x7f800000, v4
	s_delay_alu instid0(VALU_DEP_2)
	v_cndmask_b32_e32 v1, 0x7e, v1, vcc_lo
; %bb.4682:
	s_or_b32 exec_lo, exec_lo, s26
	v_lshrrev_b32_e32 v4, 24, v80
	s_delay_alu instid0(VALU_DEP_1)
	v_and_or_b32 v1, 0x80, v4, v1
	flat_store_b8 v[2:3], v1
.LBB51_4683:
	s_wait_xcnt 0x0
	s_or_b32 exec_lo, exec_lo, s25
                                        ; implicit-def: $vgpr80
                                        ; implicit-def: $vgpr2_vgpr3
.LBB51_4684:
	s_and_not1_saveexec_b32 s24, s24
	s_cbranch_execz .LBB51_4694
; %bb.4685:
	v_and_b32_e32 v4, 0x7fffffff, v80
	s_mov_b32 s25, exec_lo
                                        ; implicit-def: $vgpr1
	s_delay_alu instid0(VALU_DEP_1)
	v_cmpx_gt_u32_e32 0x47800000, v4
	s_xor_b32 s25, exec_lo, s25
	s_cbranch_execz .LBB51_4691
; %bb.4686:
	s_mov_b32 s26, exec_lo
                                        ; implicit-def: $vgpr1
	v_cmpx_lt_u32_e32 0x387fffff, v4
	s_xor_b32 s26, exec_lo, s26
; %bb.4687:
	v_bfe_u32 v1, v80, 21, 1
	s_delay_alu instid0(VALU_DEP_1) | instskip(NEXT) | instid1(VALU_DEP_1)
	v_add3_u32 v1, v80, v1, 0x80fffff
	v_lshrrev_b32_e32 v1, 21, v1
; %bb.4688:
	s_and_not1_saveexec_b32 s26, s26
; %bb.4689:
	v_add_f32_e64 v1, 0x43000000, |v80|
; %bb.4690:
	s_or_b32 exec_lo, exec_lo, s26
                                        ; implicit-def: $vgpr4
.LBB51_4691:
	s_and_not1_saveexec_b32 s25, s25
; %bb.4692:
	v_mov_b32_e32 v1, 0x7f
	v_cmp_lt_u32_e32 vcc_lo, 0x7f800000, v4
	s_delay_alu instid0(VALU_DEP_2)
	v_cndmask_b32_e32 v1, 0x7c, v1, vcc_lo
; %bb.4693:
	s_or_b32 exec_lo, exec_lo, s25
	v_lshrrev_b32_e32 v4, 24, v80
	s_delay_alu instid0(VALU_DEP_1)
	v_and_or_b32 v1, 0x80, v4, v1
	flat_store_b8 v[2:3], v1
.LBB51_4694:
	s_wait_xcnt 0x0
	s_or_b32 exec_lo, exec_lo, s24
	s_delay_alu instid0(SALU_CYCLE_1)
	s_or_b32 s24, s0, exec_lo
                                        ; implicit-def: $vgpr1
                                        ; implicit-def: $vgpr80
                                        ; implicit-def: $vgpr2_vgpr3
.LBB51_4695:
	s_or_saveexec_b32 s23, s23
	s_mov_b32 s25, s21
	s_xor_b32 exec_lo, exec_lo, s23
	s_cbranch_execz .LBB51_4705
; %bb.4696:
	s_mov_b32 s25, s24
	s_mov_b32 s26, s21
	s_mov_b32 s27, exec_lo
	v_cmpx_lt_i16_e32 14, v1
	s_xor_b32 s27, exec_lo, s27
	s_cbranch_execz .LBB51_4700
; %bb.4697:
	s_mov_b32 s28, -1
	s_mov_b32 s25, s24
	s_mov_b32 s26, exec_lo
	v_cmpx_eq_u16_e32 15, v1
	s_cbranch_execz .LBB51_4699
; %bb.4698:
	v_bfe_u32 v1, v80, 16, 1
	v_cmp_o_f32_e32 vcc_lo, v80, v80
	s_xor_b32 s28, exec_lo, -1
	s_or_b32 s25, s24, exec_lo
	s_delay_alu instid0(VALU_DEP_2) | instskip(NEXT) | instid1(VALU_DEP_1)
	v_add3_u32 v1, v80, v1, 0x7fff
	v_lshrrev_b32_e32 v1, 16, v1
	s_delay_alu instid0(VALU_DEP_1)
	v_cndmask_b32_e32 v1, 0x7fc0, v1, vcc_lo
	flat_store_b16 v[2:3], v1
.LBB51_4699:
	s_wait_xcnt 0x0
	s_or_b32 exec_lo, exec_lo, s26
	s_delay_alu instid0(SALU_CYCLE_1)
	s_and_not1_b32 s26, s21, exec_lo
	s_and_b32 s28, s28, exec_lo
	s_and_not1_b32 s29, s24, exec_lo
	s_and_b32 s25, s25, exec_lo
	s_or_b32 s26, s26, s28
	s_or_b32 s25, s29, s25
                                        ; implicit-def: $vgpr1
                                        ; implicit-def: $vgpr80
                                        ; implicit-def: $vgpr2_vgpr3
.LBB51_4700:
	s_and_not1_saveexec_b32 s27, s27
	s_cbranch_execz .LBB51_4704
; %bb.4701:
	s_mov_b32 s29, -1
	s_mov_b32 s28, s25
	s_mov_b32 s40, exec_lo
	v_cmpx_eq_u16_e32 11, v1
	s_cbranch_execz .LBB51_4703
; %bb.4702:
	v_cmp_neq_f32_e32 vcc_lo, 0, v80
	s_xor_b32 s29, exec_lo, -1
	s_or_b32 s28, s25, exec_lo
	v_cndmask_b32_e64 v1, 0, 1, vcc_lo
	flat_store_b8 v[2:3], v1
.LBB51_4703:
	s_wait_xcnt 0x0
	s_or_b32 exec_lo, exec_lo, s40
	s_delay_alu instid0(SALU_CYCLE_1)
	s_and_not1_b32 s26, s26, exec_lo
	s_and_b32 s29, s29, exec_lo
	s_and_not1_b32 s25, s25, exec_lo
	s_and_b32 s28, s28, exec_lo
	s_or_b32 s26, s26, s29
	s_or_b32 s25, s25, s28
.LBB51_4704:
	s_or_b32 exec_lo, exec_lo, s27
	s_delay_alu instid0(SALU_CYCLE_1)
	s_and_not1_b32 s27, s21, exec_lo
	s_and_b32 s26, s26, exec_lo
	s_and_not1_b32 s24, s24, exec_lo
	s_and_b32 s28, s25, exec_lo
	s_or_b32 s25, s27, s26
	s_or_b32 s24, s24, s28
.LBB51_4705:
	s_or_b32 exec_lo, exec_lo, s23
	s_delay_alu instid0(SALU_CYCLE_1)
	s_and_not1_b32 s21, s21, exec_lo
	s_and_b32 s23, s25, exec_lo
	s_and_not1_b32 s0, s0, exec_lo
	s_and_b32 s24, s24, exec_lo
	s_or_b32 s21, s21, s23
	s_or_b32 s0, s0, s24
.LBB51_4706:
	s_or_b32 exec_lo, exec_lo, s22
	s_delay_alu instid0(SALU_CYCLE_1)
	s_and_not1_b32 s22, s16, exec_lo
	s_and_b32 s21, s21, exec_lo
	s_and_b32 s0, s0, exec_lo
	s_or_b32 s21, s22, s21
                                        ; implicit-def: $vgpr1
                                        ; implicit-def: $vgpr80
                                        ; implicit-def: $vgpr2_vgpr3
.LBB51_4707:
	s_and_not1_saveexec_b32 s18, s18
	s_cbranch_execz .LBB51_4749
; %bb.4708:
	s_mov_b32 s22, exec_lo
	v_cmpx_lt_i16_e32 4, v1
	s_xor_b32 s22, exec_lo, s22
	s_cbranch_execz .LBB51_4730
; %bb.4709:
	s_mov_b32 s23, exec_lo
	v_cmpx_lt_i16_e32 7, v1
	s_xor_b32 s23, exec_lo, s23
	;; [unrolled: 5-line block ×4, first 2 shown]
	s_cbranch_execz .LBB51_4713
; %bb.4712:
	v_cvt_f64_f32_e32 v[4:5], v80
	v_mov_b32_e32 v6, 0
                                        ; implicit-def: $vgpr80
	s_delay_alu instid0(VALU_DEP_1)
	v_mov_b32_e32 v7, v6
	flat_store_b128 v[2:3], v[4:7]
                                        ; implicit-def: $vgpr2_vgpr3
.LBB51_4713:
	s_wait_xcnt 0x0
	s_and_not1_saveexec_b32 s25, s25
	s_cbranch_execz .LBB51_4715
; %bb.4714:
	v_mov_b32_e32 v81, 0
	flat_store_b64 v[2:3], v[80:81]
.LBB51_4715:
	s_wait_xcnt 0x0
	s_or_b32 exec_lo, exec_lo, s25
                                        ; implicit-def: $vgpr80
                                        ; implicit-def: $vgpr2_vgpr3
.LBB51_4716:
	s_and_not1_saveexec_b32 s24, s24
	s_cbranch_execz .LBB51_4718
; %bb.4717:
	v_cvt_f16_f32_e32 v1, v80
	s_delay_alu instid0(VALU_DEP_1)
	v_and_b32_e32 v1, 0xffff, v1
	flat_store_b32 v[2:3], v1
.LBB51_4718:
	s_wait_xcnt 0x0
	s_or_b32 exec_lo, exec_lo, s24
                                        ; implicit-def: $vgpr80
                                        ; implicit-def: $vgpr2_vgpr3
                                        ; implicit-def: $vgpr1
.LBB51_4719:
	s_and_not1_saveexec_b32 s23, s23
	s_cbranch_execz .LBB51_4729
; %bb.4720:
	s_mov_b32 s24, exec_lo
	v_cmpx_lt_i16_e32 5, v1
	s_xor_b32 s24, exec_lo, s24
	s_cbranch_execz .LBB51_4726
; %bb.4721:
	s_mov_b32 s25, exec_lo
	v_cmpx_lt_i16_e32 6, v1
	s_xor_b32 s25, exec_lo, s25
	s_cbranch_execz .LBB51_4723
; %bb.4722:
	v_cvt_f64_f32_e32 v[4:5], v80
                                        ; implicit-def: $vgpr80
	flat_store_b64 v[2:3], v[4:5]
                                        ; implicit-def: $vgpr2_vgpr3
.LBB51_4723:
	s_wait_xcnt 0x0
	s_and_not1_saveexec_b32 s25, s25
	s_cbranch_execz .LBB51_4725
; %bb.4724:
	flat_store_b32 v[2:3], v80
.LBB51_4725:
	s_wait_xcnt 0x0
	s_or_b32 exec_lo, exec_lo, s25
                                        ; implicit-def: $vgpr80
                                        ; implicit-def: $vgpr2_vgpr3
.LBB51_4726:
	s_and_not1_saveexec_b32 s24, s24
	s_cbranch_execz .LBB51_4728
; %bb.4727:
	v_cvt_f16_f32_e32 v1, v80
	flat_store_b16 v[2:3], v1
.LBB51_4728:
	s_wait_xcnt 0x0
	s_or_b32 exec_lo, exec_lo, s24
.LBB51_4729:
	s_delay_alu instid0(SALU_CYCLE_1)
	s_or_b32 exec_lo, exec_lo, s23
                                        ; implicit-def: $vgpr1
                                        ; implicit-def: $vgpr80
                                        ; implicit-def: $vgpr2_vgpr3
.LBB51_4730:
	s_and_not1_saveexec_b32 s22, s22
	s_cbranch_execz .LBB51_4748
; %bb.4731:
	s_mov_b32 s23, exec_lo
	v_cmpx_lt_i16_e32 1, v1
	s_xor_b32 s23, exec_lo, s23
	s_cbranch_execz .LBB51_4741
; %bb.4732:
	s_mov_b32 s24, exec_lo
	v_cmpx_lt_i16_e32 2, v1
	s_xor_b32 s24, exec_lo, s24
	;; [unrolled: 5-line block ×3, first 2 shown]
	s_cbranch_execz .LBB51_4735
; %bb.4734:
	v_trunc_f32_e32 v1, v80
                                        ; implicit-def: $vgpr80
	s_delay_alu instid0(VALU_DEP_1) | instskip(NEXT) | instid1(VALU_DEP_1)
	v_mul_f32_e64 v4, 0x2f800000, |v1|
	v_floor_f32_e32 v5, v4
	v_ashrrev_i32_e32 v4, 31, v1
	s_delay_alu instid0(VALU_DEP_2) | instskip(SKIP_1) | instid1(VALU_DEP_3)
	v_fma_f32 v6, 0xcf800000, v5, |v1|
	v_cvt_u32_f32_e32 v1, v5
	v_mov_b32_e32 v5, v4
	s_delay_alu instid0(VALU_DEP_3) | instskip(NEXT) | instid1(VALU_DEP_3)
	v_cvt_u32_f32_e32 v6, v6
	v_xor_b32_e32 v7, v1, v4
	s_delay_alu instid0(VALU_DEP_2) | instskip(NEXT) | instid1(VALU_DEP_1)
	v_xor_b32_e32 v6, v6, v4
	v_sub_nc_u64_e32 v[4:5], v[6:7], v[4:5]
	flat_store_b64 v[2:3], v[4:5]
                                        ; implicit-def: $vgpr2_vgpr3
.LBB51_4735:
	s_wait_xcnt 0x0
	s_and_not1_saveexec_b32 s25, s25
	s_cbranch_execz .LBB51_4737
; %bb.4736:
	v_cvt_i32_f32_e32 v1, v80
	flat_store_b32 v[2:3], v1
.LBB51_4737:
	s_wait_xcnt 0x0
	s_or_b32 exec_lo, exec_lo, s25
                                        ; implicit-def: $vgpr80
                                        ; implicit-def: $vgpr2_vgpr3
.LBB51_4738:
	s_and_not1_saveexec_b32 s24, s24
	s_cbranch_execz .LBB51_4740
; %bb.4739:
	v_cvt_i32_f32_e32 v1, v80
	flat_store_b16 v[2:3], v1
.LBB51_4740:
	s_wait_xcnt 0x0
	s_or_b32 exec_lo, exec_lo, s24
                                        ; implicit-def: $vgpr80
                                        ; implicit-def: $vgpr2_vgpr3
                                        ; implicit-def: $vgpr1
.LBB51_4741:
	s_and_not1_saveexec_b32 s23, s23
	s_cbranch_execz .LBB51_4747
; %bb.4742:
	s_mov_b32 s24, exec_lo
	v_cmpx_lt_i16_e32 0, v1
	s_xor_b32 s24, exec_lo, s24
	s_cbranch_execz .LBB51_4744
; %bb.4743:
	v_cvt_i32_f32_e32 v1, v80
                                        ; implicit-def: $vgpr80
	flat_store_b8 v[2:3], v1
                                        ; implicit-def: $vgpr2_vgpr3
.LBB51_4744:
	s_wait_xcnt 0x0
	s_and_not1_saveexec_b32 s24, s24
	s_cbranch_execz .LBB51_4746
; %bb.4745:
	v_trunc_f32_e32 v1, v80
	s_delay_alu instid0(VALU_DEP_1) | instskip(NEXT) | instid1(VALU_DEP_1)
	v_mul_f32_e64 v4, 0x2f800000, |v1|
	v_floor_f32_e32 v4, v4
	s_delay_alu instid0(VALU_DEP_1) | instskip(SKIP_1) | instid1(VALU_DEP_2)
	v_fma_f32 v4, 0xcf800000, v4, |v1|
	v_ashrrev_i32_e32 v1, 31, v1
	v_cvt_u32_f32_e32 v4, v4
	s_delay_alu instid0(VALU_DEP_1) | instskip(NEXT) | instid1(VALU_DEP_1)
	v_xor_b32_e32 v4, v4, v1
	v_sub_nc_u32_e32 v1, v4, v1
	flat_store_b8 v[2:3], v1
.LBB51_4746:
	s_wait_xcnt 0x0
	s_or_b32 exec_lo, exec_lo, s24
.LBB51_4747:
	s_delay_alu instid0(SALU_CYCLE_1)
	s_or_b32 exec_lo, exec_lo, s23
.LBB51_4748:
	s_delay_alu instid0(SALU_CYCLE_1) | instskip(NEXT) | instid1(SALU_CYCLE_1)
	s_or_b32 exec_lo, exec_lo, s22
	s_or_b32 s0, s0, exec_lo
.LBB51_4749:
	s_or_b32 exec_lo, exec_lo, s18
	s_mov_b32 s22, 0
	s_mov_b32 s18, 0
	s_and_saveexec_b32 s23, s0
; %bb.4750:
	v_add_nc_u32_e32 v103, 0x200, v103
	s_mov_b32 s22, exec_lo
	s_delay_alu instid0(VALU_DEP_1)
	v_cmp_lt_i32_e32 vcc_lo, v103, v8
	s_and_b32 s18, vcc_lo, exec_lo
; %bb.4751:
	s_or_b32 exec_lo, exec_lo, s23
	s_delay_alu instid0(SALU_CYCLE_1)
	s_and_not1_b32 s23, s16, exec_lo
	s_and_b32 s21, s21, exec_lo
	s_and_b32 s0, s18, exec_lo
	s_or_b32 s18, s23, s21
	s_or_not1_b32 s22, s22, exec_lo
.LBB51_4752:
	s_or_b32 exec_lo, exec_lo, s19
	s_mov_b32 s21, 0
	s_mov_b32 s23, 0
                                        ; implicit-def: $vgpr4
                                        ; implicit-def: $vgpr2_vgpr3
	s_and_saveexec_b32 s19, s22
	s_cbranch_execz .LBB51_7824
; %bb.4753:
	s_mov_b32 s24, -1
	s_mov_b32 s22, 0
	s_mov_b32 s20, s18
	;; [unrolled: 1-line block ×3, first 2 shown]
	s_and_saveexec_b32 s21, s0
	s_cbranch_execz .LBB51_4881
; %bb.4754:
	v_dual_add_nc_u32 v1, s3, v103 :: v_dual_mov_b32 v3, 0
	s_mov_b32 s0, 0
	s_mov_b32 s23, s18
	s_mov_b32 s20, exec_lo
	s_delay_alu instid0(VALU_DEP_1) | instskip(SKIP_1) | instid1(VALU_DEP_2)
	v_mul_lo_u32 v2, v1, v14
	v_and_b32_e32 v1, 0xff, v13
	v_add_nc_u64_e32 v[2:3], v[114:115], v[2:3]
	s_delay_alu instid0(VALU_DEP_2)
	v_cmpx_lt_i16_e32 10, v1
	s_xor_b32 s20, exec_lo, s20
	s_cbranch_execz .LBB51_4836
; %bb.4755:
	s_mov_b32 s23, s18
	s_mov_b32 s24, exec_lo
	v_cmpx_lt_i16_e32 25, v1
	s_xor_b32 s24, exec_lo, s24
	s_cbranch_execz .LBB51_4791
; %bb.4756:
	s_mov_b32 s25, s18
	s_mov_b32 s23, exec_lo
	;; [unrolled: 6-line block ×3, first 2 shown]
	v_cmpx_lt_i16_e32 43, v1
	s_xor_b32 s25, exec_lo, s25
	s_cbranch_execz .LBB51_4769
; %bb.4758:
	s_mov_b32 s26, 0
	s_mov_b32 s27, s18
	s_mov_b32 s0, exec_lo
	v_cmpx_lt_i16_e32 45, v1
	s_xor_b32 s0, exec_lo, s0
	s_cbranch_execz .LBB51_4762
; %bb.4759:
	s_mov_b32 s28, -1
	s_mov_b32 s27, exec_lo
	v_cmpx_eq_u16_e32 46, v1
	s_cbranch_execz .LBB51_4761
; %bb.4760:
	v_bfe_u32 v1, v70, 16, 1
	v_cmp_o_f32_e32 vcc_lo, v70, v70
	s_mov_b32 s26, exec_lo
	s_xor_b32 s28, exec_lo, -1
	s_delay_alu instid0(VALU_DEP_2) | instskip(NEXT) | instid1(VALU_DEP_1)
	v_add3_u32 v1, v70, v1, 0x7fff
	v_lshrrev_b32_e32 v1, 16, v1
	s_delay_alu instid0(VALU_DEP_1)
	v_cndmask_b32_e32 v1, 0x7fc0, v1, vcc_lo
	flat_store_b32 v[2:3], v1
.LBB51_4761:
	s_wait_xcnt 0x0
	s_or_b32 exec_lo, exec_lo, s27
	s_delay_alu instid0(SALU_CYCLE_1)
	s_and_not1_b32 s27, s18, exec_lo
	s_and_b32 s28, s28, exec_lo
	s_and_b32 s26, s26, exec_lo
	s_or_b32 s27, s27, s28
                                        ; implicit-def: $vgpr1
                                        ; implicit-def: $vgpr2_vgpr3
                                        ; implicit-def: $vgpr70
.LBB51_4762:
	s_and_not1_saveexec_b32 s28, s0
	s_cbranch_execz .LBB51_4768
; %bb.4763:
	s_mov_b32 s40, -1
	s_mov_b32 s0, s26
	s_mov_b32 s29, exec_lo
	v_cmpx_eq_u16_e32 44, v1
	s_cbranch_execz .LBB51_4767
; %bb.4764:
	v_bfe_u32 v4, v70, 23, 8
	v_mov_b32_e32 v1, 0xff
	s_mov_b32 s40, exec_lo
	s_delay_alu instid0(VALU_DEP_2)
	v_cmpx_ne_u32_e32 0xff, v4
	s_cbranch_execz .LBB51_4766
; %bb.4765:
	v_and_b32_e32 v1, 0x400000, v70
	v_and_or_b32 v4, 0x3fffff, v70, v4
	s_delay_alu instid0(VALU_DEP_2) | instskip(NEXT) | instid1(VALU_DEP_2)
	v_cmp_ne_u32_e32 vcc_lo, 0, v1
	v_cmp_ne_u32_e64 s0, 0, v4
	v_lshrrev_b32_e32 v1, 23, v70
	s_and_b32 s0, vcc_lo, s0
	s_delay_alu instid0(SALU_CYCLE_1) | instskip(NEXT) | instid1(VALU_DEP_1)
	v_cndmask_b32_e64 v4, 0, 1, s0
	v_add_nc_u32_e32 v1, v1, v4
.LBB51_4766:
	s_or_b32 exec_lo, exec_lo, s40
	s_delay_alu instid0(SALU_CYCLE_1)
	s_xor_b32 s40, exec_lo, -1
	s_or_b32 s0, s26, exec_lo
	flat_store_b8 v[2:3], v1
.LBB51_4767:
	s_wait_xcnt 0x0
	s_or_b32 exec_lo, exec_lo, s29
	s_delay_alu instid0(SALU_CYCLE_1)
	s_and_not1_b32 s27, s27, exec_lo
	s_and_b32 s29, s40, exec_lo
	s_and_not1_b32 s26, s26, exec_lo
	s_and_b32 s0, s0, exec_lo
	s_or_b32 s27, s27, s29
	s_or_b32 s26, s26, s0
.LBB51_4768:
	s_or_b32 exec_lo, exec_lo, s28
	s_delay_alu instid0(SALU_CYCLE_1) | instskip(SKIP_1) | instid1(SALU_CYCLE_1)
	s_and_not1_b32 s0, s18, exec_lo
	s_and_b32 s27, s27, exec_lo
                                        ; implicit-def: $vgpr1
                                        ; implicit-def: $vgpr70
                                        ; implicit-def: $vgpr2_vgpr3
	s_or_b32 s27, s0, s27
	s_and_b32 s0, s26, exec_lo
.LBB51_4769:
	s_and_not1_saveexec_b32 s25, s25
	s_cbranch_execz .LBB51_4773
; %bb.4770:
	s_mov_b32 s29, -1
	s_mov_b32 s28, s0
	s_mov_b32 s26, exec_lo
	v_cmpx_eq_u16_e32 29, v1
	s_cbranch_execz .LBB51_4772
; %bb.4771:
	v_trunc_f32_e32 v1, v70
	s_xor_b32 s29, exec_lo, -1
	s_or_b32 s28, s0, exec_lo
	s_delay_alu instid0(VALU_DEP_1) | instskip(NEXT) | instid1(VALU_DEP_1)
	v_mul_f32_e32 v4, 0x2f800000, v1
	v_floor_f32_e32 v4, v4
	s_delay_alu instid0(VALU_DEP_1) | instskip(SKIP_1) | instid1(VALU_DEP_2)
	v_fmamk_f32 v1, v4, 0xcf800000, v1
	v_cvt_u32_f32_e32 v5, v4
	v_cvt_u32_f32_e32 v4, v1
	flat_store_b64 v[2:3], v[4:5]
.LBB51_4772:
	s_wait_xcnt 0x0
	s_or_b32 exec_lo, exec_lo, s26
	s_delay_alu instid0(SALU_CYCLE_1)
	s_and_not1_b32 s26, s27, exec_lo
	s_and_b32 s27, s29, exec_lo
	s_and_not1_b32 s0, s0, exec_lo
	s_and_b32 s28, s28, exec_lo
	s_or_b32 s27, s26, s27
	s_or_b32 s0, s0, s28
.LBB51_4773:
	s_or_b32 exec_lo, exec_lo, s25
	s_delay_alu instid0(SALU_CYCLE_1)
	s_and_not1_b32 s25, s18, exec_lo
	s_and_b32 s26, s27, exec_lo
	s_and_b32 s0, s0, exec_lo
	s_or_b32 s25, s25, s26
                                        ; implicit-def: $vgpr2_vgpr3
                                        ; implicit-def: $vgpr1
                                        ; implicit-def: $vgpr70
.LBB51_4774:
	s_and_not1_saveexec_b32 s23, s23
	s_cbranch_execz .LBB51_4790
; %bb.4775:
	s_mov_b32 s26, exec_lo
	v_cmpx_lt_i16_e32 26, v1
	s_xor_b32 s26, exec_lo, s26
	s_cbranch_execz .LBB51_4781
; %bb.4776:
	v_cmp_lt_i16_e32 vcc_lo, 27, v1
	v_cvt_u32_f32_e32 v1, v70
	s_and_saveexec_b32 s27, vcc_lo
	s_delay_alu instid0(SALU_CYCLE_1)
	s_xor_b32 s27, exec_lo, s27
	s_cbranch_execz .LBB51_4778
; %bb.4777:
	flat_store_b32 v[2:3], v1
                                        ; implicit-def: $vgpr2_vgpr3
                                        ; implicit-def: $vgpr1
.LBB51_4778:
	s_wait_xcnt 0x0
	s_and_not1_saveexec_b32 s27, s27
	s_cbranch_execz .LBB51_4780
; %bb.4779:
	flat_store_b16 v[2:3], v1
.LBB51_4780:
	s_wait_xcnt 0x0
	s_or_b32 exec_lo, exec_lo, s27
                                        ; implicit-def: $vgpr2_vgpr3
                                        ; implicit-def: $vgpr70
.LBB51_4781:
	s_and_not1_saveexec_b32 s26, s26
	s_cbranch_execz .LBB51_4789
; %bb.4782:
	v_and_b32_e32 v1, 0x7fffffff, v70
	v_mov_b32_e32 v4, 0x80
	s_mov_b32 s27, exec_lo
	s_delay_alu instid0(VALU_DEP_2)
	v_cmpx_gt_u32_e32 0x43800000, v1
	s_cbranch_execz .LBB51_4788
; %bb.4783:
	v_cmp_lt_u32_e32 vcc_lo, 0x3bffffff, v1
	s_mov_b32 s28, 0
                                        ; implicit-def: $vgpr1
	s_and_saveexec_b32 s29, vcc_lo
	s_delay_alu instid0(SALU_CYCLE_1)
	s_xor_b32 s29, exec_lo, s29
	s_cbranch_execnz .LBB51_7911
; %bb.4784:
	s_and_not1_saveexec_b32 s29, s29
	s_cbranch_execnz .LBB51_7912
.LBB51_4785:
	s_or_b32 exec_lo, exec_lo, s29
	v_mov_b32_e32 v4, 0
	s_and_saveexec_b32 s29, s28
.LBB51_4786:
	v_lshrrev_b32_e32 v4, 24, v70
	s_delay_alu instid0(VALU_DEP_1)
	v_and_or_b32 v4, 0x80, v4, v1
.LBB51_4787:
	s_or_b32 exec_lo, exec_lo, s29
.LBB51_4788:
	s_delay_alu instid0(SALU_CYCLE_1)
	s_or_b32 exec_lo, exec_lo, s27
	flat_store_b8 v[2:3], v4
.LBB51_4789:
	s_wait_xcnt 0x0
	s_or_b32 exec_lo, exec_lo, s26
	s_delay_alu instid0(SALU_CYCLE_1)
	s_or_b32 s0, s0, exec_lo
.LBB51_4790:
	s_or_b32 exec_lo, exec_lo, s23
	s_delay_alu instid0(SALU_CYCLE_1)
	s_and_not1_b32 s23, s18, exec_lo
	s_and_b32 s25, s25, exec_lo
	s_and_b32 s0, s0, exec_lo
	s_or_b32 s23, s23, s25
                                        ; implicit-def: $vgpr1
                                        ; implicit-def: $vgpr70
                                        ; implicit-def: $vgpr2_vgpr3
.LBB51_4791:
	s_and_not1_saveexec_b32 s24, s24
	s_cbranch_execz .LBB51_4835
; %bb.4792:
	s_mov_b32 s26, s0
	s_mov_b32 s25, exec_lo
	v_cmpx_lt_i16_e32 22, v1
	s_xor_b32 s25, exec_lo, s25
	s_cbranch_execz .LBB51_4824
; %bb.4793:
	s_mov_b32 s26, exec_lo
	v_cmpx_lt_i16_e32 23, v1
	s_xor_b32 s26, exec_lo, s26
	s_cbranch_execz .LBB51_4813
; %bb.4794:
	;; [unrolled: 5-line block ×3, first 2 shown]
	v_and_b32_e32 v1, 0x7fffffff, v70
	v_mov_b32_e32 v4, 0x80
	s_mov_b32 s28, exec_lo
	s_delay_alu instid0(VALU_DEP_2)
	v_cmpx_gt_u32_e32 0x47800000, v1
	s_cbranch_execz .LBB51_4801
; %bb.4796:
	v_cmp_lt_u32_e32 vcc_lo, 0x37ffffff, v1
	s_mov_b32 s29, 0
                                        ; implicit-def: $vgpr1
	s_and_saveexec_b32 s40, vcc_lo
	s_delay_alu instid0(SALU_CYCLE_1)
	s_xor_b32 s40, exec_lo, s40
	s_cbranch_execnz .LBB51_7913
; %bb.4797:
	s_and_not1_saveexec_b32 s40, s40
	s_cbranch_execnz .LBB51_7914
.LBB51_4798:
	s_or_b32 exec_lo, exec_lo, s40
	v_mov_b32_e32 v4, 0
	s_and_saveexec_b32 s40, s29
.LBB51_4799:
	v_lshrrev_b32_e32 v4, 24, v70
	s_delay_alu instid0(VALU_DEP_1)
	v_and_or_b32 v4, 0x80, v4, v1
.LBB51_4800:
	s_or_b32 exec_lo, exec_lo, s40
.LBB51_4801:
	s_delay_alu instid0(SALU_CYCLE_1)
	s_or_b32 exec_lo, exec_lo, s28
	flat_store_b8 v[2:3], v4
                                        ; implicit-def: $vgpr70
                                        ; implicit-def: $vgpr2_vgpr3
.LBB51_4802:
	s_wait_xcnt 0x0
	s_and_not1_saveexec_b32 s27, s27
	s_cbranch_execz .LBB51_4812
; %bb.4803:
	v_and_b32_e32 v4, 0x7fffffff, v70
	s_mov_b32 s28, exec_lo
                                        ; implicit-def: $vgpr1
	s_delay_alu instid0(VALU_DEP_1)
	v_cmpx_gt_u32_e32 0x43f00000, v4
	s_xor_b32 s28, exec_lo, s28
	s_cbranch_execz .LBB51_4809
; %bb.4804:
	s_mov_b32 s29, exec_lo
                                        ; implicit-def: $vgpr1
	v_cmpx_lt_u32_e32 0x3c7fffff, v4
	s_xor_b32 s29, exec_lo, s29
; %bb.4805:
	v_bfe_u32 v1, v70, 20, 1
	s_delay_alu instid0(VALU_DEP_1) | instskip(NEXT) | instid1(VALU_DEP_1)
	v_add3_u32 v1, v70, v1, 0x407ffff
	v_and_b32_e32 v4, 0xff00000, v1
	v_lshrrev_b32_e32 v1, 20, v1
	s_delay_alu instid0(VALU_DEP_2) | instskip(NEXT) | instid1(VALU_DEP_2)
	v_cmp_ne_u32_e32 vcc_lo, 0x7f00000, v4
	v_cndmask_b32_e32 v1, 0x7e, v1, vcc_lo
; %bb.4806:
	s_and_not1_saveexec_b32 s29, s29
; %bb.4807:
	v_add_f32_e64 v1, 0x46800000, |v70|
; %bb.4808:
	s_or_b32 exec_lo, exec_lo, s29
                                        ; implicit-def: $vgpr4
.LBB51_4809:
	s_and_not1_saveexec_b32 s28, s28
; %bb.4810:
	v_mov_b32_e32 v1, 0x7f
	v_cmp_lt_u32_e32 vcc_lo, 0x7f800000, v4
	s_delay_alu instid0(VALU_DEP_2)
	v_cndmask_b32_e32 v1, 0x7e, v1, vcc_lo
; %bb.4811:
	s_or_b32 exec_lo, exec_lo, s28
	v_lshrrev_b32_e32 v4, 24, v70
	s_delay_alu instid0(VALU_DEP_1)
	v_and_or_b32 v1, 0x80, v4, v1
	flat_store_b8 v[2:3], v1
.LBB51_4812:
	s_wait_xcnt 0x0
	s_or_b32 exec_lo, exec_lo, s27
                                        ; implicit-def: $vgpr70
                                        ; implicit-def: $vgpr2_vgpr3
.LBB51_4813:
	s_and_not1_saveexec_b32 s26, s26
	s_cbranch_execz .LBB51_4823
; %bb.4814:
	v_and_b32_e32 v4, 0x7fffffff, v70
	s_mov_b32 s27, exec_lo
                                        ; implicit-def: $vgpr1
	s_delay_alu instid0(VALU_DEP_1)
	v_cmpx_gt_u32_e32 0x47800000, v4
	s_xor_b32 s27, exec_lo, s27
	s_cbranch_execz .LBB51_4820
; %bb.4815:
	s_mov_b32 s28, exec_lo
                                        ; implicit-def: $vgpr1
	v_cmpx_lt_u32_e32 0x387fffff, v4
	s_xor_b32 s28, exec_lo, s28
; %bb.4816:
	v_bfe_u32 v1, v70, 21, 1
	s_delay_alu instid0(VALU_DEP_1) | instskip(NEXT) | instid1(VALU_DEP_1)
	v_add3_u32 v1, v70, v1, 0x80fffff
	v_lshrrev_b32_e32 v1, 21, v1
; %bb.4817:
	s_and_not1_saveexec_b32 s28, s28
; %bb.4818:
	v_add_f32_e64 v1, 0x43000000, |v70|
; %bb.4819:
	s_or_b32 exec_lo, exec_lo, s28
                                        ; implicit-def: $vgpr4
.LBB51_4820:
	s_and_not1_saveexec_b32 s27, s27
; %bb.4821:
	v_mov_b32_e32 v1, 0x7f
	v_cmp_lt_u32_e32 vcc_lo, 0x7f800000, v4
	s_delay_alu instid0(VALU_DEP_2)
	v_cndmask_b32_e32 v1, 0x7c, v1, vcc_lo
; %bb.4822:
	s_or_b32 exec_lo, exec_lo, s27
	v_lshrrev_b32_e32 v4, 24, v70
	s_delay_alu instid0(VALU_DEP_1)
	v_and_or_b32 v1, 0x80, v4, v1
	flat_store_b8 v[2:3], v1
.LBB51_4823:
	s_wait_xcnt 0x0
	s_or_b32 exec_lo, exec_lo, s26
	s_delay_alu instid0(SALU_CYCLE_1)
	s_or_b32 s26, s0, exec_lo
                                        ; implicit-def: $vgpr1
                                        ; implicit-def: $vgpr70
                                        ; implicit-def: $vgpr2_vgpr3
.LBB51_4824:
	s_or_saveexec_b32 s25, s25
	s_mov_b32 s27, s23
	s_xor_b32 exec_lo, exec_lo, s25
	s_cbranch_execz .LBB51_4834
; %bb.4825:
	s_mov_b32 s27, s26
	s_mov_b32 s28, s23
	s_mov_b32 s29, exec_lo
	v_cmpx_lt_i16_e32 14, v1
	s_xor_b32 s29, exec_lo, s29
	s_cbranch_execz .LBB51_4829
; %bb.4826:
	s_mov_b32 s40, -1
	s_mov_b32 s27, s26
	s_mov_b32 s28, exec_lo
	v_cmpx_eq_u16_e32 15, v1
	s_cbranch_execz .LBB51_4828
; %bb.4827:
	v_bfe_u32 v1, v70, 16, 1
	v_cmp_o_f32_e32 vcc_lo, v70, v70
	s_xor_b32 s40, exec_lo, -1
	s_or_b32 s27, s26, exec_lo
	s_delay_alu instid0(VALU_DEP_2) | instskip(NEXT) | instid1(VALU_DEP_1)
	v_add3_u32 v1, v70, v1, 0x7fff
	v_lshrrev_b32_e32 v1, 16, v1
	s_delay_alu instid0(VALU_DEP_1)
	v_cndmask_b32_e32 v1, 0x7fc0, v1, vcc_lo
	flat_store_b16 v[2:3], v1
.LBB51_4828:
	s_wait_xcnt 0x0
	s_or_b32 exec_lo, exec_lo, s28
	s_delay_alu instid0(SALU_CYCLE_1)
	s_and_not1_b32 s28, s23, exec_lo
	s_and_b32 s40, s40, exec_lo
	s_and_not1_b32 s41, s26, exec_lo
	s_and_b32 s27, s27, exec_lo
	s_or_b32 s28, s28, s40
	s_or_b32 s27, s41, s27
                                        ; implicit-def: $vgpr1
                                        ; implicit-def: $vgpr70
                                        ; implicit-def: $vgpr2_vgpr3
.LBB51_4829:
	s_and_not1_saveexec_b32 s29, s29
	s_cbranch_execz .LBB51_4833
; %bb.4830:
	s_mov_b32 s41, -1
	s_mov_b32 s40, s27
	s_mov_b32 s42, exec_lo
	v_cmpx_eq_u16_e32 11, v1
	s_cbranch_execz .LBB51_4832
; %bb.4831:
	v_cmp_neq_f32_e32 vcc_lo, 0, v70
	s_xor_b32 s41, exec_lo, -1
	s_or_b32 s40, s27, exec_lo
	v_cndmask_b32_e64 v1, 0, 1, vcc_lo
	flat_store_b8 v[2:3], v1
.LBB51_4832:
	s_wait_xcnt 0x0
	s_or_b32 exec_lo, exec_lo, s42
	s_delay_alu instid0(SALU_CYCLE_1)
	s_and_not1_b32 s28, s28, exec_lo
	s_and_b32 s41, s41, exec_lo
	s_and_not1_b32 s27, s27, exec_lo
	s_and_b32 s40, s40, exec_lo
	s_or_b32 s28, s28, s41
	s_or_b32 s27, s27, s40
.LBB51_4833:
	s_or_b32 exec_lo, exec_lo, s29
	s_delay_alu instid0(SALU_CYCLE_1)
	s_and_not1_b32 s29, s23, exec_lo
	s_and_b32 s28, s28, exec_lo
	s_and_not1_b32 s26, s26, exec_lo
	s_and_b32 s40, s27, exec_lo
	s_or_b32 s27, s29, s28
	s_or_b32 s26, s26, s40
.LBB51_4834:
	s_or_b32 exec_lo, exec_lo, s25
	s_delay_alu instid0(SALU_CYCLE_1)
	s_and_not1_b32 s23, s23, exec_lo
	s_and_b32 s25, s27, exec_lo
	s_and_not1_b32 s0, s0, exec_lo
	s_and_b32 s26, s26, exec_lo
	s_or_b32 s23, s23, s25
	s_or_b32 s0, s0, s26
.LBB51_4835:
	s_or_b32 exec_lo, exec_lo, s24
	s_delay_alu instid0(SALU_CYCLE_1)
	s_and_not1_b32 s24, s18, exec_lo
	s_and_b32 s23, s23, exec_lo
	s_and_b32 s0, s0, exec_lo
	s_or_b32 s23, s24, s23
                                        ; implicit-def: $vgpr1
                                        ; implicit-def: $vgpr70
                                        ; implicit-def: $vgpr2_vgpr3
.LBB51_4836:
	s_and_not1_saveexec_b32 s20, s20
	s_cbranch_execz .LBB51_4878
; %bb.4837:
	s_mov_b32 s24, exec_lo
	v_cmpx_lt_i16_e32 4, v1
	s_xor_b32 s24, exec_lo, s24
	s_cbranch_execz .LBB51_4859
; %bb.4838:
	s_mov_b32 s25, exec_lo
	v_cmpx_lt_i16_e32 7, v1
	s_xor_b32 s25, exec_lo, s25
	;; [unrolled: 5-line block ×4, first 2 shown]
	s_cbranch_execz .LBB51_4842
; %bb.4841:
	v_cvt_f64_f32_e32 v[4:5], v70
	v_mov_b32_e32 v6, 0
                                        ; implicit-def: $vgpr70
	s_delay_alu instid0(VALU_DEP_1)
	v_mov_b32_e32 v7, v6
	flat_store_b128 v[2:3], v[4:7]
                                        ; implicit-def: $vgpr2_vgpr3
.LBB51_4842:
	s_wait_xcnt 0x0
	s_and_not1_saveexec_b32 s27, s27
	s_cbranch_execz .LBB51_4844
; %bb.4843:
	v_mov_b32_e32 v71, 0
	flat_store_b64 v[2:3], v[70:71]
.LBB51_4844:
	s_wait_xcnt 0x0
	s_or_b32 exec_lo, exec_lo, s27
                                        ; implicit-def: $vgpr70
                                        ; implicit-def: $vgpr2_vgpr3
.LBB51_4845:
	s_and_not1_saveexec_b32 s26, s26
	s_cbranch_execz .LBB51_4847
; %bb.4846:
	v_cvt_f16_f32_e32 v1, v70
	s_delay_alu instid0(VALU_DEP_1)
	v_and_b32_e32 v1, 0xffff, v1
	flat_store_b32 v[2:3], v1
.LBB51_4847:
	s_wait_xcnt 0x0
	s_or_b32 exec_lo, exec_lo, s26
                                        ; implicit-def: $vgpr70
                                        ; implicit-def: $vgpr2_vgpr3
                                        ; implicit-def: $vgpr1
.LBB51_4848:
	s_and_not1_saveexec_b32 s25, s25
	s_cbranch_execz .LBB51_4858
; %bb.4849:
	s_mov_b32 s26, exec_lo
	v_cmpx_lt_i16_e32 5, v1
	s_xor_b32 s26, exec_lo, s26
	s_cbranch_execz .LBB51_4855
; %bb.4850:
	s_mov_b32 s27, exec_lo
	v_cmpx_lt_i16_e32 6, v1
	s_xor_b32 s27, exec_lo, s27
	s_cbranch_execz .LBB51_4852
; %bb.4851:
	v_cvt_f64_f32_e32 v[4:5], v70
                                        ; implicit-def: $vgpr70
	flat_store_b64 v[2:3], v[4:5]
                                        ; implicit-def: $vgpr2_vgpr3
.LBB51_4852:
	s_wait_xcnt 0x0
	s_and_not1_saveexec_b32 s27, s27
	s_cbranch_execz .LBB51_4854
; %bb.4853:
	flat_store_b32 v[2:3], v70
.LBB51_4854:
	s_wait_xcnt 0x0
	s_or_b32 exec_lo, exec_lo, s27
                                        ; implicit-def: $vgpr70
                                        ; implicit-def: $vgpr2_vgpr3
.LBB51_4855:
	s_and_not1_saveexec_b32 s26, s26
	s_cbranch_execz .LBB51_4857
; %bb.4856:
	v_cvt_f16_f32_e32 v1, v70
	flat_store_b16 v[2:3], v1
.LBB51_4857:
	s_wait_xcnt 0x0
	s_or_b32 exec_lo, exec_lo, s26
.LBB51_4858:
	s_delay_alu instid0(SALU_CYCLE_1)
	s_or_b32 exec_lo, exec_lo, s25
                                        ; implicit-def: $vgpr1
                                        ; implicit-def: $vgpr70
                                        ; implicit-def: $vgpr2_vgpr3
.LBB51_4859:
	s_and_not1_saveexec_b32 s24, s24
	s_cbranch_execz .LBB51_4877
; %bb.4860:
	s_mov_b32 s25, exec_lo
	v_cmpx_lt_i16_e32 1, v1
	s_xor_b32 s25, exec_lo, s25
	s_cbranch_execz .LBB51_4870
; %bb.4861:
	s_mov_b32 s26, exec_lo
	v_cmpx_lt_i16_e32 2, v1
	s_xor_b32 s26, exec_lo, s26
	;; [unrolled: 5-line block ×3, first 2 shown]
	s_cbranch_execz .LBB51_4864
; %bb.4863:
	v_trunc_f32_e32 v1, v70
                                        ; implicit-def: $vgpr70
	s_delay_alu instid0(VALU_DEP_1) | instskip(NEXT) | instid1(VALU_DEP_1)
	v_mul_f32_e64 v4, 0x2f800000, |v1|
	v_floor_f32_e32 v5, v4
	v_ashrrev_i32_e32 v4, 31, v1
	s_delay_alu instid0(VALU_DEP_2) | instskip(SKIP_1) | instid1(VALU_DEP_3)
	v_fma_f32 v6, 0xcf800000, v5, |v1|
	v_cvt_u32_f32_e32 v1, v5
	v_mov_b32_e32 v5, v4
	s_delay_alu instid0(VALU_DEP_3) | instskip(NEXT) | instid1(VALU_DEP_3)
	v_cvt_u32_f32_e32 v6, v6
	v_xor_b32_e32 v7, v1, v4
	s_delay_alu instid0(VALU_DEP_2) | instskip(NEXT) | instid1(VALU_DEP_1)
	v_xor_b32_e32 v6, v6, v4
	v_sub_nc_u64_e32 v[4:5], v[6:7], v[4:5]
	flat_store_b64 v[2:3], v[4:5]
                                        ; implicit-def: $vgpr2_vgpr3
.LBB51_4864:
	s_wait_xcnt 0x0
	s_and_not1_saveexec_b32 s27, s27
	s_cbranch_execz .LBB51_4866
; %bb.4865:
	v_cvt_i32_f32_e32 v1, v70
	flat_store_b32 v[2:3], v1
.LBB51_4866:
	s_wait_xcnt 0x0
	s_or_b32 exec_lo, exec_lo, s27
                                        ; implicit-def: $vgpr70
                                        ; implicit-def: $vgpr2_vgpr3
.LBB51_4867:
	s_and_not1_saveexec_b32 s26, s26
	s_cbranch_execz .LBB51_4869
; %bb.4868:
	v_cvt_i32_f32_e32 v1, v70
	flat_store_b16 v[2:3], v1
.LBB51_4869:
	s_wait_xcnt 0x0
	s_or_b32 exec_lo, exec_lo, s26
                                        ; implicit-def: $vgpr70
                                        ; implicit-def: $vgpr2_vgpr3
                                        ; implicit-def: $vgpr1
.LBB51_4870:
	s_and_not1_saveexec_b32 s25, s25
	s_cbranch_execz .LBB51_4876
; %bb.4871:
	s_mov_b32 s26, exec_lo
	v_cmpx_lt_i16_e32 0, v1
	s_xor_b32 s26, exec_lo, s26
	s_cbranch_execz .LBB51_4873
; %bb.4872:
	v_cvt_i32_f32_e32 v1, v70
                                        ; implicit-def: $vgpr70
	flat_store_b8 v[2:3], v1
                                        ; implicit-def: $vgpr2_vgpr3
.LBB51_4873:
	s_wait_xcnt 0x0
	s_and_not1_saveexec_b32 s26, s26
	s_cbranch_execz .LBB51_4875
; %bb.4874:
	v_trunc_f32_e32 v1, v70
	s_delay_alu instid0(VALU_DEP_1) | instskip(NEXT) | instid1(VALU_DEP_1)
	v_mul_f32_e64 v4, 0x2f800000, |v1|
	v_floor_f32_e32 v4, v4
	s_delay_alu instid0(VALU_DEP_1) | instskip(SKIP_1) | instid1(VALU_DEP_2)
	v_fma_f32 v4, 0xcf800000, v4, |v1|
	v_ashrrev_i32_e32 v1, 31, v1
	v_cvt_u32_f32_e32 v4, v4
	s_delay_alu instid0(VALU_DEP_1) | instskip(NEXT) | instid1(VALU_DEP_1)
	v_xor_b32_e32 v4, v4, v1
	v_sub_nc_u32_e32 v1, v4, v1
	flat_store_b8 v[2:3], v1
.LBB51_4875:
	s_wait_xcnt 0x0
	s_or_b32 exec_lo, exec_lo, s26
.LBB51_4876:
	s_delay_alu instid0(SALU_CYCLE_1)
	s_or_b32 exec_lo, exec_lo, s25
.LBB51_4877:
	s_delay_alu instid0(SALU_CYCLE_1) | instskip(NEXT) | instid1(SALU_CYCLE_1)
	s_or_b32 exec_lo, exec_lo, s24
	s_or_b32 s0, s0, exec_lo
.LBB51_4878:
	s_or_b32 exec_lo, exec_lo, s20
	s_mov_b32 s24, 0
	s_mov_b32 s20, 0
	s_and_saveexec_b32 s25, s0
; %bb.4879:
	v_add_nc_u32_e32 v103, 0x200, v103
	s_mov_b32 s24, exec_lo
	s_delay_alu instid0(VALU_DEP_1)
	v_cmp_lt_i32_e32 vcc_lo, v103, v8
	s_and_b32 s20, vcc_lo, exec_lo
; %bb.4880:
	s_or_b32 exec_lo, exec_lo, s25
	s_delay_alu instid0(SALU_CYCLE_1)
	s_and_not1_b32 s0, s18, exec_lo
	s_and_b32 s23, s23, exec_lo
	s_and_b32 s25, s20, exec_lo
	s_or_b32 s20, s0, s23
	s_or_not1_b32 s24, s24, exec_lo
.LBB51_4881:
	s_or_b32 exec_lo, exec_lo, s21
	s_mov_b32 s0, 0
	s_mov_b32 s23, 0
                                        ; implicit-def: $vgpr4
                                        ; implicit-def: $vgpr2_vgpr3
	s_and_saveexec_b32 s21, s24
	s_cbranch_execz .LBB51_7823
; %bb.4882:
	s_mov_b32 s26, -1
	s_mov_b32 s24, 0
	s_mov_b32 s22, s20
	s_and_saveexec_b32 s23, s25
	s_cbranch_execz .LBB51_5010
; %bb.4883:
	v_dual_add_nc_u32 v1, s3, v103 :: v_dual_mov_b32 v3, 0
	s_mov_b32 s25, s20
	s_mov_b32 s22, exec_lo
	s_delay_alu instid0(VALU_DEP_1) | instskip(SKIP_1) | instid1(VALU_DEP_2)
	v_mul_lo_u32 v2, v1, v14
	v_and_b32_e32 v1, 0xff, v13
	v_add_nc_u64_e32 v[2:3], v[114:115], v[2:3]
	s_delay_alu instid0(VALU_DEP_2)
	v_cmpx_lt_i16_e32 10, v1
	s_xor_b32 s22, exec_lo, s22
	s_cbranch_execz .LBB51_4965
; %bb.4884:
	s_mov_b32 s25, s20
	s_mov_b32 s26, exec_lo
	v_cmpx_lt_i16_e32 25, v1
	s_xor_b32 s26, exec_lo, s26
	s_cbranch_execz .LBB51_4920
; %bb.4885:
	s_mov_b32 s27, s20
	s_mov_b32 s25, exec_lo
	;; [unrolled: 6-line block ×3, first 2 shown]
	v_cmpx_lt_i16_e32 43, v1
	s_xor_b32 s27, exec_lo, s27
	s_cbranch_execz .LBB51_4898
; %bb.4887:
	s_mov_b32 s28, 0
	s_mov_b32 s29, s20
	s_mov_b32 s0, exec_lo
	v_cmpx_lt_i16_e32 45, v1
	s_xor_b32 s0, exec_lo, s0
	s_cbranch_execz .LBB51_4891
; %bb.4888:
	s_mov_b32 s40, -1
	s_mov_b32 s29, exec_lo
	v_cmpx_eq_u16_e32 46, v1
	s_cbranch_execz .LBB51_4890
; %bb.4889:
	v_bfe_u32 v1, v68, 16, 1
	v_cmp_o_f32_e32 vcc_lo, v68, v68
	s_mov_b32 s28, exec_lo
	s_xor_b32 s40, exec_lo, -1
	s_delay_alu instid0(VALU_DEP_2) | instskip(NEXT) | instid1(VALU_DEP_1)
	v_add3_u32 v1, v68, v1, 0x7fff
	v_lshrrev_b32_e32 v1, 16, v1
	s_delay_alu instid0(VALU_DEP_1)
	v_cndmask_b32_e32 v1, 0x7fc0, v1, vcc_lo
	flat_store_b32 v[2:3], v1
.LBB51_4890:
	s_wait_xcnt 0x0
	s_or_b32 exec_lo, exec_lo, s29
	s_delay_alu instid0(SALU_CYCLE_1)
	s_and_not1_b32 s29, s20, exec_lo
	s_and_b32 s40, s40, exec_lo
	s_and_b32 s28, s28, exec_lo
	s_or_b32 s29, s29, s40
                                        ; implicit-def: $vgpr1
                                        ; implicit-def: $vgpr2_vgpr3
                                        ; implicit-def: $vgpr68
.LBB51_4891:
	s_and_not1_saveexec_b32 s40, s0
	s_cbranch_execz .LBB51_4897
; %bb.4892:
	s_mov_b32 s42, -1
	s_mov_b32 s0, s28
	s_mov_b32 s41, exec_lo
	v_cmpx_eq_u16_e32 44, v1
	s_cbranch_execz .LBB51_4896
; %bb.4893:
	v_bfe_u32 v4, v68, 23, 8
	v_mov_b32_e32 v1, 0xff
	s_mov_b32 s42, exec_lo
	s_delay_alu instid0(VALU_DEP_2)
	v_cmpx_ne_u32_e32 0xff, v4
	s_cbranch_execz .LBB51_4895
; %bb.4894:
	v_and_b32_e32 v1, 0x400000, v68
	v_and_or_b32 v4, 0x3fffff, v68, v4
	s_delay_alu instid0(VALU_DEP_2) | instskip(NEXT) | instid1(VALU_DEP_2)
	v_cmp_ne_u32_e32 vcc_lo, 0, v1
	v_cmp_ne_u32_e64 s0, 0, v4
	v_lshrrev_b32_e32 v1, 23, v68
	s_and_b32 s0, vcc_lo, s0
	s_delay_alu instid0(SALU_CYCLE_1) | instskip(NEXT) | instid1(VALU_DEP_1)
	v_cndmask_b32_e64 v4, 0, 1, s0
	v_add_nc_u32_e32 v1, v1, v4
.LBB51_4895:
	s_or_b32 exec_lo, exec_lo, s42
	s_delay_alu instid0(SALU_CYCLE_1)
	s_xor_b32 s42, exec_lo, -1
	s_or_b32 s0, s28, exec_lo
	flat_store_b8 v[2:3], v1
.LBB51_4896:
	s_wait_xcnt 0x0
	s_or_b32 exec_lo, exec_lo, s41
	s_delay_alu instid0(SALU_CYCLE_1)
	s_and_not1_b32 s29, s29, exec_lo
	s_and_b32 s41, s42, exec_lo
	s_and_not1_b32 s28, s28, exec_lo
	s_and_b32 s0, s0, exec_lo
	s_or_b32 s29, s29, s41
	s_or_b32 s28, s28, s0
.LBB51_4897:
	s_or_b32 exec_lo, exec_lo, s40
	s_delay_alu instid0(SALU_CYCLE_1) | instskip(SKIP_1) | instid1(SALU_CYCLE_1)
	s_and_not1_b32 s0, s20, exec_lo
	s_and_b32 s29, s29, exec_lo
                                        ; implicit-def: $vgpr1
                                        ; implicit-def: $vgpr68
                                        ; implicit-def: $vgpr2_vgpr3
	s_or_b32 s29, s0, s29
	s_and_b32 s0, s28, exec_lo
.LBB51_4898:
	s_and_not1_saveexec_b32 s27, s27
	s_cbranch_execz .LBB51_4902
; %bb.4899:
	s_mov_b32 s41, -1
	s_mov_b32 s40, s0
	s_mov_b32 s28, exec_lo
	v_cmpx_eq_u16_e32 29, v1
	s_cbranch_execz .LBB51_4901
; %bb.4900:
	v_trunc_f32_e32 v1, v68
	s_xor_b32 s41, exec_lo, -1
	s_or_b32 s40, s0, exec_lo
	s_delay_alu instid0(VALU_DEP_1) | instskip(NEXT) | instid1(VALU_DEP_1)
	v_mul_f32_e32 v4, 0x2f800000, v1
	v_floor_f32_e32 v4, v4
	s_delay_alu instid0(VALU_DEP_1) | instskip(SKIP_1) | instid1(VALU_DEP_2)
	v_fmamk_f32 v1, v4, 0xcf800000, v1
	v_cvt_u32_f32_e32 v5, v4
	v_cvt_u32_f32_e32 v4, v1
	flat_store_b64 v[2:3], v[4:5]
.LBB51_4901:
	s_wait_xcnt 0x0
	s_or_b32 exec_lo, exec_lo, s28
	s_delay_alu instid0(SALU_CYCLE_1)
	s_and_not1_b32 s28, s29, exec_lo
	s_and_b32 s29, s41, exec_lo
	s_and_not1_b32 s0, s0, exec_lo
	s_and_b32 s40, s40, exec_lo
	s_or_b32 s29, s28, s29
	s_or_b32 s0, s0, s40
.LBB51_4902:
	s_or_b32 exec_lo, exec_lo, s27
	s_delay_alu instid0(SALU_CYCLE_1)
	s_and_not1_b32 s27, s20, exec_lo
	s_and_b32 s28, s29, exec_lo
	s_and_b32 s0, s0, exec_lo
	s_or_b32 s27, s27, s28
                                        ; implicit-def: $vgpr2_vgpr3
                                        ; implicit-def: $vgpr1
                                        ; implicit-def: $vgpr68
.LBB51_4903:
	s_and_not1_saveexec_b32 s25, s25
	s_cbranch_execz .LBB51_4919
; %bb.4904:
	s_mov_b32 s28, exec_lo
	v_cmpx_lt_i16_e32 26, v1
	s_xor_b32 s28, exec_lo, s28
	s_cbranch_execz .LBB51_4910
; %bb.4905:
	v_cmp_lt_i16_e32 vcc_lo, 27, v1
	v_cvt_u32_f32_e32 v1, v68
	s_and_saveexec_b32 s29, vcc_lo
	s_delay_alu instid0(SALU_CYCLE_1)
	s_xor_b32 s29, exec_lo, s29
	s_cbranch_execz .LBB51_4907
; %bb.4906:
	flat_store_b32 v[2:3], v1
                                        ; implicit-def: $vgpr2_vgpr3
                                        ; implicit-def: $vgpr1
.LBB51_4907:
	s_wait_xcnt 0x0
	s_and_not1_saveexec_b32 s29, s29
	s_cbranch_execz .LBB51_4909
; %bb.4908:
	flat_store_b16 v[2:3], v1
.LBB51_4909:
	s_wait_xcnt 0x0
	s_or_b32 exec_lo, exec_lo, s29
                                        ; implicit-def: $vgpr2_vgpr3
                                        ; implicit-def: $vgpr68
.LBB51_4910:
	s_and_not1_saveexec_b32 s28, s28
	s_cbranch_execz .LBB51_4918
; %bb.4911:
	v_and_b32_e32 v1, 0x7fffffff, v68
	v_mov_b32_e32 v4, 0x80
	s_mov_b32 s29, exec_lo
	s_delay_alu instid0(VALU_DEP_2)
	v_cmpx_gt_u32_e32 0x43800000, v1
	s_cbranch_execz .LBB51_4917
; %bb.4912:
	v_cmp_lt_u32_e32 vcc_lo, 0x3bffffff, v1
	s_mov_b32 s40, 0
                                        ; implicit-def: $vgpr1
	s_and_saveexec_b32 s41, vcc_lo
	s_delay_alu instid0(SALU_CYCLE_1)
	s_xor_b32 s41, exec_lo, s41
	s_cbranch_execnz .LBB51_7915
; %bb.4913:
	s_and_not1_saveexec_b32 s41, s41
	s_cbranch_execnz .LBB51_7916
.LBB51_4914:
	s_or_b32 exec_lo, exec_lo, s41
	v_mov_b32_e32 v4, 0
	s_and_saveexec_b32 s41, s40
.LBB51_4915:
	v_lshrrev_b32_e32 v4, 24, v68
	s_delay_alu instid0(VALU_DEP_1)
	v_and_or_b32 v4, 0x80, v4, v1
.LBB51_4916:
	s_or_b32 exec_lo, exec_lo, s41
.LBB51_4917:
	s_delay_alu instid0(SALU_CYCLE_1)
	s_or_b32 exec_lo, exec_lo, s29
	flat_store_b8 v[2:3], v4
.LBB51_4918:
	s_wait_xcnt 0x0
	s_or_b32 exec_lo, exec_lo, s28
	s_delay_alu instid0(SALU_CYCLE_1)
	s_or_b32 s0, s0, exec_lo
.LBB51_4919:
	s_or_b32 exec_lo, exec_lo, s25
	s_delay_alu instid0(SALU_CYCLE_1)
	s_and_not1_b32 s25, s20, exec_lo
	s_and_b32 s27, s27, exec_lo
	s_and_b32 s0, s0, exec_lo
	s_or_b32 s25, s25, s27
                                        ; implicit-def: $vgpr1
                                        ; implicit-def: $vgpr68
                                        ; implicit-def: $vgpr2_vgpr3
.LBB51_4920:
	s_and_not1_saveexec_b32 s26, s26
	s_cbranch_execz .LBB51_4964
; %bb.4921:
	s_mov_b32 s28, s0
	s_mov_b32 s27, exec_lo
	v_cmpx_lt_i16_e32 22, v1
	s_xor_b32 s27, exec_lo, s27
	s_cbranch_execz .LBB51_4953
; %bb.4922:
	s_mov_b32 s28, exec_lo
	v_cmpx_lt_i16_e32 23, v1
	s_xor_b32 s28, exec_lo, s28
	s_cbranch_execz .LBB51_4942
; %bb.4923:
	s_mov_b32 s29, exec_lo
	v_cmpx_lt_i16_e32 24, v1
	s_xor_b32 s29, exec_lo, s29
	s_cbranch_execz .LBB51_4931
; %bb.4924:
	v_and_b32_e32 v1, 0x7fffffff, v68
	v_mov_b32_e32 v4, 0x80
	s_mov_b32 s40, exec_lo
	s_delay_alu instid0(VALU_DEP_2)
	v_cmpx_gt_u32_e32 0x47800000, v1
	s_cbranch_execz .LBB51_4930
; %bb.4925:
	v_cmp_lt_u32_e32 vcc_lo, 0x37ffffff, v1
	s_mov_b32 s41, 0
                                        ; implicit-def: $vgpr1
	s_and_saveexec_b32 s42, vcc_lo
	s_delay_alu instid0(SALU_CYCLE_1)
	s_xor_b32 s42, exec_lo, s42
	s_cbranch_execnz .LBB51_7917
; %bb.4926:
	s_and_not1_saveexec_b32 s42, s42
	s_cbranch_execnz .LBB51_7918
.LBB51_4927:
	s_or_b32 exec_lo, exec_lo, s42
	v_mov_b32_e32 v4, 0
	s_and_saveexec_b32 s42, s41
.LBB51_4928:
	v_lshrrev_b32_e32 v4, 24, v68
	s_delay_alu instid0(VALU_DEP_1)
	v_and_or_b32 v4, 0x80, v4, v1
.LBB51_4929:
	s_or_b32 exec_lo, exec_lo, s42
.LBB51_4930:
	s_delay_alu instid0(SALU_CYCLE_1)
	s_or_b32 exec_lo, exec_lo, s40
	flat_store_b8 v[2:3], v4
                                        ; implicit-def: $vgpr68
                                        ; implicit-def: $vgpr2_vgpr3
.LBB51_4931:
	s_wait_xcnt 0x0
	s_and_not1_saveexec_b32 s29, s29
	s_cbranch_execz .LBB51_4941
; %bb.4932:
	v_and_b32_e32 v4, 0x7fffffff, v68
	s_mov_b32 s40, exec_lo
                                        ; implicit-def: $vgpr1
	s_delay_alu instid0(VALU_DEP_1)
	v_cmpx_gt_u32_e32 0x43f00000, v4
	s_xor_b32 s40, exec_lo, s40
	s_cbranch_execz .LBB51_4938
; %bb.4933:
	s_mov_b32 s41, exec_lo
                                        ; implicit-def: $vgpr1
	v_cmpx_lt_u32_e32 0x3c7fffff, v4
	s_xor_b32 s41, exec_lo, s41
; %bb.4934:
	v_bfe_u32 v1, v68, 20, 1
	s_delay_alu instid0(VALU_DEP_1) | instskip(NEXT) | instid1(VALU_DEP_1)
	v_add3_u32 v1, v68, v1, 0x407ffff
	v_and_b32_e32 v4, 0xff00000, v1
	v_lshrrev_b32_e32 v1, 20, v1
	s_delay_alu instid0(VALU_DEP_2) | instskip(NEXT) | instid1(VALU_DEP_2)
	v_cmp_ne_u32_e32 vcc_lo, 0x7f00000, v4
	v_cndmask_b32_e32 v1, 0x7e, v1, vcc_lo
; %bb.4935:
	s_and_not1_saveexec_b32 s41, s41
; %bb.4936:
	v_add_f32_e64 v1, 0x46800000, |v68|
; %bb.4937:
	s_or_b32 exec_lo, exec_lo, s41
                                        ; implicit-def: $vgpr4
.LBB51_4938:
	s_and_not1_saveexec_b32 s40, s40
; %bb.4939:
	v_mov_b32_e32 v1, 0x7f
	v_cmp_lt_u32_e32 vcc_lo, 0x7f800000, v4
	s_delay_alu instid0(VALU_DEP_2)
	v_cndmask_b32_e32 v1, 0x7e, v1, vcc_lo
; %bb.4940:
	s_or_b32 exec_lo, exec_lo, s40
	v_lshrrev_b32_e32 v4, 24, v68
	s_delay_alu instid0(VALU_DEP_1)
	v_and_or_b32 v1, 0x80, v4, v1
	flat_store_b8 v[2:3], v1
.LBB51_4941:
	s_wait_xcnt 0x0
	s_or_b32 exec_lo, exec_lo, s29
                                        ; implicit-def: $vgpr68
                                        ; implicit-def: $vgpr2_vgpr3
.LBB51_4942:
	s_and_not1_saveexec_b32 s28, s28
	s_cbranch_execz .LBB51_4952
; %bb.4943:
	v_and_b32_e32 v4, 0x7fffffff, v68
	s_mov_b32 s29, exec_lo
                                        ; implicit-def: $vgpr1
	s_delay_alu instid0(VALU_DEP_1)
	v_cmpx_gt_u32_e32 0x47800000, v4
	s_xor_b32 s29, exec_lo, s29
	s_cbranch_execz .LBB51_4949
; %bb.4944:
	s_mov_b32 s40, exec_lo
                                        ; implicit-def: $vgpr1
	v_cmpx_lt_u32_e32 0x387fffff, v4
	s_xor_b32 s40, exec_lo, s40
; %bb.4945:
	v_bfe_u32 v1, v68, 21, 1
	s_delay_alu instid0(VALU_DEP_1) | instskip(NEXT) | instid1(VALU_DEP_1)
	v_add3_u32 v1, v68, v1, 0x80fffff
	v_lshrrev_b32_e32 v1, 21, v1
; %bb.4946:
	s_and_not1_saveexec_b32 s40, s40
; %bb.4947:
	v_add_f32_e64 v1, 0x43000000, |v68|
; %bb.4948:
	s_or_b32 exec_lo, exec_lo, s40
                                        ; implicit-def: $vgpr4
.LBB51_4949:
	s_and_not1_saveexec_b32 s29, s29
; %bb.4950:
	v_mov_b32_e32 v1, 0x7f
	v_cmp_lt_u32_e32 vcc_lo, 0x7f800000, v4
	s_delay_alu instid0(VALU_DEP_2)
	v_cndmask_b32_e32 v1, 0x7c, v1, vcc_lo
; %bb.4951:
	s_or_b32 exec_lo, exec_lo, s29
	v_lshrrev_b32_e32 v4, 24, v68
	s_delay_alu instid0(VALU_DEP_1)
	v_and_or_b32 v1, 0x80, v4, v1
	flat_store_b8 v[2:3], v1
.LBB51_4952:
	s_wait_xcnt 0x0
	s_or_b32 exec_lo, exec_lo, s28
	s_delay_alu instid0(SALU_CYCLE_1)
	s_or_b32 s28, s0, exec_lo
                                        ; implicit-def: $vgpr1
                                        ; implicit-def: $vgpr68
                                        ; implicit-def: $vgpr2_vgpr3
.LBB51_4953:
	s_or_saveexec_b32 s27, s27
	s_mov_b32 s29, s25
	s_xor_b32 exec_lo, exec_lo, s27
	s_cbranch_execz .LBB51_4963
; %bb.4954:
	s_mov_b32 s29, s28
	s_mov_b32 s40, s25
	s_mov_b32 s41, exec_lo
	v_cmpx_lt_i16_e32 14, v1
	s_xor_b32 s41, exec_lo, s41
	s_cbranch_execz .LBB51_4958
; %bb.4955:
	s_mov_b32 s42, -1
	s_mov_b32 s29, s28
	s_mov_b32 s40, exec_lo
	v_cmpx_eq_u16_e32 15, v1
	s_cbranch_execz .LBB51_4957
; %bb.4956:
	v_bfe_u32 v1, v68, 16, 1
	v_cmp_o_f32_e32 vcc_lo, v68, v68
	s_xor_b32 s42, exec_lo, -1
	s_or_b32 s29, s28, exec_lo
	s_delay_alu instid0(VALU_DEP_2) | instskip(NEXT) | instid1(VALU_DEP_1)
	v_add3_u32 v1, v68, v1, 0x7fff
	v_lshrrev_b32_e32 v1, 16, v1
	s_delay_alu instid0(VALU_DEP_1)
	v_cndmask_b32_e32 v1, 0x7fc0, v1, vcc_lo
	flat_store_b16 v[2:3], v1
.LBB51_4957:
	s_wait_xcnt 0x0
	s_or_b32 exec_lo, exec_lo, s40
	s_delay_alu instid0(SALU_CYCLE_1)
	s_and_not1_b32 s40, s25, exec_lo
	s_and_b32 s42, s42, exec_lo
	s_and_not1_b32 s43, s28, exec_lo
	s_and_b32 s29, s29, exec_lo
	s_or_b32 s40, s40, s42
	s_or_b32 s29, s43, s29
                                        ; implicit-def: $vgpr1
                                        ; implicit-def: $vgpr68
                                        ; implicit-def: $vgpr2_vgpr3
.LBB51_4958:
	s_and_not1_saveexec_b32 s41, s41
	s_cbranch_execz .LBB51_4962
; %bb.4959:
	s_mov_b32 s43, -1
	s_mov_b32 s42, s29
	s_mov_b32 s44, exec_lo
	v_cmpx_eq_u16_e32 11, v1
	s_cbranch_execz .LBB51_4961
; %bb.4960:
	v_cmp_neq_f32_e32 vcc_lo, 0, v68
	s_xor_b32 s43, exec_lo, -1
	s_or_b32 s42, s29, exec_lo
	v_cndmask_b32_e64 v1, 0, 1, vcc_lo
	flat_store_b8 v[2:3], v1
.LBB51_4961:
	s_wait_xcnt 0x0
	s_or_b32 exec_lo, exec_lo, s44
	s_delay_alu instid0(SALU_CYCLE_1)
	s_and_not1_b32 s40, s40, exec_lo
	s_and_b32 s43, s43, exec_lo
	s_and_not1_b32 s29, s29, exec_lo
	s_and_b32 s42, s42, exec_lo
	s_or_b32 s40, s40, s43
	s_or_b32 s29, s29, s42
.LBB51_4962:
	s_or_b32 exec_lo, exec_lo, s41
	s_delay_alu instid0(SALU_CYCLE_1)
	s_and_not1_b32 s41, s25, exec_lo
	s_and_b32 s40, s40, exec_lo
	s_and_not1_b32 s28, s28, exec_lo
	s_and_b32 s42, s29, exec_lo
	s_or_b32 s29, s41, s40
	s_or_b32 s28, s28, s42
.LBB51_4963:
	s_or_b32 exec_lo, exec_lo, s27
	s_delay_alu instid0(SALU_CYCLE_1)
	s_and_not1_b32 s25, s25, exec_lo
	s_and_b32 s27, s29, exec_lo
	s_and_not1_b32 s0, s0, exec_lo
	s_and_b32 s28, s28, exec_lo
	s_or_b32 s25, s25, s27
	s_or_b32 s0, s0, s28
.LBB51_4964:
	s_or_b32 exec_lo, exec_lo, s26
	s_delay_alu instid0(SALU_CYCLE_1)
	s_and_not1_b32 s26, s20, exec_lo
	s_and_b32 s25, s25, exec_lo
	s_and_b32 s0, s0, exec_lo
	s_or_b32 s25, s26, s25
                                        ; implicit-def: $vgpr1
                                        ; implicit-def: $vgpr68
                                        ; implicit-def: $vgpr2_vgpr3
.LBB51_4965:
	s_and_not1_saveexec_b32 s22, s22
	s_cbranch_execz .LBB51_5007
; %bb.4966:
	s_mov_b32 s26, exec_lo
	v_cmpx_lt_i16_e32 4, v1
	s_xor_b32 s26, exec_lo, s26
	s_cbranch_execz .LBB51_4988
; %bb.4967:
	s_mov_b32 s27, exec_lo
	v_cmpx_lt_i16_e32 7, v1
	s_xor_b32 s27, exec_lo, s27
	;; [unrolled: 5-line block ×4, first 2 shown]
	s_cbranch_execz .LBB51_4971
; %bb.4970:
	v_cvt_f64_f32_e32 v[4:5], v68
	v_mov_b32_e32 v6, 0
                                        ; implicit-def: $vgpr68
	s_delay_alu instid0(VALU_DEP_1)
	v_mov_b32_e32 v7, v6
	flat_store_b128 v[2:3], v[4:7]
                                        ; implicit-def: $vgpr2_vgpr3
.LBB51_4971:
	s_wait_xcnt 0x0
	s_and_not1_saveexec_b32 s29, s29
	s_cbranch_execz .LBB51_4973
; %bb.4972:
	v_mov_b32_e32 v69, 0
	flat_store_b64 v[2:3], v[68:69]
.LBB51_4973:
	s_wait_xcnt 0x0
	s_or_b32 exec_lo, exec_lo, s29
                                        ; implicit-def: $vgpr68
                                        ; implicit-def: $vgpr2_vgpr3
.LBB51_4974:
	s_and_not1_saveexec_b32 s28, s28
	s_cbranch_execz .LBB51_4976
; %bb.4975:
	v_cvt_f16_f32_e32 v1, v68
	s_delay_alu instid0(VALU_DEP_1)
	v_and_b32_e32 v1, 0xffff, v1
	flat_store_b32 v[2:3], v1
.LBB51_4976:
	s_wait_xcnt 0x0
	s_or_b32 exec_lo, exec_lo, s28
                                        ; implicit-def: $vgpr68
                                        ; implicit-def: $vgpr2_vgpr3
                                        ; implicit-def: $vgpr1
.LBB51_4977:
	s_and_not1_saveexec_b32 s27, s27
	s_cbranch_execz .LBB51_4987
; %bb.4978:
	s_mov_b32 s28, exec_lo
	v_cmpx_lt_i16_e32 5, v1
	s_xor_b32 s28, exec_lo, s28
	s_cbranch_execz .LBB51_4984
; %bb.4979:
	s_mov_b32 s29, exec_lo
	v_cmpx_lt_i16_e32 6, v1
	s_xor_b32 s29, exec_lo, s29
	s_cbranch_execz .LBB51_4981
; %bb.4980:
	v_cvt_f64_f32_e32 v[4:5], v68
                                        ; implicit-def: $vgpr68
	flat_store_b64 v[2:3], v[4:5]
                                        ; implicit-def: $vgpr2_vgpr3
.LBB51_4981:
	s_wait_xcnt 0x0
	s_and_not1_saveexec_b32 s29, s29
	s_cbranch_execz .LBB51_4983
; %bb.4982:
	flat_store_b32 v[2:3], v68
.LBB51_4983:
	s_wait_xcnt 0x0
	s_or_b32 exec_lo, exec_lo, s29
                                        ; implicit-def: $vgpr68
                                        ; implicit-def: $vgpr2_vgpr3
.LBB51_4984:
	s_and_not1_saveexec_b32 s28, s28
	s_cbranch_execz .LBB51_4986
; %bb.4985:
	v_cvt_f16_f32_e32 v1, v68
	flat_store_b16 v[2:3], v1
.LBB51_4986:
	s_wait_xcnt 0x0
	s_or_b32 exec_lo, exec_lo, s28
.LBB51_4987:
	s_delay_alu instid0(SALU_CYCLE_1)
	s_or_b32 exec_lo, exec_lo, s27
                                        ; implicit-def: $vgpr1
                                        ; implicit-def: $vgpr68
                                        ; implicit-def: $vgpr2_vgpr3
.LBB51_4988:
	s_and_not1_saveexec_b32 s26, s26
	s_cbranch_execz .LBB51_5006
; %bb.4989:
	s_mov_b32 s27, exec_lo
	v_cmpx_lt_i16_e32 1, v1
	s_xor_b32 s27, exec_lo, s27
	s_cbranch_execz .LBB51_4999
; %bb.4990:
	s_mov_b32 s28, exec_lo
	v_cmpx_lt_i16_e32 2, v1
	s_xor_b32 s28, exec_lo, s28
	;; [unrolled: 5-line block ×3, first 2 shown]
	s_cbranch_execz .LBB51_4993
; %bb.4992:
	v_trunc_f32_e32 v1, v68
                                        ; implicit-def: $vgpr68
	s_delay_alu instid0(VALU_DEP_1) | instskip(NEXT) | instid1(VALU_DEP_1)
	v_mul_f32_e64 v4, 0x2f800000, |v1|
	v_floor_f32_e32 v5, v4
	v_ashrrev_i32_e32 v4, 31, v1
	s_delay_alu instid0(VALU_DEP_2) | instskip(SKIP_1) | instid1(VALU_DEP_3)
	v_fma_f32 v6, 0xcf800000, v5, |v1|
	v_cvt_u32_f32_e32 v1, v5
	v_mov_b32_e32 v5, v4
	s_delay_alu instid0(VALU_DEP_3) | instskip(NEXT) | instid1(VALU_DEP_3)
	v_cvt_u32_f32_e32 v6, v6
	v_xor_b32_e32 v7, v1, v4
	s_delay_alu instid0(VALU_DEP_2) | instskip(NEXT) | instid1(VALU_DEP_1)
	v_xor_b32_e32 v6, v6, v4
	v_sub_nc_u64_e32 v[4:5], v[6:7], v[4:5]
	flat_store_b64 v[2:3], v[4:5]
                                        ; implicit-def: $vgpr2_vgpr3
.LBB51_4993:
	s_wait_xcnt 0x0
	s_and_not1_saveexec_b32 s29, s29
	s_cbranch_execz .LBB51_4995
; %bb.4994:
	v_cvt_i32_f32_e32 v1, v68
	flat_store_b32 v[2:3], v1
.LBB51_4995:
	s_wait_xcnt 0x0
	s_or_b32 exec_lo, exec_lo, s29
                                        ; implicit-def: $vgpr68
                                        ; implicit-def: $vgpr2_vgpr3
.LBB51_4996:
	s_and_not1_saveexec_b32 s28, s28
	s_cbranch_execz .LBB51_4998
; %bb.4997:
	v_cvt_i32_f32_e32 v1, v68
	flat_store_b16 v[2:3], v1
.LBB51_4998:
	s_wait_xcnt 0x0
	s_or_b32 exec_lo, exec_lo, s28
                                        ; implicit-def: $vgpr68
                                        ; implicit-def: $vgpr2_vgpr3
                                        ; implicit-def: $vgpr1
.LBB51_4999:
	s_and_not1_saveexec_b32 s27, s27
	s_cbranch_execz .LBB51_5005
; %bb.5000:
	s_mov_b32 s28, exec_lo
	v_cmpx_lt_i16_e32 0, v1
	s_xor_b32 s28, exec_lo, s28
	s_cbranch_execz .LBB51_5002
; %bb.5001:
	v_cvt_i32_f32_e32 v1, v68
                                        ; implicit-def: $vgpr68
	flat_store_b8 v[2:3], v1
                                        ; implicit-def: $vgpr2_vgpr3
.LBB51_5002:
	s_wait_xcnt 0x0
	s_and_not1_saveexec_b32 s28, s28
	s_cbranch_execz .LBB51_5004
; %bb.5003:
	v_trunc_f32_e32 v1, v68
	s_delay_alu instid0(VALU_DEP_1) | instskip(NEXT) | instid1(VALU_DEP_1)
	v_mul_f32_e64 v4, 0x2f800000, |v1|
	v_floor_f32_e32 v4, v4
	s_delay_alu instid0(VALU_DEP_1) | instskip(SKIP_1) | instid1(VALU_DEP_2)
	v_fma_f32 v4, 0xcf800000, v4, |v1|
	v_ashrrev_i32_e32 v1, 31, v1
	v_cvt_u32_f32_e32 v4, v4
	s_delay_alu instid0(VALU_DEP_1) | instskip(NEXT) | instid1(VALU_DEP_1)
	v_xor_b32_e32 v4, v4, v1
	v_sub_nc_u32_e32 v1, v4, v1
	flat_store_b8 v[2:3], v1
.LBB51_5004:
	s_wait_xcnt 0x0
	s_or_b32 exec_lo, exec_lo, s28
.LBB51_5005:
	s_delay_alu instid0(SALU_CYCLE_1)
	s_or_b32 exec_lo, exec_lo, s27
.LBB51_5006:
	s_delay_alu instid0(SALU_CYCLE_1) | instskip(NEXT) | instid1(SALU_CYCLE_1)
	s_or_b32 exec_lo, exec_lo, s26
	s_or_b32 s0, s0, exec_lo
.LBB51_5007:
	s_or_b32 exec_lo, exec_lo, s22
	s_mov_b32 s26, 0
	s_mov_b32 s22, 0
	s_and_saveexec_b32 s27, s0
; %bb.5008:
	v_add_nc_u32_e32 v103, 0x200, v103
	s_mov_b32 s26, exec_lo
	s_delay_alu instid0(VALU_DEP_1)
	v_cmp_lt_i32_e32 vcc_lo, v103, v8
	s_and_b32 s22, vcc_lo, exec_lo
; %bb.5009:
	s_or_b32 exec_lo, exec_lo, s27
	s_delay_alu instid0(SALU_CYCLE_1)
	s_and_not1_b32 s27, s20, exec_lo
	s_and_b32 s25, s25, exec_lo
	s_and_b32 s0, s22, exec_lo
	s_or_b32 s22, s27, s25
	s_or_not1_b32 s26, s26, exec_lo
.LBB51_5010:
	s_or_b32 exec_lo, exec_lo, s23
	s_mov_b32 s25, 0
	s_mov_b32 s27, 0
                                        ; implicit-def: $vgpr4
                                        ; implicit-def: $vgpr2_vgpr3
	s_and_saveexec_b32 s23, s26
	s_cbranch_execz .LBB51_7822
; %bb.5011:
	s_mov_b32 s28, -1
	s_mov_b32 s26, 0
	s_mov_b32 s24, s22
	s_mov_b32 s29, 0
	s_and_saveexec_b32 s25, s0
	s_cbranch_execz .LBB51_5139
; %bb.5012:
	v_dual_add_nc_u32 v1, s3, v103 :: v_dual_mov_b32 v3, 0
	s_mov_b32 s0, 0
	s_mov_b32 s27, s22
	s_mov_b32 s24, exec_lo
	s_delay_alu instid0(VALU_DEP_1) | instskip(SKIP_1) | instid1(VALU_DEP_2)
	v_mul_lo_u32 v2, v1, v14
	v_and_b32_e32 v1, 0xff, v13
	v_add_nc_u64_e32 v[2:3], v[114:115], v[2:3]
	s_delay_alu instid0(VALU_DEP_2)
	v_cmpx_lt_i16_e32 10, v1
	s_xor_b32 s24, exec_lo, s24
	s_cbranch_execz .LBB51_5094
; %bb.5013:
	s_mov_b32 s27, s22
	s_mov_b32 s28, exec_lo
	v_cmpx_lt_i16_e32 25, v1
	s_xor_b32 s28, exec_lo, s28
	s_cbranch_execz .LBB51_5049
; %bb.5014:
	s_mov_b32 s29, s22
	s_mov_b32 s27, exec_lo
	;; [unrolled: 6-line block ×3, first 2 shown]
	v_cmpx_lt_i16_e32 43, v1
	s_xor_b32 s29, exec_lo, s29
	s_cbranch_execz .LBB51_5027
; %bb.5016:
	s_mov_b32 s40, 0
	s_mov_b32 s41, s22
	s_mov_b32 s0, exec_lo
	v_cmpx_lt_i16_e32 45, v1
	s_xor_b32 s0, exec_lo, s0
	s_cbranch_execz .LBB51_5020
; %bb.5017:
	s_mov_b32 s42, -1
	s_mov_b32 s41, exec_lo
	v_cmpx_eq_u16_e32 46, v1
	s_cbranch_execz .LBB51_5019
; %bb.5018:
	v_bfe_u32 v1, v66, 16, 1
	v_cmp_o_f32_e32 vcc_lo, v66, v66
	s_mov_b32 s40, exec_lo
	s_xor_b32 s42, exec_lo, -1
	s_delay_alu instid0(VALU_DEP_2) | instskip(NEXT) | instid1(VALU_DEP_1)
	v_add3_u32 v1, v66, v1, 0x7fff
	v_lshrrev_b32_e32 v1, 16, v1
	s_delay_alu instid0(VALU_DEP_1)
	v_cndmask_b32_e32 v1, 0x7fc0, v1, vcc_lo
	flat_store_b32 v[2:3], v1
.LBB51_5019:
	s_wait_xcnt 0x0
	s_or_b32 exec_lo, exec_lo, s41
	s_delay_alu instid0(SALU_CYCLE_1)
	s_and_not1_b32 s41, s22, exec_lo
	s_and_b32 s42, s42, exec_lo
	s_and_b32 s40, s40, exec_lo
	s_or_b32 s41, s41, s42
                                        ; implicit-def: $vgpr1
                                        ; implicit-def: $vgpr2_vgpr3
                                        ; implicit-def: $vgpr66
.LBB51_5020:
	s_and_not1_saveexec_b32 s42, s0
	s_cbranch_execz .LBB51_5026
; %bb.5021:
	s_mov_b32 s44, -1
	s_mov_b32 s0, s40
	s_mov_b32 s43, exec_lo
	v_cmpx_eq_u16_e32 44, v1
	s_cbranch_execz .LBB51_5025
; %bb.5022:
	v_bfe_u32 v4, v66, 23, 8
	v_mov_b32_e32 v1, 0xff
	s_mov_b32 s44, exec_lo
	s_delay_alu instid0(VALU_DEP_2)
	v_cmpx_ne_u32_e32 0xff, v4
	s_cbranch_execz .LBB51_5024
; %bb.5023:
	v_and_b32_e32 v1, 0x400000, v66
	v_and_or_b32 v4, 0x3fffff, v66, v4
	s_delay_alu instid0(VALU_DEP_2) | instskip(NEXT) | instid1(VALU_DEP_2)
	v_cmp_ne_u32_e32 vcc_lo, 0, v1
	v_cmp_ne_u32_e64 s0, 0, v4
	v_lshrrev_b32_e32 v1, 23, v66
	s_and_b32 s0, vcc_lo, s0
	s_delay_alu instid0(SALU_CYCLE_1) | instskip(NEXT) | instid1(VALU_DEP_1)
	v_cndmask_b32_e64 v4, 0, 1, s0
	v_add_nc_u32_e32 v1, v1, v4
.LBB51_5024:
	s_or_b32 exec_lo, exec_lo, s44
	s_delay_alu instid0(SALU_CYCLE_1)
	s_xor_b32 s44, exec_lo, -1
	s_or_b32 s0, s40, exec_lo
	flat_store_b8 v[2:3], v1
.LBB51_5025:
	s_wait_xcnt 0x0
	s_or_b32 exec_lo, exec_lo, s43
	s_delay_alu instid0(SALU_CYCLE_1)
	s_and_not1_b32 s41, s41, exec_lo
	s_and_b32 s43, s44, exec_lo
	s_and_not1_b32 s40, s40, exec_lo
	s_and_b32 s0, s0, exec_lo
	s_or_b32 s41, s41, s43
	s_or_b32 s40, s40, s0
.LBB51_5026:
	s_or_b32 exec_lo, exec_lo, s42
	s_delay_alu instid0(SALU_CYCLE_1) | instskip(SKIP_1) | instid1(SALU_CYCLE_1)
	s_and_not1_b32 s0, s22, exec_lo
	s_and_b32 s41, s41, exec_lo
                                        ; implicit-def: $vgpr1
                                        ; implicit-def: $vgpr66
                                        ; implicit-def: $vgpr2_vgpr3
	s_or_b32 s41, s0, s41
	s_and_b32 s0, s40, exec_lo
.LBB51_5027:
	s_and_not1_saveexec_b32 s29, s29
	s_cbranch_execz .LBB51_5031
; %bb.5028:
	s_mov_b32 s43, -1
	s_mov_b32 s42, s0
	s_mov_b32 s40, exec_lo
	v_cmpx_eq_u16_e32 29, v1
	s_cbranch_execz .LBB51_5030
; %bb.5029:
	v_trunc_f32_e32 v1, v66
	s_xor_b32 s43, exec_lo, -1
	s_or_b32 s42, s0, exec_lo
	s_delay_alu instid0(VALU_DEP_1) | instskip(NEXT) | instid1(VALU_DEP_1)
	v_mul_f32_e32 v4, 0x2f800000, v1
	v_floor_f32_e32 v4, v4
	s_delay_alu instid0(VALU_DEP_1) | instskip(SKIP_1) | instid1(VALU_DEP_2)
	v_fmamk_f32 v1, v4, 0xcf800000, v1
	v_cvt_u32_f32_e32 v5, v4
	v_cvt_u32_f32_e32 v4, v1
	flat_store_b64 v[2:3], v[4:5]
.LBB51_5030:
	s_wait_xcnt 0x0
	s_or_b32 exec_lo, exec_lo, s40
	s_delay_alu instid0(SALU_CYCLE_1)
	s_and_not1_b32 s40, s41, exec_lo
	s_and_b32 s41, s43, exec_lo
	s_and_not1_b32 s0, s0, exec_lo
	s_and_b32 s42, s42, exec_lo
	s_or_b32 s41, s40, s41
	s_or_b32 s0, s0, s42
.LBB51_5031:
	s_or_b32 exec_lo, exec_lo, s29
	s_delay_alu instid0(SALU_CYCLE_1)
	s_and_not1_b32 s29, s22, exec_lo
	s_and_b32 s40, s41, exec_lo
	s_and_b32 s0, s0, exec_lo
	s_or_b32 s29, s29, s40
                                        ; implicit-def: $vgpr2_vgpr3
                                        ; implicit-def: $vgpr1
                                        ; implicit-def: $vgpr66
.LBB51_5032:
	s_and_not1_saveexec_b32 s27, s27
	s_cbranch_execz .LBB51_5048
; %bb.5033:
	s_mov_b32 s40, exec_lo
	v_cmpx_lt_i16_e32 26, v1
	s_xor_b32 s40, exec_lo, s40
	s_cbranch_execz .LBB51_5039
; %bb.5034:
	v_cmp_lt_i16_e32 vcc_lo, 27, v1
	v_cvt_u32_f32_e32 v1, v66
	s_and_saveexec_b32 s41, vcc_lo
	s_delay_alu instid0(SALU_CYCLE_1)
	s_xor_b32 s41, exec_lo, s41
	s_cbranch_execz .LBB51_5036
; %bb.5035:
	flat_store_b32 v[2:3], v1
                                        ; implicit-def: $vgpr2_vgpr3
                                        ; implicit-def: $vgpr1
.LBB51_5036:
	s_wait_xcnt 0x0
	s_and_not1_saveexec_b32 s41, s41
	s_cbranch_execz .LBB51_5038
; %bb.5037:
	flat_store_b16 v[2:3], v1
.LBB51_5038:
	s_wait_xcnt 0x0
	s_or_b32 exec_lo, exec_lo, s41
                                        ; implicit-def: $vgpr2_vgpr3
                                        ; implicit-def: $vgpr66
.LBB51_5039:
	s_and_not1_saveexec_b32 s40, s40
	s_cbranch_execz .LBB51_5047
; %bb.5040:
	v_and_b32_e32 v1, 0x7fffffff, v66
	v_mov_b32_e32 v4, 0x80
	s_mov_b32 s41, exec_lo
	s_delay_alu instid0(VALU_DEP_2)
	v_cmpx_gt_u32_e32 0x43800000, v1
	s_cbranch_execz .LBB51_5046
; %bb.5041:
	v_cmp_lt_u32_e32 vcc_lo, 0x3bffffff, v1
	s_mov_b32 s42, 0
                                        ; implicit-def: $vgpr1
	s_and_saveexec_b32 s43, vcc_lo
	s_delay_alu instid0(SALU_CYCLE_1)
	s_xor_b32 s43, exec_lo, s43
	s_cbranch_execnz .LBB51_7919
; %bb.5042:
	s_and_not1_saveexec_b32 s43, s43
	s_cbranch_execnz .LBB51_7920
.LBB51_5043:
	s_or_b32 exec_lo, exec_lo, s43
	v_mov_b32_e32 v4, 0
	s_and_saveexec_b32 s43, s42
.LBB51_5044:
	v_lshrrev_b32_e32 v4, 24, v66
	s_delay_alu instid0(VALU_DEP_1)
	v_and_or_b32 v4, 0x80, v4, v1
.LBB51_5045:
	s_or_b32 exec_lo, exec_lo, s43
.LBB51_5046:
	s_delay_alu instid0(SALU_CYCLE_1)
	s_or_b32 exec_lo, exec_lo, s41
	flat_store_b8 v[2:3], v4
.LBB51_5047:
	s_wait_xcnt 0x0
	s_or_b32 exec_lo, exec_lo, s40
	s_delay_alu instid0(SALU_CYCLE_1)
	s_or_b32 s0, s0, exec_lo
.LBB51_5048:
	s_or_b32 exec_lo, exec_lo, s27
	s_delay_alu instid0(SALU_CYCLE_1)
	s_and_not1_b32 s27, s22, exec_lo
	s_and_b32 s29, s29, exec_lo
	s_and_b32 s0, s0, exec_lo
	s_or_b32 s27, s27, s29
                                        ; implicit-def: $vgpr1
                                        ; implicit-def: $vgpr66
                                        ; implicit-def: $vgpr2_vgpr3
.LBB51_5049:
	s_and_not1_saveexec_b32 s28, s28
	s_cbranch_execz .LBB51_5093
; %bb.5050:
	s_mov_b32 s40, s0
	s_mov_b32 s29, exec_lo
	v_cmpx_lt_i16_e32 22, v1
	s_xor_b32 s29, exec_lo, s29
	s_cbranch_execz .LBB51_5082
; %bb.5051:
	s_mov_b32 s40, exec_lo
	v_cmpx_lt_i16_e32 23, v1
	s_xor_b32 s40, exec_lo, s40
	s_cbranch_execz .LBB51_5071
; %bb.5052:
	;; [unrolled: 5-line block ×3, first 2 shown]
	v_and_b32_e32 v1, 0x7fffffff, v66
	v_mov_b32_e32 v4, 0x80
	s_mov_b32 s42, exec_lo
	s_delay_alu instid0(VALU_DEP_2)
	v_cmpx_gt_u32_e32 0x47800000, v1
	s_cbranch_execz .LBB51_5059
; %bb.5054:
	v_cmp_lt_u32_e32 vcc_lo, 0x37ffffff, v1
	s_mov_b32 s43, 0
                                        ; implicit-def: $vgpr1
	s_and_saveexec_b32 s44, vcc_lo
	s_delay_alu instid0(SALU_CYCLE_1)
	s_xor_b32 s44, exec_lo, s44
	s_cbranch_execnz .LBB51_7921
; %bb.5055:
	s_and_not1_saveexec_b32 s44, s44
	s_cbranch_execnz .LBB51_7922
.LBB51_5056:
	s_or_b32 exec_lo, exec_lo, s44
	v_mov_b32_e32 v4, 0
	s_and_saveexec_b32 s44, s43
.LBB51_5057:
	v_lshrrev_b32_e32 v4, 24, v66
	s_delay_alu instid0(VALU_DEP_1)
	v_and_or_b32 v4, 0x80, v4, v1
.LBB51_5058:
	s_or_b32 exec_lo, exec_lo, s44
.LBB51_5059:
	s_delay_alu instid0(SALU_CYCLE_1)
	s_or_b32 exec_lo, exec_lo, s42
	flat_store_b8 v[2:3], v4
                                        ; implicit-def: $vgpr66
                                        ; implicit-def: $vgpr2_vgpr3
.LBB51_5060:
	s_wait_xcnt 0x0
	s_and_not1_saveexec_b32 s41, s41
	s_cbranch_execz .LBB51_5070
; %bb.5061:
	v_and_b32_e32 v4, 0x7fffffff, v66
	s_mov_b32 s42, exec_lo
                                        ; implicit-def: $vgpr1
	s_delay_alu instid0(VALU_DEP_1)
	v_cmpx_gt_u32_e32 0x43f00000, v4
	s_xor_b32 s42, exec_lo, s42
	s_cbranch_execz .LBB51_5067
; %bb.5062:
	s_mov_b32 s43, exec_lo
                                        ; implicit-def: $vgpr1
	v_cmpx_lt_u32_e32 0x3c7fffff, v4
	s_xor_b32 s43, exec_lo, s43
; %bb.5063:
	v_bfe_u32 v1, v66, 20, 1
	s_delay_alu instid0(VALU_DEP_1) | instskip(NEXT) | instid1(VALU_DEP_1)
	v_add3_u32 v1, v66, v1, 0x407ffff
	v_and_b32_e32 v4, 0xff00000, v1
	v_lshrrev_b32_e32 v1, 20, v1
	s_delay_alu instid0(VALU_DEP_2) | instskip(NEXT) | instid1(VALU_DEP_2)
	v_cmp_ne_u32_e32 vcc_lo, 0x7f00000, v4
	v_cndmask_b32_e32 v1, 0x7e, v1, vcc_lo
; %bb.5064:
	s_and_not1_saveexec_b32 s43, s43
; %bb.5065:
	v_add_f32_e64 v1, 0x46800000, |v66|
; %bb.5066:
	s_or_b32 exec_lo, exec_lo, s43
                                        ; implicit-def: $vgpr4
.LBB51_5067:
	s_and_not1_saveexec_b32 s42, s42
; %bb.5068:
	v_mov_b32_e32 v1, 0x7f
	v_cmp_lt_u32_e32 vcc_lo, 0x7f800000, v4
	s_delay_alu instid0(VALU_DEP_2)
	v_cndmask_b32_e32 v1, 0x7e, v1, vcc_lo
; %bb.5069:
	s_or_b32 exec_lo, exec_lo, s42
	v_lshrrev_b32_e32 v4, 24, v66
	s_delay_alu instid0(VALU_DEP_1)
	v_and_or_b32 v1, 0x80, v4, v1
	flat_store_b8 v[2:3], v1
.LBB51_5070:
	s_wait_xcnt 0x0
	s_or_b32 exec_lo, exec_lo, s41
                                        ; implicit-def: $vgpr66
                                        ; implicit-def: $vgpr2_vgpr3
.LBB51_5071:
	s_and_not1_saveexec_b32 s40, s40
	s_cbranch_execz .LBB51_5081
; %bb.5072:
	v_and_b32_e32 v4, 0x7fffffff, v66
	s_mov_b32 s41, exec_lo
                                        ; implicit-def: $vgpr1
	s_delay_alu instid0(VALU_DEP_1)
	v_cmpx_gt_u32_e32 0x47800000, v4
	s_xor_b32 s41, exec_lo, s41
	s_cbranch_execz .LBB51_5078
; %bb.5073:
	s_mov_b32 s42, exec_lo
                                        ; implicit-def: $vgpr1
	v_cmpx_lt_u32_e32 0x387fffff, v4
	s_xor_b32 s42, exec_lo, s42
; %bb.5074:
	v_bfe_u32 v1, v66, 21, 1
	s_delay_alu instid0(VALU_DEP_1) | instskip(NEXT) | instid1(VALU_DEP_1)
	v_add3_u32 v1, v66, v1, 0x80fffff
	v_lshrrev_b32_e32 v1, 21, v1
; %bb.5075:
	s_and_not1_saveexec_b32 s42, s42
; %bb.5076:
	v_add_f32_e64 v1, 0x43000000, |v66|
; %bb.5077:
	s_or_b32 exec_lo, exec_lo, s42
                                        ; implicit-def: $vgpr4
.LBB51_5078:
	s_and_not1_saveexec_b32 s41, s41
; %bb.5079:
	v_mov_b32_e32 v1, 0x7f
	v_cmp_lt_u32_e32 vcc_lo, 0x7f800000, v4
	s_delay_alu instid0(VALU_DEP_2)
	v_cndmask_b32_e32 v1, 0x7c, v1, vcc_lo
; %bb.5080:
	s_or_b32 exec_lo, exec_lo, s41
	v_lshrrev_b32_e32 v4, 24, v66
	s_delay_alu instid0(VALU_DEP_1)
	v_and_or_b32 v1, 0x80, v4, v1
	flat_store_b8 v[2:3], v1
.LBB51_5081:
	s_wait_xcnt 0x0
	s_or_b32 exec_lo, exec_lo, s40
	s_delay_alu instid0(SALU_CYCLE_1)
	s_or_b32 s40, s0, exec_lo
                                        ; implicit-def: $vgpr1
                                        ; implicit-def: $vgpr66
                                        ; implicit-def: $vgpr2_vgpr3
.LBB51_5082:
	s_or_saveexec_b32 s29, s29
	s_mov_b32 s41, s27
	s_xor_b32 exec_lo, exec_lo, s29
	s_cbranch_execz .LBB51_5092
; %bb.5083:
	s_mov_b32 s41, s40
	s_mov_b32 s42, s27
	s_mov_b32 s43, exec_lo
	v_cmpx_lt_i16_e32 14, v1
	s_xor_b32 s43, exec_lo, s43
	s_cbranch_execz .LBB51_5087
; %bb.5084:
	s_mov_b32 s44, -1
	s_mov_b32 s41, s40
	s_mov_b32 s42, exec_lo
	v_cmpx_eq_u16_e32 15, v1
	s_cbranch_execz .LBB51_5086
; %bb.5085:
	v_bfe_u32 v1, v66, 16, 1
	v_cmp_o_f32_e32 vcc_lo, v66, v66
	s_xor_b32 s44, exec_lo, -1
	s_or_b32 s41, s40, exec_lo
	s_delay_alu instid0(VALU_DEP_2) | instskip(NEXT) | instid1(VALU_DEP_1)
	v_add3_u32 v1, v66, v1, 0x7fff
	v_lshrrev_b32_e32 v1, 16, v1
	s_delay_alu instid0(VALU_DEP_1)
	v_cndmask_b32_e32 v1, 0x7fc0, v1, vcc_lo
	flat_store_b16 v[2:3], v1
.LBB51_5086:
	s_wait_xcnt 0x0
	s_or_b32 exec_lo, exec_lo, s42
	s_delay_alu instid0(SALU_CYCLE_1)
	s_and_not1_b32 s42, s27, exec_lo
	s_and_b32 s44, s44, exec_lo
	s_and_not1_b32 s45, s40, exec_lo
	s_and_b32 s41, s41, exec_lo
	s_or_b32 s42, s42, s44
	s_or_b32 s41, s45, s41
                                        ; implicit-def: $vgpr1
                                        ; implicit-def: $vgpr66
                                        ; implicit-def: $vgpr2_vgpr3
.LBB51_5087:
	s_and_not1_saveexec_b32 s43, s43
	s_cbranch_execz .LBB51_5091
; %bb.5088:
	s_mov_b32 s45, -1
	s_mov_b32 s44, s41
	s_mov_b32 s46, exec_lo
	v_cmpx_eq_u16_e32 11, v1
	s_cbranch_execz .LBB51_5090
; %bb.5089:
	v_cmp_neq_f32_e32 vcc_lo, 0, v66
	s_xor_b32 s45, exec_lo, -1
	s_or_b32 s44, s41, exec_lo
	v_cndmask_b32_e64 v1, 0, 1, vcc_lo
	flat_store_b8 v[2:3], v1
.LBB51_5090:
	s_wait_xcnt 0x0
	s_or_b32 exec_lo, exec_lo, s46
	s_delay_alu instid0(SALU_CYCLE_1)
	s_and_not1_b32 s42, s42, exec_lo
	s_and_b32 s45, s45, exec_lo
	s_and_not1_b32 s41, s41, exec_lo
	s_and_b32 s44, s44, exec_lo
	s_or_b32 s42, s42, s45
	s_or_b32 s41, s41, s44
.LBB51_5091:
	s_or_b32 exec_lo, exec_lo, s43
	s_delay_alu instid0(SALU_CYCLE_1)
	s_and_not1_b32 s43, s27, exec_lo
	s_and_b32 s42, s42, exec_lo
	s_and_not1_b32 s40, s40, exec_lo
	s_and_b32 s44, s41, exec_lo
	s_or_b32 s41, s43, s42
	s_or_b32 s40, s40, s44
.LBB51_5092:
	s_or_b32 exec_lo, exec_lo, s29
	s_delay_alu instid0(SALU_CYCLE_1)
	s_and_not1_b32 s27, s27, exec_lo
	s_and_b32 s29, s41, exec_lo
	s_and_not1_b32 s0, s0, exec_lo
	s_and_b32 s40, s40, exec_lo
	s_or_b32 s27, s27, s29
	s_or_b32 s0, s0, s40
.LBB51_5093:
	s_or_b32 exec_lo, exec_lo, s28
	s_delay_alu instid0(SALU_CYCLE_1)
	s_and_not1_b32 s28, s22, exec_lo
	s_and_b32 s27, s27, exec_lo
	s_and_b32 s0, s0, exec_lo
	s_or_b32 s27, s28, s27
                                        ; implicit-def: $vgpr1
                                        ; implicit-def: $vgpr66
                                        ; implicit-def: $vgpr2_vgpr3
.LBB51_5094:
	s_and_not1_saveexec_b32 s24, s24
	s_cbranch_execz .LBB51_5136
; %bb.5095:
	s_mov_b32 s28, exec_lo
	v_cmpx_lt_i16_e32 4, v1
	s_xor_b32 s28, exec_lo, s28
	s_cbranch_execz .LBB51_5117
; %bb.5096:
	s_mov_b32 s29, exec_lo
	v_cmpx_lt_i16_e32 7, v1
	s_xor_b32 s29, exec_lo, s29
	;; [unrolled: 5-line block ×4, first 2 shown]
	s_cbranch_execz .LBB51_5100
; %bb.5099:
	v_cvt_f64_f32_e32 v[4:5], v66
	v_mov_b32_e32 v6, 0
                                        ; implicit-def: $vgpr66
	s_delay_alu instid0(VALU_DEP_1)
	v_mov_b32_e32 v7, v6
	flat_store_b128 v[2:3], v[4:7]
                                        ; implicit-def: $vgpr2_vgpr3
.LBB51_5100:
	s_wait_xcnt 0x0
	s_and_not1_saveexec_b32 s41, s41
	s_cbranch_execz .LBB51_5102
; %bb.5101:
	v_mov_b32_e32 v67, 0
	flat_store_b64 v[2:3], v[66:67]
.LBB51_5102:
	s_wait_xcnt 0x0
	s_or_b32 exec_lo, exec_lo, s41
                                        ; implicit-def: $vgpr66
                                        ; implicit-def: $vgpr2_vgpr3
.LBB51_5103:
	s_and_not1_saveexec_b32 s40, s40
	s_cbranch_execz .LBB51_5105
; %bb.5104:
	v_cvt_f16_f32_e32 v1, v66
	s_delay_alu instid0(VALU_DEP_1)
	v_and_b32_e32 v1, 0xffff, v1
	flat_store_b32 v[2:3], v1
.LBB51_5105:
	s_wait_xcnt 0x0
	s_or_b32 exec_lo, exec_lo, s40
                                        ; implicit-def: $vgpr66
                                        ; implicit-def: $vgpr2_vgpr3
                                        ; implicit-def: $vgpr1
.LBB51_5106:
	s_and_not1_saveexec_b32 s29, s29
	s_cbranch_execz .LBB51_5116
; %bb.5107:
	s_mov_b32 s40, exec_lo
	v_cmpx_lt_i16_e32 5, v1
	s_xor_b32 s40, exec_lo, s40
	s_cbranch_execz .LBB51_5113
; %bb.5108:
	s_mov_b32 s41, exec_lo
	v_cmpx_lt_i16_e32 6, v1
	s_xor_b32 s41, exec_lo, s41
	s_cbranch_execz .LBB51_5110
; %bb.5109:
	v_cvt_f64_f32_e32 v[4:5], v66
                                        ; implicit-def: $vgpr66
	flat_store_b64 v[2:3], v[4:5]
                                        ; implicit-def: $vgpr2_vgpr3
.LBB51_5110:
	s_wait_xcnt 0x0
	s_and_not1_saveexec_b32 s41, s41
	s_cbranch_execz .LBB51_5112
; %bb.5111:
	flat_store_b32 v[2:3], v66
.LBB51_5112:
	s_wait_xcnt 0x0
	s_or_b32 exec_lo, exec_lo, s41
                                        ; implicit-def: $vgpr66
                                        ; implicit-def: $vgpr2_vgpr3
.LBB51_5113:
	s_and_not1_saveexec_b32 s40, s40
	s_cbranch_execz .LBB51_5115
; %bb.5114:
	v_cvt_f16_f32_e32 v1, v66
	flat_store_b16 v[2:3], v1
.LBB51_5115:
	s_wait_xcnt 0x0
	s_or_b32 exec_lo, exec_lo, s40
.LBB51_5116:
	s_delay_alu instid0(SALU_CYCLE_1)
	s_or_b32 exec_lo, exec_lo, s29
                                        ; implicit-def: $vgpr1
                                        ; implicit-def: $vgpr66
                                        ; implicit-def: $vgpr2_vgpr3
.LBB51_5117:
	s_and_not1_saveexec_b32 s28, s28
	s_cbranch_execz .LBB51_5135
; %bb.5118:
	s_mov_b32 s29, exec_lo
	v_cmpx_lt_i16_e32 1, v1
	s_xor_b32 s29, exec_lo, s29
	s_cbranch_execz .LBB51_5128
; %bb.5119:
	s_mov_b32 s40, exec_lo
	v_cmpx_lt_i16_e32 2, v1
	s_xor_b32 s40, exec_lo, s40
	;; [unrolled: 5-line block ×3, first 2 shown]
	s_cbranch_execz .LBB51_5122
; %bb.5121:
	v_trunc_f32_e32 v1, v66
                                        ; implicit-def: $vgpr66
	s_delay_alu instid0(VALU_DEP_1) | instskip(NEXT) | instid1(VALU_DEP_1)
	v_mul_f32_e64 v4, 0x2f800000, |v1|
	v_floor_f32_e32 v5, v4
	v_ashrrev_i32_e32 v4, 31, v1
	s_delay_alu instid0(VALU_DEP_2) | instskip(SKIP_1) | instid1(VALU_DEP_3)
	v_fma_f32 v6, 0xcf800000, v5, |v1|
	v_cvt_u32_f32_e32 v1, v5
	v_mov_b32_e32 v5, v4
	s_delay_alu instid0(VALU_DEP_3) | instskip(NEXT) | instid1(VALU_DEP_3)
	v_cvt_u32_f32_e32 v6, v6
	v_xor_b32_e32 v7, v1, v4
	s_delay_alu instid0(VALU_DEP_2) | instskip(NEXT) | instid1(VALU_DEP_1)
	v_xor_b32_e32 v6, v6, v4
	v_sub_nc_u64_e32 v[4:5], v[6:7], v[4:5]
	flat_store_b64 v[2:3], v[4:5]
                                        ; implicit-def: $vgpr2_vgpr3
.LBB51_5122:
	s_wait_xcnt 0x0
	s_and_not1_saveexec_b32 s41, s41
	s_cbranch_execz .LBB51_5124
; %bb.5123:
	v_cvt_i32_f32_e32 v1, v66
	flat_store_b32 v[2:3], v1
.LBB51_5124:
	s_wait_xcnt 0x0
	s_or_b32 exec_lo, exec_lo, s41
                                        ; implicit-def: $vgpr66
                                        ; implicit-def: $vgpr2_vgpr3
.LBB51_5125:
	s_and_not1_saveexec_b32 s40, s40
	s_cbranch_execz .LBB51_5127
; %bb.5126:
	v_cvt_i32_f32_e32 v1, v66
	flat_store_b16 v[2:3], v1
.LBB51_5127:
	s_wait_xcnt 0x0
	s_or_b32 exec_lo, exec_lo, s40
                                        ; implicit-def: $vgpr66
                                        ; implicit-def: $vgpr2_vgpr3
                                        ; implicit-def: $vgpr1
.LBB51_5128:
	s_and_not1_saveexec_b32 s29, s29
	s_cbranch_execz .LBB51_5134
; %bb.5129:
	s_mov_b32 s40, exec_lo
	v_cmpx_lt_i16_e32 0, v1
	s_xor_b32 s40, exec_lo, s40
	s_cbranch_execz .LBB51_5131
; %bb.5130:
	v_cvt_i32_f32_e32 v1, v66
                                        ; implicit-def: $vgpr66
	flat_store_b8 v[2:3], v1
                                        ; implicit-def: $vgpr2_vgpr3
.LBB51_5131:
	s_wait_xcnt 0x0
	s_and_not1_saveexec_b32 s40, s40
	s_cbranch_execz .LBB51_5133
; %bb.5132:
	v_trunc_f32_e32 v1, v66
	s_delay_alu instid0(VALU_DEP_1) | instskip(NEXT) | instid1(VALU_DEP_1)
	v_mul_f32_e64 v4, 0x2f800000, |v1|
	v_floor_f32_e32 v4, v4
	s_delay_alu instid0(VALU_DEP_1) | instskip(SKIP_1) | instid1(VALU_DEP_2)
	v_fma_f32 v4, 0xcf800000, v4, |v1|
	v_ashrrev_i32_e32 v1, 31, v1
	v_cvt_u32_f32_e32 v4, v4
	s_delay_alu instid0(VALU_DEP_1) | instskip(NEXT) | instid1(VALU_DEP_1)
	v_xor_b32_e32 v4, v4, v1
	v_sub_nc_u32_e32 v1, v4, v1
	flat_store_b8 v[2:3], v1
.LBB51_5133:
	s_wait_xcnt 0x0
	s_or_b32 exec_lo, exec_lo, s40
.LBB51_5134:
	s_delay_alu instid0(SALU_CYCLE_1)
	s_or_b32 exec_lo, exec_lo, s29
.LBB51_5135:
	s_delay_alu instid0(SALU_CYCLE_1) | instskip(NEXT) | instid1(SALU_CYCLE_1)
	s_or_b32 exec_lo, exec_lo, s28
	s_or_b32 s0, s0, exec_lo
.LBB51_5136:
	s_or_b32 exec_lo, exec_lo, s24
	s_mov_b32 s28, 0
	s_mov_b32 s24, 0
	s_and_saveexec_b32 s29, s0
; %bb.5137:
	v_add_nc_u32_e32 v103, 0x200, v103
	s_mov_b32 s28, exec_lo
	s_delay_alu instid0(VALU_DEP_1)
	v_cmp_lt_i32_e32 vcc_lo, v103, v8
	s_and_b32 s24, vcc_lo, exec_lo
; %bb.5138:
	s_or_b32 exec_lo, exec_lo, s29
	s_delay_alu instid0(SALU_CYCLE_1)
	s_and_not1_b32 s0, s22, exec_lo
	s_and_b32 s27, s27, exec_lo
	s_and_b32 s29, s24, exec_lo
	s_or_b32 s24, s0, s27
	s_or_not1_b32 s28, s28, exec_lo
.LBB51_5139:
	s_or_b32 exec_lo, exec_lo, s25
	s_mov_b32 s0, 0
	s_mov_b32 s27, 0
                                        ; implicit-def: $vgpr4
                                        ; implicit-def: $vgpr2_vgpr3
	s_and_saveexec_b32 s25, s28
	s_cbranch_execz .LBB51_7821
; %bb.5140:
	s_mov_b32 s40, -1
	s_mov_b32 s28, 0
	s_mov_b32 s26, s24
	s_and_saveexec_b32 s27, s29
	s_cbranch_execz .LBB51_5268
; %bb.5141:
	v_dual_add_nc_u32 v1, s3, v103 :: v_dual_mov_b32 v3, 0
	s_mov_b32 s29, s24
	s_mov_b32 s26, exec_lo
	s_delay_alu instid0(VALU_DEP_1) | instskip(SKIP_1) | instid1(VALU_DEP_2)
	v_mul_lo_u32 v2, v1, v14
	v_and_b32_e32 v1, 0xff, v13
	v_add_nc_u64_e32 v[2:3], v[114:115], v[2:3]
	s_delay_alu instid0(VALU_DEP_2)
	v_cmpx_lt_i16_e32 10, v1
	s_xor_b32 s26, exec_lo, s26
	s_cbranch_execz .LBB51_5223
; %bb.5142:
	s_mov_b32 s29, s24
	s_mov_b32 s40, exec_lo
	v_cmpx_lt_i16_e32 25, v1
	s_xor_b32 s40, exec_lo, s40
	s_cbranch_execz .LBB51_5178
; %bb.5143:
	s_mov_b32 s41, s24
	s_mov_b32 s29, exec_lo
	v_cmpx_lt_i16_e32 28, v1
	s_xor_b32 s29, exec_lo, s29
	s_cbranch_execz .LBB51_5161
; %bb.5144:
	s_mov_b32 s43, s24
	s_mov_b32 s41, exec_lo
	v_cmpx_lt_i16_e32 43, v1
	s_xor_b32 s41, exec_lo, s41
	s_cbranch_execz .LBB51_5156
; %bb.5145:
	s_mov_b32 s42, 0
	s_mov_b32 s43, s24
	s_mov_b32 s0, exec_lo
	v_cmpx_lt_i16_e32 45, v1
	s_xor_b32 s0, exec_lo, s0
	s_cbranch_execz .LBB51_5149
; %bb.5146:
	s_mov_b32 s44, -1
	s_mov_b32 s43, exec_lo
	v_cmpx_eq_u16_e32 46, v1
	s_cbranch_execz .LBB51_5148
; %bb.5147:
	v_bfe_u32 v1, v64, 16, 1
	v_cmp_o_f32_e32 vcc_lo, v64, v64
	s_mov_b32 s42, exec_lo
	s_xor_b32 s44, exec_lo, -1
	s_delay_alu instid0(VALU_DEP_2) | instskip(NEXT) | instid1(VALU_DEP_1)
	v_add3_u32 v1, v64, v1, 0x7fff
	v_lshrrev_b32_e32 v1, 16, v1
	s_delay_alu instid0(VALU_DEP_1)
	v_cndmask_b32_e32 v1, 0x7fc0, v1, vcc_lo
	flat_store_b32 v[2:3], v1
.LBB51_5148:
	s_wait_xcnt 0x0
	s_or_b32 exec_lo, exec_lo, s43
	s_delay_alu instid0(SALU_CYCLE_1)
	s_and_not1_b32 s43, s24, exec_lo
	s_and_b32 s44, s44, exec_lo
	s_and_b32 s42, s42, exec_lo
	s_or_b32 s43, s43, s44
                                        ; implicit-def: $vgpr1
                                        ; implicit-def: $vgpr2_vgpr3
                                        ; implicit-def: $vgpr64
.LBB51_5149:
	s_and_not1_saveexec_b32 s44, s0
	s_cbranch_execz .LBB51_5155
; %bb.5150:
	s_mov_b32 s46, -1
	s_mov_b32 s0, s42
	s_mov_b32 s45, exec_lo
	v_cmpx_eq_u16_e32 44, v1
	s_cbranch_execz .LBB51_5154
; %bb.5151:
	v_bfe_u32 v4, v64, 23, 8
	v_mov_b32_e32 v1, 0xff
	s_mov_b32 s46, exec_lo
	s_delay_alu instid0(VALU_DEP_2)
	v_cmpx_ne_u32_e32 0xff, v4
	s_cbranch_execz .LBB51_5153
; %bb.5152:
	v_and_b32_e32 v1, 0x400000, v64
	v_and_or_b32 v4, 0x3fffff, v64, v4
	s_delay_alu instid0(VALU_DEP_2) | instskip(NEXT) | instid1(VALU_DEP_2)
	v_cmp_ne_u32_e32 vcc_lo, 0, v1
	v_cmp_ne_u32_e64 s0, 0, v4
	v_lshrrev_b32_e32 v1, 23, v64
	s_and_b32 s0, vcc_lo, s0
	s_delay_alu instid0(SALU_CYCLE_1) | instskip(NEXT) | instid1(VALU_DEP_1)
	v_cndmask_b32_e64 v4, 0, 1, s0
	v_add_nc_u32_e32 v1, v1, v4
.LBB51_5153:
	s_or_b32 exec_lo, exec_lo, s46
	s_delay_alu instid0(SALU_CYCLE_1)
	s_xor_b32 s46, exec_lo, -1
	s_or_b32 s0, s42, exec_lo
	flat_store_b8 v[2:3], v1
.LBB51_5154:
	s_wait_xcnt 0x0
	s_or_b32 exec_lo, exec_lo, s45
	s_delay_alu instid0(SALU_CYCLE_1)
	s_and_not1_b32 s43, s43, exec_lo
	s_and_b32 s45, s46, exec_lo
	s_and_not1_b32 s42, s42, exec_lo
	s_and_b32 s0, s0, exec_lo
	s_or_b32 s43, s43, s45
	s_or_b32 s42, s42, s0
.LBB51_5155:
	s_or_b32 exec_lo, exec_lo, s44
	s_delay_alu instid0(SALU_CYCLE_1) | instskip(SKIP_1) | instid1(SALU_CYCLE_1)
	s_and_not1_b32 s0, s24, exec_lo
	s_and_b32 s43, s43, exec_lo
                                        ; implicit-def: $vgpr1
                                        ; implicit-def: $vgpr64
                                        ; implicit-def: $vgpr2_vgpr3
	s_or_b32 s43, s0, s43
	s_and_b32 s0, s42, exec_lo
.LBB51_5156:
	s_and_not1_saveexec_b32 s41, s41
	s_cbranch_execz .LBB51_5160
; %bb.5157:
	s_mov_b32 s45, -1
	s_mov_b32 s44, s0
	s_mov_b32 s42, exec_lo
	v_cmpx_eq_u16_e32 29, v1
	s_cbranch_execz .LBB51_5159
; %bb.5158:
	v_trunc_f32_e32 v1, v64
	s_xor_b32 s45, exec_lo, -1
	s_or_b32 s44, s0, exec_lo
	s_delay_alu instid0(VALU_DEP_1) | instskip(NEXT) | instid1(VALU_DEP_1)
	v_mul_f32_e32 v4, 0x2f800000, v1
	v_floor_f32_e32 v4, v4
	s_delay_alu instid0(VALU_DEP_1) | instskip(SKIP_1) | instid1(VALU_DEP_2)
	v_fmamk_f32 v1, v4, 0xcf800000, v1
	v_cvt_u32_f32_e32 v5, v4
	v_cvt_u32_f32_e32 v4, v1
	flat_store_b64 v[2:3], v[4:5]
.LBB51_5159:
	s_wait_xcnt 0x0
	s_or_b32 exec_lo, exec_lo, s42
	s_delay_alu instid0(SALU_CYCLE_1)
	s_and_not1_b32 s42, s43, exec_lo
	s_and_b32 s43, s45, exec_lo
	s_and_not1_b32 s0, s0, exec_lo
	s_and_b32 s44, s44, exec_lo
	s_or_b32 s43, s42, s43
	s_or_b32 s0, s0, s44
.LBB51_5160:
	s_or_b32 exec_lo, exec_lo, s41
	s_delay_alu instid0(SALU_CYCLE_1)
	s_and_not1_b32 s41, s24, exec_lo
	s_and_b32 s42, s43, exec_lo
	s_and_b32 s0, s0, exec_lo
	s_or_b32 s41, s41, s42
                                        ; implicit-def: $vgpr2_vgpr3
                                        ; implicit-def: $vgpr1
                                        ; implicit-def: $vgpr64
.LBB51_5161:
	s_and_not1_saveexec_b32 s29, s29
	s_cbranch_execz .LBB51_5177
; %bb.5162:
	s_mov_b32 s42, exec_lo
	v_cmpx_lt_i16_e32 26, v1
	s_xor_b32 s42, exec_lo, s42
	s_cbranch_execz .LBB51_5168
; %bb.5163:
	v_cmp_lt_i16_e32 vcc_lo, 27, v1
	v_cvt_u32_f32_e32 v1, v64
	s_and_saveexec_b32 s43, vcc_lo
	s_delay_alu instid0(SALU_CYCLE_1)
	s_xor_b32 s43, exec_lo, s43
	s_cbranch_execz .LBB51_5165
; %bb.5164:
	flat_store_b32 v[2:3], v1
                                        ; implicit-def: $vgpr2_vgpr3
                                        ; implicit-def: $vgpr1
.LBB51_5165:
	s_wait_xcnt 0x0
	s_and_not1_saveexec_b32 s43, s43
	s_cbranch_execz .LBB51_5167
; %bb.5166:
	flat_store_b16 v[2:3], v1
.LBB51_5167:
	s_wait_xcnt 0x0
	s_or_b32 exec_lo, exec_lo, s43
                                        ; implicit-def: $vgpr2_vgpr3
                                        ; implicit-def: $vgpr64
.LBB51_5168:
	s_and_not1_saveexec_b32 s42, s42
	s_cbranch_execz .LBB51_5176
; %bb.5169:
	v_and_b32_e32 v1, 0x7fffffff, v64
	v_mov_b32_e32 v4, 0x80
	s_mov_b32 s43, exec_lo
	s_delay_alu instid0(VALU_DEP_2)
	v_cmpx_gt_u32_e32 0x43800000, v1
	s_cbranch_execz .LBB51_5175
; %bb.5170:
	v_cmp_lt_u32_e32 vcc_lo, 0x3bffffff, v1
	s_mov_b32 s44, 0
                                        ; implicit-def: $vgpr1
	s_and_saveexec_b32 s45, vcc_lo
	s_delay_alu instid0(SALU_CYCLE_1)
	s_xor_b32 s45, exec_lo, s45
	s_cbranch_execnz .LBB51_7923
; %bb.5171:
	s_and_not1_saveexec_b32 s45, s45
	s_cbranch_execnz .LBB51_7924
.LBB51_5172:
	s_or_b32 exec_lo, exec_lo, s45
	v_mov_b32_e32 v4, 0
	s_and_saveexec_b32 s45, s44
.LBB51_5173:
	v_lshrrev_b32_e32 v4, 24, v64
	s_delay_alu instid0(VALU_DEP_1)
	v_and_or_b32 v4, 0x80, v4, v1
.LBB51_5174:
	s_or_b32 exec_lo, exec_lo, s45
.LBB51_5175:
	s_delay_alu instid0(SALU_CYCLE_1)
	s_or_b32 exec_lo, exec_lo, s43
	flat_store_b8 v[2:3], v4
.LBB51_5176:
	s_wait_xcnt 0x0
	s_or_b32 exec_lo, exec_lo, s42
	s_delay_alu instid0(SALU_CYCLE_1)
	s_or_b32 s0, s0, exec_lo
.LBB51_5177:
	s_or_b32 exec_lo, exec_lo, s29
	s_delay_alu instid0(SALU_CYCLE_1)
	s_and_not1_b32 s29, s24, exec_lo
	s_and_b32 s41, s41, exec_lo
	s_and_b32 s0, s0, exec_lo
	s_or_b32 s29, s29, s41
                                        ; implicit-def: $vgpr1
                                        ; implicit-def: $vgpr64
                                        ; implicit-def: $vgpr2_vgpr3
.LBB51_5178:
	s_and_not1_saveexec_b32 s40, s40
	s_cbranch_execz .LBB51_5222
; %bb.5179:
	s_mov_b32 s42, s0
	s_mov_b32 s41, exec_lo
	v_cmpx_lt_i16_e32 22, v1
	s_xor_b32 s41, exec_lo, s41
	s_cbranch_execz .LBB51_5211
; %bb.5180:
	s_mov_b32 s42, exec_lo
	v_cmpx_lt_i16_e32 23, v1
	s_xor_b32 s42, exec_lo, s42
	s_cbranch_execz .LBB51_5200
; %bb.5181:
	s_mov_b32 s43, exec_lo
	v_cmpx_lt_i16_e32 24, v1
	s_xor_b32 s43, exec_lo, s43
	s_cbranch_execz .LBB51_5189
; %bb.5182:
	v_and_b32_e32 v1, 0x7fffffff, v64
	v_mov_b32_e32 v4, 0x80
	s_mov_b32 s44, exec_lo
	s_delay_alu instid0(VALU_DEP_2)
	v_cmpx_gt_u32_e32 0x47800000, v1
	s_cbranch_execz .LBB51_5188
; %bb.5183:
	v_cmp_lt_u32_e32 vcc_lo, 0x37ffffff, v1
	s_mov_b32 s45, 0
                                        ; implicit-def: $vgpr1
	s_and_saveexec_b32 s46, vcc_lo
	s_delay_alu instid0(SALU_CYCLE_1)
	s_xor_b32 s46, exec_lo, s46
	s_cbranch_execnz .LBB51_7925
; %bb.5184:
	s_and_not1_saveexec_b32 s46, s46
	s_cbranch_execnz .LBB51_7926
.LBB51_5185:
	s_or_b32 exec_lo, exec_lo, s46
	v_mov_b32_e32 v4, 0
	s_and_saveexec_b32 s46, s45
.LBB51_5186:
	v_lshrrev_b32_e32 v4, 24, v64
	s_delay_alu instid0(VALU_DEP_1)
	v_and_or_b32 v4, 0x80, v4, v1
.LBB51_5187:
	s_or_b32 exec_lo, exec_lo, s46
.LBB51_5188:
	s_delay_alu instid0(SALU_CYCLE_1)
	s_or_b32 exec_lo, exec_lo, s44
	flat_store_b8 v[2:3], v4
                                        ; implicit-def: $vgpr64
                                        ; implicit-def: $vgpr2_vgpr3
.LBB51_5189:
	s_wait_xcnt 0x0
	s_and_not1_saveexec_b32 s43, s43
	s_cbranch_execz .LBB51_5199
; %bb.5190:
	v_and_b32_e32 v4, 0x7fffffff, v64
	s_mov_b32 s44, exec_lo
                                        ; implicit-def: $vgpr1
	s_delay_alu instid0(VALU_DEP_1)
	v_cmpx_gt_u32_e32 0x43f00000, v4
	s_xor_b32 s44, exec_lo, s44
	s_cbranch_execz .LBB51_5196
; %bb.5191:
	s_mov_b32 s45, exec_lo
                                        ; implicit-def: $vgpr1
	v_cmpx_lt_u32_e32 0x3c7fffff, v4
	s_xor_b32 s45, exec_lo, s45
; %bb.5192:
	v_bfe_u32 v1, v64, 20, 1
	s_delay_alu instid0(VALU_DEP_1) | instskip(NEXT) | instid1(VALU_DEP_1)
	v_add3_u32 v1, v64, v1, 0x407ffff
	v_and_b32_e32 v4, 0xff00000, v1
	v_lshrrev_b32_e32 v1, 20, v1
	s_delay_alu instid0(VALU_DEP_2) | instskip(NEXT) | instid1(VALU_DEP_2)
	v_cmp_ne_u32_e32 vcc_lo, 0x7f00000, v4
	v_cndmask_b32_e32 v1, 0x7e, v1, vcc_lo
; %bb.5193:
	s_and_not1_saveexec_b32 s45, s45
; %bb.5194:
	v_add_f32_e64 v1, 0x46800000, |v64|
; %bb.5195:
	s_or_b32 exec_lo, exec_lo, s45
                                        ; implicit-def: $vgpr4
.LBB51_5196:
	s_and_not1_saveexec_b32 s44, s44
; %bb.5197:
	v_mov_b32_e32 v1, 0x7f
	v_cmp_lt_u32_e32 vcc_lo, 0x7f800000, v4
	s_delay_alu instid0(VALU_DEP_2)
	v_cndmask_b32_e32 v1, 0x7e, v1, vcc_lo
; %bb.5198:
	s_or_b32 exec_lo, exec_lo, s44
	v_lshrrev_b32_e32 v4, 24, v64
	s_delay_alu instid0(VALU_DEP_1)
	v_and_or_b32 v1, 0x80, v4, v1
	flat_store_b8 v[2:3], v1
.LBB51_5199:
	s_wait_xcnt 0x0
	s_or_b32 exec_lo, exec_lo, s43
                                        ; implicit-def: $vgpr64
                                        ; implicit-def: $vgpr2_vgpr3
.LBB51_5200:
	s_and_not1_saveexec_b32 s42, s42
	s_cbranch_execz .LBB51_5210
; %bb.5201:
	v_and_b32_e32 v4, 0x7fffffff, v64
	s_mov_b32 s43, exec_lo
                                        ; implicit-def: $vgpr1
	s_delay_alu instid0(VALU_DEP_1)
	v_cmpx_gt_u32_e32 0x47800000, v4
	s_xor_b32 s43, exec_lo, s43
	s_cbranch_execz .LBB51_5207
; %bb.5202:
	s_mov_b32 s44, exec_lo
                                        ; implicit-def: $vgpr1
	v_cmpx_lt_u32_e32 0x387fffff, v4
	s_xor_b32 s44, exec_lo, s44
; %bb.5203:
	v_bfe_u32 v1, v64, 21, 1
	s_delay_alu instid0(VALU_DEP_1) | instskip(NEXT) | instid1(VALU_DEP_1)
	v_add3_u32 v1, v64, v1, 0x80fffff
	v_lshrrev_b32_e32 v1, 21, v1
; %bb.5204:
	s_and_not1_saveexec_b32 s44, s44
; %bb.5205:
	v_add_f32_e64 v1, 0x43000000, |v64|
; %bb.5206:
	s_or_b32 exec_lo, exec_lo, s44
                                        ; implicit-def: $vgpr4
.LBB51_5207:
	s_and_not1_saveexec_b32 s43, s43
; %bb.5208:
	v_mov_b32_e32 v1, 0x7f
	v_cmp_lt_u32_e32 vcc_lo, 0x7f800000, v4
	s_delay_alu instid0(VALU_DEP_2)
	v_cndmask_b32_e32 v1, 0x7c, v1, vcc_lo
; %bb.5209:
	s_or_b32 exec_lo, exec_lo, s43
	v_lshrrev_b32_e32 v4, 24, v64
	s_delay_alu instid0(VALU_DEP_1)
	v_and_or_b32 v1, 0x80, v4, v1
	flat_store_b8 v[2:3], v1
.LBB51_5210:
	s_wait_xcnt 0x0
	s_or_b32 exec_lo, exec_lo, s42
	s_delay_alu instid0(SALU_CYCLE_1)
	s_or_b32 s42, s0, exec_lo
                                        ; implicit-def: $vgpr1
                                        ; implicit-def: $vgpr64
                                        ; implicit-def: $vgpr2_vgpr3
.LBB51_5211:
	s_or_saveexec_b32 s41, s41
	s_mov_b32 s43, s29
	s_xor_b32 exec_lo, exec_lo, s41
	s_cbranch_execz .LBB51_5221
; %bb.5212:
	s_mov_b32 s43, s42
	s_mov_b32 s44, s29
	s_mov_b32 s45, exec_lo
	v_cmpx_lt_i16_e32 14, v1
	s_xor_b32 s45, exec_lo, s45
	s_cbranch_execz .LBB51_5216
; %bb.5213:
	s_mov_b32 s46, -1
	s_mov_b32 s43, s42
	s_mov_b32 s44, exec_lo
	v_cmpx_eq_u16_e32 15, v1
	s_cbranch_execz .LBB51_5215
; %bb.5214:
	v_bfe_u32 v1, v64, 16, 1
	v_cmp_o_f32_e32 vcc_lo, v64, v64
	s_xor_b32 s46, exec_lo, -1
	s_or_b32 s43, s42, exec_lo
	s_delay_alu instid0(VALU_DEP_2) | instskip(NEXT) | instid1(VALU_DEP_1)
	v_add3_u32 v1, v64, v1, 0x7fff
	v_lshrrev_b32_e32 v1, 16, v1
	s_delay_alu instid0(VALU_DEP_1)
	v_cndmask_b32_e32 v1, 0x7fc0, v1, vcc_lo
	flat_store_b16 v[2:3], v1
.LBB51_5215:
	s_wait_xcnt 0x0
	s_or_b32 exec_lo, exec_lo, s44
	s_delay_alu instid0(SALU_CYCLE_1)
	s_and_not1_b32 s44, s29, exec_lo
	s_and_b32 s46, s46, exec_lo
	s_and_not1_b32 s47, s42, exec_lo
	s_and_b32 s43, s43, exec_lo
	s_or_b32 s44, s44, s46
	s_or_b32 s43, s47, s43
                                        ; implicit-def: $vgpr1
                                        ; implicit-def: $vgpr64
                                        ; implicit-def: $vgpr2_vgpr3
.LBB51_5216:
	s_and_not1_saveexec_b32 s45, s45
	s_cbranch_execz .LBB51_5220
; %bb.5217:
	s_mov_b32 s47, -1
	s_mov_b32 s46, s43
	s_mov_b32 s56, exec_lo
	v_cmpx_eq_u16_e32 11, v1
	s_cbranch_execz .LBB51_5219
; %bb.5218:
	v_cmp_neq_f32_e32 vcc_lo, 0, v64
	s_xor_b32 s47, exec_lo, -1
	s_or_b32 s46, s43, exec_lo
	v_cndmask_b32_e64 v1, 0, 1, vcc_lo
	flat_store_b8 v[2:3], v1
.LBB51_5219:
	s_wait_xcnt 0x0
	s_or_b32 exec_lo, exec_lo, s56
	s_delay_alu instid0(SALU_CYCLE_1)
	s_and_not1_b32 s44, s44, exec_lo
	s_and_b32 s47, s47, exec_lo
	s_and_not1_b32 s43, s43, exec_lo
	s_and_b32 s46, s46, exec_lo
	s_or_b32 s44, s44, s47
	s_or_b32 s43, s43, s46
.LBB51_5220:
	s_or_b32 exec_lo, exec_lo, s45
	s_delay_alu instid0(SALU_CYCLE_1)
	s_and_not1_b32 s45, s29, exec_lo
	s_and_b32 s44, s44, exec_lo
	s_and_not1_b32 s42, s42, exec_lo
	s_and_b32 s46, s43, exec_lo
	s_or_b32 s43, s45, s44
	s_or_b32 s42, s42, s46
.LBB51_5221:
	s_or_b32 exec_lo, exec_lo, s41
	s_delay_alu instid0(SALU_CYCLE_1)
	s_and_not1_b32 s29, s29, exec_lo
	s_and_b32 s41, s43, exec_lo
	s_and_not1_b32 s0, s0, exec_lo
	s_and_b32 s42, s42, exec_lo
	s_or_b32 s29, s29, s41
	s_or_b32 s0, s0, s42
.LBB51_5222:
	s_or_b32 exec_lo, exec_lo, s40
	s_delay_alu instid0(SALU_CYCLE_1)
	s_and_not1_b32 s40, s24, exec_lo
	s_and_b32 s29, s29, exec_lo
	s_and_b32 s0, s0, exec_lo
	s_or_b32 s29, s40, s29
                                        ; implicit-def: $vgpr1
                                        ; implicit-def: $vgpr64
                                        ; implicit-def: $vgpr2_vgpr3
.LBB51_5223:
	s_and_not1_saveexec_b32 s26, s26
	s_cbranch_execz .LBB51_5265
; %bb.5224:
	s_mov_b32 s40, exec_lo
	v_cmpx_lt_i16_e32 4, v1
	s_xor_b32 s40, exec_lo, s40
	s_cbranch_execz .LBB51_5246
; %bb.5225:
	s_mov_b32 s41, exec_lo
	v_cmpx_lt_i16_e32 7, v1
	s_xor_b32 s41, exec_lo, s41
	;; [unrolled: 5-line block ×4, first 2 shown]
	s_cbranch_execz .LBB51_5229
; %bb.5228:
	v_cvt_f64_f32_e32 v[4:5], v64
	v_mov_b32_e32 v6, 0
                                        ; implicit-def: $vgpr64
	s_delay_alu instid0(VALU_DEP_1)
	v_mov_b32_e32 v7, v6
	flat_store_b128 v[2:3], v[4:7]
                                        ; implicit-def: $vgpr2_vgpr3
.LBB51_5229:
	s_wait_xcnt 0x0
	s_and_not1_saveexec_b32 s43, s43
	s_cbranch_execz .LBB51_5231
; %bb.5230:
	v_mov_b32_e32 v65, 0
	flat_store_b64 v[2:3], v[64:65]
.LBB51_5231:
	s_wait_xcnt 0x0
	s_or_b32 exec_lo, exec_lo, s43
                                        ; implicit-def: $vgpr64
                                        ; implicit-def: $vgpr2_vgpr3
.LBB51_5232:
	s_and_not1_saveexec_b32 s42, s42
	s_cbranch_execz .LBB51_5234
; %bb.5233:
	v_cvt_f16_f32_e32 v1, v64
	s_delay_alu instid0(VALU_DEP_1)
	v_and_b32_e32 v1, 0xffff, v1
	flat_store_b32 v[2:3], v1
.LBB51_5234:
	s_wait_xcnt 0x0
	s_or_b32 exec_lo, exec_lo, s42
                                        ; implicit-def: $vgpr64
                                        ; implicit-def: $vgpr2_vgpr3
                                        ; implicit-def: $vgpr1
.LBB51_5235:
	s_and_not1_saveexec_b32 s41, s41
	s_cbranch_execz .LBB51_5245
; %bb.5236:
	s_mov_b32 s42, exec_lo
	v_cmpx_lt_i16_e32 5, v1
	s_xor_b32 s42, exec_lo, s42
	s_cbranch_execz .LBB51_5242
; %bb.5237:
	s_mov_b32 s43, exec_lo
	v_cmpx_lt_i16_e32 6, v1
	s_xor_b32 s43, exec_lo, s43
	s_cbranch_execz .LBB51_5239
; %bb.5238:
	v_cvt_f64_f32_e32 v[4:5], v64
                                        ; implicit-def: $vgpr64
	flat_store_b64 v[2:3], v[4:5]
                                        ; implicit-def: $vgpr2_vgpr3
.LBB51_5239:
	s_wait_xcnt 0x0
	s_and_not1_saveexec_b32 s43, s43
	s_cbranch_execz .LBB51_5241
; %bb.5240:
	flat_store_b32 v[2:3], v64
.LBB51_5241:
	s_wait_xcnt 0x0
	s_or_b32 exec_lo, exec_lo, s43
                                        ; implicit-def: $vgpr64
                                        ; implicit-def: $vgpr2_vgpr3
.LBB51_5242:
	s_and_not1_saveexec_b32 s42, s42
	s_cbranch_execz .LBB51_5244
; %bb.5243:
	v_cvt_f16_f32_e32 v1, v64
	flat_store_b16 v[2:3], v1
.LBB51_5244:
	s_wait_xcnt 0x0
	s_or_b32 exec_lo, exec_lo, s42
.LBB51_5245:
	s_delay_alu instid0(SALU_CYCLE_1)
	s_or_b32 exec_lo, exec_lo, s41
                                        ; implicit-def: $vgpr1
                                        ; implicit-def: $vgpr64
                                        ; implicit-def: $vgpr2_vgpr3
.LBB51_5246:
	s_and_not1_saveexec_b32 s40, s40
	s_cbranch_execz .LBB51_5264
; %bb.5247:
	s_mov_b32 s41, exec_lo
	v_cmpx_lt_i16_e32 1, v1
	s_xor_b32 s41, exec_lo, s41
	s_cbranch_execz .LBB51_5257
; %bb.5248:
	s_mov_b32 s42, exec_lo
	v_cmpx_lt_i16_e32 2, v1
	s_xor_b32 s42, exec_lo, s42
	;; [unrolled: 5-line block ×3, first 2 shown]
	s_cbranch_execz .LBB51_5251
; %bb.5250:
	v_trunc_f32_e32 v1, v64
                                        ; implicit-def: $vgpr64
	s_delay_alu instid0(VALU_DEP_1) | instskip(NEXT) | instid1(VALU_DEP_1)
	v_mul_f32_e64 v4, 0x2f800000, |v1|
	v_floor_f32_e32 v5, v4
	v_ashrrev_i32_e32 v4, 31, v1
	s_delay_alu instid0(VALU_DEP_2) | instskip(SKIP_1) | instid1(VALU_DEP_3)
	v_fma_f32 v6, 0xcf800000, v5, |v1|
	v_cvt_u32_f32_e32 v1, v5
	v_mov_b32_e32 v5, v4
	s_delay_alu instid0(VALU_DEP_3) | instskip(NEXT) | instid1(VALU_DEP_3)
	v_cvt_u32_f32_e32 v6, v6
	v_xor_b32_e32 v7, v1, v4
	s_delay_alu instid0(VALU_DEP_2) | instskip(NEXT) | instid1(VALU_DEP_1)
	v_xor_b32_e32 v6, v6, v4
	v_sub_nc_u64_e32 v[4:5], v[6:7], v[4:5]
	flat_store_b64 v[2:3], v[4:5]
                                        ; implicit-def: $vgpr2_vgpr3
.LBB51_5251:
	s_wait_xcnt 0x0
	s_and_not1_saveexec_b32 s43, s43
	s_cbranch_execz .LBB51_5253
; %bb.5252:
	v_cvt_i32_f32_e32 v1, v64
	flat_store_b32 v[2:3], v1
.LBB51_5253:
	s_wait_xcnt 0x0
	s_or_b32 exec_lo, exec_lo, s43
                                        ; implicit-def: $vgpr64
                                        ; implicit-def: $vgpr2_vgpr3
.LBB51_5254:
	s_and_not1_saveexec_b32 s42, s42
	s_cbranch_execz .LBB51_5256
; %bb.5255:
	v_cvt_i32_f32_e32 v1, v64
	flat_store_b16 v[2:3], v1
.LBB51_5256:
	s_wait_xcnt 0x0
	s_or_b32 exec_lo, exec_lo, s42
                                        ; implicit-def: $vgpr64
                                        ; implicit-def: $vgpr2_vgpr3
                                        ; implicit-def: $vgpr1
.LBB51_5257:
	s_and_not1_saveexec_b32 s41, s41
	s_cbranch_execz .LBB51_5263
; %bb.5258:
	s_mov_b32 s42, exec_lo
	v_cmpx_lt_i16_e32 0, v1
	s_xor_b32 s42, exec_lo, s42
	s_cbranch_execz .LBB51_5260
; %bb.5259:
	v_cvt_i32_f32_e32 v1, v64
                                        ; implicit-def: $vgpr64
	flat_store_b8 v[2:3], v1
                                        ; implicit-def: $vgpr2_vgpr3
.LBB51_5260:
	s_wait_xcnt 0x0
	s_and_not1_saveexec_b32 s42, s42
	s_cbranch_execz .LBB51_5262
; %bb.5261:
	v_trunc_f32_e32 v1, v64
	s_delay_alu instid0(VALU_DEP_1) | instskip(NEXT) | instid1(VALU_DEP_1)
	v_mul_f32_e64 v4, 0x2f800000, |v1|
	v_floor_f32_e32 v4, v4
	s_delay_alu instid0(VALU_DEP_1) | instskip(SKIP_1) | instid1(VALU_DEP_2)
	v_fma_f32 v4, 0xcf800000, v4, |v1|
	v_ashrrev_i32_e32 v1, 31, v1
	v_cvt_u32_f32_e32 v4, v4
	s_delay_alu instid0(VALU_DEP_1) | instskip(NEXT) | instid1(VALU_DEP_1)
	v_xor_b32_e32 v4, v4, v1
	v_sub_nc_u32_e32 v1, v4, v1
	flat_store_b8 v[2:3], v1
.LBB51_5262:
	s_wait_xcnt 0x0
	s_or_b32 exec_lo, exec_lo, s42
.LBB51_5263:
	s_delay_alu instid0(SALU_CYCLE_1)
	s_or_b32 exec_lo, exec_lo, s41
.LBB51_5264:
	s_delay_alu instid0(SALU_CYCLE_1) | instskip(NEXT) | instid1(SALU_CYCLE_1)
	s_or_b32 exec_lo, exec_lo, s40
	s_or_b32 s0, s0, exec_lo
.LBB51_5265:
	s_or_b32 exec_lo, exec_lo, s26
	s_mov_b32 s40, 0
	s_mov_b32 s26, 0
	s_and_saveexec_b32 s41, s0
; %bb.5266:
	v_add_nc_u32_e32 v103, 0x200, v103
	s_mov_b32 s40, exec_lo
	s_delay_alu instid0(VALU_DEP_1)
	v_cmp_lt_i32_e32 vcc_lo, v103, v8
	s_and_b32 s26, vcc_lo, exec_lo
; %bb.5267:
	s_or_b32 exec_lo, exec_lo, s41
	s_delay_alu instid0(SALU_CYCLE_1)
	s_and_not1_b32 s41, s24, exec_lo
	s_and_b32 s29, s29, exec_lo
	s_and_b32 s0, s26, exec_lo
	s_or_b32 s26, s41, s29
	s_or_not1_b32 s40, s40, exec_lo
.LBB51_5268:
	s_or_b32 exec_lo, exec_lo, s27
	s_mov_b32 s29, 0
	s_mov_b32 s41, 0
                                        ; implicit-def: $vgpr4
                                        ; implicit-def: $vgpr2_vgpr3
	s_and_saveexec_b32 s27, s40
	s_cbranch_execz .LBB51_7820
; %bb.5269:
	s_mov_b32 s42, -1
	s_mov_b32 s40, 0
	s_mov_b32 s28, s26
	;; [unrolled: 1-line block ×3, first 2 shown]
	s_and_saveexec_b32 s29, s0
	s_cbranch_execz .LBB51_5397
; %bb.5270:
	v_dual_add_nc_u32 v1, s3, v103 :: v_dual_mov_b32 v3, 0
	s_mov_b32 s0, 0
	s_mov_b32 s41, s26
	s_mov_b32 s28, exec_lo
	s_delay_alu instid0(VALU_DEP_1) | instskip(SKIP_1) | instid1(VALU_DEP_2)
	v_mul_lo_u32 v2, v1, v14
	v_and_b32_e32 v1, 0xff, v13
	v_add_nc_u64_e32 v[2:3], v[114:115], v[2:3]
	s_delay_alu instid0(VALU_DEP_2)
	v_cmpx_lt_i16_e32 10, v1
	s_xor_b32 s28, exec_lo, s28
	s_cbranch_execz .LBB51_5352
; %bb.5271:
	s_mov_b32 s41, s26
	s_mov_b32 s42, exec_lo
	v_cmpx_lt_i16_e32 25, v1
	s_xor_b32 s42, exec_lo, s42
	s_cbranch_execz .LBB51_5307
; %bb.5272:
	s_mov_b32 s43, s26
	s_mov_b32 s41, exec_lo
	;; [unrolled: 6-line block ×3, first 2 shown]
	v_cmpx_lt_i16_e32 43, v1
	s_xor_b32 s43, exec_lo, s43
	s_cbranch_execz .LBB51_5285
; %bb.5274:
	s_mov_b32 s44, 0
	s_mov_b32 s45, s26
	s_mov_b32 s0, exec_lo
	v_cmpx_lt_i16_e32 45, v1
	s_xor_b32 s0, exec_lo, s0
	s_cbranch_execz .LBB51_5278
; %bb.5275:
	s_mov_b32 s46, -1
	s_mov_b32 s45, exec_lo
	v_cmpx_eq_u16_e32 46, v1
	s_cbranch_execz .LBB51_5277
; %bb.5276:
	v_bfe_u32 v1, v54, 16, 1
	v_cmp_o_f32_e32 vcc_lo, v54, v54
	s_mov_b32 s44, exec_lo
	s_xor_b32 s46, exec_lo, -1
	s_delay_alu instid0(VALU_DEP_2) | instskip(NEXT) | instid1(VALU_DEP_1)
	v_add3_u32 v1, v54, v1, 0x7fff
	v_lshrrev_b32_e32 v1, 16, v1
	s_delay_alu instid0(VALU_DEP_1)
	v_cndmask_b32_e32 v1, 0x7fc0, v1, vcc_lo
	flat_store_b32 v[2:3], v1
.LBB51_5277:
	s_wait_xcnt 0x0
	s_or_b32 exec_lo, exec_lo, s45
	s_delay_alu instid0(SALU_CYCLE_1)
	s_and_not1_b32 s45, s26, exec_lo
	s_and_b32 s46, s46, exec_lo
	s_and_b32 s44, s44, exec_lo
	s_or_b32 s45, s45, s46
                                        ; implicit-def: $vgpr1
                                        ; implicit-def: $vgpr2_vgpr3
                                        ; implicit-def: $vgpr54
.LBB51_5278:
	s_and_not1_saveexec_b32 s46, s0
	s_cbranch_execz .LBB51_5284
; %bb.5279:
	s_mov_b32 s56, -1
	s_mov_b32 s0, s44
	s_mov_b32 s47, exec_lo
	v_cmpx_eq_u16_e32 44, v1
	s_cbranch_execz .LBB51_5283
; %bb.5280:
	v_bfe_u32 v4, v54, 23, 8
	v_mov_b32_e32 v1, 0xff
	s_mov_b32 s56, exec_lo
	s_delay_alu instid0(VALU_DEP_2)
	v_cmpx_ne_u32_e32 0xff, v4
	s_cbranch_execz .LBB51_5282
; %bb.5281:
	v_and_b32_e32 v1, 0x400000, v54
	v_and_or_b32 v4, 0x3fffff, v54, v4
	s_delay_alu instid0(VALU_DEP_2) | instskip(NEXT) | instid1(VALU_DEP_2)
	v_cmp_ne_u32_e32 vcc_lo, 0, v1
	v_cmp_ne_u32_e64 s0, 0, v4
	v_lshrrev_b32_e32 v1, 23, v54
	s_and_b32 s0, vcc_lo, s0
	s_delay_alu instid0(SALU_CYCLE_1) | instskip(NEXT) | instid1(VALU_DEP_1)
	v_cndmask_b32_e64 v4, 0, 1, s0
	v_add_nc_u32_e32 v1, v1, v4
.LBB51_5282:
	s_or_b32 exec_lo, exec_lo, s56
	s_delay_alu instid0(SALU_CYCLE_1)
	s_xor_b32 s56, exec_lo, -1
	s_or_b32 s0, s44, exec_lo
	flat_store_b8 v[2:3], v1
.LBB51_5283:
	s_wait_xcnt 0x0
	s_or_b32 exec_lo, exec_lo, s47
	s_delay_alu instid0(SALU_CYCLE_1)
	s_and_not1_b32 s45, s45, exec_lo
	s_and_b32 s47, s56, exec_lo
	s_and_not1_b32 s44, s44, exec_lo
	s_and_b32 s0, s0, exec_lo
	s_or_b32 s45, s45, s47
	s_or_b32 s44, s44, s0
.LBB51_5284:
	s_or_b32 exec_lo, exec_lo, s46
	s_delay_alu instid0(SALU_CYCLE_1) | instskip(SKIP_1) | instid1(SALU_CYCLE_1)
	s_and_not1_b32 s0, s26, exec_lo
	s_and_b32 s45, s45, exec_lo
                                        ; implicit-def: $vgpr1
                                        ; implicit-def: $vgpr54
                                        ; implicit-def: $vgpr2_vgpr3
	s_or_b32 s45, s0, s45
	s_and_b32 s0, s44, exec_lo
.LBB51_5285:
	s_and_not1_saveexec_b32 s43, s43
	s_cbranch_execz .LBB51_5289
; %bb.5286:
	s_mov_b32 s47, -1
	s_mov_b32 s46, s0
	s_mov_b32 s44, exec_lo
	v_cmpx_eq_u16_e32 29, v1
	s_cbranch_execz .LBB51_5288
; %bb.5287:
	v_trunc_f32_e32 v1, v54
	s_xor_b32 s47, exec_lo, -1
	s_or_b32 s46, s0, exec_lo
	s_delay_alu instid0(VALU_DEP_1) | instskip(NEXT) | instid1(VALU_DEP_1)
	v_mul_f32_e32 v4, 0x2f800000, v1
	v_floor_f32_e32 v4, v4
	s_delay_alu instid0(VALU_DEP_1) | instskip(SKIP_1) | instid1(VALU_DEP_2)
	v_fmamk_f32 v1, v4, 0xcf800000, v1
	v_cvt_u32_f32_e32 v5, v4
	v_cvt_u32_f32_e32 v4, v1
	flat_store_b64 v[2:3], v[4:5]
.LBB51_5288:
	s_wait_xcnt 0x0
	s_or_b32 exec_lo, exec_lo, s44
	s_delay_alu instid0(SALU_CYCLE_1)
	s_and_not1_b32 s44, s45, exec_lo
	s_and_b32 s45, s47, exec_lo
	s_and_not1_b32 s0, s0, exec_lo
	s_and_b32 s46, s46, exec_lo
	s_or_b32 s45, s44, s45
	s_or_b32 s0, s0, s46
.LBB51_5289:
	s_or_b32 exec_lo, exec_lo, s43
	s_delay_alu instid0(SALU_CYCLE_1)
	s_and_not1_b32 s43, s26, exec_lo
	s_and_b32 s44, s45, exec_lo
	s_and_b32 s0, s0, exec_lo
	s_or_b32 s43, s43, s44
                                        ; implicit-def: $vgpr2_vgpr3
                                        ; implicit-def: $vgpr1
                                        ; implicit-def: $vgpr54
.LBB51_5290:
	s_and_not1_saveexec_b32 s41, s41
	s_cbranch_execz .LBB51_5306
; %bb.5291:
	s_mov_b32 s44, exec_lo
	v_cmpx_lt_i16_e32 26, v1
	s_xor_b32 s44, exec_lo, s44
	s_cbranch_execz .LBB51_5297
; %bb.5292:
	v_cmp_lt_i16_e32 vcc_lo, 27, v1
	v_cvt_u32_f32_e32 v1, v54
	s_and_saveexec_b32 s45, vcc_lo
	s_delay_alu instid0(SALU_CYCLE_1)
	s_xor_b32 s45, exec_lo, s45
	s_cbranch_execz .LBB51_5294
; %bb.5293:
	flat_store_b32 v[2:3], v1
                                        ; implicit-def: $vgpr2_vgpr3
                                        ; implicit-def: $vgpr1
.LBB51_5294:
	s_wait_xcnt 0x0
	s_and_not1_saveexec_b32 s45, s45
	s_cbranch_execz .LBB51_5296
; %bb.5295:
	flat_store_b16 v[2:3], v1
.LBB51_5296:
	s_wait_xcnt 0x0
	s_or_b32 exec_lo, exec_lo, s45
                                        ; implicit-def: $vgpr2_vgpr3
                                        ; implicit-def: $vgpr54
.LBB51_5297:
	s_and_not1_saveexec_b32 s44, s44
	s_cbranch_execz .LBB51_5305
; %bb.5298:
	v_and_b32_e32 v1, 0x7fffffff, v54
	v_mov_b32_e32 v4, 0x80
	s_mov_b32 s45, exec_lo
	s_delay_alu instid0(VALU_DEP_2)
	v_cmpx_gt_u32_e32 0x43800000, v1
	s_cbranch_execz .LBB51_5304
; %bb.5299:
	v_cmp_lt_u32_e32 vcc_lo, 0x3bffffff, v1
	s_mov_b32 s46, 0
                                        ; implicit-def: $vgpr1
	s_and_saveexec_b32 s47, vcc_lo
	s_delay_alu instid0(SALU_CYCLE_1)
	s_xor_b32 s47, exec_lo, s47
	s_cbranch_execnz .LBB51_7927
; %bb.5300:
	s_and_not1_saveexec_b32 s47, s47
	s_cbranch_execnz .LBB51_7928
.LBB51_5301:
	s_or_b32 exec_lo, exec_lo, s47
	v_mov_b32_e32 v4, 0
	s_and_saveexec_b32 s47, s46
.LBB51_5302:
	v_lshrrev_b32_e32 v4, 24, v54
	s_delay_alu instid0(VALU_DEP_1)
	v_and_or_b32 v4, 0x80, v4, v1
.LBB51_5303:
	s_or_b32 exec_lo, exec_lo, s47
.LBB51_5304:
	s_delay_alu instid0(SALU_CYCLE_1)
	s_or_b32 exec_lo, exec_lo, s45
	flat_store_b8 v[2:3], v4
.LBB51_5305:
	s_wait_xcnt 0x0
	s_or_b32 exec_lo, exec_lo, s44
	s_delay_alu instid0(SALU_CYCLE_1)
	s_or_b32 s0, s0, exec_lo
.LBB51_5306:
	s_or_b32 exec_lo, exec_lo, s41
	s_delay_alu instid0(SALU_CYCLE_1)
	s_and_not1_b32 s41, s26, exec_lo
	s_and_b32 s43, s43, exec_lo
	s_and_b32 s0, s0, exec_lo
	s_or_b32 s41, s41, s43
                                        ; implicit-def: $vgpr1
                                        ; implicit-def: $vgpr54
                                        ; implicit-def: $vgpr2_vgpr3
.LBB51_5307:
	s_and_not1_saveexec_b32 s42, s42
	s_cbranch_execz .LBB51_5351
; %bb.5308:
	s_mov_b32 s44, s0
	s_mov_b32 s43, exec_lo
	v_cmpx_lt_i16_e32 22, v1
	s_xor_b32 s43, exec_lo, s43
	s_cbranch_execz .LBB51_5340
; %bb.5309:
	s_mov_b32 s44, exec_lo
	v_cmpx_lt_i16_e32 23, v1
	s_xor_b32 s44, exec_lo, s44
	s_cbranch_execz .LBB51_5329
; %bb.5310:
	;; [unrolled: 5-line block ×3, first 2 shown]
	v_and_b32_e32 v1, 0x7fffffff, v54
	v_mov_b32_e32 v4, 0x80
	s_mov_b32 s46, exec_lo
	s_delay_alu instid0(VALU_DEP_2)
	v_cmpx_gt_u32_e32 0x47800000, v1
	s_cbranch_execz .LBB51_5317
; %bb.5312:
	v_cmp_lt_u32_e32 vcc_lo, 0x37ffffff, v1
	s_mov_b32 s47, 0
                                        ; implicit-def: $vgpr1
	s_and_saveexec_b32 s56, vcc_lo
	s_delay_alu instid0(SALU_CYCLE_1)
	s_xor_b32 s56, exec_lo, s56
	s_cbranch_execnz .LBB51_7929
; %bb.5313:
	s_and_not1_saveexec_b32 s56, s56
	s_cbranch_execnz .LBB51_7930
.LBB51_5314:
	s_or_b32 exec_lo, exec_lo, s56
	v_mov_b32_e32 v4, 0
	s_and_saveexec_b32 s56, s47
.LBB51_5315:
	v_lshrrev_b32_e32 v4, 24, v54
	s_delay_alu instid0(VALU_DEP_1)
	v_and_or_b32 v4, 0x80, v4, v1
.LBB51_5316:
	s_or_b32 exec_lo, exec_lo, s56
.LBB51_5317:
	s_delay_alu instid0(SALU_CYCLE_1)
	s_or_b32 exec_lo, exec_lo, s46
	flat_store_b8 v[2:3], v4
                                        ; implicit-def: $vgpr54
                                        ; implicit-def: $vgpr2_vgpr3
.LBB51_5318:
	s_wait_xcnt 0x0
	s_and_not1_saveexec_b32 s45, s45
	s_cbranch_execz .LBB51_5328
; %bb.5319:
	v_and_b32_e32 v4, 0x7fffffff, v54
	s_mov_b32 s46, exec_lo
                                        ; implicit-def: $vgpr1
	s_delay_alu instid0(VALU_DEP_1)
	v_cmpx_gt_u32_e32 0x43f00000, v4
	s_xor_b32 s46, exec_lo, s46
	s_cbranch_execz .LBB51_5325
; %bb.5320:
	s_mov_b32 s47, exec_lo
                                        ; implicit-def: $vgpr1
	v_cmpx_lt_u32_e32 0x3c7fffff, v4
	s_xor_b32 s47, exec_lo, s47
; %bb.5321:
	v_bfe_u32 v1, v54, 20, 1
	s_delay_alu instid0(VALU_DEP_1) | instskip(NEXT) | instid1(VALU_DEP_1)
	v_add3_u32 v1, v54, v1, 0x407ffff
	v_and_b32_e32 v4, 0xff00000, v1
	v_lshrrev_b32_e32 v1, 20, v1
	s_delay_alu instid0(VALU_DEP_2) | instskip(NEXT) | instid1(VALU_DEP_2)
	v_cmp_ne_u32_e32 vcc_lo, 0x7f00000, v4
	v_cndmask_b32_e32 v1, 0x7e, v1, vcc_lo
; %bb.5322:
	s_and_not1_saveexec_b32 s47, s47
; %bb.5323:
	v_add_f32_e64 v1, 0x46800000, |v54|
; %bb.5324:
	s_or_b32 exec_lo, exec_lo, s47
                                        ; implicit-def: $vgpr4
.LBB51_5325:
	s_and_not1_saveexec_b32 s46, s46
; %bb.5326:
	v_mov_b32_e32 v1, 0x7f
	v_cmp_lt_u32_e32 vcc_lo, 0x7f800000, v4
	s_delay_alu instid0(VALU_DEP_2)
	v_cndmask_b32_e32 v1, 0x7e, v1, vcc_lo
; %bb.5327:
	s_or_b32 exec_lo, exec_lo, s46
	v_lshrrev_b32_e32 v4, 24, v54
	s_delay_alu instid0(VALU_DEP_1)
	v_and_or_b32 v1, 0x80, v4, v1
	flat_store_b8 v[2:3], v1
.LBB51_5328:
	s_wait_xcnt 0x0
	s_or_b32 exec_lo, exec_lo, s45
                                        ; implicit-def: $vgpr54
                                        ; implicit-def: $vgpr2_vgpr3
.LBB51_5329:
	s_and_not1_saveexec_b32 s44, s44
	s_cbranch_execz .LBB51_5339
; %bb.5330:
	v_and_b32_e32 v4, 0x7fffffff, v54
	s_mov_b32 s45, exec_lo
                                        ; implicit-def: $vgpr1
	s_delay_alu instid0(VALU_DEP_1)
	v_cmpx_gt_u32_e32 0x47800000, v4
	s_xor_b32 s45, exec_lo, s45
	s_cbranch_execz .LBB51_5336
; %bb.5331:
	s_mov_b32 s46, exec_lo
                                        ; implicit-def: $vgpr1
	v_cmpx_lt_u32_e32 0x387fffff, v4
	s_xor_b32 s46, exec_lo, s46
; %bb.5332:
	v_bfe_u32 v1, v54, 21, 1
	s_delay_alu instid0(VALU_DEP_1) | instskip(NEXT) | instid1(VALU_DEP_1)
	v_add3_u32 v1, v54, v1, 0x80fffff
	v_lshrrev_b32_e32 v1, 21, v1
; %bb.5333:
	s_and_not1_saveexec_b32 s46, s46
; %bb.5334:
	v_add_f32_e64 v1, 0x43000000, |v54|
; %bb.5335:
	s_or_b32 exec_lo, exec_lo, s46
                                        ; implicit-def: $vgpr4
.LBB51_5336:
	s_and_not1_saveexec_b32 s45, s45
; %bb.5337:
	v_mov_b32_e32 v1, 0x7f
	v_cmp_lt_u32_e32 vcc_lo, 0x7f800000, v4
	s_delay_alu instid0(VALU_DEP_2)
	v_cndmask_b32_e32 v1, 0x7c, v1, vcc_lo
; %bb.5338:
	s_or_b32 exec_lo, exec_lo, s45
	v_lshrrev_b32_e32 v4, 24, v54
	s_delay_alu instid0(VALU_DEP_1)
	v_and_or_b32 v1, 0x80, v4, v1
	flat_store_b8 v[2:3], v1
.LBB51_5339:
	s_wait_xcnt 0x0
	s_or_b32 exec_lo, exec_lo, s44
	s_delay_alu instid0(SALU_CYCLE_1)
	s_or_b32 s44, s0, exec_lo
                                        ; implicit-def: $vgpr1
                                        ; implicit-def: $vgpr54
                                        ; implicit-def: $vgpr2_vgpr3
.LBB51_5340:
	s_or_saveexec_b32 s43, s43
	s_mov_b32 s45, s41
	s_xor_b32 exec_lo, exec_lo, s43
	s_cbranch_execz .LBB51_5350
; %bb.5341:
	s_mov_b32 s45, s44
	s_mov_b32 s46, s41
	s_mov_b32 s47, exec_lo
	v_cmpx_lt_i16_e32 14, v1
	s_xor_b32 s47, exec_lo, s47
	s_cbranch_execz .LBB51_5345
; %bb.5342:
	s_mov_b32 s56, -1
	s_mov_b32 s45, s44
	s_mov_b32 s46, exec_lo
	v_cmpx_eq_u16_e32 15, v1
	s_cbranch_execz .LBB51_5344
; %bb.5343:
	v_bfe_u32 v1, v54, 16, 1
	v_cmp_o_f32_e32 vcc_lo, v54, v54
	s_xor_b32 s56, exec_lo, -1
	s_or_b32 s45, s44, exec_lo
	s_delay_alu instid0(VALU_DEP_2) | instskip(NEXT) | instid1(VALU_DEP_1)
	v_add3_u32 v1, v54, v1, 0x7fff
	v_lshrrev_b32_e32 v1, 16, v1
	s_delay_alu instid0(VALU_DEP_1)
	v_cndmask_b32_e32 v1, 0x7fc0, v1, vcc_lo
	flat_store_b16 v[2:3], v1
.LBB51_5344:
	s_wait_xcnt 0x0
	s_or_b32 exec_lo, exec_lo, s46
	s_delay_alu instid0(SALU_CYCLE_1)
	s_and_not1_b32 s46, s41, exec_lo
	s_and_b32 s56, s56, exec_lo
	s_and_not1_b32 s57, s44, exec_lo
	s_and_b32 s45, s45, exec_lo
	s_or_b32 s46, s46, s56
	s_or_b32 s45, s57, s45
                                        ; implicit-def: $vgpr1
                                        ; implicit-def: $vgpr54
                                        ; implicit-def: $vgpr2_vgpr3
.LBB51_5345:
	s_and_not1_saveexec_b32 s47, s47
	s_cbranch_execz .LBB51_5349
; %bb.5346:
	s_mov_b32 s57, -1
	s_mov_b32 s56, s45
	s_mov_b32 s58, exec_lo
	v_cmpx_eq_u16_e32 11, v1
	s_cbranch_execz .LBB51_5348
; %bb.5347:
	v_cmp_neq_f32_e32 vcc_lo, 0, v54
	s_xor_b32 s57, exec_lo, -1
	s_or_b32 s56, s45, exec_lo
	v_cndmask_b32_e64 v1, 0, 1, vcc_lo
	flat_store_b8 v[2:3], v1
.LBB51_5348:
	s_wait_xcnt 0x0
	s_or_b32 exec_lo, exec_lo, s58
	s_delay_alu instid0(SALU_CYCLE_1)
	s_and_not1_b32 s46, s46, exec_lo
	s_and_b32 s57, s57, exec_lo
	s_and_not1_b32 s45, s45, exec_lo
	s_and_b32 s56, s56, exec_lo
	s_or_b32 s46, s46, s57
	s_or_b32 s45, s45, s56
.LBB51_5349:
	s_or_b32 exec_lo, exec_lo, s47
	s_delay_alu instid0(SALU_CYCLE_1)
	s_and_not1_b32 s47, s41, exec_lo
	s_and_b32 s46, s46, exec_lo
	s_and_not1_b32 s44, s44, exec_lo
	s_and_b32 s56, s45, exec_lo
	s_or_b32 s45, s47, s46
	s_or_b32 s44, s44, s56
.LBB51_5350:
	s_or_b32 exec_lo, exec_lo, s43
	s_delay_alu instid0(SALU_CYCLE_1)
	s_and_not1_b32 s41, s41, exec_lo
	s_and_b32 s43, s45, exec_lo
	s_and_not1_b32 s0, s0, exec_lo
	s_and_b32 s44, s44, exec_lo
	s_or_b32 s41, s41, s43
	s_or_b32 s0, s0, s44
.LBB51_5351:
	s_or_b32 exec_lo, exec_lo, s42
	s_delay_alu instid0(SALU_CYCLE_1)
	s_and_not1_b32 s42, s26, exec_lo
	s_and_b32 s41, s41, exec_lo
	s_and_b32 s0, s0, exec_lo
	s_or_b32 s41, s42, s41
                                        ; implicit-def: $vgpr1
                                        ; implicit-def: $vgpr54
                                        ; implicit-def: $vgpr2_vgpr3
.LBB51_5352:
	s_and_not1_saveexec_b32 s28, s28
	s_cbranch_execz .LBB51_5394
; %bb.5353:
	s_mov_b32 s42, exec_lo
	v_cmpx_lt_i16_e32 4, v1
	s_xor_b32 s42, exec_lo, s42
	s_cbranch_execz .LBB51_5375
; %bb.5354:
	s_mov_b32 s43, exec_lo
	v_cmpx_lt_i16_e32 7, v1
	s_xor_b32 s43, exec_lo, s43
	s_cbranch_execz .LBB51_5364
; %bb.5355:
	s_mov_b32 s44, exec_lo
	v_cmpx_lt_i16_e32 8, v1
	s_xor_b32 s44, exec_lo, s44
	s_cbranch_execz .LBB51_5361
; %bb.5356:
	s_mov_b32 s45, exec_lo
	v_cmpx_lt_i16_e32 9, v1
	s_xor_b32 s45, exec_lo, s45
	s_cbranch_execz .LBB51_5358
; %bb.5357:
	v_cvt_f64_f32_e32 v[4:5], v54
	v_mov_b32_e32 v6, 0
                                        ; implicit-def: $vgpr54
	s_delay_alu instid0(VALU_DEP_1)
	v_mov_b32_e32 v7, v6
	flat_store_b128 v[2:3], v[4:7]
                                        ; implicit-def: $vgpr2_vgpr3
.LBB51_5358:
	s_wait_xcnt 0x0
	s_and_not1_saveexec_b32 s45, s45
	s_cbranch_execz .LBB51_5360
; %bb.5359:
	v_mov_b32_e32 v55, 0
	flat_store_b64 v[2:3], v[54:55]
.LBB51_5360:
	s_wait_xcnt 0x0
	s_or_b32 exec_lo, exec_lo, s45
                                        ; implicit-def: $vgpr54
                                        ; implicit-def: $vgpr2_vgpr3
.LBB51_5361:
	s_and_not1_saveexec_b32 s44, s44
	s_cbranch_execz .LBB51_5363
; %bb.5362:
	v_cvt_f16_f32_e32 v1, v54
	s_delay_alu instid0(VALU_DEP_1)
	v_and_b32_e32 v1, 0xffff, v1
	flat_store_b32 v[2:3], v1
.LBB51_5363:
	s_wait_xcnt 0x0
	s_or_b32 exec_lo, exec_lo, s44
                                        ; implicit-def: $vgpr54
                                        ; implicit-def: $vgpr2_vgpr3
                                        ; implicit-def: $vgpr1
.LBB51_5364:
	s_and_not1_saveexec_b32 s43, s43
	s_cbranch_execz .LBB51_5374
; %bb.5365:
	s_mov_b32 s44, exec_lo
	v_cmpx_lt_i16_e32 5, v1
	s_xor_b32 s44, exec_lo, s44
	s_cbranch_execz .LBB51_5371
; %bb.5366:
	s_mov_b32 s45, exec_lo
	v_cmpx_lt_i16_e32 6, v1
	s_xor_b32 s45, exec_lo, s45
	s_cbranch_execz .LBB51_5368
; %bb.5367:
	v_cvt_f64_f32_e32 v[4:5], v54
                                        ; implicit-def: $vgpr54
	flat_store_b64 v[2:3], v[4:5]
                                        ; implicit-def: $vgpr2_vgpr3
.LBB51_5368:
	s_wait_xcnt 0x0
	s_and_not1_saveexec_b32 s45, s45
	s_cbranch_execz .LBB51_5370
; %bb.5369:
	flat_store_b32 v[2:3], v54
.LBB51_5370:
	s_wait_xcnt 0x0
	s_or_b32 exec_lo, exec_lo, s45
                                        ; implicit-def: $vgpr54
                                        ; implicit-def: $vgpr2_vgpr3
.LBB51_5371:
	s_and_not1_saveexec_b32 s44, s44
	s_cbranch_execz .LBB51_5373
; %bb.5372:
	v_cvt_f16_f32_e32 v1, v54
	flat_store_b16 v[2:3], v1
.LBB51_5373:
	s_wait_xcnt 0x0
	s_or_b32 exec_lo, exec_lo, s44
.LBB51_5374:
	s_delay_alu instid0(SALU_CYCLE_1)
	s_or_b32 exec_lo, exec_lo, s43
                                        ; implicit-def: $vgpr1
                                        ; implicit-def: $vgpr54
                                        ; implicit-def: $vgpr2_vgpr3
.LBB51_5375:
	s_and_not1_saveexec_b32 s42, s42
	s_cbranch_execz .LBB51_5393
; %bb.5376:
	s_mov_b32 s43, exec_lo
	v_cmpx_lt_i16_e32 1, v1
	s_xor_b32 s43, exec_lo, s43
	s_cbranch_execz .LBB51_5386
; %bb.5377:
	s_mov_b32 s44, exec_lo
	v_cmpx_lt_i16_e32 2, v1
	s_xor_b32 s44, exec_lo, s44
	;; [unrolled: 5-line block ×3, first 2 shown]
	s_cbranch_execz .LBB51_5380
; %bb.5379:
	v_trunc_f32_e32 v1, v54
                                        ; implicit-def: $vgpr54
	s_delay_alu instid0(VALU_DEP_1) | instskip(NEXT) | instid1(VALU_DEP_1)
	v_mul_f32_e64 v4, 0x2f800000, |v1|
	v_floor_f32_e32 v5, v4
	v_ashrrev_i32_e32 v4, 31, v1
	s_delay_alu instid0(VALU_DEP_2) | instskip(SKIP_1) | instid1(VALU_DEP_3)
	v_fma_f32 v6, 0xcf800000, v5, |v1|
	v_cvt_u32_f32_e32 v1, v5
	v_mov_b32_e32 v5, v4
	s_delay_alu instid0(VALU_DEP_3) | instskip(NEXT) | instid1(VALU_DEP_3)
	v_cvt_u32_f32_e32 v6, v6
	v_xor_b32_e32 v7, v1, v4
	s_delay_alu instid0(VALU_DEP_2) | instskip(NEXT) | instid1(VALU_DEP_1)
	v_xor_b32_e32 v6, v6, v4
	v_sub_nc_u64_e32 v[4:5], v[6:7], v[4:5]
	flat_store_b64 v[2:3], v[4:5]
                                        ; implicit-def: $vgpr2_vgpr3
.LBB51_5380:
	s_wait_xcnt 0x0
	s_and_not1_saveexec_b32 s45, s45
	s_cbranch_execz .LBB51_5382
; %bb.5381:
	v_cvt_i32_f32_e32 v1, v54
	flat_store_b32 v[2:3], v1
.LBB51_5382:
	s_wait_xcnt 0x0
	s_or_b32 exec_lo, exec_lo, s45
                                        ; implicit-def: $vgpr54
                                        ; implicit-def: $vgpr2_vgpr3
.LBB51_5383:
	s_and_not1_saveexec_b32 s44, s44
	s_cbranch_execz .LBB51_5385
; %bb.5384:
	v_cvt_i32_f32_e32 v1, v54
	flat_store_b16 v[2:3], v1
.LBB51_5385:
	s_wait_xcnt 0x0
	s_or_b32 exec_lo, exec_lo, s44
                                        ; implicit-def: $vgpr54
                                        ; implicit-def: $vgpr2_vgpr3
                                        ; implicit-def: $vgpr1
.LBB51_5386:
	s_and_not1_saveexec_b32 s43, s43
	s_cbranch_execz .LBB51_5392
; %bb.5387:
	s_mov_b32 s44, exec_lo
	v_cmpx_lt_i16_e32 0, v1
	s_xor_b32 s44, exec_lo, s44
	s_cbranch_execz .LBB51_5389
; %bb.5388:
	v_cvt_i32_f32_e32 v1, v54
                                        ; implicit-def: $vgpr54
	flat_store_b8 v[2:3], v1
                                        ; implicit-def: $vgpr2_vgpr3
.LBB51_5389:
	s_wait_xcnt 0x0
	s_and_not1_saveexec_b32 s44, s44
	s_cbranch_execz .LBB51_5391
; %bb.5390:
	v_trunc_f32_e32 v1, v54
	s_delay_alu instid0(VALU_DEP_1) | instskip(NEXT) | instid1(VALU_DEP_1)
	v_mul_f32_e64 v4, 0x2f800000, |v1|
	v_floor_f32_e32 v4, v4
	s_delay_alu instid0(VALU_DEP_1) | instskip(SKIP_1) | instid1(VALU_DEP_2)
	v_fma_f32 v4, 0xcf800000, v4, |v1|
	v_ashrrev_i32_e32 v1, 31, v1
	v_cvt_u32_f32_e32 v4, v4
	s_delay_alu instid0(VALU_DEP_1) | instskip(NEXT) | instid1(VALU_DEP_1)
	v_xor_b32_e32 v4, v4, v1
	v_sub_nc_u32_e32 v1, v4, v1
	flat_store_b8 v[2:3], v1
.LBB51_5391:
	s_wait_xcnt 0x0
	s_or_b32 exec_lo, exec_lo, s44
.LBB51_5392:
	s_delay_alu instid0(SALU_CYCLE_1)
	s_or_b32 exec_lo, exec_lo, s43
.LBB51_5393:
	s_delay_alu instid0(SALU_CYCLE_1) | instskip(NEXT) | instid1(SALU_CYCLE_1)
	s_or_b32 exec_lo, exec_lo, s42
	s_or_b32 s0, s0, exec_lo
.LBB51_5394:
	s_or_b32 exec_lo, exec_lo, s28
	s_mov_b32 s42, 0
	s_mov_b32 s28, 0
	s_and_saveexec_b32 s43, s0
; %bb.5395:
	v_add_nc_u32_e32 v103, 0x200, v103
	s_mov_b32 s42, exec_lo
	s_delay_alu instid0(VALU_DEP_1)
	v_cmp_lt_i32_e32 vcc_lo, v103, v8
	s_and_b32 s28, vcc_lo, exec_lo
; %bb.5396:
	s_or_b32 exec_lo, exec_lo, s43
	s_delay_alu instid0(SALU_CYCLE_1)
	s_and_not1_b32 s0, s26, exec_lo
	s_and_b32 s41, s41, exec_lo
	s_and_b32 s43, s28, exec_lo
	s_or_b32 s28, s0, s41
	s_or_not1_b32 s42, s42, exec_lo
.LBB51_5397:
	s_or_b32 exec_lo, exec_lo, s29
	s_mov_b32 s0, 0
	s_mov_b32 s41, 0
                                        ; implicit-def: $vgpr4
                                        ; implicit-def: $vgpr2_vgpr3
	s_and_saveexec_b32 s29, s42
	s_cbranch_execz .LBB51_7819
; %bb.5398:
	s_mov_b32 s44, -1
	s_mov_b32 s42, 0
	s_mov_b32 s40, s28
	s_and_saveexec_b32 s41, s43
	s_cbranch_execz .LBB51_5526
; %bb.5399:
	v_dual_add_nc_u32 v1, s3, v103 :: v_dual_mov_b32 v3, 0
	s_mov_b32 s43, s28
	s_mov_b32 s40, exec_lo
	s_delay_alu instid0(VALU_DEP_1) | instskip(SKIP_1) | instid1(VALU_DEP_2)
	v_mul_lo_u32 v2, v1, v14
	v_and_b32_e32 v1, 0xff, v13
	v_add_nc_u64_e32 v[2:3], v[114:115], v[2:3]
	s_delay_alu instid0(VALU_DEP_2)
	v_cmpx_lt_i16_e32 10, v1
	s_xor_b32 s40, exec_lo, s40
	s_cbranch_execz .LBB51_5481
; %bb.5400:
	s_mov_b32 s43, s28
	s_mov_b32 s44, exec_lo
	v_cmpx_lt_i16_e32 25, v1
	s_xor_b32 s44, exec_lo, s44
	s_cbranch_execz .LBB51_5436
; %bb.5401:
	s_mov_b32 s45, s28
	s_mov_b32 s43, exec_lo
	;; [unrolled: 6-line block ×3, first 2 shown]
	v_cmpx_lt_i16_e32 43, v1
	s_xor_b32 s45, exec_lo, s45
	s_cbranch_execz .LBB51_5414
; %bb.5403:
	s_mov_b32 s46, 0
	s_mov_b32 s47, s28
	s_mov_b32 s0, exec_lo
	v_cmpx_lt_i16_e32 45, v1
	s_xor_b32 s0, exec_lo, s0
	s_cbranch_execz .LBB51_5407
; %bb.5404:
	s_mov_b32 s56, -1
	s_mov_b32 s47, exec_lo
	v_cmpx_eq_u16_e32 46, v1
	s_cbranch_execz .LBB51_5406
; %bb.5405:
	v_bfe_u32 v1, v52, 16, 1
	v_cmp_o_f32_e32 vcc_lo, v52, v52
	s_mov_b32 s46, exec_lo
	s_xor_b32 s56, exec_lo, -1
	s_delay_alu instid0(VALU_DEP_2) | instskip(NEXT) | instid1(VALU_DEP_1)
	v_add3_u32 v1, v52, v1, 0x7fff
	v_lshrrev_b32_e32 v1, 16, v1
	s_delay_alu instid0(VALU_DEP_1)
	v_cndmask_b32_e32 v1, 0x7fc0, v1, vcc_lo
	flat_store_b32 v[2:3], v1
.LBB51_5406:
	s_wait_xcnt 0x0
	s_or_b32 exec_lo, exec_lo, s47
	s_delay_alu instid0(SALU_CYCLE_1)
	s_and_not1_b32 s47, s28, exec_lo
	s_and_b32 s56, s56, exec_lo
	s_and_b32 s46, s46, exec_lo
	s_or_b32 s47, s47, s56
                                        ; implicit-def: $vgpr1
                                        ; implicit-def: $vgpr2_vgpr3
                                        ; implicit-def: $vgpr52
.LBB51_5407:
	s_and_not1_saveexec_b32 s56, s0
	s_cbranch_execz .LBB51_5413
; %bb.5408:
	s_mov_b32 s58, -1
	s_mov_b32 s0, s46
	s_mov_b32 s57, exec_lo
	v_cmpx_eq_u16_e32 44, v1
	s_cbranch_execz .LBB51_5412
; %bb.5409:
	v_bfe_u32 v4, v52, 23, 8
	v_mov_b32_e32 v1, 0xff
	s_mov_b32 s58, exec_lo
	s_delay_alu instid0(VALU_DEP_2)
	v_cmpx_ne_u32_e32 0xff, v4
	s_cbranch_execz .LBB51_5411
; %bb.5410:
	v_and_b32_e32 v1, 0x400000, v52
	v_and_or_b32 v4, 0x3fffff, v52, v4
	s_delay_alu instid0(VALU_DEP_2) | instskip(NEXT) | instid1(VALU_DEP_2)
	v_cmp_ne_u32_e32 vcc_lo, 0, v1
	v_cmp_ne_u32_e64 s0, 0, v4
	v_lshrrev_b32_e32 v1, 23, v52
	s_and_b32 s0, vcc_lo, s0
	s_delay_alu instid0(SALU_CYCLE_1) | instskip(NEXT) | instid1(VALU_DEP_1)
	v_cndmask_b32_e64 v4, 0, 1, s0
	v_add_nc_u32_e32 v1, v1, v4
.LBB51_5411:
	s_or_b32 exec_lo, exec_lo, s58
	s_delay_alu instid0(SALU_CYCLE_1)
	s_xor_b32 s58, exec_lo, -1
	s_or_b32 s0, s46, exec_lo
	flat_store_b8 v[2:3], v1
.LBB51_5412:
	s_wait_xcnt 0x0
	s_or_b32 exec_lo, exec_lo, s57
	s_delay_alu instid0(SALU_CYCLE_1)
	s_and_not1_b32 s47, s47, exec_lo
	s_and_b32 s57, s58, exec_lo
	s_and_not1_b32 s46, s46, exec_lo
	s_and_b32 s0, s0, exec_lo
	s_or_b32 s47, s47, s57
	s_or_b32 s46, s46, s0
.LBB51_5413:
	s_or_b32 exec_lo, exec_lo, s56
	s_delay_alu instid0(SALU_CYCLE_1) | instskip(SKIP_1) | instid1(SALU_CYCLE_1)
	s_and_not1_b32 s0, s28, exec_lo
	s_and_b32 s47, s47, exec_lo
                                        ; implicit-def: $vgpr1
                                        ; implicit-def: $vgpr52
                                        ; implicit-def: $vgpr2_vgpr3
	s_or_b32 s47, s0, s47
	s_and_b32 s0, s46, exec_lo
.LBB51_5414:
	s_and_not1_saveexec_b32 s45, s45
	s_cbranch_execz .LBB51_5418
; %bb.5415:
	s_mov_b32 s57, -1
	s_mov_b32 s56, s0
	s_mov_b32 s46, exec_lo
	v_cmpx_eq_u16_e32 29, v1
	s_cbranch_execz .LBB51_5417
; %bb.5416:
	v_trunc_f32_e32 v1, v52
	s_xor_b32 s57, exec_lo, -1
	s_or_b32 s56, s0, exec_lo
	s_delay_alu instid0(VALU_DEP_1) | instskip(NEXT) | instid1(VALU_DEP_1)
	v_mul_f32_e32 v4, 0x2f800000, v1
	v_floor_f32_e32 v4, v4
	s_delay_alu instid0(VALU_DEP_1) | instskip(SKIP_1) | instid1(VALU_DEP_2)
	v_fmamk_f32 v1, v4, 0xcf800000, v1
	v_cvt_u32_f32_e32 v5, v4
	v_cvt_u32_f32_e32 v4, v1
	flat_store_b64 v[2:3], v[4:5]
.LBB51_5417:
	s_wait_xcnt 0x0
	s_or_b32 exec_lo, exec_lo, s46
	s_delay_alu instid0(SALU_CYCLE_1)
	s_and_not1_b32 s46, s47, exec_lo
	s_and_b32 s47, s57, exec_lo
	s_and_not1_b32 s0, s0, exec_lo
	s_and_b32 s56, s56, exec_lo
	s_or_b32 s47, s46, s47
	s_or_b32 s0, s0, s56
.LBB51_5418:
	s_or_b32 exec_lo, exec_lo, s45
	s_delay_alu instid0(SALU_CYCLE_1)
	s_and_not1_b32 s45, s28, exec_lo
	s_and_b32 s46, s47, exec_lo
	s_and_b32 s0, s0, exec_lo
	s_or_b32 s45, s45, s46
                                        ; implicit-def: $vgpr2_vgpr3
                                        ; implicit-def: $vgpr1
                                        ; implicit-def: $vgpr52
.LBB51_5419:
	s_and_not1_saveexec_b32 s43, s43
	s_cbranch_execz .LBB51_5435
; %bb.5420:
	s_mov_b32 s46, exec_lo
	v_cmpx_lt_i16_e32 26, v1
	s_xor_b32 s46, exec_lo, s46
	s_cbranch_execz .LBB51_5426
; %bb.5421:
	v_cmp_lt_i16_e32 vcc_lo, 27, v1
	v_cvt_u32_f32_e32 v1, v52
	s_and_saveexec_b32 s47, vcc_lo
	s_delay_alu instid0(SALU_CYCLE_1)
	s_xor_b32 s47, exec_lo, s47
	s_cbranch_execz .LBB51_5423
; %bb.5422:
	flat_store_b32 v[2:3], v1
                                        ; implicit-def: $vgpr2_vgpr3
                                        ; implicit-def: $vgpr1
.LBB51_5423:
	s_wait_xcnt 0x0
	s_and_not1_saveexec_b32 s47, s47
	s_cbranch_execz .LBB51_5425
; %bb.5424:
	flat_store_b16 v[2:3], v1
.LBB51_5425:
	s_wait_xcnt 0x0
	s_or_b32 exec_lo, exec_lo, s47
                                        ; implicit-def: $vgpr2_vgpr3
                                        ; implicit-def: $vgpr52
.LBB51_5426:
	s_and_not1_saveexec_b32 s46, s46
	s_cbranch_execz .LBB51_5434
; %bb.5427:
	v_and_b32_e32 v1, 0x7fffffff, v52
	v_mov_b32_e32 v4, 0x80
	s_mov_b32 s47, exec_lo
	s_delay_alu instid0(VALU_DEP_2)
	v_cmpx_gt_u32_e32 0x43800000, v1
	s_cbranch_execz .LBB51_5433
; %bb.5428:
	v_cmp_lt_u32_e32 vcc_lo, 0x3bffffff, v1
	s_mov_b32 s56, 0
                                        ; implicit-def: $vgpr1
	s_and_saveexec_b32 s57, vcc_lo
	s_delay_alu instid0(SALU_CYCLE_1)
	s_xor_b32 s57, exec_lo, s57
	s_cbranch_execnz .LBB51_7931
; %bb.5429:
	s_and_not1_saveexec_b32 s57, s57
	s_cbranch_execnz .LBB51_7932
.LBB51_5430:
	s_or_b32 exec_lo, exec_lo, s57
	v_mov_b32_e32 v4, 0
	s_and_saveexec_b32 s57, s56
.LBB51_5431:
	v_lshrrev_b32_e32 v4, 24, v52
	s_delay_alu instid0(VALU_DEP_1)
	v_and_or_b32 v4, 0x80, v4, v1
.LBB51_5432:
	s_or_b32 exec_lo, exec_lo, s57
.LBB51_5433:
	s_delay_alu instid0(SALU_CYCLE_1)
	s_or_b32 exec_lo, exec_lo, s47
	flat_store_b8 v[2:3], v4
.LBB51_5434:
	s_wait_xcnt 0x0
	s_or_b32 exec_lo, exec_lo, s46
	s_delay_alu instid0(SALU_CYCLE_1)
	s_or_b32 s0, s0, exec_lo
.LBB51_5435:
	s_or_b32 exec_lo, exec_lo, s43
	s_delay_alu instid0(SALU_CYCLE_1)
	s_and_not1_b32 s43, s28, exec_lo
	s_and_b32 s45, s45, exec_lo
	s_and_b32 s0, s0, exec_lo
	s_or_b32 s43, s43, s45
                                        ; implicit-def: $vgpr1
                                        ; implicit-def: $vgpr52
                                        ; implicit-def: $vgpr2_vgpr3
.LBB51_5436:
	s_and_not1_saveexec_b32 s44, s44
	s_cbranch_execz .LBB51_5480
; %bb.5437:
	s_mov_b32 s46, s0
	s_mov_b32 s45, exec_lo
	v_cmpx_lt_i16_e32 22, v1
	s_xor_b32 s45, exec_lo, s45
	s_cbranch_execz .LBB51_5469
; %bb.5438:
	s_mov_b32 s46, exec_lo
	v_cmpx_lt_i16_e32 23, v1
	s_xor_b32 s46, exec_lo, s46
	s_cbranch_execz .LBB51_5458
; %bb.5439:
	;; [unrolled: 5-line block ×3, first 2 shown]
	v_and_b32_e32 v1, 0x7fffffff, v52
	v_mov_b32_e32 v4, 0x80
	s_mov_b32 s56, exec_lo
	s_delay_alu instid0(VALU_DEP_2)
	v_cmpx_gt_u32_e32 0x47800000, v1
	s_cbranch_execz .LBB51_5446
; %bb.5441:
	v_cmp_lt_u32_e32 vcc_lo, 0x37ffffff, v1
	s_mov_b32 s57, 0
                                        ; implicit-def: $vgpr1
	s_and_saveexec_b32 s58, vcc_lo
	s_delay_alu instid0(SALU_CYCLE_1)
	s_xor_b32 s58, exec_lo, s58
	s_cbranch_execnz .LBB51_7933
; %bb.5442:
	s_and_not1_saveexec_b32 s58, s58
	s_cbranch_execnz .LBB51_7934
.LBB51_5443:
	s_or_b32 exec_lo, exec_lo, s58
	v_mov_b32_e32 v4, 0
	s_and_saveexec_b32 s58, s57
.LBB51_5444:
	v_lshrrev_b32_e32 v4, 24, v52
	s_delay_alu instid0(VALU_DEP_1)
	v_and_or_b32 v4, 0x80, v4, v1
.LBB51_5445:
	s_or_b32 exec_lo, exec_lo, s58
.LBB51_5446:
	s_delay_alu instid0(SALU_CYCLE_1)
	s_or_b32 exec_lo, exec_lo, s56
	flat_store_b8 v[2:3], v4
                                        ; implicit-def: $vgpr52
                                        ; implicit-def: $vgpr2_vgpr3
.LBB51_5447:
	s_wait_xcnt 0x0
	s_and_not1_saveexec_b32 s47, s47
	s_cbranch_execz .LBB51_5457
; %bb.5448:
	v_and_b32_e32 v4, 0x7fffffff, v52
	s_mov_b32 s56, exec_lo
                                        ; implicit-def: $vgpr1
	s_delay_alu instid0(VALU_DEP_1)
	v_cmpx_gt_u32_e32 0x43f00000, v4
	s_xor_b32 s56, exec_lo, s56
	s_cbranch_execz .LBB51_5454
; %bb.5449:
	s_mov_b32 s57, exec_lo
                                        ; implicit-def: $vgpr1
	v_cmpx_lt_u32_e32 0x3c7fffff, v4
	s_xor_b32 s57, exec_lo, s57
; %bb.5450:
	v_bfe_u32 v1, v52, 20, 1
	s_delay_alu instid0(VALU_DEP_1) | instskip(NEXT) | instid1(VALU_DEP_1)
	v_add3_u32 v1, v52, v1, 0x407ffff
	v_and_b32_e32 v4, 0xff00000, v1
	v_lshrrev_b32_e32 v1, 20, v1
	s_delay_alu instid0(VALU_DEP_2) | instskip(NEXT) | instid1(VALU_DEP_2)
	v_cmp_ne_u32_e32 vcc_lo, 0x7f00000, v4
	v_cndmask_b32_e32 v1, 0x7e, v1, vcc_lo
; %bb.5451:
	s_and_not1_saveexec_b32 s57, s57
; %bb.5452:
	v_add_f32_e64 v1, 0x46800000, |v52|
; %bb.5453:
	s_or_b32 exec_lo, exec_lo, s57
                                        ; implicit-def: $vgpr4
.LBB51_5454:
	s_and_not1_saveexec_b32 s56, s56
; %bb.5455:
	v_mov_b32_e32 v1, 0x7f
	v_cmp_lt_u32_e32 vcc_lo, 0x7f800000, v4
	s_delay_alu instid0(VALU_DEP_2)
	v_cndmask_b32_e32 v1, 0x7e, v1, vcc_lo
; %bb.5456:
	s_or_b32 exec_lo, exec_lo, s56
	v_lshrrev_b32_e32 v4, 24, v52
	s_delay_alu instid0(VALU_DEP_1)
	v_and_or_b32 v1, 0x80, v4, v1
	flat_store_b8 v[2:3], v1
.LBB51_5457:
	s_wait_xcnt 0x0
	s_or_b32 exec_lo, exec_lo, s47
                                        ; implicit-def: $vgpr52
                                        ; implicit-def: $vgpr2_vgpr3
.LBB51_5458:
	s_and_not1_saveexec_b32 s46, s46
	s_cbranch_execz .LBB51_5468
; %bb.5459:
	v_and_b32_e32 v4, 0x7fffffff, v52
	s_mov_b32 s47, exec_lo
                                        ; implicit-def: $vgpr1
	s_delay_alu instid0(VALU_DEP_1)
	v_cmpx_gt_u32_e32 0x47800000, v4
	s_xor_b32 s47, exec_lo, s47
	s_cbranch_execz .LBB51_5465
; %bb.5460:
	s_mov_b32 s56, exec_lo
                                        ; implicit-def: $vgpr1
	v_cmpx_lt_u32_e32 0x387fffff, v4
	s_xor_b32 s56, exec_lo, s56
; %bb.5461:
	v_bfe_u32 v1, v52, 21, 1
	s_delay_alu instid0(VALU_DEP_1) | instskip(NEXT) | instid1(VALU_DEP_1)
	v_add3_u32 v1, v52, v1, 0x80fffff
	v_lshrrev_b32_e32 v1, 21, v1
; %bb.5462:
	s_and_not1_saveexec_b32 s56, s56
; %bb.5463:
	v_add_f32_e64 v1, 0x43000000, |v52|
; %bb.5464:
	s_or_b32 exec_lo, exec_lo, s56
                                        ; implicit-def: $vgpr4
.LBB51_5465:
	s_and_not1_saveexec_b32 s47, s47
; %bb.5466:
	v_mov_b32_e32 v1, 0x7f
	v_cmp_lt_u32_e32 vcc_lo, 0x7f800000, v4
	s_delay_alu instid0(VALU_DEP_2)
	v_cndmask_b32_e32 v1, 0x7c, v1, vcc_lo
; %bb.5467:
	s_or_b32 exec_lo, exec_lo, s47
	v_lshrrev_b32_e32 v4, 24, v52
	s_delay_alu instid0(VALU_DEP_1)
	v_and_or_b32 v1, 0x80, v4, v1
	flat_store_b8 v[2:3], v1
.LBB51_5468:
	s_wait_xcnt 0x0
	s_or_b32 exec_lo, exec_lo, s46
	s_delay_alu instid0(SALU_CYCLE_1)
	s_or_b32 s46, s0, exec_lo
                                        ; implicit-def: $vgpr1
                                        ; implicit-def: $vgpr52
                                        ; implicit-def: $vgpr2_vgpr3
.LBB51_5469:
	s_or_saveexec_b32 s45, s45
	s_mov_b32 s47, s43
	s_xor_b32 exec_lo, exec_lo, s45
	s_cbranch_execz .LBB51_5479
; %bb.5470:
	s_mov_b32 s47, s46
	s_mov_b32 s56, s43
	s_mov_b32 s57, exec_lo
	v_cmpx_lt_i16_e32 14, v1
	s_xor_b32 s57, exec_lo, s57
	s_cbranch_execz .LBB51_5474
; %bb.5471:
	s_mov_b32 s58, -1
	s_mov_b32 s47, s46
	s_mov_b32 s56, exec_lo
	v_cmpx_eq_u16_e32 15, v1
	s_cbranch_execz .LBB51_5473
; %bb.5472:
	v_bfe_u32 v1, v52, 16, 1
	v_cmp_o_f32_e32 vcc_lo, v52, v52
	s_xor_b32 s58, exec_lo, -1
	s_or_b32 s47, s46, exec_lo
	s_delay_alu instid0(VALU_DEP_2) | instskip(NEXT) | instid1(VALU_DEP_1)
	v_add3_u32 v1, v52, v1, 0x7fff
	v_lshrrev_b32_e32 v1, 16, v1
	s_delay_alu instid0(VALU_DEP_1)
	v_cndmask_b32_e32 v1, 0x7fc0, v1, vcc_lo
	flat_store_b16 v[2:3], v1
.LBB51_5473:
	s_wait_xcnt 0x0
	s_or_b32 exec_lo, exec_lo, s56
	s_delay_alu instid0(SALU_CYCLE_1)
	s_and_not1_b32 s56, s43, exec_lo
	s_and_b32 s58, s58, exec_lo
	s_and_not1_b32 s59, s46, exec_lo
	s_and_b32 s47, s47, exec_lo
	s_or_b32 s56, s56, s58
	s_or_b32 s47, s59, s47
                                        ; implicit-def: $vgpr1
                                        ; implicit-def: $vgpr52
                                        ; implicit-def: $vgpr2_vgpr3
.LBB51_5474:
	s_and_not1_saveexec_b32 s57, s57
	s_cbranch_execz .LBB51_5478
; %bb.5475:
	s_mov_b32 s59, -1
	s_mov_b32 s58, s47
	s_mov_b32 s60, exec_lo
	v_cmpx_eq_u16_e32 11, v1
	s_cbranch_execz .LBB51_5477
; %bb.5476:
	v_cmp_neq_f32_e32 vcc_lo, 0, v52
	s_xor_b32 s59, exec_lo, -1
	s_or_b32 s58, s47, exec_lo
	v_cndmask_b32_e64 v1, 0, 1, vcc_lo
	flat_store_b8 v[2:3], v1
.LBB51_5477:
	s_wait_xcnt 0x0
	s_or_b32 exec_lo, exec_lo, s60
	s_delay_alu instid0(SALU_CYCLE_1)
	s_and_not1_b32 s56, s56, exec_lo
	s_and_b32 s59, s59, exec_lo
	s_and_not1_b32 s47, s47, exec_lo
	s_and_b32 s58, s58, exec_lo
	s_or_b32 s56, s56, s59
	s_or_b32 s47, s47, s58
.LBB51_5478:
	s_or_b32 exec_lo, exec_lo, s57
	s_delay_alu instid0(SALU_CYCLE_1)
	s_and_not1_b32 s57, s43, exec_lo
	s_and_b32 s56, s56, exec_lo
	s_and_not1_b32 s46, s46, exec_lo
	s_and_b32 s58, s47, exec_lo
	s_or_b32 s47, s57, s56
	s_or_b32 s46, s46, s58
.LBB51_5479:
	s_or_b32 exec_lo, exec_lo, s45
	s_delay_alu instid0(SALU_CYCLE_1)
	s_and_not1_b32 s43, s43, exec_lo
	s_and_b32 s45, s47, exec_lo
	s_and_not1_b32 s0, s0, exec_lo
	s_and_b32 s46, s46, exec_lo
	s_or_b32 s43, s43, s45
	s_or_b32 s0, s0, s46
.LBB51_5480:
	s_or_b32 exec_lo, exec_lo, s44
	s_delay_alu instid0(SALU_CYCLE_1)
	s_and_not1_b32 s44, s28, exec_lo
	s_and_b32 s43, s43, exec_lo
	s_and_b32 s0, s0, exec_lo
	s_or_b32 s43, s44, s43
                                        ; implicit-def: $vgpr1
                                        ; implicit-def: $vgpr52
                                        ; implicit-def: $vgpr2_vgpr3
.LBB51_5481:
	s_and_not1_saveexec_b32 s40, s40
	s_cbranch_execz .LBB51_5523
; %bb.5482:
	s_mov_b32 s44, exec_lo
	v_cmpx_lt_i16_e32 4, v1
	s_xor_b32 s44, exec_lo, s44
	s_cbranch_execz .LBB51_5504
; %bb.5483:
	s_mov_b32 s45, exec_lo
	v_cmpx_lt_i16_e32 7, v1
	s_xor_b32 s45, exec_lo, s45
	;; [unrolled: 5-line block ×4, first 2 shown]
	s_cbranch_execz .LBB51_5487
; %bb.5486:
	v_cvt_f64_f32_e32 v[4:5], v52
	v_mov_b32_e32 v6, 0
                                        ; implicit-def: $vgpr52
	s_delay_alu instid0(VALU_DEP_1)
	v_mov_b32_e32 v7, v6
	flat_store_b128 v[2:3], v[4:7]
                                        ; implicit-def: $vgpr2_vgpr3
.LBB51_5487:
	s_wait_xcnt 0x0
	s_and_not1_saveexec_b32 s47, s47
	s_cbranch_execz .LBB51_5489
; %bb.5488:
	v_mov_b32_e32 v53, 0
	flat_store_b64 v[2:3], v[52:53]
.LBB51_5489:
	s_wait_xcnt 0x0
	s_or_b32 exec_lo, exec_lo, s47
                                        ; implicit-def: $vgpr52
                                        ; implicit-def: $vgpr2_vgpr3
.LBB51_5490:
	s_and_not1_saveexec_b32 s46, s46
	s_cbranch_execz .LBB51_5492
; %bb.5491:
	v_cvt_f16_f32_e32 v1, v52
	s_delay_alu instid0(VALU_DEP_1)
	v_and_b32_e32 v1, 0xffff, v1
	flat_store_b32 v[2:3], v1
.LBB51_5492:
	s_wait_xcnt 0x0
	s_or_b32 exec_lo, exec_lo, s46
                                        ; implicit-def: $vgpr52
                                        ; implicit-def: $vgpr2_vgpr3
                                        ; implicit-def: $vgpr1
.LBB51_5493:
	s_and_not1_saveexec_b32 s45, s45
	s_cbranch_execz .LBB51_5503
; %bb.5494:
	s_mov_b32 s46, exec_lo
	v_cmpx_lt_i16_e32 5, v1
	s_xor_b32 s46, exec_lo, s46
	s_cbranch_execz .LBB51_5500
; %bb.5495:
	s_mov_b32 s47, exec_lo
	v_cmpx_lt_i16_e32 6, v1
	s_xor_b32 s47, exec_lo, s47
	s_cbranch_execz .LBB51_5497
; %bb.5496:
	v_cvt_f64_f32_e32 v[4:5], v52
                                        ; implicit-def: $vgpr52
	flat_store_b64 v[2:3], v[4:5]
                                        ; implicit-def: $vgpr2_vgpr3
.LBB51_5497:
	s_wait_xcnt 0x0
	s_and_not1_saveexec_b32 s47, s47
	s_cbranch_execz .LBB51_5499
; %bb.5498:
	flat_store_b32 v[2:3], v52
.LBB51_5499:
	s_wait_xcnt 0x0
	s_or_b32 exec_lo, exec_lo, s47
                                        ; implicit-def: $vgpr52
                                        ; implicit-def: $vgpr2_vgpr3
.LBB51_5500:
	s_and_not1_saveexec_b32 s46, s46
	s_cbranch_execz .LBB51_5502
; %bb.5501:
	v_cvt_f16_f32_e32 v1, v52
	flat_store_b16 v[2:3], v1
.LBB51_5502:
	s_wait_xcnt 0x0
	s_or_b32 exec_lo, exec_lo, s46
.LBB51_5503:
	s_delay_alu instid0(SALU_CYCLE_1)
	s_or_b32 exec_lo, exec_lo, s45
                                        ; implicit-def: $vgpr1
                                        ; implicit-def: $vgpr52
                                        ; implicit-def: $vgpr2_vgpr3
.LBB51_5504:
	s_and_not1_saveexec_b32 s44, s44
	s_cbranch_execz .LBB51_5522
; %bb.5505:
	s_mov_b32 s45, exec_lo
	v_cmpx_lt_i16_e32 1, v1
	s_xor_b32 s45, exec_lo, s45
	s_cbranch_execz .LBB51_5515
; %bb.5506:
	s_mov_b32 s46, exec_lo
	v_cmpx_lt_i16_e32 2, v1
	s_xor_b32 s46, exec_lo, s46
	;; [unrolled: 5-line block ×3, first 2 shown]
	s_cbranch_execz .LBB51_5509
; %bb.5508:
	v_trunc_f32_e32 v1, v52
                                        ; implicit-def: $vgpr52
	s_delay_alu instid0(VALU_DEP_1) | instskip(NEXT) | instid1(VALU_DEP_1)
	v_mul_f32_e64 v4, 0x2f800000, |v1|
	v_floor_f32_e32 v5, v4
	v_ashrrev_i32_e32 v4, 31, v1
	s_delay_alu instid0(VALU_DEP_2) | instskip(SKIP_1) | instid1(VALU_DEP_3)
	v_fma_f32 v6, 0xcf800000, v5, |v1|
	v_cvt_u32_f32_e32 v1, v5
	v_mov_b32_e32 v5, v4
	s_delay_alu instid0(VALU_DEP_3) | instskip(NEXT) | instid1(VALU_DEP_3)
	v_cvt_u32_f32_e32 v6, v6
	v_xor_b32_e32 v7, v1, v4
	s_delay_alu instid0(VALU_DEP_2) | instskip(NEXT) | instid1(VALU_DEP_1)
	v_xor_b32_e32 v6, v6, v4
	v_sub_nc_u64_e32 v[4:5], v[6:7], v[4:5]
	flat_store_b64 v[2:3], v[4:5]
                                        ; implicit-def: $vgpr2_vgpr3
.LBB51_5509:
	s_wait_xcnt 0x0
	s_and_not1_saveexec_b32 s47, s47
	s_cbranch_execz .LBB51_5511
; %bb.5510:
	v_cvt_i32_f32_e32 v1, v52
	flat_store_b32 v[2:3], v1
.LBB51_5511:
	s_wait_xcnt 0x0
	s_or_b32 exec_lo, exec_lo, s47
                                        ; implicit-def: $vgpr52
                                        ; implicit-def: $vgpr2_vgpr3
.LBB51_5512:
	s_and_not1_saveexec_b32 s46, s46
	s_cbranch_execz .LBB51_5514
; %bb.5513:
	v_cvt_i32_f32_e32 v1, v52
	flat_store_b16 v[2:3], v1
.LBB51_5514:
	s_wait_xcnt 0x0
	s_or_b32 exec_lo, exec_lo, s46
                                        ; implicit-def: $vgpr52
                                        ; implicit-def: $vgpr2_vgpr3
                                        ; implicit-def: $vgpr1
.LBB51_5515:
	s_and_not1_saveexec_b32 s45, s45
	s_cbranch_execz .LBB51_5521
; %bb.5516:
	s_mov_b32 s46, exec_lo
	v_cmpx_lt_i16_e32 0, v1
	s_xor_b32 s46, exec_lo, s46
	s_cbranch_execz .LBB51_5518
; %bb.5517:
	v_cvt_i32_f32_e32 v1, v52
                                        ; implicit-def: $vgpr52
	flat_store_b8 v[2:3], v1
                                        ; implicit-def: $vgpr2_vgpr3
.LBB51_5518:
	s_wait_xcnt 0x0
	s_and_not1_saveexec_b32 s46, s46
	s_cbranch_execz .LBB51_5520
; %bb.5519:
	v_trunc_f32_e32 v1, v52
	s_delay_alu instid0(VALU_DEP_1) | instskip(NEXT) | instid1(VALU_DEP_1)
	v_mul_f32_e64 v4, 0x2f800000, |v1|
	v_floor_f32_e32 v4, v4
	s_delay_alu instid0(VALU_DEP_1) | instskip(SKIP_1) | instid1(VALU_DEP_2)
	v_fma_f32 v4, 0xcf800000, v4, |v1|
	v_ashrrev_i32_e32 v1, 31, v1
	v_cvt_u32_f32_e32 v4, v4
	s_delay_alu instid0(VALU_DEP_1) | instskip(NEXT) | instid1(VALU_DEP_1)
	v_xor_b32_e32 v4, v4, v1
	v_sub_nc_u32_e32 v1, v4, v1
	flat_store_b8 v[2:3], v1
.LBB51_5520:
	s_wait_xcnt 0x0
	s_or_b32 exec_lo, exec_lo, s46
.LBB51_5521:
	s_delay_alu instid0(SALU_CYCLE_1)
	s_or_b32 exec_lo, exec_lo, s45
.LBB51_5522:
	s_delay_alu instid0(SALU_CYCLE_1) | instskip(NEXT) | instid1(SALU_CYCLE_1)
	s_or_b32 exec_lo, exec_lo, s44
	s_or_b32 s0, s0, exec_lo
.LBB51_5523:
	s_or_b32 exec_lo, exec_lo, s40
	s_mov_b32 s44, 0
	s_mov_b32 s40, 0
	s_and_saveexec_b32 s45, s0
; %bb.5524:
	v_add_nc_u32_e32 v103, 0x200, v103
	s_mov_b32 s44, exec_lo
	s_delay_alu instid0(VALU_DEP_1)
	v_cmp_lt_i32_e32 vcc_lo, v103, v8
	s_and_b32 s40, vcc_lo, exec_lo
; %bb.5525:
	s_or_b32 exec_lo, exec_lo, s45
	s_delay_alu instid0(SALU_CYCLE_1)
	s_and_not1_b32 s45, s28, exec_lo
	s_and_b32 s43, s43, exec_lo
	s_and_b32 s0, s40, exec_lo
	s_or_b32 s40, s45, s43
	s_or_not1_b32 s44, s44, exec_lo
.LBB51_5526:
	s_or_b32 exec_lo, exec_lo, s41
	s_mov_b32 s43, 0
	s_mov_b32 s45, 0
                                        ; implicit-def: $vgpr4
                                        ; implicit-def: $vgpr2_vgpr3
	s_and_saveexec_b32 s41, s44
	s_cbranch_execz .LBB51_7818
; %bb.5527:
	s_mov_b32 s46, -1
	s_mov_b32 s44, 0
	s_mov_b32 s42, s40
	;; [unrolled: 1-line block ×3, first 2 shown]
	s_and_saveexec_b32 s43, s0
	s_cbranch_execz .LBB51_5655
; %bb.5528:
	v_dual_add_nc_u32 v1, s3, v103 :: v_dual_mov_b32 v3, 0
	s_mov_b32 s0, 0
	s_mov_b32 s45, s40
	s_mov_b32 s42, exec_lo
	s_delay_alu instid0(VALU_DEP_1) | instskip(SKIP_1) | instid1(VALU_DEP_2)
	v_mul_lo_u32 v2, v1, v14
	v_and_b32_e32 v1, 0xff, v13
	v_add_nc_u64_e32 v[2:3], v[114:115], v[2:3]
	s_delay_alu instid0(VALU_DEP_2)
	v_cmpx_lt_i16_e32 10, v1
	s_xor_b32 s42, exec_lo, s42
	s_cbranch_execz .LBB51_5610
; %bb.5529:
	s_mov_b32 s45, s40
	s_mov_b32 s46, exec_lo
	v_cmpx_lt_i16_e32 25, v1
	s_xor_b32 s46, exec_lo, s46
	s_cbranch_execz .LBB51_5565
; %bb.5530:
	s_mov_b32 s47, s40
	s_mov_b32 s45, exec_lo
	;; [unrolled: 6-line block ×3, first 2 shown]
	v_cmpx_lt_i16_e32 43, v1
	s_xor_b32 s47, exec_lo, s47
	s_cbranch_execz .LBB51_5543
; %bb.5532:
	s_mov_b32 s56, 0
	s_mov_b32 s57, s40
	s_mov_b32 s0, exec_lo
	v_cmpx_lt_i16_e32 45, v1
	s_xor_b32 s0, exec_lo, s0
	s_cbranch_execz .LBB51_5536
; %bb.5533:
	s_mov_b32 s58, -1
	s_mov_b32 s57, exec_lo
	v_cmpx_eq_u16_e32 46, v1
	s_cbranch_execz .LBB51_5535
; %bb.5534:
	v_bfe_u32 v1, v50, 16, 1
	v_cmp_o_f32_e32 vcc_lo, v50, v50
	s_mov_b32 s56, exec_lo
	s_xor_b32 s58, exec_lo, -1
	s_delay_alu instid0(VALU_DEP_2) | instskip(NEXT) | instid1(VALU_DEP_1)
	v_add3_u32 v1, v50, v1, 0x7fff
	v_lshrrev_b32_e32 v1, 16, v1
	s_delay_alu instid0(VALU_DEP_1)
	v_cndmask_b32_e32 v1, 0x7fc0, v1, vcc_lo
	flat_store_b32 v[2:3], v1
.LBB51_5535:
	s_wait_xcnt 0x0
	s_or_b32 exec_lo, exec_lo, s57
	s_delay_alu instid0(SALU_CYCLE_1)
	s_and_not1_b32 s57, s40, exec_lo
	s_and_b32 s58, s58, exec_lo
	s_and_b32 s56, s56, exec_lo
	s_or_b32 s57, s57, s58
                                        ; implicit-def: $vgpr1
                                        ; implicit-def: $vgpr2_vgpr3
                                        ; implicit-def: $vgpr50
.LBB51_5536:
	s_and_not1_saveexec_b32 s58, s0
	s_cbranch_execz .LBB51_5542
; %bb.5537:
	s_mov_b32 s60, -1
	s_mov_b32 s0, s56
	s_mov_b32 s59, exec_lo
	v_cmpx_eq_u16_e32 44, v1
	s_cbranch_execz .LBB51_5541
; %bb.5538:
	v_bfe_u32 v4, v50, 23, 8
	v_mov_b32_e32 v1, 0xff
	s_mov_b32 s60, exec_lo
	s_delay_alu instid0(VALU_DEP_2)
	v_cmpx_ne_u32_e32 0xff, v4
	s_cbranch_execz .LBB51_5540
; %bb.5539:
	v_and_b32_e32 v1, 0x400000, v50
	v_and_or_b32 v4, 0x3fffff, v50, v4
	s_delay_alu instid0(VALU_DEP_2) | instskip(NEXT) | instid1(VALU_DEP_2)
	v_cmp_ne_u32_e32 vcc_lo, 0, v1
	v_cmp_ne_u32_e64 s0, 0, v4
	v_lshrrev_b32_e32 v1, 23, v50
	s_and_b32 s0, vcc_lo, s0
	s_delay_alu instid0(SALU_CYCLE_1) | instskip(NEXT) | instid1(VALU_DEP_1)
	v_cndmask_b32_e64 v4, 0, 1, s0
	v_add_nc_u32_e32 v1, v1, v4
.LBB51_5540:
	s_or_b32 exec_lo, exec_lo, s60
	s_delay_alu instid0(SALU_CYCLE_1)
	s_xor_b32 s60, exec_lo, -1
	s_or_b32 s0, s56, exec_lo
	flat_store_b8 v[2:3], v1
.LBB51_5541:
	s_wait_xcnt 0x0
	s_or_b32 exec_lo, exec_lo, s59
	s_delay_alu instid0(SALU_CYCLE_1)
	s_and_not1_b32 s57, s57, exec_lo
	s_and_b32 s59, s60, exec_lo
	s_and_not1_b32 s56, s56, exec_lo
	s_and_b32 s0, s0, exec_lo
	s_or_b32 s57, s57, s59
	s_or_b32 s56, s56, s0
.LBB51_5542:
	s_or_b32 exec_lo, exec_lo, s58
	s_delay_alu instid0(SALU_CYCLE_1) | instskip(SKIP_1) | instid1(SALU_CYCLE_1)
	s_and_not1_b32 s0, s40, exec_lo
	s_and_b32 s57, s57, exec_lo
                                        ; implicit-def: $vgpr1
                                        ; implicit-def: $vgpr50
                                        ; implicit-def: $vgpr2_vgpr3
	s_or_b32 s57, s0, s57
	s_and_b32 s0, s56, exec_lo
.LBB51_5543:
	s_and_not1_saveexec_b32 s47, s47
	s_cbranch_execz .LBB51_5547
; %bb.5544:
	s_mov_b32 s59, -1
	s_mov_b32 s58, s0
	s_mov_b32 s56, exec_lo
	v_cmpx_eq_u16_e32 29, v1
	s_cbranch_execz .LBB51_5546
; %bb.5545:
	v_trunc_f32_e32 v1, v50
	s_xor_b32 s59, exec_lo, -1
	s_or_b32 s58, s0, exec_lo
	s_delay_alu instid0(VALU_DEP_1) | instskip(NEXT) | instid1(VALU_DEP_1)
	v_mul_f32_e32 v4, 0x2f800000, v1
	v_floor_f32_e32 v4, v4
	s_delay_alu instid0(VALU_DEP_1) | instskip(SKIP_1) | instid1(VALU_DEP_2)
	v_fmamk_f32 v1, v4, 0xcf800000, v1
	v_cvt_u32_f32_e32 v5, v4
	v_cvt_u32_f32_e32 v4, v1
	flat_store_b64 v[2:3], v[4:5]
.LBB51_5546:
	s_wait_xcnt 0x0
	s_or_b32 exec_lo, exec_lo, s56
	s_delay_alu instid0(SALU_CYCLE_1)
	s_and_not1_b32 s56, s57, exec_lo
	s_and_b32 s57, s59, exec_lo
	s_and_not1_b32 s0, s0, exec_lo
	s_and_b32 s58, s58, exec_lo
	s_or_b32 s57, s56, s57
	s_or_b32 s0, s0, s58
.LBB51_5547:
	s_or_b32 exec_lo, exec_lo, s47
	s_delay_alu instid0(SALU_CYCLE_1)
	s_and_not1_b32 s47, s40, exec_lo
	s_and_b32 s56, s57, exec_lo
	s_and_b32 s0, s0, exec_lo
	s_or_b32 s47, s47, s56
                                        ; implicit-def: $vgpr2_vgpr3
                                        ; implicit-def: $vgpr1
                                        ; implicit-def: $vgpr50
.LBB51_5548:
	s_and_not1_saveexec_b32 s45, s45
	s_cbranch_execz .LBB51_5564
; %bb.5549:
	s_mov_b32 s56, exec_lo
	v_cmpx_lt_i16_e32 26, v1
	s_xor_b32 s56, exec_lo, s56
	s_cbranch_execz .LBB51_5555
; %bb.5550:
	v_cmp_lt_i16_e32 vcc_lo, 27, v1
	v_cvt_u32_f32_e32 v1, v50
	s_and_saveexec_b32 s57, vcc_lo
	s_delay_alu instid0(SALU_CYCLE_1)
	s_xor_b32 s57, exec_lo, s57
	s_cbranch_execz .LBB51_5552
; %bb.5551:
	flat_store_b32 v[2:3], v1
                                        ; implicit-def: $vgpr2_vgpr3
                                        ; implicit-def: $vgpr1
.LBB51_5552:
	s_wait_xcnt 0x0
	s_and_not1_saveexec_b32 s57, s57
	s_cbranch_execz .LBB51_5554
; %bb.5553:
	flat_store_b16 v[2:3], v1
.LBB51_5554:
	s_wait_xcnt 0x0
	s_or_b32 exec_lo, exec_lo, s57
                                        ; implicit-def: $vgpr2_vgpr3
                                        ; implicit-def: $vgpr50
.LBB51_5555:
	s_and_not1_saveexec_b32 s56, s56
	s_cbranch_execz .LBB51_5563
; %bb.5556:
	v_and_b32_e32 v1, 0x7fffffff, v50
	v_mov_b32_e32 v4, 0x80
	s_mov_b32 s57, exec_lo
	s_delay_alu instid0(VALU_DEP_2)
	v_cmpx_gt_u32_e32 0x43800000, v1
	s_cbranch_execz .LBB51_5562
; %bb.5557:
	v_cmp_lt_u32_e32 vcc_lo, 0x3bffffff, v1
	s_mov_b32 s58, 0
                                        ; implicit-def: $vgpr1
	s_and_saveexec_b32 s59, vcc_lo
	s_delay_alu instid0(SALU_CYCLE_1)
	s_xor_b32 s59, exec_lo, s59
	s_cbranch_execnz .LBB51_7935
; %bb.5558:
	s_and_not1_saveexec_b32 s59, s59
	s_cbranch_execnz .LBB51_7936
.LBB51_5559:
	s_or_b32 exec_lo, exec_lo, s59
	v_mov_b32_e32 v4, 0
	s_and_saveexec_b32 s59, s58
.LBB51_5560:
	v_lshrrev_b32_e32 v4, 24, v50
	s_delay_alu instid0(VALU_DEP_1)
	v_and_or_b32 v4, 0x80, v4, v1
.LBB51_5561:
	s_or_b32 exec_lo, exec_lo, s59
.LBB51_5562:
	s_delay_alu instid0(SALU_CYCLE_1)
	s_or_b32 exec_lo, exec_lo, s57
	flat_store_b8 v[2:3], v4
.LBB51_5563:
	s_wait_xcnt 0x0
	s_or_b32 exec_lo, exec_lo, s56
	s_delay_alu instid0(SALU_CYCLE_1)
	s_or_b32 s0, s0, exec_lo
.LBB51_5564:
	s_or_b32 exec_lo, exec_lo, s45
	s_delay_alu instid0(SALU_CYCLE_1)
	s_and_not1_b32 s45, s40, exec_lo
	s_and_b32 s47, s47, exec_lo
	s_and_b32 s0, s0, exec_lo
	s_or_b32 s45, s45, s47
                                        ; implicit-def: $vgpr1
                                        ; implicit-def: $vgpr50
                                        ; implicit-def: $vgpr2_vgpr3
.LBB51_5565:
	s_and_not1_saveexec_b32 s46, s46
	s_cbranch_execz .LBB51_5609
; %bb.5566:
	s_mov_b32 s56, s0
	s_mov_b32 s47, exec_lo
	v_cmpx_lt_i16_e32 22, v1
	s_xor_b32 s47, exec_lo, s47
	s_cbranch_execz .LBB51_5598
; %bb.5567:
	s_mov_b32 s56, exec_lo
	v_cmpx_lt_i16_e32 23, v1
	s_xor_b32 s56, exec_lo, s56
	s_cbranch_execz .LBB51_5587
; %bb.5568:
	;; [unrolled: 5-line block ×3, first 2 shown]
	v_and_b32_e32 v1, 0x7fffffff, v50
	v_mov_b32_e32 v4, 0x80
	s_mov_b32 s58, exec_lo
	s_delay_alu instid0(VALU_DEP_2)
	v_cmpx_gt_u32_e32 0x47800000, v1
	s_cbranch_execz .LBB51_5575
; %bb.5570:
	v_cmp_lt_u32_e32 vcc_lo, 0x37ffffff, v1
	s_mov_b32 s59, 0
                                        ; implicit-def: $vgpr1
	s_and_saveexec_b32 s60, vcc_lo
	s_delay_alu instid0(SALU_CYCLE_1)
	s_xor_b32 s60, exec_lo, s60
	s_cbranch_execnz .LBB51_7937
; %bb.5571:
	s_and_not1_saveexec_b32 s60, s60
	s_cbranch_execnz .LBB51_7938
.LBB51_5572:
	s_or_b32 exec_lo, exec_lo, s60
	v_mov_b32_e32 v4, 0
	s_and_saveexec_b32 s60, s59
.LBB51_5573:
	v_lshrrev_b32_e32 v4, 24, v50
	s_delay_alu instid0(VALU_DEP_1)
	v_and_or_b32 v4, 0x80, v4, v1
.LBB51_5574:
	s_or_b32 exec_lo, exec_lo, s60
.LBB51_5575:
	s_delay_alu instid0(SALU_CYCLE_1)
	s_or_b32 exec_lo, exec_lo, s58
	flat_store_b8 v[2:3], v4
                                        ; implicit-def: $vgpr50
                                        ; implicit-def: $vgpr2_vgpr3
.LBB51_5576:
	s_wait_xcnt 0x0
	s_and_not1_saveexec_b32 s57, s57
	s_cbranch_execz .LBB51_5586
; %bb.5577:
	v_and_b32_e32 v4, 0x7fffffff, v50
	s_mov_b32 s58, exec_lo
                                        ; implicit-def: $vgpr1
	s_delay_alu instid0(VALU_DEP_1)
	v_cmpx_gt_u32_e32 0x43f00000, v4
	s_xor_b32 s58, exec_lo, s58
	s_cbranch_execz .LBB51_5583
; %bb.5578:
	s_mov_b32 s59, exec_lo
                                        ; implicit-def: $vgpr1
	v_cmpx_lt_u32_e32 0x3c7fffff, v4
	s_xor_b32 s59, exec_lo, s59
; %bb.5579:
	v_bfe_u32 v1, v50, 20, 1
	s_delay_alu instid0(VALU_DEP_1) | instskip(NEXT) | instid1(VALU_DEP_1)
	v_add3_u32 v1, v50, v1, 0x407ffff
	v_and_b32_e32 v4, 0xff00000, v1
	v_lshrrev_b32_e32 v1, 20, v1
	s_delay_alu instid0(VALU_DEP_2) | instskip(NEXT) | instid1(VALU_DEP_2)
	v_cmp_ne_u32_e32 vcc_lo, 0x7f00000, v4
	v_cndmask_b32_e32 v1, 0x7e, v1, vcc_lo
; %bb.5580:
	s_and_not1_saveexec_b32 s59, s59
; %bb.5581:
	v_add_f32_e64 v1, 0x46800000, |v50|
; %bb.5582:
	s_or_b32 exec_lo, exec_lo, s59
                                        ; implicit-def: $vgpr4
.LBB51_5583:
	s_and_not1_saveexec_b32 s58, s58
; %bb.5584:
	v_mov_b32_e32 v1, 0x7f
	v_cmp_lt_u32_e32 vcc_lo, 0x7f800000, v4
	s_delay_alu instid0(VALU_DEP_2)
	v_cndmask_b32_e32 v1, 0x7e, v1, vcc_lo
; %bb.5585:
	s_or_b32 exec_lo, exec_lo, s58
	v_lshrrev_b32_e32 v4, 24, v50
	s_delay_alu instid0(VALU_DEP_1)
	v_and_or_b32 v1, 0x80, v4, v1
	flat_store_b8 v[2:3], v1
.LBB51_5586:
	s_wait_xcnt 0x0
	s_or_b32 exec_lo, exec_lo, s57
                                        ; implicit-def: $vgpr50
                                        ; implicit-def: $vgpr2_vgpr3
.LBB51_5587:
	s_and_not1_saveexec_b32 s56, s56
	s_cbranch_execz .LBB51_5597
; %bb.5588:
	v_and_b32_e32 v4, 0x7fffffff, v50
	s_mov_b32 s57, exec_lo
                                        ; implicit-def: $vgpr1
	s_delay_alu instid0(VALU_DEP_1)
	v_cmpx_gt_u32_e32 0x47800000, v4
	s_xor_b32 s57, exec_lo, s57
	s_cbranch_execz .LBB51_5594
; %bb.5589:
	s_mov_b32 s58, exec_lo
                                        ; implicit-def: $vgpr1
	v_cmpx_lt_u32_e32 0x387fffff, v4
	s_xor_b32 s58, exec_lo, s58
; %bb.5590:
	v_bfe_u32 v1, v50, 21, 1
	s_delay_alu instid0(VALU_DEP_1) | instskip(NEXT) | instid1(VALU_DEP_1)
	v_add3_u32 v1, v50, v1, 0x80fffff
	v_lshrrev_b32_e32 v1, 21, v1
; %bb.5591:
	s_and_not1_saveexec_b32 s58, s58
; %bb.5592:
	v_add_f32_e64 v1, 0x43000000, |v50|
; %bb.5593:
	s_or_b32 exec_lo, exec_lo, s58
                                        ; implicit-def: $vgpr4
.LBB51_5594:
	s_and_not1_saveexec_b32 s57, s57
; %bb.5595:
	v_mov_b32_e32 v1, 0x7f
	v_cmp_lt_u32_e32 vcc_lo, 0x7f800000, v4
	s_delay_alu instid0(VALU_DEP_2)
	v_cndmask_b32_e32 v1, 0x7c, v1, vcc_lo
; %bb.5596:
	s_or_b32 exec_lo, exec_lo, s57
	v_lshrrev_b32_e32 v4, 24, v50
	s_delay_alu instid0(VALU_DEP_1)
	v_and_or_b32 v1, 0x80, v4, v1
	flat_store_b8 v[2:3], v1
.LBB51_5597:
	s_wait_xcnt 0x0
	s_or_b32 exec_lo, exec_lo, s56
	s_delay_alu instid0(SALU_CYCLE_1)
	s_or_b32 s56, s0, exec_lo
                                        ; implicit-def: $vgpr1
                                        ; implicit-def: $vgpr50
                                        ; implicit-def: $vgpr2_vgpr3
.LBB51_5598:
	s_or_saveexec_b32 s47, s47
	s_mov_b32 s57, s45
	s_xor_b32 exec_lo, exec_lo, s47
	s_cbranch_execz .LBB51_5608
; %bb.5599:
	s_mov_b32 s57, s56
	s_mov_b32 s58, s45
	s_mov_b32 s59, exec_lo
	v_cmpx_lt_i16_e32 14, v1
	s_xor_b32 s59, exec_lo, s59
	s_cbranch_execz .LBB51_5603
; %bb.5600:
	s_mov_b32 s60, -1
	s_mov_b32 s57, s56
	s_mov_b32 s58, exec_lo
	v_cmpx_eq_u16_e32 15, v1
	s_cbranch_execz .LBB51_5602
; %bb.5601:
	v_bfe_u32 v1, v50, 16, 1
	v_cmp_o_f32_e32 vcc_lo, v50, v50
	s_xor_b32 s60, exec_lo, -1
	s_or_b32 s57, s56, exec_lo
	s_delay_alu instid0(VALU_DEP_2) | instskip(NEXT) | instid1(VALU_DEP_1)
	v_add3_u32 v1, v50, v1, 0x7fff
	v_lshrrev_b32_e32 v1, 16, v1
	s_delay_alu instid0(VALU_DEP_1)
	v_cndmask_b32_e32 v1, 0x7fc0, v1, vcc_lo
	flat_store_b16 v[2:3], v1
.LBB51_5602:
	s_wait_xcnt 0x0
	s_or_b32 exec_lo, exec_lo, s58
	s_delay_alu instid0(SALU_CYCLE_1)
	s_and_not1_b32 s58, s45, exec_lo
	s_and_b32 s60, s60, exec_lo
	s_and_not1_b32 s61, s56, exec_lo
	s_and_b32 s57, s57, exec_lo
	s_or_b32 s58, s58, s60
	s_or_b32 s57, s61, s57
                                        ; implicit-def: $vgpr1
                                        ; implicit-def: $vgpr50
                                        ; implicit-def: $vgpr2_vgpr3
.LBB51_5603:
	s_and_not1_saveexec_b32 s59, s59
	s_cbranch_execz .LBB51_5607
; %bb.5604:
	s_mov_b32 s61, -1
	s_mov_b32 s60, s57
	s_mov_b32 s62, exec_lo
	v_cmpx_eq_u16_e32 11, v1
	s_cbranch_execz .LBB51_5606
; %bb.5605:
	v_cmp_neq_f32_e32 vcc_lo, 0, v50
	s_xor_b32 s61, exec_lo, -1
	s_or_b32 s60, s57, exec_lo
	v_cndmask_b32_e64 v1, 0, 1, vcc_lo
	flat_store_b8 v[2:3], v1
.LBB51_5606:
	s_wait_xcnt 0x0
	s_or_b32 exec_lo, exec_lo, s62
	s_delay_alu instid0(SALU_CYCLE_1)
	s_and_not1_b32 s58, s58, exec_lo
	s_and_b32 s61, s61, exec_lo
	s_and_not1_b32 s57, s57, exec_lo
	s_and_b32 s60, s60, exec_lo
	s_or_b32 s58, s58, s61
	s_or_b32 s57, s57, s60
.LBB51_5607:
	s_or_b32 exec_lo, exec_lo, s59
	s_delay_alu instid0(SALU_CYCLE_1)
	s_and_not1_b32 s59, s45, exec_lo
	s_and_b32 s58, s58, exec_lo
	s_and_not1_b32 s56, s56, exec_lo
	s_and_b32 s60, s57, exec_lo
	s_or_b32 s57, s59, s58
	s_or_b32 s56, s56, s60
.LBB51_5608:
	s_or_b32 exec_lo, exec_lo, s47
	s_delay_alu instid0(SALU_CYCLE_1)
	s_and_not1_b32 s45, s45, exec_lo
	s_and_b32 s47, s57, exec_lo
	s_and_not1_b32 s0, s0, exec_lo
	s_and_b32 s56, s56, exec_lo
	s_or_b32 s45, s45, s47
	s_or_b32 s0, s0, s56
.LBB51_5609:
	s_or_b32 exec_lo, exec_lo, s46
	s_delay_alu instid0(SALU_CYCLE_1)
	s_and_not1_b32 s46, s40, exec_lo
	s_and_b32 s45, s45, exec_lo
	s_and_b32 s0, s0, exec_lo
	s_or_b32 s45, s46, s45
                                        ; implicit-def: $vgpr1
                                        ; implicit-def: $vgpr50
                                        ; implicit-def: $vgpr2_vgpr3
.LBB51_5610:
	s_and_not1_saveexec_b32 s42, s42
	s_cbranch_execz .LBB51_5652
; %bb.5611:
	s_mov_b32 s46, exec_lo
	v_cmpx_lt_i16_e32 4, v1
	s_xor_b32 s46, exec_lo, s46
	s_cbranch_execz .LBB51_5633
; %bb.5612:
	s_mov_b32 s47, exec_lo
	v_cmpx_lt_i16_e32 7, v1
	s_xor_b32 s47, exec_lo, s47
	;; [unrolled: 5-line block ×4, first 2 shown]
	s_cbranch_execz .LBB51_5616
; %bb.5615:
	v_cvt_f64_f32_e32 v[4:5], v50
	v_mov_b32_e32 v6, 0
                                        ; implicit-def: $vgpr50
	s_delay_alu instid0(VALU_DEP_1)
	v_mov_b32_e32 v7, v6
	flat_store_b128 v[2:3], v[4:7]
                                        ; implicit-def: $vgpr2_vgpr3
.LBB51_5616:
	s_wait_xcnt 0x0
	s_and_not1_saveexec_b32 s57, s57
	s_cbranch_execz .LBB51_5618
; %bb.5617:
	v_mov_b32_e32 v51, 0
	flat_store_b64 v[2:3], v[50:51]
.LBB51_5618:
	s_wait_xcnt 0x0
	s_or_b32 exec_lo, exec_lo, s57
                                        ; implicit-def: $vgpr50
                                        ; implicit-def: $vgpr2_vgpr3
.LBB51_5619:
	s_and_not1_saveexec_b32 s56, s56
	s_cbranch_execz .LBB51_5621
; %bb.5620:
	v_cvt_f16_f32_e32 v1, v50
	s_delay_alu instid0(VALU_DEP_1)
	v_and_b32_e32 v1, 0xffff, v1
	flat_store_b32 v[2:3], v1
.LBB51_5621:
	s_wait_xcnt 0x0
	s_or_b32 exec_lo, exec_lo, s56
                                        ; implicit-def: $vgpr50
                                        ; implicit-def: $vgpr2_vgpr3
                                        ; implicit-def: $vgpr1
.LBB51_5622:
	s_and_not1_saveexec_b32 s47, s47
	s_cbranch_execz .LBB51_5632
; %bb.5623:
	s_mov_b32 s56, exec_lo
	v_cmpx_lt_i16_e32 5, v1
	s_xor_b32 s56, exec_lo, s56
	s_cbranch_execz .LBB51_5629
; %bb.5624:
	s_mov_b32 s57, exec_lo
	v_cmpx_lt_i16_e32 6, v1
	s_xor_b32 s57, exec_lo, s57
	s_cbranch_execz .LBB51_5626
; %bb.5625:
	v_cvt_f64_f32_e32 v[4:5], v50
                                        ; implicit-def: $vgpr50
	flat_store_b64 v[2:3], v[4:5]
                                        ; implicit-def: $vgpr2_vgpr3
.LBB51_5626:
	s_wait_xcnt 0x0
	s_and_not1_saveexec_b32 s57, s57
	s_cbranch_execz .LBB51_5628
; %bb.5627:
	flat_store_b32 v[2:3], v50
.LBB51_5628:
	s_wait_xcnt 0x0
	s_or_b32 exec_lo, exec_lo, s57
                                        ; implicit-def: $vgpr50
                                        ; implicit-def: $vgpr2_vgpr3
.LBB51_5629:
	s_and_not1_saveexec_b32 s56, s56
	s_cbranch_execz .LBB51_5631
; %bb.5630:
	v_cvt_f16_f32_e32 v1, v50
	flat_store_b16 v[2:3], v1
.LBB51_5631:
	s_wait_xcnt 0x0
	s_or_b32 exec_lo, exec_lo, s56
.LBB51_5632:
	s_delay_alu instid0(SALU_CYCLE_1)
	s_or_b32 exec_lo, exec_lo, s47
                                        ; implicit-def: $vgpr1
                                        ; implicit-def: $vgpr50
                                        ; implicit-def: $vgpr2_vgpr3
.LBB51_5633:
	s_and_not1_saveexec_b32 s46, s46
	s_cbranch_execz .LBB51_5651
; %bb.5634:
	s_mov_b32 s47, exec_lo
	v_cmpx_lt_i16_e32 1, v1
	s_xor_b32 s47, exec_lo, s47
	s_cbranch_execz .LBB51_5644
; %bb.5635:
	s_mov_b32 s56, exec_lo
	v_cmpx_lt_i16_e32 2, v1
	s_xor_b32 s56, exec_lo, s56
	;; [unrolled: 5-line block ×3, first 2 shown]
	s_cbranch_execz .LBB51_5638
; %bb.5637:
	v_trunc_f32_e32 v1, v50
                                        ; implicit-def: $vgpr50
	s_delay_alu instid0(VALU_DEP_1) | instskip(NEXT) | instid1(VALU_DEP_1)
	v_mul_f32_e64 v4, 0x2f800000, |v1|
	v_floor_f32_e32 v5, v4
	v_ashrrev_i32_e32 v4, 31, v1
	s_delay_alu instid0(VALU_DEP_2) | instskip(SKIP_1) | instid1(VALU_DEP_3)
	v_fma_f32 v6, 0xcf800000, v5, |v1|
	v_cvt_u32_f32_e32 v1, v5
	v_mov_b32_e32 v5, v4
	s_delay_alu instid0(VALU_DEP_3) | instskip(NEXT) | instid1(VALU_DEP_3)
	v_cvt_u32_f32_e32 v6, v6
	v_xor_b32_e32 v7, v1, v4
	s_delay_alu instid0(VALU_DEP_2) | instskip(NEXT) | instid1(VALU_DEP_1)
	v_xor_b32_e32 v6, v6, v4
	v_sub_nc_u64_e32 v[4:5], v[6:7], v[4:5]
	flat_store_b64 v[2:3], v[4:5]
                                        ; implicit-def: $vgpr2_vgpr3
.LBB51_5638:
	s_wait_xcnt 0x0
	s_and_not1_saveexec_b32 s57, s57
	s_cbranch_execz .LBB51_5640
; %bb.5639:
	v_cvt_i32_f32_e32 v1, v50
	flat_store_b32 v[2:3], v1
.LBB51_5640:
	s_wait_xcnt 0x0
	s_or_b32 exec_lo, exec_lo, s57
                                        ; implicit-def: $vgpr50
                                        ; implicit-def: $vgpr2_vgpr3
.LBB51_5641:
	s_and_not1_saveexec_b32 s56, s56
	s_cbranch_execz .LBB51_5643
; %bb.5642:
	v_cvt_i32_f32_e32 v1, v50
	flat_store_b16 v[2:3], v1
.LBB51_5643:
	s_wait_xcnt 0x0
	s_or_b32 exec_lo, exec_lo, s56
                                        ; implicit-def: $vgpr50
                                        ; implicit-def: $vgpr2_vgpr3
                                        ; implicit-def: $vgpr1
.LBB51_5644:
	s_and_not1_saveexec_b32 s47, s47
	s_cbranch_execz .LBB51_5650
; %bb.5645:
	s_mov_b32 s56, exec_lo
	v_cmpx_lt_i16_e32 0, v1
	s_xor_b32 s56, exec_lo, s56
	s_cbranch_execz .LBB51_5647
; %bb.5646:
	v_cvt_i32_f32_e32 v1, v50
                                        ; implicit-def: $vgpr50
	flat_store_b8 v[2:3], v1
                                        ; implicit-def: $vgpr2_vgpr3
.LBB51_5647:
	s_wait_xcnt 0x0
	s_and_not1_saveexec_b32 s56, s56
	s_cbranch_execz .LBB51_5649
; %bb.5648:
	v_trunc_f32_e32 v1, v50
	s_delay_alu instid0(VALU_DEP_1) | instskip(NEXT) | instid1(VALU_DEP_1)
	v_mul_f32_e64 v4, 0x2f800000, |v1|
	v_floor_f32_e32 v4, v4
	s_delay_alu instid0(VALU_DEP_1) | instskip(SKIP_1) | instid1(VALU_DEP_2)
	v_fma_f32 v4, 0xcf800000, v4, |v1|
	v_ashrrev_i32_e32 v1, 31, v1
	v_cvt_u32_f32_e32 v4, v4
	s_delay_alu instid0(VALU_DEP_1) | instskip(NEXT) | instid1(VALU_DEP_1)
	v_xor_b32_e32 v4, v4, v1
	v_sub_nc_u32_e32 v1, v4, v1
	flat_store_b8 v[2:3], v1
.LBB51_5649:
	s_wait_xcnt 0x0
	s_or_b32 exec_lo, exec_lo, s56
.LBB51_5650:
	s_delay_alu instid0(SALU_CYCLE_1)
	s_or_b32 exec_lo, exec_lo, s47
.LBB51_5651:
	s_delay_alu instid0(SALU_CYCLE_1) | instskip(NEXT) | instid1(SALU_CYCLE_1)
	s_or_b32 exec_lo, exec_lo, s46
	s_or_b32 s0, s0, exec_lo
.LBB51_5652:
	s_or_b32 exec_lo, exec_lo, s42
	s_mov_b32 s46, 0
	s_mov_b32 s42, 0
	s_and_saveexec_b32 s47, s0
; %bb.5653:
	v_add_nc_u32_e32 v103, 0x200, v103
	s_mov_b32 s46, exec_lo
	s_delay_alu instid0(VALU_DEP_1)
	v_cmp_lt_i32_e32 vcc_lo, v103, v8
	s_and_b32 s42, vcc_lo, exec_lo
; %bb.5654:
	s_or_b32 exec_lo, exec_lo, s47
	s_delay_alu instid0(SALU_CYCLE_1)
	s_and_not1_b32 s0, s40, exec_lo
	s_and_b32 s45, s45, exec_lo
	s_and_b32 s47, s42, exec_lo
	s_or_b32 s42, s0, s45
	s_or_not1_b32 s46, s46, exec_lo
.LBB51_5655:
	s_or_b32 exec_lo, exec_lo, s43
	s_mov_b32 s0, 0
	s_mov_b32 s45, 0
                                        ; implicit-def: $vgpr4
                                        ; implicit-def: $vgpr2_vgpr3
	s_and_saveexec_b32 s43, s46
	s_cbranch_execz .LBB51_7817
; %bb.5656:
	s_mov_b32 s56, -1
	s_mov_b32 s46, 0
	s_mov_b32 s44, s42
	s_and_saveexec_b32 s45, s47
	s_cbranch_execz .LBB51_5784
; %bb.5657:
	v_dual_add_nc_u32 v1, s3, v103 :: v_dual_mov_b32 v3, 0
	s_mov_b32 s47, s42
	s_mov_b32 s44, exec_lo
	s_delay_alu instid0(VALU_DEP_1) | instskip(SKIP_1) | instid1(VALU_DEP_2)
	v_mul_lo_u32 v2, v1, v14
	v_and_b32_e32 v1, 0xff, v13
	v_add_nc_u64_e32 v[2:3], v[114:115], v[2:3]
	s_delay_alu instid0(VALU_DEP_2)
	v_cmpx_lt_i16_e32 10, v1
	s_xor_b32 s44, exec_lo, s44
	s_cbranch_execz .LBB51_5739
; %bb.5658:
	s_mov_b32 s47, s42
	s_mov_b32 s56, exec_lo
	v_cmpx_lt_i16_e32 25, v1
	s_xor_b32 s56, exec_lo, s56
	s_cbranch_execz .LBB51_5694
; %bb.5659:
	s_mov_b32 s57, s42
	s_mov_b32 s47, exec_lo
	;; [unrolled: 6-line block ×3, first 2 shown]
	v_cmpx_lt_i16_e32 43, v1
	s_xor_b32 s57, exec_lo, s57
	s_cbranch_execz .LBB51_5672
; %bb.5661:
	s_mov_b32 s58, 0
	s_mov_b32 s59, s42
	s_mov_b32 s0, exec_lo
	v_cmpx_lt_i16_e32 45, v1
	s_xor_b32 s0, exec_lo, s0
	s_cbranch_execz .LBB51_5665
; %bb.5662:
	s_mov_b32 s60, -1
	s_mov_b32 s59, exec_lo
	v_cmpx_eq_u16_e32 46, v1
	s_cbranch_execz .LBB51_5664
; %bb.5663:
	v_bfe_u32 v1, v48, 16, 1
	v_cmp_o_f32_e32 vcc_lo, v48, v48
	s_mov_b32 s58, exec_lo
	s_xor_b32 s60, exec_lo, -1
	s_delay_alu instid0(VALU_DEP_2) | instskip(NEXT) | instid1(VALU_DEP_1)
	v_add3_u32 v1, v48, v1, 0x7fff
	v_lshrrev_b32_e32 v1, 16, v1
	s_delay_alu instid0(VALU_DEP_1)
	v_cndmask_b32_e32 v1, 0x7fc0, v1, vcc_lo
	flat_store_b32 v[2:3], v1
.LBB51_5664:
	s_wait_xcnt 0x0
	s_or_b32 exec_lo, exec_lo, s59
	s_delay_alu instid0(SALU_CYCLE_1)
	s_and_not1_b32 s59, s42, exec_lo
	s_and_b32 s60, s60, exec_lo
	s_and_b32 s58, s58, exec_lo
	s_or_b32 s59, s59, s60
                                        ; implicit-def: $vgpr1
                                        ; implicit-def: $vgpr2_vgpr3
                                        ; implicit-def: $vgpr48
.LBB51_5665:
	s_and_not1_saveexec_b32 s60, s0
	s_cbranch_execz .LBB51_5671
; %bb.5666:
	s_mov_b32 s62, -1
	s_mov_b32 s0, s58
	s_mov_b32 s61, exec_lo
	v_cmpx_eq_u16_e32 44, v1
	s_cbranch_execz .LBB51_5670
; %bb.5667:
	v_bfe_u32 v4, v48, 23, 8
	v_mov_b32_e32 v1, 0xff
	s_mov_b32 s62, exec_lo
	s_delay_alu instid0(VALU_DEP_2)
	v_cmpx_ne_u32_e32 0xff, v4
	s_cbranch_execz .LBB51_5669
; %bb.5668:
	v_and_b32_e32 v1, 0x400000, v48
	v_and_or_b32 v4, 0x3fffff, v48, v4
	s_delay_alu instid0(VALU_DEP_2) | instskip(NEXT) | instid1(VALU_DEP_2)
	v_cmp_ne_u32_e32 vcc_lo, 0, v1
	v_cmp_ne_u32_e64 s0, 0, v4
	v_lshrrev_b32_e32 v1, 23, v48
	s_and_b32 s0, vcc_lo, s0
	s_delay_alu instid0(SALU_CYCLE_1) | instskip(NEXT) | instid1(VALU_DEP_1)
	v_cndmask_b32_e64 v4, 0, 1, s0
	v_add_nc_u32_e32 v1, v1, v4
.LBB51_5669:
	s_or_b32 exec_lo, exec_lo, s62
	s_delay_alu instid0(SALU_CYCLE_1)
	s_xor_b32 s62, exec_lo, -1
	s_or_b32 s0, s58, exec_lo
	flat_store_b8 v[2:3], v1
.LBB51_5670:
	s_wait_xcnt 0x0
	s_or_b32 exec_lo, exec_lo, s61
	s_delay_alu instid0(SALU_CYCLE_1)
	s_and_not1_b32 s59, s59, exec_lo
	s_and_b32 s61, s62, exec_lo
	s_and_not1_b32 s58, s58, exec_lo
	s_and_b32 s0, s0, exec_lo
	s_or_b32 s59, s59, s61
	s_or_b32 s58, s58, s0
.LBB51_5671:
	s_or_b32 exec_lo, exec_lo, s60
	s_delay_alu instid0(SALU_CYCLE_1) | instskip(SKIP_1) | instid1(SALU_CYCLE_1)
	s_and_not1_b32 s0, s42, exec_lo
	s_and_b32 s59, s59, exec_lo
                                        ; implicit-def: $vgpr1
                                        ; implicit-def: $vgpr48
                                        ; implicit-def: $vgpr2_vgpr3
	s_or_b32 s59, s0, s59
	s_and_b32 s0, s58, exec_lo
.LBB51_5672:
	s_and_not1_saveexec_b32 s57, s57
	s_cbranch_execz .LBB51_5676
; %bb.5673:
	s_mov_b32 s61, -1
	s_mov_b32 s60, s0
	s_mov_b32 s58, exec_lo
	v_cmpx_eq_u16_e32 29, v1
	s_cbranch_execz .LBB51_5675
; %bb.5674:
	v_trunc_f32_e32 v1, v48
	s_xor_b32 s61, exec_lo, -1
	s_or_b32 s60, s0, exec_lo
	s_delay_alu instid0(VALU_DEP_1) | instskip(NEXT) | instid1(VALU_DEP_1)
	v_mul_f32_e32 v4, 0x2f800000, v1
	v_floor_f32_e32 v4, v4
	s_delay_alu instid0(VALU_DEP_1) | instskip(SKIP_1) | instid1(VALU_DEP_2)
	v_fmamk_f32 v1, v4, 0xcf800000, v1
	v_cvt_u32_f32_e32 v5, v4
	v_cvt_u32_f32_e32 v4, v1
	flat_store_b64 v[2:3], v[4:5]
.LBB51_5675:
	s_wait_xcnt 0x0
	s_or_b32 exec_lo, exec_lo, s58
	s_delay_alu instid0(SALU_CYCLE_1)
	s_and_not1_b32 s58, s59, exec_lo
	s_and_b32 s59, s61, exec_lo
	s_and_not1_b32 s0, s0, exec_lo
	s_and_b32 s60, s60, exec_lo
	s_or_b32 s59, s58, s59
	s_or_b32 s0, s0, s60
.LBB51_5676:
	s_or_b32 exec_lo, exec_lo, s57
	s_delay_alu instid0(SALU_CYCLE_1)
	s_and_not1_b32 s57, s42, exec_lo
	s_and_b32 s58, s59, exec_lo
	s_and_b32 s0, s0, exec_lo
	s_or_b32 s57, s57, s58
                                        ; implicit-def: $vgpr2_vgpr3
                                        ; implicit-def: $vgpr1
                                        ; implicit-def: $vgpr48
.LBB51_5677:
	s_and_not1_saveexec_b32 s47, s47
	s_cbranch_execz .LBB51_5693
; %bb.5678:
	s_mov_b32 s58, exec_lo
	v_cmpx_lt_i16_e32 26, v1
	s_xor_b32 s58, exec_lo, s58
	s_cbranch_execz .LBB51_5684
; %bb.5679:
	v_cmp_lt_i16_e32 vcc_lo, 27, v1
	v_cvt_u32_f32_e32 v1, v48
	s_and_saveexec_b32 s59, vcc_lo
	s_delay_alu instid0(SALU_CYCLE_1)
	s_xor_b32 s59, exec_lo, s59
	s_cbranch_execz .LBB51_5681
; %bb.5680:
	flat_store_b32 v[2:3], v1
                                        ; implicit-def: $vgpr2_vgpr3
                                        ; implicit-def: $vgpr1
.LBB51_5681:
	s_wait_xcnt 0x0
	s_and_not1_saveexec_b32 s59, s59
	s_cbranch_execz .LBB51_5683
; %bb.5682:
	flat_store_b16 v[2:3], v1
.LBB51_5683:
	s_wait_xcnt 0x0
	s_or_b32 exec_lo, exec_lo, s59
                                        ; implicit-def: $vgpr2_vgpr3
                                        ; implicit-def: $vgpr48
.LBB51_5684:
	s_and_not1_saveexec_b32 s58, s58
	s_cbranch_execz .LBB51_5692
; %bb.5685:
	v_and_b32_e32 v1, 0x7fffffff, v48
	v_mov_b32_e32 v4, 0x80
	s_mov_b32 s59, exec_lo
	s_delay_alu instid0(VALU_DEP_2)
	v_cmpx_gt_u32_e32 0x43800000, v1
	s_cbranch_execz .LBB51_5691
; %bb.5686:
	v_cmp_lt_u32_e32 vcc_lo, 0x3bffffff, v1
	s_mov_b32 s60, 0
                                        ; implicit-def: $vgpr1
	s_and_saveexec_b32 s61, vcc_lo
	s_delay_alu instid0(SALU_CYCLE_1)
	s_xor_b32 s61, exec_lo, s61
	s_cbranch_execnz .LBB51_7939
; %bb.5687:
	s_and_not1_saveexec_b32 s61, s61
	s_cbranch_execnz .LBB51_7940
.LBB51_5688:
	s_or_b32 exec_lo, exec_lo, s61
	v_mov_b32_e32 v4, 0
	s_and_saveexec_b32 s61, s60
.LBB51_5689:
	v_lshrrev_b32_e32 v4, 24, v48
	s_delay_alu instid0(VALU_DEP_1)
	v_and_or_b32 v4, 0x80, v4, v1
.LBB51_5690:
	s_or_b32 exec_lo, exec_lo, s61
.LBB51_5691:
	s_delay_alu instid0(SALU_CYCLE_1)
	s_or_b32 exec_lo, exec_lo, s59
	flat_store_b8 v[2:3], v4
.LBB51_5692:
	s_wait_xcnt 0x0
	s_or_b32 exec_lo, exec_lo, s58
	s_delay_alu instid0(SALU_CYCLE_1)
	s_or_b32 s0, s0, exec_lo
.LBB51_5693:
	s_or_b32 exec_lo, exec_lo, s47
	s_delay_alu instid0(SALU_CYCLE_1)
	s_and_not1_b32 s47, s42, exec_lo
	s_and_b32 s57, s57, exec_lo
	s_and_b32 s0, s0, exec_lo
	s_or_b32 s47, s47, s57
                                        ; implicit-def: $vgpr1
                                        ; implicit-def: $vgpr48
                                        ; implicit-def: $vgpr2_vgpr3
.LBB51_5694:
	s_and_not1_saveexec_b32 s56, s56
	s_cbranch_execz .LBB51_5738
; %bb.5695:
	s_mov_b32 s58, s0
	s_mov_b32 s57, exec_lo
	v_cmpx_lt_i16_e32 22, v1
	s_xor_b32 s57, exec_lo, s57
	s_cbranch_execz .LBB51_5727
; %bb.5696:
	s_mov_b32 s58, exec_lo
	v_cmpx_lt_i16_e32 23, v1
	s_xor_b32 s58, exec_lo, s58
	s_cbranch_execz .LBB51_5716
; %bb.5697:
	;; [unrolled: 5-line block ×3, first 2 shown]
	v_and_b32_e32 v1, 0x7fffffff, v48
	v_mov_b32_e32 v4, 0x80
	s_mov_b32 s60, exec_lo
	s_delay_alu instid0(VALU_DEP_2)
	v_cmpx_gt_u32_e32 0x47800000, v1
	s_cbranch_execz .LBB51_5704
; %bb.5699:
	v_cmp_lt_u32_e32 vcc_lo, 0x37ffffff, v1
	s_mov_b32 s61, 0
                                        ; implicit-def: $vgpr1
	s_and_saveexec_b32 s62, vcc_lo
	s_delay_alu instid0(SALU_CYCLE_1)
	s_xor_b32 s62, exec_lo, s62
	s_cbranch_execnz .LBB51_7941
; %bb.5700:
	s_and_not1_saveexec_b32 s62, s62
	s_cbranch_execnz .LBB51_7942
.LBB51_5701:
	s_or_b32 exec_lo, exec_lo, s62
	v_mov_b32_e32 v4, 0
	s_and_saveexec_b32 s62, s61
.LBB51_5702:
	v_lshrrev_b32_e32 v4, 24, v48
	s_delay_alu instid0(VALU_DEP_1)
	v_and_or_b32 v4, 0x80, v4, v1
.LBB51_5703:
	s_or_b32 exec_lo, exec_lo, s62
.LBB51_5704:
	s_delay_alu instid0(SALU_CYCLE_1)
	s_or_b32 exec_lo, exec_lo, s60
	flat_store_b8 v[2:3], v4
                                        ; implicit-def: $vgpr48
                                        ; implicit-def: $vgpr2_vgpr3
.LBB51_5705:
	s_wait_xcnt 0x0
	s_and_not1_saveexec_b32 s59, s59
	s_cbranch_execz .LBB51_5715
; %bb.5706:
	v_and_b32_e32 v4, 0x7fffffff, v48
	s_mov_b32 s60, exec_lo
                                        ; implicit-def: $vgpr1
	s_delay_alu instid0(VALU_DEP_1)
	v_cmpx_gt_u32_e32 0x43f00000, v4
	s_xor_b32 s60, exec_lo, s60
	s_cbranch_execz .LBB51_5712
; %bb.5707:
	s_mov_b32 s61, exec_lo
                                        ; implicit-def: $vgpr1
	v_cmpx_lt_u32_e32 0x3c7fffff, v4
	s_xor_b32 s61, exec_lo, s61
; %bb.5708:
	v_bfe_u32 v1, v48, 20, 1
	s_delay_alu instid0(VALU_DEP_1) | instskip(NEXT) | instid1(VALU_DEP_1)
	v_add3_u32 v1, v48, v1, 0x407ffff
	v_and_b32_e32 v4, 0xff00000, v1
	v_lshrrev_b32_e32 v1, 20, v1
	s_delay_alu instid0(VALU_DEP_2) | instskip(NEXT) | instid1(VALU_DEP_2)
	v_cmp_ne_u32_e32 vcc_lo, 0x7f00000, v4
	v_cndmask_b32_e32 v1, 0x7e, v1, vcc_lo
; %bb.5709:
	s_and_not1_saveexec_b32 s61, s61
; %bb.5710:
	v_add_f32_e64 v1, 0x46800000, |v48|
; %bb.5711:
	s_or_b32 exec_lo, exec_lo, s61
                                        ; implicit-def: $vgpr4
.LBB51_5712:
	s_and_not1_saveexec_b32 s60, s60
; %bb.5713:
	v_mov_b32_e32 v1, 0x7f
	v_cmp_lt_u32_e32 vcc_lo, 0x7f800000, v4
	s_delay_alu instid0(VALU_DEP_2)
	v_cndmask_b32_e32 v1, 0x7e, v1, vcc_lo
; %bb.5714:
	s_or_b32 exec_lo, exec_lo, s60
	v_lshrrev_b32_e32 v4, 24, v48
	s_delay_alu instid0(VALU_DEP_1)
	v_and_or_b32 v1, 0x80, v4, v1
	flat_store_b8 v[2:3], v1
.LBB51_5715:
	s_wait_xcnt 0x0
	s_or_b32 exec_lo, exec_lo, s59
                                        ; implicit-def: $vgpr48
                                        ; implicit-def: $vgpr2_vgpr3
.LBB51_5716:
	s_and_not1_saveexec_b32 s58, s58
	s_cbranch_execz .LBB51_5726
; %bb.5717:
	v_and_b32_e32 v4, 0x7fffffff, v48
	s_mov_b32 s59, exec_lo
                                        ; implicit-def: $vgpr1
	s_delay_alu instid0(VALU_DEP_1)
	v_cmpx_gt_u32_e32 0x47800000, v4
	s_xor_b32 s59, exec_lo, s59
	s_cbranch_execz .LBB51_5723
; %bb.5718:
	s_mov_b32 s60, exec_lo
                                        ; implicit-def: $vgpr1
	v_cmpx_lt_u32_e32 0x387fffff, v4
	s_xor_b32 s60, exec_lo, s60
; %bb.5719:
	v_bfe_u32 v1, v48, 21, 1
	s_delay_alu instid0(VALU_DEP_1) | instskip(NEXT) | instid1(VALU_DEP_1)
	v_add3_u32 v1, v48, v1, 0x80fffff
	v_lshrrev_b32_e32 v1, 21, v1
; %bb.5720:
	s_and_not1_saveexec_b32 s60, s60
; %bb.5721:
	v_add_f32_e64 v1, 0x43000000, |v48|
; %bb.5722:
	s_or_b32 exec_lo, exec_lo, s60
                                        ; implicit-def: $vgpr4
.LBB51_5723:
	s_and_not1_saveexec_b32 s59, s59
; %bb.5724:
	v_mov_b32_e32 v1, 0x7f
	v_cmp_lt_u32_e32 vcc_lo, 0x7f800000, v4
	s_delay_alu instid0(VALU_DEP_2)
	v_cndmask_b32_e32 v1, 0x7c, v1, vcc_lo
; %bb.5725:
	s_or_b32 exec_lo, exec_lo, s59
	v_lshrrev_b32_e32 v4, 24, v48
	s_delay_alu instid0(VALU_DEP_1)
	v_and_or_b32 v1, 0x80, v4, v1
	flat_store_b8 v[2:3], v1
.LBB51_5726:
	s_wait_xcnt 0x0
	s_or_b32 exec_lo, exec_lo, s58
	s_delay_alu instid0(SALU_CYCLE_1)
	s_or_b32 s58, s0, exec_lo
                                        ; implicit-def: $vgpr1
                                        ; implicit-def: $vgpr48
                                        ; implicit-def: $vgpr2_vgpr3
.LBB51_5727:
	s_or_saveexec_b32 s57, s57
	s_mov_b32 s59, s47
	s_xor_b32 exec_lo, exec_lo, s57
	s_cbranch_execz .LBB51_5737
; %bb.5728:
	s_mov_b32 s59, s58
	s_mov_b32 s60, s47
	s_mov_b32 s61, exec_lo
	v_cmpx_lt_i16_e32 14, v1
	s_xor_b32 s61, exec_lo, s61
	s_cbranch_execz .LBB51_5732
; %bb.5729:
	s_mov_b32 s62, -1
	s_mov_b32 s59, s58
	s_mov_b32 s60, exec_lo
	v_cmpx_eq_u16_e32 15, v1
	s_cbranch_execz .LBB51_5731
; %bb.5730:
	v_bfe_u32 v1, v48, 16, 1
	v_cmp_o_f32_e32 vcc_lo, v48, v48
	s_xor_b32 s62, exec_lo, -1
	s_or_b32 s59, s58, exec_lo
	s_delay_alu instid0(VALU_DEP_2) | instskip(NEXT) | instid1(VALU_DEP_1)
	v_add3_u32 v1, v48, v1, 0x7fff
	v_lshrrev_b32_e32 v1, 16, v1
	s_delay_alu instid0(VALU_DEP_1)
	v_cndmask_b32_e32 v1, 0x7fc0, v1, vcc_lo
	flat_store_b16 v[2:3], v1
.LBB51_5731:
	s_wait_xcnt 0x0
	s_or_b32 exec_lo, exec_lo, s60
	s_delay_alu instid0(SALU_CYCLE_1)
	s_and_not1_b32 s60, s47, exec_lo
	s_and_b32 s62, s62, exec_lo
	s_and_not1_b32 s63, s58, exec_lo
	s_and_b32 s59, s59, exec_lo
	s_or_b32 s60, s60, s62
	s_or_b32 s59, s63, s59
                                        ; implicit-def: $vgpr1
                                        ; implicit-def: $vgpr48
                                        ; implicit-def: $vgpr2_vgpr3
.LBB51_5732:
	s_and_not1_saveexec_b32 s61, s61
	s_cbranch_execz .LBB51_5736
; %bb.5733:
	s_mov_b32 s63, -1
	s_mov_b32 s62, s59
	s_mov_b32 s72, exec_lo
	v_cmpx_eq_u16_e32 11, v1
	s_cbranch_execz .LBB51_5735
; %bb.5734:
	v_cmp_neq_f32_e32 vcc_lo, 0, v48
	s_xor_b32 s63, exec_lo, -1
	s_or_b32 s62, s59, exec_lo
	v_cndmask_b32_e64 v1, 0, 1, vcc_lo
	flat_store_b8 v[2:3], v1
.LBB51_5735:
	s_wait_xcnt 0x0
	s_or_b32 exec_lo, exec_lo, s72
	s_delay_alu instid0(SALU_CYCLE_1)
	s_and_not1_b32 s60, s60, exec_lo
	s_and_b32 s63, s63, exec_lo
	s_and_not1_b32 s59, s59, exec_lo
	s_and_b32 s62, s62, exec_lo
	s_or_b32 s60, s60, s63
	s_or_b32 s59, s59, s62
.LBB51_5736:
	s_or_b32 exec_lo, exec_lo, s61
	s_delay_alu instid0(SALU_CYCLE_1)
	s_and_not1_b32 s61, s47, exec_lo
	s_and_b32 s60, s60, exec_lo
	s_and_not1_b32 s58, s58, exec_lo
	s_and_b32 s62, s59, exec_lo
	s_or_b32 s59, s61, s60
	s_or_b32 s58, s58, s62
.LBB51_5737:
	s_or_b32 exec_lo, exec_lo, s57
	s_delay_alu instid0(SALU_CYCLE_1)
	s_and_not1_b32 s47, s47, exec_lo
	s_and_b32 s57, s59, exec_lo
	s_and_not1_b32 s0, s0, exec_lo
	s_and_b32 s58, s58, exec_lo
	s_or_b32 s47, s47, s57
	s_or_b32 s0, s0, s58
.LBB51_5738:
	s_or_b32 exec_lo, exec_lo, s56
	s_delay_alu instid0(SALU_CYCLE_1)
	s_and_not1_b32 s56, s42, exec_lo
	s_and_b32 s47, s47, exec_lo
	s_and_b32 s0, s0, exec_lo
	s_or_b32 s47, s56, s47
                                        ; implicit-def: $vgpr1
                                        ; implicit-def: $vgpr48
                                        ; implicit-def: $vgpr2_vgpr3
.LBB51_5739:
	s_and_not1_saveexec_b32 s44, s44
	s_cbranch_execz .LBB51_5781
; %bb.5740:
	s_mov_b32 s56, exec_lo
	v_cmpx_lt_i16_e32 4, v1
	s_xor_b32 s56, exec_lo, s56
	s_cbranch_execz .LBB51_5762
; %bb.5741:
	s_mov_b32 s57, exec_lo
	v_cmpx_lt_i16_e32 7, v1
	s_xor_b32 s57, exec_lo, s57
	;; [unrolled: 5-line block ×4, first 2 shown]
	s_cbranch_execz .LBB51_5745
; %bb.5744:
	v_cvt_f64_f32_e32 v[4:5], v48
	v_mov_b32_e32 v6, 0
                                        ; implicit-def: $vgpr48
	s_delay_alu instid0(VALU_DEP_1)
	v_mov_b32_e32 v7, v6
	flat_store_b128 v[2:3], v[4:7]
                                        ; implicit-def: $vgpr2_vgpr3
.LBB51_5745:
	s_wait_xcnt 0x0
	s_and_not1_saveexec_b32 s59, s59
	s_cbranch_execz .LBB51_5747
; %bb.5746:
	v_mov_b32_e32 v49, 0
	flat_store_b64 v[2:3], v[48:49]
.LBB51_5747:
	s_wait_xcnt 0x0
	s_or_b32 exec_lo, exec_lo, s59
                                        ; implicit-def: $vgpr48
                                        ; implicit-def: $vgpr2_vgpr3
.LBB51_5748:
	s_and_not1_saveexec_b32 s58, s58
	s_cbranch_execz .LBB51_5750
; %bb.5749:
	v_cvt_f16_f32_e32 v1, v48
	s_delay_alu instid0(VALU_DEP_1)
	v_and_b32_e32 v1, 0xffff, v1
	flat_store_b32 v[2:3], v1
.LBB51_5750:
	s_wait_xcnt 0x0
	s_or_b32 exec_lo, exec_lo, s58
                                        ; implicit-def: $vgpr48
                                        ; implicit-def: $vgpr2_vgpr3
                                        ; implicit-def: $vgpr1
.LBB51_5751:
	s_and_not1_saveexec_b32 s57, s57
	s_cbranch_execz .LBB51_5761
; %bb.5752:
	s_mov_b32 s58, exec_lo
	v_cmpx_lt_i16_e32 5, v1
	s_xor_b32 s58, exec_lo, s58
	s_cbranch_execz .LBB51_5758
; %bb.5753:
	s_mov_b32 s59, exec_lo
	v_cmpx_lt_i16_e32 6, v1
	s_xor_b32 s59, exec_lo, s59
	s_cbranch_execz .LBB51_5755
; %bb.5754:
	v_cvt_f64_f32_e32 v[4:5], v48
                                        ; implicit-def: $vgpr48
	flat_store_b64 v[2:3], v[4:5]
                                        ; implicit-def: $vgpr2_vgpr3
.LBB51_5755:
	s_wait_xcnt 0x0
	s_and_not1_saveexec_b32 s59, s59
	s_cbranch_execz .LBB51_5757
; %bb.5756:
	flat_store_b32 v[2:3], v48
.LBB51_5757:
	s_wait_xcnt 0x0
	s_or_b32 exec_lo, exec_lo, s59
                                        ; implicit-def: $vgpr48
                                        ; implicit-def: $vgpr2_vgpr3
.LBB51_5758:
	s_and_not1_saveexec_b32 s58, s58
	s_cbranch_execz .LBB51_5760
; %bb.5759:
	v_cvt_f16_f32_e32 v1, v48
	flat_store_b16 v[2:3], v1
.LBB51_5760:
	s_wait_xcnt 0x0
	s_or_b32 exec_lo, exec_lo, s58
.LBB51_5761:
	s_delay_alu instid0(SALU_CYCLE_1)
	s_or_b32 exec_lo, exec_lo, s57
                                        ; implicit-def: $vgpr1
                                        ; implicit-def: $vgpr48
                                        ; implicit-def: $vgpr2_vgpr3
.LBB51_5762:
	s_and_not1_saveexec_b32 s56, s56
	s_cbranch_execz .LBB51_5780
; %bb.5763:
	s_mov_b32 s57, exec_lo
	v_cmpx_lt_i16_e32 1, v1
	s_xor_b32 s57, exec_lo, s57
	s_cbranch_execz .LBB51_5773
; %bb.5764:
	s_mov_b32 s58, exec_lo
	v_cmpx_lt_i16_e32 2, v1
	s_xor_b32 s58, exec_lo, s58
	;; [unrolled: 5-line block ×3, first 2 shown]
	s_cbranch_execz .LBB51_5767
; %bb.5766:
	v_trunc_f32_e32 v1, v48
                                        ; implicit-def: $vgpr48
	s_delay_alu instid0(VALU_DEP_1) | instskip(NEXT) | instid1(VALU_DEP_1)
	v_mul_f32_e64 v4, 0x2f800000, |v1|
	v_floor_f32_e32 v5, v4
	v_ashrrev_i32_e32 v4, 31, v1
	s_delay_alu instid0(VALU_DEP_2) | instskip(SKIP_1) | instid1(VALU_DEP_3)
	v_fma_f32 v6, 0xcf800000, v5, |v1|
	v_cvt_u32_f32_e32 v1, v5
	v_mov_b32_e32 v5, v4
	s_delay_alu instid0(VALU_DEP_3) | instskip(NEXT) | instid1(VALU_DEP_3)
	v_cvt_u32_f32_e32 v6, v6
	v_xor_b32_e32 v7, v1, v4
	s_delay_alu instid0(VALU_DEP_2) | instskip(NEXT) | instid1(VALU_DEP_1)
	v_xor_b32_e32 v6, v6, v4
	v_sub_nc_u64_e32 v[4:5], v[6:7], v[4:5]
	flat_store_b64 v[2:3], v[4:5]
                                        ; implicit-def: $vgpr2_vgpr3
.LBB51_5767:
	s_wait_xcnt 0x0
	s_and_not1_saveexec_b32 s59, s59
	s_cbranch_execz .LBB51_5769
; %bb.5768:
	v_cvt_i32_f32_e32 v1, v48
	flat_store_b32 v[2:3], v1
.LBB51_5769:
	s_wait_xcnt 0x0
	s_or_b32 exec_lo, exec_lo, s59
                                        ; implicit-def: $vgpr48
                                        ; implicit-def: $vgpr2_vgpr3
.LBB51_5770:
	s_and_not1_saveexec_b32 s58, s58
	s_cbranch_execz .LBB51_5772
; %bb.5771:
	v_cvt_i32_f32_e32 v1, v48
	flat_store_b16 v[2:3], v1
.LBB51_5772:
	s_wait_xcnt 0x0
	s_or_b32 exec_lo, exec_lo, s58
                                        ; implicit-def: $vgpr48
                                        ; implicit-def: $vgpr2_vgpr3
                                        ; implicit-def: $vgpr1
.LBB51_5773:
	s_and_not1_saveexec_b32 s57, s57
	s_cbranch_execz .LBB51_5779
; %bb.5774:
	s_mov_b32 s58, exec_lo
	v_cmpx_lt_i16_e32 0, v1
	s_xor_b32 s58, exec_lo, s58
	s_cbranch_execz .LBB51_5776
; %bb.5775:
	v_cvt_i32_f32_e32 v1, v48
                                        ; implicit-def: $vgpr48
	flat_store_b8 v[2:3], v1
                                        ; implicit-def: $vgpr2_vgpr3
.LBB51_5776:
	s_wait_xcnt 0x0
	s_and_not1_saveexec_b32 s58, s58
	s_cbranch_execz .LBB51_5778
; %bb.5777:
	v_trunc_f32_e32 v1, v48
	s_delay_alu instid0(VALU_DEP_1) | instskip(NEXT) | instid1(VALU_DEP_1)
	v_mul_f32_e64 v4, 0x2f800000, |v1|
	v_floor_f32_e32 v4, v4
	s_delay_alu instid0(VALU_DEP_1) | instskip(SKIP_1) | instid1(VALU_DEP_2)
	v_fma_f32 v4, 0xcf800000, v4, |v1|
	v_ashrrev_i32_e32 v1, 31, v1
	v_cvt_u32_f32_e32 v4, v4
	s_delay_alu instid0(VALU_DEP_1) | instskip(NEXT) | instid1(VALU_DEP_1)
	v_xor_b32_e32 v4, v4, v1
	v_sub_nc_u32_e32 v1, v4, v1
	flat_store_b8 v[2:3], v1
.LBB51_5778:
	s_wait_xcnt 0x0
	s_or_b32 exec_lo, exec_lo, s58
.LBB51_5779:
	s_delay_alu instid0(SALU_CYCLE_1)
	s_or_b32 exec_lo, exec_lo, s57
.LBB51_5780:
	s_delay_alu instid0(SALU_CYCLE_1) | instskip(NEXT) | instid1(SALU_CYCLE_1)
	s_or_b32 exec_lo, exec_lo, s56
	s_or_b32 s0, s0, exec_lo
.LBB51_5781:
	s_or_b32 exec_lo, exec_lo, s44
	s_mov_b32 s56, 0
	s_mov_b32 s44, 0
	s_and_saveexec_b32 s57, s0
; %bb.5782:
	v_add_nc_u32_e32 v103, 0x200, v103
	s_mov_b32 s56, exec_lo
	s_delay_alu instid0(VALU_DEP_1)
	v_cmp_lt_i32_e32 vcc_lo, v103, v8
	s_and_b32 s44, vcc_lo, exec_lo
; %bb.5783:
	s_or_b32 exec_lo, exec_lo, s57
	s_delay_alu instid0(SALU_CYCLE_1)
	s_and_not1_b32 s57, s42, exec_lo
	s_and_b32 s47, s47, exec_lo
	s_and_b32 s0, s44, exec_lo
	s_or_b32 s44, s57, s47
	s_or_not1_b32 s56, s56, exec_lo
.LBB51_5784:
	s_or_b32 exec_lo, exec_lo, s45
	s_mov_b32 s47, 0
	s_mov_b32 s57, 0
                                        ; implicit-def: $vgpr4
                                        ; implicit-def: $vgpr2_vgpr3
	s_and_saveexec_b32 s45, s56
	s_cbranch_execz .LBB51_7816
; %bb.5785:
	s_mov_b32 s58, -1
	s_mov_b32 s56, 0
	s_mov_b32 s46, s44
	;; [unrolled: 1-line block ×3, first 2 shown]
	s_and_saveexec_b32 s47, s0
	s_cbranch_execz .LBB51_5913
; %bb.5786:
	v_dual_add_nc_u32 v1, s3, v103 :: v_dual_mov_b32 v3, 0
	s_mov_b32 s0, 0
	s_mov_b32 s57, s44
	s_mov_b32 s46, exec_lo
	s_delay_alu instid0(VALU_DEP_1) | instskip(SKIP_1) | instid1(VALU_DEP_2)
	v_mul_lo_u32 v2, v1, v14
	v_and_b32_e32 v1, 0xff, v13
	v_add_nc_u64_e32 v[2:3], v[114:115], v[2:3]
	s_delay_alu instid0(VALU_DEP_2)
	v_cmpx_lt_i16_e32 10, v1
	s_xor_b32 s46, exec_lo, s46
	s_cbranch_execz .LBB51_5868
; %bb.5787:
	s_mov_b32 s57, s44
	s_mov_b32 s58, exec_lo
	v_cmpx_lt_i16_e32 25, v1
	s_xor_b32 s58, exec_lo, s58
	s_cbranch_execz .LBB51_5823
; %bb.5788:
	s_mov_b32 s59, s44
	s_mov_b32 s57, exec_lo
	;; [unrolled: 6-line block ×3, first 2 shown]
	v_cmpx_lt_i16_e32 43, v1
	s_xor_b32 s59, exec_lo, s59
	s_cbranch_execz .LBB51_5801
; %bb.5790:
	s_mov_b32 s60, 0
	s_mov_b32 s61, s44
	s_mov_b32 s0, exec_lo
	v_cmpx_lt_i16_e32 45, v1
	s_xor_b32 s0, exec_lo, s0
	s_cbranch_execz .LBB51_5794
; %bb.5791:
	s_mov_b32 s62, -1
	s_mov_b32 s61, exec_lo
	v_cmpx_eq_u16_e32 46, v1
	s_cbranch_execz .LBB51_5793
; %bb.5792:
	v_bfe_u32 v1, v38, 16, 1
	v_cmp_o_f32_e32 vcc_lo, v38, v38
	s_mov_b32 s60, exec_lo
	s_xor_b32 s62, exec_lo, -1
	s_delay_alu instid0(VALU_DEP_2) | instskip(NEXT) | instid1(VALU_DEP_1)
	v_add3_u32 v1, v38, v1, 0x7fff
	v_lshrrev_b32_e32 v1, 16, v1
	s_delay_alu instid0(VALU_DEP_1)
	v_cndmask_b32_e32 v1, 0x7fc0, v1, vcc_lo
	flat_store_b32 v[2:3], v1
.LBB51_5793:
	s_wait_xcnt 0x0
	s_or_b32 exec_lo, exec_lo, s61
	s_delay_alu instid0(SALU_CYCLE_1)
	s_and_not1_b32 s61, s44, exec_lo
	s_and_b32 s62, s62, exec_lo
	s_and_b32 s60, s60, exec_lo
	s_or_b32 s61, s61, s62
                                        ; implicit-def: $vgpr1
                                        ; implicit-def: $vgpr2_vgpr3
                                        ; implicit-def: $vgpr38
.LBB51_5794:
	s_and_not1_saveexec_b32 s62, s0
	s_cbranch_execz .LBB51_5800
; %bb.5795:
	s_mov_b32 s72, -1
	s_mov_b32 s0, s60
	s_mov_b32 s63, exec_lo
	v_cmpx_eq_u16_e32 44, v1
	s_cbranch_execz .LBB51_5799
; %bb.5796:
	v_bfe_u32 v4, v38, 23, 8
	v_mov_b32_e32 v1, 0xff
	s_mov_b32 s72, exec_lo
	s_delay_alu instid0(VALU_DEP_2)
	v_cmpx_ne_u32_e32 0xff, v4
	s_cbranch_execz .LBB51_5798
; %bb.5797:
	v_and_b32_e32 v1, 0x400000, v38
	v_and_or_b32 v4, 0x3fffff, v38, v4
	s_delay_alu instid0(VALU_DEP_2) | instskip(NEXT) | instid1(VALU_DEP_2)
	v_cmp_ne_u32_e32 vcc_lo, 0, v1
	v_cmp_ne_u32_e64 s0, 0, v4
	v_lshrrev_b32_e32 v1, 23, v38
	s_and_b32 s0, vcc_lo, s0
	s_delay_alu instid0(SALU_CYCLE_1) | instskip(NEXT) | instid1(VALU_DEP_1)
	v_cndmask_b32_e64 v4, 0, 1, s0
	v_add_nc_u32_e32 v1, v1, v4
.LBB51_5798:
	s_or_b32 exec_lo, exec_lo, s72
	s_delay_alu instid0(SALU_CYCLE_1)
	s_xor_b32 s72, exec_lo, -1
	s_or_b32 s0, s60, exec_lo
	flat_store_b8 v[2:3], v1
.LBB51_5799:
	s_wait_xcnt 0x0
	s_or_b32 exec_lo, exec_lo, s63
	s_delay_alu instid0(SALU_CYCLE_1)
	s_and_not1_b32 s61, s61, exec_lo
	s_and_b32 s63, s72, exec_lo
	s_and_not1_b32 s60, s60, exec_lo
	s_and_b32 s0, s0, exec_lo
	s_or_b32 s61, s61, s63
	s_or_b32 s60, s60, s0
.LBB51_5800:
	s_or_b32 exec_lo, exec_lo, s62
	s_delay_alu instid0(SALU_CYCLE_1) | instskip(SKIP_1) | instid1(SALU_CYCLE_1)
	s_and_not1_b32 s0, s44, exec_lo
	s_and_b32 s61, s61, exec_lo
                                        ; implicit-def: $vgpr1
                                        ; implicit-def: $vgpr38
                                        ; implicit-def: $vgpr2_vgpr3
	s_or_b32 s61, s0, s61
	s_and_b32 s0, s60, exec_lo
.LBB51_5801:
	s_and_not1_saveexec_b32 s59, s59
	s_cbranch_execz .LBB51_5805
; %bb.5802:
	s_mov_b32 s63, -1
	s_mov_b32 s62, s0
	s_mov_b32 s60, exec_lo
	v_cmpx_eq_u16_e32 29, v1
	s_cbranch_execz .LBB51_5804
; %bb.5803:
	v_trunc_f32_e32 v1, v38
	s_xor_b32 s63, exec_lo, -1
	s_or_b32 s62, s0, exec_lo
	s_delay_alu instid0(VALU_DEP_1) | instskip(NEXT) | instid1(VALU_DEP_1)
	v_mul_f32_e32 v4, 0x2f800000, v1
	v_floor_f32_e32 v4, v4
	s_delay_alu instid0(VALU_DEP_1) | instskip(SKIP_1) | instid1(VALU_DEP_2)
	v_fmamk_f32 v1, v4, 0xcf800000, v1
	v_cvt_u32_f32_e32 v5, v4
	v_cvt_u32_f32_e32 v4, v1
	flat_store_b64 v[2:3], v[4:5]
.LBB51_5804:
	s_wait_xcnt 0x0
	s_or_b32 exec_lo, exec_lo, s60
	s_delay_alu instid0(SALU_CYCLE_1)
	s_and_not1_b32 s60, s61, exec_lo
	s_and_b32 s61, s63, exec_lo
	s_and_not1_b32 s0, s0, exec_lo
	s_and_b32 s62, s62, exec_lo
	s_or_b32 s61, s60, s61
	s_or_b32 s0, s0, s62
.LBB51_5805:
	s_or_b32 exec_lo, exec_lo, s59
	s_delay_alu instid0(SALU_CYCLE_1)
	s_and_not1_b32 s59, s44, exec_lo
	s_and_b32 s60, s61, exec_lo
	s_and_b32 s0, s0, exec_lo
	s_or_b32 s59, s59, s60
                                        ; implicit-def: $vgpr2_vgpr3
                                        ; implicit-def: $vgpr1
                                        ; implicit-def: $vgpr38
.LBB51_5806:
	s_and_not1_saveexec_b32 s57, s57
	s_cbranch_execz .LBB51_5822
; %bb.5807:
	s_mov_b32 s60, exec_lo
	v_cmpx_lt_i16_e32 26, v1
	s_xor_b32 s60, exec_lo, s60
	s_cbranch_execz .LBB51_5813
; %bb.5808:
	v_cmp_lt_i16_e32 vcc_lo, 27, v1
	v_cvt_u32_f32_e32 v1, v38
	s_and_saveexec_b32 s61, vcc_lo
	s_delay_alu instid0(SALU_CYCLE_1)
	s_xor_b32 s61, exec_lo, s61
	s_cbranch_execz .LBB51_5810
; %bb.5809:
	flat_store_b32 v[2:3], v1
                                        ; implicit-def: $vgpr2_vgpr3
                                        ; implicit-def: $vgpr1
.LBB51_5810:
	s_wait_xcnt 0x0
	s_and_not1_saveexec_b32 s61, s61
	s_cbranch_execz .LBB51_5812
; %bb.5811:
	flat_store_b16 v[2:3], v1
.LBB51_5812:
	s_wait_xcnt 0x0
	s_or_b32 exec_lo, exec_lo, s61
                                        ; implicit-def: $vgpr2_vgpr3
                                        ; implicit-def: $vgpr38
.LBB51_5813:
	s_and_not1_saveexec_b32 s60, s60
	s_cbranch_execz .LBB51_5821
; %bb.5814:
	v_and_b32_e32 v1, 0x7fffffff, v38
	v_mov_b32_e32 v4, 0x80
	s_mov_b32 s61, exec_lo
	s_delay_alu instid0(VALU_DEP_2)
	v_cmpx_gt_u32_e32 0x43800000, v1
	s_cbranch_execz .LBB51_5820
; %bb.5815:
	v_cmp_lt_u32_e32 vcc_lo, 0x3bffffff, v1
	s_mov_b32 s62, 0
                                        ; implicit-def: $vgpr1
	s_and_saveexec_b32 s63, vcc_lo
	s_delay_alu instid0(SALU_CYCLE_1)
	s_xor_b32 s63, exec_lo, s63
	s_cbranch_execnz .LBB51_7943
; %bb.5816:
	s_and_not1_saveexec_b32 s63, s63
	s_cbranch_execnz .LBB51_7944
.LBB51_5817:
	s_or_b32 exec_lo, exec_lo, s63
	v_mov_b32_e32 v4, 0
	s_and_saveexec_b32 s63, s62
.LBB51_5818:
	v_lshrrev_b32_e32 v4, 24, v38
	s_delay_alu instid0(VALU_DEP_1)
	v_and_or_b32 v4, 0x80, v4, v1
.LBB51_5819:
	s_or_b32 exec_lo, exec_lo, s63
.LBB51_5820:
	s_delay_alu instid0(SALU_CYCLE_1)
	s_or_b32 exec_lo, exec_lo, s61
	flat_store_b8 v[2:3], v4
.LBB51_5821:
	s_wait_xcnt 0x0
	s_or_b32 exec_lo, exec_lo, s60
	s_delay_alu instid0(SALU_CYCLE_1)
	s_or_b32 s0, s0, exec_lo
.LBB51_5822:
	s_or_b32 exec_lo, exec_lo, s57
	s_delay_alu instid0(SALU_CYCLE_1)
	s_and_not1_b32 s57, s44, exec_lo
	s_and_b32 s59, s59, exec_lo
	s_and_b32 s0, s0, exec_lo
	s_or_b32 s57, s57, s59
                                        ; implicit-def: $vgpr1
                                        ; implicit-def: $vgpr38
                                        ; implicit-def: $vgpr2_vgpr3
.LBB51_5823:
	s_and_not1_saveexec_b32 s58, s58
	s_cbranch_execz .LBB51_5867
; %bb.5824:
	s_mov_b32 s60, s0
	s_mov_b32 s59, exec_lo
	v_cmpx_lt_i16_e32 22, v1
	s_xor_b32 s59, exec_lo, s59
	s_cbranch_execz .LBB51_5856
; %bb.5825:
	s_mov_b32 s60, exec_lo
	v_cmpx_lt_i16_e32 23, v1
	s_xor_b32 s60, exec_lo, s60
	s_cbranch_execz .LBB51_5845
; %bb.5826:
	;; [unrolled: 5-line block ×3, first 2 shown]
	v_and_b32_e32 v1, 0x7fffffff, v38
	v_mov_b32_e32 v4, 0x80
	s_mov_b32 s62, exec_lo
	s_delay_alu instid0(VALU_DEP_2)
	v_cmpx_gt_u32_e32 0x47800000, v1
	s_cbranch_execz .LBB51_5833
; %bb.5828:
	v_cmp_lt_u32_e32 vcc_lo, 0x37ffffff, v1
	s_mov_b32 s63, 0
                                        ; implicit-def: $vgpr1
	s_and_saveexec_b32 s72, vcc_lo
	s_delay_alu instid0(SALU_CYCLE_1)
	s_xor_b32 s72, exec_lo, s72
	s_cbranch_execnz .LBB51_7945
; %bb.5829:
	s_and_not1_saveexec_b32 s72, s72
	s_cbranch_execnz .LBB51_7946
.LBB51_5830:
	s_or_b32 exec_lo, exec_lo, s72
	v_mov_b32_e32 v4, 0
	s_and_saveexec_b32 s72, s63
.LBB51_5831:
	v_lshrrev_b32_e32 v4, 24, v38
	s_delay_alu instid0(VALU_DEP_1)
	v_and_or_b32 v4, 0x80, v4, v1
.LBB51_5832:
	s_or_b32 exec_lo, exec_lo, s72
.LBB51_5833:
	s_delay_alu instid0(SALU_CYCLE_1)
	s_or_b32 exec_lo, exec_lo, s62
	flat_store_b8 v[2:3], v4
                                        ; implicit-def: $vgpr38
                                        ; implicit-def: $vgpr2_vgpr3
.LBB51_5834:
	s_wait_xcnt 0x0
	s_and_not1_saveexec_b32 s61, s61
	s_cbranch_execz .LBB51_5844
; %bb.5835:
	v_and_b32_e32 v4, 0x7fffffff, v38
	s_mov_b32 s62, exec_lo
                                        ; implicit-def: $vgpr1
	s_delay_alu instid0(VALU_DEP_1)
	v_cmpx_gt_u32_e32 0x43f00000, v4
	s_xor_b32 s62, exec_lo, s62
	s_cbranch_execz .LBB51_5841
; %bb.5836:
	s_mov_b32 s63, exec_lo
                                        ; implicit-def: $vgpr1
	v_cmpx_lt_u32_e32 0x3c7fffff, v4
	s_xor_b32 s63, exec_lo, s63
; %bb.5837:
	v_bfe_u32 v1, v38, 20, 1
	s_delay_alu instid0(VALU_DEP_1) | instskip(NEXT) | instid1(VALU_DEP_1)
	v_add3_u32 v1, v38, v1, 0x407ffff
	v_and_b32_e32 v4, 0xff00000, v1
	v_lshrrev_b32_e32 v1, 20, v1
	s_delay_alu instid0(VALU_DEP_2) | instskip(NEXT) | instid1(VALU_DEP_2)
	v_cmp_ne_u32_e32 vcc_lo, 0x7f00000, v4
	v_cndmask_b32_e32 v1, 0x7e, v1, vcc_lo
; %bb.5838:
	s_and_not1_saveexec_b32 s63, s63
; %bb.5839:
	v_add_f32_e64 v1, 0x46800000, |v38|
; %bb.5840:
	s_or_b32 exec_lo, exec_lo, s63
                                        ; implicit-def: $vgpr4
.LBB51_5841:
	s_and_not1_saveexec_b32 s62, s62
; %bb.5842:
	v_mov_b32_e32 v1, 0x7f
	v_cmp_lt_u32_e32 vcc_lo, 0x7f800000, v4
	s_delay_alu instid0(VALU_DEP_2)
	v_cndmask_b32_e32 v1, 0x7e, v1, vcc_lo
; %bb.5843:
	s_or_b32 exec_lo, exec_lo, s62
	v_lshrrev_b32_e32 v4, 24, v38
	s_delay_alu instid0(VALU_DEP_1)
	v_and_or_b32 v1, 0x80, v4, v1
	flat_store_b8 v[2:3], v1
.LBB51_5844:
	s_wait_xcnt 0x0
	s_or_b32 exec_lo, exec_lo, s61
                                        ; implicit-def: $vgpr38
                                        ; implicit-def: $vgpr2_vgpr3
.LBB51_5845:
	s_and_not1_saveexec_b32 s60, s60
	s_cbranch_execz .LBB51_5855
; %bb.5846:
	v_and_b32_e32 v4, 0x7fffffff, v38
	s_mov_b32 s61, exec_lo
                                        ; implicit-def: $vgpr1
	s_delay_alu instid0(VALU_DEP_1)
	v_cmpx_gt_u32_e32 0x47800000, v4
	s_xor_b32 s61, exec_lo, s61
	s_cbranch_execz .LBB51_5852
; %bb.5847:
	s_mov_b32 s62, exec_lo
                                        ; implicit-def: $vgpr1
	v_cmpx_lt_u32_e32 0x387fffff, v4
	s_xor_b32 s62, exec_lo, s62
; %bb.5848:
	v_bfe_u32 v1, v38, 21, 1
	s_delay_alu instid0(VALU_DEP_1) | instskip(NEXT) | instid1(VALU_DEP_1)
	v_add3_u32 v1, v38, v1, 0x80fffff
	v_lshrrev_b32_e32 v1, 21, v1
; %bb.5849:
	s_and_not1_saveexec_b32 s62, s62
; %bb.5850:
	v_add_f32_e64 v1, 0x43000000, |v38|
; %bb.5851:
	s_or_b32 exec_lo, exec_lo, s62
                                        ; implicit-def: $vgpr4
.LBB51_5852:
	s_and_not1_saveexec_b32 s61, s61
; %bb.5853:
	v_mov_b32_e32 v1, 0x7f
	v_cmp_lt_u32_e32 vcc_lo, 0x7f800000, v4
	s_delay_alu instid0(VALU_DEP_2)
	v_cndmask_b32_e32 v1, 0x7c, v1, vcc_lo
; %bb.5854:
	s_or_b32 exec_lo, exec_lo, s61
	v_lshrrev_b32_e32 v4, 24, v38
	s_delay_alu instid0(VALU_DEP_1)
	v_and_or_b32 v1, 0x80, v4, v1
	flat_store_b8 v[2:3], v1
.LBB51_5855:
	s_wait_xcnt 0x0
	s_or_b32 exec_lo, exec_lo, s60
	s_delay_alu instid0(SALU_CYCLE_1)
	s_or_b32 s60, s0, exec_lo
                                        ; implicit-def: $vgpr1
                                        ; implicit-def: $vgpr38
                                        ; implicit-def: $vgpr2_vgpr3
.LBB51_5856:
	s_or_saveexec_b32 s59, s59
	s_mov_b32 s61, s57
	s_xor_b32 exec_lo, exec_lo, s59
	s_cbranch_execz .LBB51_5866
; %bb.5857:
	s_mov_b32 s61, s60
	s_mov_b32 s62, s57
	s_mov_b32 s63, exec_lo
	v_cmpx_lt_i16_e32 14, v1
	s_xor_b32 s63, exec_lo, s63
	s_cbranch_execz .LBB51_5861
; %bb.5858:
	s_mov_b32 s72, -1
	s_mov_b32 s61, s60
	s_mov_b32 s62, exec_lo
	v_cmpx_eq_u16_e32 15, v1
	s_cbranch_execz .LBB51_5860
; %bb.5859:
	v_bfe_u32 v1, v38, 16, 1
	v_cmp_o_f32_e32 vcc_lo, v38, v38
	s_xor_b32 s72, exec_lo, -1
	s_or_b32 s61, s60, exec_lo
	s_delay_alu instid0(VALU_DEP_2) | instskip(NEXT) | instid1(VALU_DEP_1)
	v_add3_u32 v1, v38, v1, 0x7fff
	v_lshrrev_b32_e32 v1, 16, v1
	s_delay_alu instid0(VALU_DEP_1)
	v_cndmask_b32_e32 v1, 0x7fc0, v1, vcc_lo
	flat_store_b16 v[2:3], v1
.LBB51_5860:
	s_wait_xcnt 0x0
	s_or_b32 exec_lo, exec_lo, s62
	s_delay_alu instid0(SALU_CYCLE_1)
	s_and_not1_b32 s62, s57, exec_lo
	s_and_b32 s72, s72, exec_lo
	s_and_not1_b32 s73, s60, exec_lo
	s_and_b32 s61, s61, exec_lo
	s_or_b32 s62, s62, s72
	s_or_b32 s61, s73, s61
                                        ; implicit-def: $vgpr1
                                        ; implicit-def: $vgpr38
                                        ; implicit-def: $vgpr2_vgpr3
.LBB51_5861:
	s_and_not1_saveexec_b32 s63, s63
	s_cbranch_execz .LBB51_5865
; %bb.5862:
	s_mov_b32 s73, -1
	s_mov_b32 s72, s61
	s_mov_b32 s74, exec_lo
	v_cmpx_eq_u16_e32 11, v1
	s_cbranch_execz .LBB51_5864
; %bb.5863:
	v_cmp_neq_f32_e32 vcc_lo, 0, v38
	s_xor_b32 s73, exec_lo, -1
	s_or_b32 s72, s61, exec_lo
	v_cndmask_b32_e64 v1, 0, 1, vcc_lo
	flat_store_b8 v[2:3], v1
.LBB51_5864:
	s_wait_xcnt 0x0
	s_or_b32 exec_lo, exec_lo, s74
	s_delay_alu instid0(SALU_CYCLE_1)
	s_and_not1_b32 s62, s62, exec_lo
	s_and_b32 s73, s73, exec_lo
	s_and_not1_b32 s61, s61, exec_lo
	s_and_b32 s72, s72, exec_lo
	s_or_b32 s62, s62, s73
	s_or_b32 s61, s61, s72
.LBB51_5865:
	s_or_b32 exec_lo, exec_lo, s63
	s_delay_alu instid0(SALU_CYCLE_1)
	s_and_not1_b32 s63, s57, exec_lo
	s_and_b32 s62, s62, exec_lo
	s_and_not1_b32 s60, s60, exec_lo
	s_and_b32 s72, s61, exec_lo
	s_or_b32 s61, s63, s62
	s_or_b32 s60, s60, s72
.LBB51_5866:
	s_or_b32 exec_lo, exec_lo, s59
	s_delay_alu instid0(SALU_CYCLE_1)
	s_and_not1_b32 s57, s57, exec_lo
	s_and_b32 s59, s61, exec_lo
	s_and_not1_b32 s0, s0, exec_lo
	s_and_b32 s60, s60, exec_lo
	s_or_b32 s57, s57, s59
	s_or_b32 s0, s0, s60
.LBB51_5867:
	s_or_b32 exec_lo, exec_lo, s58
	s_delay_alu instid0(SALU_CYCLE_1)
	s_and_not1_b32 s58, s44, exec_lo
	s_and_b32 s57, s57, exec_lo
	s_and_b32 s0, s0, exec_lo
	s_or_b32 s57, s58, s57
                                        ; implicit-def: $vgpr1
                                        ; implicit-def: $vgpr38
                                        ; implicit-def: $vgpr2_vgpr3
.LBB51_5868:
	s_and_not1_saveexec_b32 s46, s46
	s_cbranch_execz .LBB51_5910
; %bb.5869:
	s_mov_b32 s58, exec_lo
	v_cmpx_lt_i16_e32 4, v1
	s_xor_b32 s58, exec_lo, s58
	s_cbranch_execz .LBB51_5891
; %bb.5870:
	s_mov_b32 s59, exec_lo
	v_cmpx_lt_i16_e32 7, v1
	s_xor_b32 s59, exec_lo, s59
	;; [unrolled: 5-line block ×4, first 2 shown]
	s_cbranch_execz .LBB51_5874
; %bb.5873:
	v_cvt_f64_f32_e32 v[4:5], v38
	v_mov_b32_e32 v6, 0
                                        ; implicit-def: $vgpr38
	s_delay_alu instid0(VALU_DEP_1)
	v_mov_b32_e32 v7, v6
	flat_store_b128 v[2:3], v[4:7]
                                        ; implicit-def: $vgpr2_vgpr3
.LBB51_5874:
	s_wait_xcnt 0x0
	s_and_not1_saveexec_b32 s61, s61
	s_cbranch_execz .LBB51_5876
; %bb.5875:
	v_mov_b32_e32 v39, 0
	flat_store_b64 v[2:3], v[38:39]
.LBB51_5876:
	s_wait_xcnt 0x0
	s_or_b32 exec_lo, exec_lo, s61
                                        ; implicit-def: $vgpr38
                                        ; implicit-def: $vgpr2_vgpr3
.LBB51_5877:
	s_and_not1_saveexec_b32 s60, s60
	s_cbranch_execz .LBB51_5879
; %bb.5878:
	v_cvt_f16_f32_e32 v1, v38
	s_delay_alu instid0(VALU_DEP_1)
	v_and_b32_e32 v1, 0xffff, v1
	flat_store_b32 v[2:3], v1
.LBB51_5879:
	s_wait_xcnt 0x0
	s_or_b32 exec_lo, exec_lo, s60
                                        ; implicit-def: $vgpr38
                                        ; implicit-def: $vgpr2_vgpr3
                                        ; implicit-def: $vgpr1
.LBB51_5880:
	s_and_not1_saveexec_b32 s59, s59
	s_cbranch_execz .LBB51_5890
; %bb.5881:
	s_mov_b32 s60, exec_lo
	v_cmpx_lt_i16_e32 5, v1
	s_xor_b32 s60, exec_lo, s60
	s_cbranch_execz .LBB51_5887
; %bb.5882:
	s_mov_b32 s61, exec_lo
	v_cmpx_lt_i16_e32 6, v1
	s_xor_b32 s61, exec_lo, s61
	s_cbranch_execz .LBB51_5884
; %bb.5883:
	v_cvt_f64_f32_e32 v[4:5], v38
                                        ; implicit-def: $vgpr38
	flat_store_b64 v[2:3], v[4:5]
                                        ; implicit-def: $vgpr2_vgpr3
.LBB51_5884:
	s_wait_xcnt 0x0
	s_and_not1_saveexec_b32 s61, s61
	s_cbranch_execz .LBB51_5886
; %bb.5885:
	flat_store_b32 v[2:3], v38
.LBB51_5886:
	s_wait_xcnt 0x0
	s_or_b32 exec_lo, exec_lo, s61
                                        ; implicit-def: $vgpr38
                                        ; implicit-def: $vgpr2_vgpr3
.LBB51_5887:
	s_and_not1_saveexec_b32 s60, s60
	s_cbranch_execz .LBB51_5889
; %bb.5888:
	v_cvt_f16_f32_e32 v1, v38
	flat_store_b16 v[2:3], v1
.LBB51_5889:
	s_wait_xcnt 0x0
	s_or_b32 exec_lo, exec_lo, s60
.LBB51_5890:
	s_delay_alu instid0(SALU_CYCLE_1)
	s_or_b32 exec_lo, exec_lo, s59
                                        ; implicit-def: $vgpr1
                                        ; implicit-def: $vgpr38
                                        ; implicit-def: $vgpr2_vgpr3
.LBB51_5891:
	s_and_not1_saveexec_b32 s58, s58
	s_cbranch_execz .LBB51_5909
; %bb.5892:
	s_mov_b32 s59, exec_lo
	v_cmpx_lt_i16_e32 1, v1
	s_xor_b32 s59, exec_lo, s59
	s_cbranch_execz .LBB51_5902
; %bb.5893:
	s_mov_b32 s60, exec_lo
	v_cmpx_lt_i16_e32 2, v1
	s_xor_b32 s60, exec_lo, s60
	;; [unrolled: 5-line block ×3, first 2 shown]
	s_cbranch_execz .LBB51_5896
; %bb.5895:
	v_trunc_f32_e32 v1, v38
                                        ; implicit-def: $vgpr38
	s_delay_alu instid0(VALU_DEP_1) | instskip(NEXT) | instid1(VALU_DEP_1)
	v_mul_f32_e64 v4, 0x2f800000, |v1|
	v_floor_f32_e32 v5, v4
	v_ashrrev_i32_e32 v4, 31, v1
	s_delay_alu instid0(VALU_DEP_2) | instskip(SKIP_1) | instid1(VALU_DEP_3)
	v_fma_f32 v6, 0xcf800000, v5, |v1|
	v_cvt_u32_f32_e32 v1, v5
	v_mov_b32_e32 v5, v4
	s_delay_alu instid0(VALU_DEP_3) | instskip(NEXT) | instid1(VALU_DEP_3)
	v_cvt_u32_f32_e32 v6, v6
	v_xor_b32_e32 v7, v1, v4
	s_delay_alu instid0(VALU_DEP_2) | instskip(NEXT) | instid1(VALU_DEP_1)
	v_xor_b32_e32 v6, v6, v4
	v_sub_nc_u64_e32 v[4:5], v[6:7], v[4:5]
	flat_store_b64 v[2:3], v[4:5]
                                        ; implicit-def: $vgpr2_vgpr3
.LBB51_5896:
	s_wait_xcnt 0x0
	s_and_not1_saveexec_b32 s61, s61
	s_cbranch_execz .LBB51_5898
; %bb.5897:
	v_cvt_i32_f32_e32 v1, v38
	flat_store_b32 v[2:3], v1
.LBB51_5898:
	s_wait_xcnt 0x0
	s_or_b32 exec_lo, exec_lo, s61
                                        ; implicit-def: $vgpr38
                                        ; implicit-def: $vgpr2_vgpr3
.LBB51_5899:
	s_and_not1_saveexec_b32 s60, s60
	s_cbranch_execz .LBB51_5901
; %bb.5900:
	v_cvt_i32_f32_e32 v1, v38
	flat_store_b16 v[2:3], v1
.LBB51_5901:
	s_wait_xcnt 0x0
	s_or_b32 exec_lo, exec_lo, s60
                                        ; implicit-def: $vgpr38
                                        ; implicit-def: $vgpr2_vgpr3
                                        ; implicit-def: $vgpr1
.LBB51_5902:
	s_and_not1_saveexec_b32 s59, s59
	s_cbranch_execz .LBB51_5908
; %bb.5903:
	s_mov_b32 s60, exec_lo
	v_cmpx_lt_i16_e32 0, v1
	s_xor_b32 s60, exec_lo, s60
	s_cbranch_execz .LBB51_5905
; %bb.5904:
	v_cvt_i32_f32_e32 v1, v38
                                        ; implicit-def: $vgpr38
	flat_store_b8 v[2:3], v1
                                        ; implicit-def: $vgpr2_vgpr3
.LBB51_5905:
	s_wait_xcnt 0x0
	s_and_not1_saveexec_b32 s60, s60
	s_cbranch_execz .LBB51_5907
; %bb.5906:
	v_trunc_f32_e32 v1, v38
	s_delay_alu instid0(VALU_DEP_1) | instskip(NEXT) | instid1(VALU_DEP_1)
	v_mul_f32_e64 v4, 0x2f800000, |v1|
	v_floor_f32_e32 v4, v4
	s_delay_alu instid0(VALU_DEP_1) | instskip(SKIP_1) | instid1(VALU_DEP_2)
	v_fma_f32 v4, 0xcf800000, v4, |v1|
	v_ashrrev_i32_e32 v1, 31, v1
	v_cvt_u32_f32_e32 v4, v4
	s_delay_alu instid0(VALU_DEP_1) | instskip(NEXT) | instid1(VALU_DEP_1)
	v_xor_b32_e32 v4, v4, v1
	v_sub_nc_u32_e32 v1, v4, v1
	flat_store_b8 v[2:3], v1
.LBB51_5907:
	s_wait_xcnt 0x0
	s_or_b32 exec_lo, exec_lo, s60
.LBB51_5908:
	s_delay_alu instid0(SALU_CYCLE_1)
	s_or_b32 exec_lo, exec_lo, s59
.LBB51_5909:
	s_delay_alu instid0(SALU_CYCLE_1) | instskip(NEXT) | instid1(SALU_CYCLE_1)
	s_or_b32 exec_lo, exec_lo, s58
	s_or_b32 s0, s0, exec_lo
.LBB51_5910:
	s_or_b32 exec_lo, exec_lo, s46
	s_mov_b32 s58, 0
	s_mov_b32 s46, 0
	s_and_saveexec_b32 s59, s0
; %bb.5911:
	v_add_nc_u32_e32 v103, 0x200, v103
	s_mov_b32 s58, exec_lo
	s_delay_alu instid0(VALU_DEP_1)
	v_cmp_lt_i32_e32 vcc_lo, v103, v8
	s_and_b32 s46, vcc_lo, exec_lo
; %bb.5912:
	s_or_b32 exec_lo, exec_lo, s59
	s_delay_alu instid0(SALU_CYCLE_1)
	s_and_not1_b32 s0, s44, exec_lo
	s_and_b32 s57, s57, exec_lo
	s_and_b32 s59, s46, exec_lo
	s_or_b32 s46, s0, s57
	s_or_not1_b32 s58, s58, exec_lo
.LBB51_5913:
	s_or_b32 exec_lo, exec_lo, s47
	s_mov_b32 s0, 0
	s_mov_b32 s57, 0
                                        ; implicit-def: $vgpr4
                                        ; implicit-def: $vgpr2_vgpr3
	s_and_saveexec_b32 s47, s58
	s_cbranch_execz .LBB51_7815
; %bb.5914:
	s_mov_b32 s60, -1
	s_mov_b32 s58, 0
	s_mov_b32 s56, s46
	s_and_saveexec_b32 s57, s59
	s_cbranch_execz .LBB51_6042
; %bb.5915:
	v_dual_add_nc_u32 v1, s3, v103 :: v_dual_mov_b32 v3, 0
	s_mov_b32 s59, s46
	s_mov_b32 s56, exec_lo
	s_delay_alu instid0(VALU_DEP_1) | instskip(SKIP_1) | instid1(VALU_DEP_2)
	v_mul_lo_u32 v2, v1, v14
	v_and_b32_e32 v1, 0xff, v13
	v_add_nc_u64_e32 v[2:3], v[114:115], v[2:3]
	s_delay_alu instid0(VALU_DEP_2)
	v_cmpx_lt_i16_e32 10, v1
	s_xor_b32 s56, exec_lo, s56
	s_cbranch_execz .LBB51_5997
; %bb.5916:
	s_mov_b32 s59, s46
	s_mov_b32 s60, exec_lo
	v_cmpx_lt_i16_e32 25, v1
	s_xor_b32 s60, exec_lo, s60
	s_cbranch_execz .LBB51_5952
; %bb.5917:
	s_mov_b32 s61, s46
	s_mov_b32 s59, exec_lo
	;; [unrolled: 6-line block ×3, first 2 shown]
	v_cmpx_lt_i16_e32 43, v1
	s_xor_b32 s61, exec_lo, s61
	s_cbranch_execz .LBB51_5930
; %bb.5919:
	s_mov_b32 s62, 0
	s_mov_b32 s63, s46
	s_mov_b32 s0, exec_lo
	v_cmpx_lt_i16_e32 45, v1
	s_xor_b32 s0, exec_lo, s0
	s_cbranch_execz .LBB51_5923
; %bb.5920:
	s_mov_b32 s72, -1
	s_mov_b32 s63, exec_lo
	v_cmpx_eq_u16_e32 46, v1
	s_cbranch_execz .LBB51_5922
; %bb.5921:
	v_bfe_u32 v1, v36, 16, 1
	v_cmp_o_f32_e32 vcc_lo, v36, v36
	s_mov_b32 s62, exec_lo
	s_xor_b32 s72, exec_lo, -1
	s_delay_alu instid0(VALU_DEP_2) | instskip(NEXT) | instid1(VALU_DEP_1)
	v_add3_u32 v1, v36, v1, 0x7fff
	v_lshrrev_b32_e32 v1, 16, v1
	s_delay_alu instid0(VALU_DEP_1)
	v_cndmask_b32_e32 v1, 0x7fc0, v1, vcc_lo
	flat_store_b32 v[2:3], v1
.LBB51_5922:
	s_wait_xcnt 0x0
	s_or_b32 exec_lo, exec_lo, s63
	s_delay_alu instid0(SALU_CYCLE_1)
	s_and_not1_b32 s63, s46, exec_lo
	s_and_b32 s72, s72, exec_lo
	s_and_b32 s62, s62, exec_lo
	s_or_b32 s63, s63, s72
                                        ; implicit-def: $vgpr1
                                        ; implicit-def: $vgpr2_vgpr3
                                        ; implicit-def: $vgpr36
.LBB51_5923:
	s_and_not1_saveexec_b32 s72, s0
	s_cbranch_execz .LBB51_5929
; %bb.5924:
	s_mov_b32 s74, -1
	s_mov_b32 s0, s62
	s_mov_b32 s73, exec_lo
	v_cmpx_eq_u16_e32 44, v1
	s_cbranch_execz .LBB51_5928
; %bb.5925:
	v_bfe_u32 v4, v36, 23, 8
	v_mov_b32_e32 v1, 0xff
	s_mov_b32 s74, exec_lo
	s_delay_alu instid0(VALU_DEP_2)
	v_cmpx_ne_u32_e32 0xff, v4
	s_cbranch_execz .LBB51_5927
; %bb.5926:
	v_and_b32_e32 v1, 0x400000, v36
	v_and_or_b32 v4, 0x3fffff, v36, v4
	s_delay_alu instid0(VALU_DEP_2) | instskip(NEXT) | instid1(VALU_DEP_2)
	v_cmp_ne_u32_e32 vcc_lo, 0, v1
	v_cmp_ne_u32_e64 s0, 0, v4
	v_lshrrev_b32_e32 v1, 23, v36
	s_and_b32 s0, vcc_lo, s0
	s_delay_alu instid0(SALU_CYCLE_1) | instskip(NEXT) | instid1(VALU_DEP_1)
	v_cndmask_b32_e64 v4, 0, 1, s0
	v_add_nc_u32_e32 v1, v1, v4
.LBB51_5927:
	s_or_b32 exec_lo, exec_lo, s74
	s_delay_alu instid0(SALU_CYCLE_1)
	s_xor_b32 s74, exec_lo, -1
	s_or_b32 s0, s62, exec_lo
	flat_store_b8 v[2:3], v1
.LBB51_5928:
	s_wait_xcnt 0x0
	s_or_b32 exec_lo, exec_lo, s73
	s_delay_alu instid0(SALU_CYCLE_1)
	s_and_not1_b32 s63, s63, exec_lo
	s_and_b32 s73, s74, exec_lo
	s_and_not1_b32 s62, s62, exec_lo
	s_and_b32 s0, s0, exec_lo
	s_or_b32 s63, s63, s73
	s_or_b32 s62, s62, s0
.LBB51_5929:
	s_or_b32 exec_lo, exec_lo, s72
	s_delay_alu instid0(SALU_CYCLE_1) | instskip(SKIP_1) | instid1(SALU_CYCLE_1)
	s_and_not1_b32 s0, s46, exec_lo
	s_and_b32 s63, s63, exec_lo
                                        ; implicit-def: $vgpr1
                                        ; implicit-def: $vgpr36
                                        ; implicit-def: $vgpr2_vgpr3
	s_or_b32 s63, s0, s63
	s_and_b32 s0, s62, exec_lo
.LBB51_5930:
	s_and_not1_saveexec_b32 s61, s61
	s_cbranch_execz .LBB51_5934
; %bb.5931:
	s_mov_b32 s73, -1
	s_mov_b32 s72, s0
	s_mov_b32 s62, exec_lo
	v_cmpx_eq_u16_e32 29, v1
	s_cbranch_execz .LBB51_5933
; %bb.5932:
	v_trunc_f32_e32 v1, v36
	s_xor_b32 s73, exec_lo, -1
	s_or_b32 s72, s0, exec_lo
	s_delay_alu instid0(VALU_DEP_1) | instskip(NEXT) | instid1(VALU_DEP_1)
	v_mul_f32_e32 v4, 0x2f800000, v1
	v_floor_f32_e32 v4, v4
	s_delay_alu instid0(VALU_DEP_1) | instskip(SKIP_1) | instid1(VALU_DEP_2)
	v_fmamk_f32 v1, v4, 0xcf800000, v1
	v_cvt_u32_f32_e32 v5, v4
	v_cvt_u32_f32_e32 v4, v1
	flat_store_b64 v[2:3], v[4:5]
.LBB51_5933:
	s_wait_xcnt 0x0
	s_or_b32 exec_lo, exec_lo, s62
	s_delay_alu instid0(SALU_CYCLE_1)
	s_and_not1_b32 s62, s63, exec_lo
	s_and_b32 s63, s73, exec_lo
	s_and_not1_b32 s0, s0, exec_lo
	s_and_b32 s72, s72, exec_lo
	s_or_b32 s63, s62, s63
	s_or_b32 s0, s0, s72
.LBB51_5934:
	s_or_b32 exec_lo, exec_lo, s61
	s_delay_alu instid0(SALU_CYCLE_1)
	s_and_not1_b32 s61, s46, exec_lo
	s_and_b32 s62, s63, exec_lo
	s_and_b32 s0, s0, exec_lo
	s_or_b32 s61, s61, s62
                                        ; implicit-def: $vgpr2_vgpr3
                                        ; implicit-def: $vgpr1
                                        ; implicit-def: $vgpr36
.LBB51_5935:
	s_and_not1_saveexec_b32 s59, s59
	s_cbranch_execz .LBB51_5951
; %bb.5936:
	s_mov_b32 s62, exec_lo
	v_cmpx_lt_i16_e32 26, v1
	s_xor_b32 s62, exec_lo, s62
	s_cbranch_execz .LBB51_5942
; %bb.5937:
	v_cmp_lt_i16_e32 vcc_lo, 27, v1
	v_cvt_u32_f32_e32 v1, v36
	s_and_saveexec_b32 s63, vcc_lo
	s_delay_alu instid0(SALU_CYCLE_1)
	s_xor_b32 s63, exec_lo, s63
	s_cbranch_execz .LBB51_5939
; %bb.5938:
	flat_store_b32 v[2:3], v1
                                        ; implicit-def: $vgpr2_vgpr3
                                        ; implicit-def: $vgpr1
.LBB51_5939:
	s_wait_xcnt 0x0
	s_and_not1_saveexec_b32 s63, s63
	s_cbranch_execz .LBB51_5941
; %bb.5940:
	flat_store_b16 v[2:3], v1
.LBB51_5941:
	s_wait_xcnt 0x0
	s_or_b32 exec_lo, exec_lo, s63
                                        ; implicit-def: $vgpr2_vgpr3
                                        ; implicit-def: $vgpr36
.LBB51_5942:
	s_and_not1_saveexec_b32 s62, s62
	s_cbranch_execz .LBB51_5950
; %bb.5943:
	v_and_b32_e32 v1, 0x7fffffff, v36
	v_mov_b32_e32 v4, 0x80
	s_mov_b32 s63, exec_lo
	s_delay_alu instid0(VALU_DEP_2)
	v_cmpx_gt_u32_e32 0x43800000, v1
	s_cbranch_execz .LBB51_5949
; %bb.5944:
	v_cmp_lt_u32_e32 vcc_lo, 0x3bffffff, v1
	s_mov_b32 s72, 0
                                        ; implicit-def: $vgpr1
	s_and_saveexec_b32 s73, vcc_lo
	s_delay_alu instid0(SALU_CYCLE_1)
	s_xor_b32 s73, exec_lo, s73
	s_cbranch_execnz .LBB51_7947
; %bb.5945:
	s_and_not1_saveexec_b32 s73, s73
	s_cbranch_execnz .LBB51_7948
.LBB51_5946:
	s_or_b32 exec_lo, exec_lo, s73
	v_mov_b32_e32 v4, 0
	s_and_saveexec_b32 s73, s72
.LBB51_5947:
	v_lshrrev_b32_e32 v4, 24, v36
	s_delay_alu instid0(VALU_DEP_1)
	v_and_or_b32 v4, 0x80, v4, v1
.LBB51_5948:
	s_or_b32 exec_lo, exec_lo, s73
.LBB51_5949:
	s_delay_alu instid0(SALU_CYCLE_1)
	s_or_b32 exec_lo, exec_lo, s63
	flat_store_b8 v[2:3], v4
.LBB51_5950:
	s_wait_xcnt 0x0
	s_or_b32 exec_lo, exec_lo, s62
	s_delay_alu instid0(SALU_CYCLE_1)
	s_or_b32 s0, s0, exec_lo
.LBB51_5951:
	s_or_b32 exec_lo, exec_lo, s59
	s_delay_alu instid0(SALU_CYCLE_1)
	s_and_not1_b32 s59, s46, exec_lo
	s_and_b32 s61, s61, exec_lo
	s_and_b32 s0, s0, exec_lo
	s_or_b32 s59, s59, s61
                                        ; implicit-def: $vgpr1
                                        ; implicit-def: $vgpr36
                                        ; implicit-def: $vgpr2_vgpr3
.LBB51_5952:
	s_and_not1_saveexec_b32 s60, s60
	s_cbranch_execz .LBB51_5996
; %bb.5953:
	s_mov_b32 s62, s0
	s_mov_b32 s61, exec_lo
	v_cmpx_lt_i16_e32 22, v1
	s_xor_b32 s61, exec_lo, s61
	s_cbranch_execz .LBB51_5985
; %bb.5954:
	s_mov_b32 s62, exec_lo
	v_cmpx_lt_i16_e32 23, v1
	s_xor_b32 s62, exec_lo, s62
	s_cbranch_execz .LBB51_5974
; %bb.5955:
	;; [unrolled: 5-line block ×3, first 2 shown]
	v_and_b32_e32 v1, 0x7fffffff, v36
	v_mov_b32_e32 v4, 0x80
	s_mov_b32 s72, exec_lo
	s_delay_alu instid0(VALU_DEP_2)
	v_cmpx_gt_u32_e32 0x47800000, v1
	s_cbranch_execz .LBB51_5962
; %bb.5957:
	v_cmp_lt_u32_e32 vcc_lo, 0x37ffffff, v1
	s_mov_b32 s73, 0
                                        ; implicit-def: $vgpr1
	s_and_saveexec_b32 s74, vcc_lo
	s_delay_alu instid0(SALU_CYCLE_1)
	s_xor_b32 s74, exec_lo, s74
	s_cbranch_execnz .LBB51_7949
; %bb.5958:
	s_and_not1_saveexec_b32 s74, s74
	s_cbranch_execnz .LBB51_7950
.LBB51_5959:
	s_or_b32 exec_lo, exec_lo, s74
	v_mov_b32_e32 v4, 0
	s_and_saveexec_b32 s74, s73
.LBB51_5960:
	v_lshrrev_b32_e32 v4, 24, v36
	s_delay_alu instid0(VALU_DEP_1)
	v_and_or_b32 v4, 0x80, v4, v1
.LBB51_5961:
	s_or_b32 exec_lo, exec_lo, s74
.LBB51_5962:
	s_delay_alu instid0(SALU_CYCLE_1)
	s_or_b32 exec_lo, exec_lo, s72
	flat_store_b8 v[2:3], v4
                                        ; implicit-def: $vgpr36
                                        ; implicit-def: $vgpr2_vgpr3
.LBB51_5963:
	s_wait_xcnt 0x0
	s_and_not1_saveexec_b32 s63, s63
	s_cbranch_execz .LBB51_5973
; %bb.5964:
	v_and_b32_e32 v4, 0x7fffffff, v36
	s_mov_b32 s72, exec_lo
                                        ; implicit-def: $vgpr1
	s_delay_alu instid0(VALU_DEP_1)
	v_cmpx_gt_u32_e32 0x43f00000, v4
	s_xor_b32 s72, exec_lo, s72
	s_cbranch_execz .LBB51_5970
; %bb.5965:
	s_mov_b32 s73, exec_lo
                                        ; implicit-def: $vgpr1
	v_cmpx_lt_u32_e32 0x3c7fffff, v4
	s_xor_b32 s73, exec_lo, s73
; %bb.5966:
	v_bfe_u32 v1, v36, 20, 1
	s_delay_alu instid0(VALU_DEP_1) | instskip(NEXT) | instid1(VALU_DEP_1)
	v_add3_u32 v1, v36, v1, 0x407ffff
	v_and_b32_e32 v4, 0xff00000, v1
	v_lshrrev_b32_e32 v1, 20, v1
	s_delay_alu instid0(VALU_DEP_2) | instskip(NEXT) | instid1(VALU_DEP_2)
	v_cmp_ne_u32_e32 vcc_lo, 0x7f00000, v4
	v_cndmask_b32_e32 v1, 0x7e, v1, vcc_lo
; %bb.5967:
	s_and_not1_saveexec_b32 s73, s73
; %bb.5968:
	v_add_f32_e64 v1, 0x46800000, |v36|
; %bb.5969:
	s_or_b32 exec_lo, exec_lo, s73
                                        ; implicit-def: $vgpr4
.LBB51_5970:
	s_and_not1_saveexec_b32 s72, s72
; %bb.5971:
	v_mov_b32_e32 v1, 0x7f
	v_cmp_lt_u32_e32 vcc_lo, 0x7f800000, v4
	s_delay_alu instid0(VALU_DEP_2)
	v_cndmask_b32_e32 v1, 0x7e, v1, vcc_lo
; %bb.5972:
	s_or_b32 exec_lo, exec_lo, s72
	v_lshrrev_b32_e32 v4, 24, v36
	s_delay_alu instid0(VALU_DEP_1)
	v_and_or_b32 v1, 0x80, v4, v1
	flat_store_b8 v[2:3], v1
.LBB51_5973:
	s_wait_xcnt 0x0
	s_or_b32 exec_lo, exec_lo, s63
                                        ; implicit-def: $vgpr36
                                        ; implicit-def: $vgpr2_vgpr3
.LBB51_5974:
	s_and_not1_saveexec_b32 s62, s62
	s_cbranch_execz .LBB51_5984
; %bb.5975:
	v_and_b32_e32 v4, 0x7fffffff, v36
	s_mov_b32 s63, exec_lo
                                        ; implicit-def: $vgpr1
	s_delay_alu instid0(VALU_DEP_1)
	v_cmpx_gt_u32_e32 0x47800000, v4
	s_xor_b32 s63, exec_lo, s63
	s_cbranch_execz .LBB51_5981
; %bb.5976:
	s_mov_b32 s72, exec_lo
                                        ; implicit-def: $vgpr1
	v_cmpx_lt_u32_e32 0x387fffff, v4
	s_xor_b32 s72, exec_lo, s72
; %bb.5977:
	v_bfe_u32 v1, v36, 21, 1
	s_delay_alu instid0(VALU_DEP_1) | instskip(NEXT) | instid1(VALU_DEP_1)
	v_add3_u32 v1, v36, v1, 0x80fffff
	v_lshrrev_b32_e32 v1, 21, v1
; %bb.5978:
	s_and_not1_saveexec_b32 s72, s72
; %bb.5979:
	v_add_f32_e64 v1, 0x43000000, |v36|
; %bb.5980:
	s_or_b32 exec_lo, exec_lo, s72
                                        ; implicit-def: $vgpr4
.LBB51_5981:
	s_and_not1_saveexec_b32 s63, s63
; %bb.5982:
	v_mov_b32_e32 v1, 0x7f
	v_cmp_lt_u32_e32 vcc_lo, 0x7f800000, v4
	s_delay_alu instid0(VALU_DEP_2)
	v_cndmask_b32_e32 v1, 0x7c, v1, vcc_lo
; %bb.5983:
	s_or_b32 exec_lo, exec_lo, s63
	v_lshrrev_b32_e32 v4, 24, v36
	s_delay_alu instid0(VALU_DEP_1)
	v_and_or_b32 v1, 0x80, v4, v1
	flat_store_b8 v[2:3], v1
.LBB51_5984:
	s_wait_xcnt 0x0
	s_or_b32 exec_lo, exec_lo, s62
	s_delay_alu instid0(SALU_CYCLE_1)
	s_or_b32 s62, s0, exec_lo
                                        ; implicit-def: $vgpr1
                                        ; implicit-def: $vgpr36
                                        ; implicit-def: $vgpr2_vgpr3
.LBB51_5985:
	s_or_saveexec_b32 s61, s61
	s_mov_b32 s63, s59
	s_xor_b32 exec_lo, exec_lo, s61
	s_cbranch_execz .LBB51_5995
; %bb.5986:
	s_mov_b32 s63, s62
	s_mov_b32 s72, s59
	s_mov_b32 s73, exec_lo
	v_cmpx_lt_i16_e32 14, v1
	s_xor_b32 s73, exec_lo, s73
	s_cbranch_execz .LBB51_5990
; %bb.5987:
	s_mov_b32 s74, -1
	s_mov_b32 s63, s62
	s_mov_b32 s72, exec_lo
	v_cmpx_eq_u16_e32 15, v1
	s_cbranch_execz .LBB51_5989
; %bb.5988:
	v_bfe_u32 v1, v36, 16, 1
	v_cmp_o_f32_e32 vcc_lo, v36, v36
	s_xor_b32 s74, exec_lo, -1
	s_or_b32 s63, s62, exec_lo
	s_delay_alu instid0(VALU_DEP_2) | instskip(NEXT) | instid1(VALU_DEP_1)
	v_add3_u32 v1, v36, v1, 0x7fff
	v_lshrrev_b32_e32 v1, 16, v1
	s_delay_alu instid0(VALU_DEP_1)
	v_cndmask_b32_e32 v1, 0x7fc0, v1, vcc_lo
	flat_store_b16 v[2:3], v1
.LBB51_5989:
	s_wait_xcnt 0x0
	s_or_b32 exec_lo, exec_lo, s72
	s_delay_alu instid0(SALU_CYCLE_1)
	s_and_not1_b32 s72, s59, exec_lo
	s_and_b32 s74, s74, exec_lo
	s_and_not1_b32 s75, s62, exec_lo
	s_and_b32 s63, s63, exec_lo
	s_or_b32 s72, s72, s74
	s_or_b32 s63, s75, s63
                                        ; implicit-def: $vgpr1
                                        ; implicit-def: $vgpr36
                                        ; implicit-def: $vgpr2_vgpr3
.LBB51_5990:
	s_and_not1_saveexec_b32 s73, s73
	s_cbranch_execz .LBB51_5994
; %bb.5991:
	s_mov_b32 s75, -1
	s_mov_b32 s74, s63
	s_mov_b32 s76, exec_lo
	v_cmpx_eq_u16_e32 11, v1
	s_cbranch_execz .LBB51_5993
; %bb.5992:
	v_cmp_neq_f32_e32 vcc_lo, 0, v36
	s_xor_b32 s75, exec_lo, -1
	s_or_b32 s74, s63, exec_lo
	v_cndmask_b32_e64 v1, 0, 1, vcc_lo
	flat_store_b8 v[2:3], v1
.LBB51_5993:
	s_wait_xcnt 0x0
	s_or_b32 exec_lo, exec_lo, s76
	s_delay_alu instid0(SALU_CYCLE_1)
	s_and_not1_b32 s72, s72, exec_lo
	s_and_b32 s75, s75, exec_lo
	s_and_not1_b32 s63, s63, exec_lo
	s_and_b32 s74, s74, exec_lo
	s_or_b32 s72, s72, s75
	s_or_b32 s63, s63, s74
.LBB51_5994:
	s_or_b32 exec_lo, exec_lo, s73
	s_delay_alu instid0(SALU_CYCLE_1)
	s_and_not1_b32 s73, s59, exec_lo
	s_and_b32 s72, s72, exec_lo
	s_and_not1_b32 s62, s62, exec_lo
	s_and_b32 s74, s63, exec_lo
	s_or_b32 s63, s73, s72
	s_or_b32 s62, s62, s74
.LBB51_5995:
	s_or_b32 exec_lo, exec_lo, s61
	s_delay_alu instid0(SALU_CYCLE_1)
	s_and_not1_b32 s59, s59, exec_lo
	s_and_b32 s61, s63, exec_lo
	s_and_not1_b32 s0, s0, exec_lo
	s_and_b32 s62, s62, exec_lo
	s_or_b32 s59, s59, s61
	s_or_b32 s0, s0, s62
.LBB51_5996:
	s_or_b32 exec_lo, exec_lo, s60
	s_delay_alu instid0(SALU_CYCLE_1)
	s_and_not1_b32 s60, s46, exec_lo
	s_and_b32 s59, s59, exec_lo
	s_and_b32 s0, s0, exec_lo
	s_or_b32 s59, s60, s59
                                        ; implicit-def: $vgpr1
                                        ; implicit-def: $vgpr36
                                        ; implicit-def: $vgpr2_vgpr3
.LBB51_5997:
	s_and_not1_saveexec_b32 s56, s56
	s_cbranch_execz .LBB51_6039
; %bb.5998:
	s_mov_b32 s60, exec_lo
	v_cmpx_lt_i16_e32 4, v1
	s_xor_b32 s60, exec_lo, s60
	s_cbranch_execz .LBB51_6020
; %bb.5999:
	s_mov_b32 s61, exec_lo
	v_cmpx_lt_i16_e32 7, v1
	s_xor_b32 s61, exec_lo, s61
	;; [unrolled: 5-line block ×4, first 2 shown]
	s_cbranch_execz .LBB51_6003
; %bb.6002:
	v_cvt_f64_f32_e32 v[4:5], v36
	v_mov_b32_e32 v6, 0
                                        ; implicit-def: $vgpr36
	s_delay_alu instid0(VALU_DEP_1)
	v_mov_b32_e32 v7, v6
	flat_store_b128 v[2:3], v[4:7]
                                        ; implicit-def: $vgpr2_vgpr3
.LBB51_6003:
	s_wait_xcnt 0x0
	s_and_not1_saveexec_b32 s63, s63
	s_cbranch_execz .LBB51_6005
; %bb.6004:
	v_mov_b32_e32 v37, 0
	flat_store_b64 v[2:3], v[36:37]
.LBB51_6005:
	s_wait_xcnt 0x0
	s_or_b32 exec_lo, exec_lo, s63
                                        ; implicit-def: $vgpr36
                                        ; implicit-def: $vgpr2_vgpr3
.LBB51_6006:
	s_and_not1_saveexec_b32 s62, s62
	s_cbranch_execz .LBB51_6008
; %bb.6007:
	v_cvt_f16_f32_e32 v1, v36
	s_delay_alu instid0(VALU_DEP_1)
	v_and_b32_e32 v1, 0xffff, v1
	flat_store_b32 v[2:3], v1
.LBB51_6008:
	s_wait_xcnt 0x0
	s_or_b32 exec_lo, exec_lo, s62
                                        ; implicit-def: $vgpr36
                                        ; implicit-def: $vgpr2_vgpr3
                                        ; implicit-def: $vgpr1
.LBB51_6009:
	s_and_not1_saveexec_b32 s61, s61
	s_cbranch_execz .LBB51_6019
; %bb.6010:
	s_mov_b32 s62, exec_lo
	v_cmpx_lt_i16_e32 5, v1
	s_xor_b32 s62, exec_lo, s62
	s_cbranch_execz .LBB51_6016
; %bb.6011:
	s_mov_b32 s63, exec_lo
	v_cmpx_lt_i16_e32 6, v1
	s_xor_b32 s63, exec_lo, s63
	s_cbranch_execz .LBB51_6013
; %bb.6012:
	v_cvt_f64_f32_e32 v[4:5], v36
                                        ; implicit-def: $vgpr36
	flat_store_b64 v[2:3], v[4:5]
                                        ; implicit-def: $vgpr2_vgpr3
.LBB51_6013:
	s_wait_xcnt 0x0
	s_and_not1_saveexec_b32 s63, s63
	s_cbranch_execz .LBB51_6015
; %bb.6014:
	flat_store_b32 v[2:3], v36
.LBB51_6015:
	s_wait_xcnt 0x0
	s_or_b32 exec_lo, exec_lo, s63
                                        ; implicit-def: $vgpr36
                                        ; implicit-def: $vgpr2_vgpr3
.LBB51_6016:
	s_and_not1_saveexec_b32 s62, s62
	s_cbranch_execz .LBB51_6018
; %bb.6017:
	v_cvt_f16_f32_e32 v1, v36
	flat_store_b16 v[2:3], v1
.LBB51_6018:
	s_wait_xcnt 0x0
	s_or_b32 exec_lo, exec_lo, s62
.LBB51_6019:
	s_delay_alu instid0(SALU_CYCLE_1)
	s_or_b32 exec_lo, exec_lo, s61
                                        ; implicit-def: $vgpr1
                                        ; implicit-def: $vgpr36
                                        ; implicit-def: $vgpr2_vgpr3
.LBB51_6020:
	s_and_not1_saveexec_b32 s60, s60
	s_cbranch_execz .LBB51_6038
; %bb.6021:
	s_mov_b32 s61, exec_lo
	v_cmpx_lt_i16_e32 1, v1
	s_xor_b32 s61, exec_lo, s61
	s_cbranch_execz .LBB51_6031
; %bb.6022:
	s_mov_b32 s62, exec_lo
	v_cmpx_lt_i16_e32 2, v1
	s_xor_b32 s62, exec_lo, s62
	;; [unrolled: 5-line block ×3, first 2 shown]
	s_cbranch_execz .LBB51_6025
; %bb.6024:
	v_trunc_f32_e32 v1, v36
                                        ; implicit-def: $vgpr36
	s_delay_alu instid0(VALU_DEP_1) | instskip(NEXT) | instid1(VALU_DEP_1)
	v_mul_f32_e64 v4, 0x2f800000, |v1|
	v_floor_f32_e32 v5, v4
	v_ashrrev_i32_e32 v4, 31, v1
	s_delay_alu instid0(VALU_DEP_2) | instskip(SKIP_1) | instid1(VALU_DEP_3)
	v_fma_f32 v6, 0xcf800000, v5, |v1|
	v_cvt_u32_f32_e32 v1, v5
	v_mov_b32_e32 v5, v4
	s_delay_alu instid0(VALU_DEP_3) | instskip(NEXT) | instid1(VALU_DEP_3)
	v_cvt_u32_f32_e32 v6, v6
	v_xor_b32_e32 v7, v1, v4
	s_delay_alu instid0(VALU_DEP_2) | instskip(NEXT) | instid1(VALU_DEP_1)
	v_xor_b32_e32 v6, v6, v4
	v_sub_nc_u64_e32 v[4:5], v[6:7], v[4:5]
	flat_store_b64 v[2:3], v[4:5]
                                        ; implicit-def: $vgpr2_vgpr3
.LBB51_6025:
	s_wait_xcnt 0x0
	s_and_not1_saveexec_b32 s63, s63
	s_cbranch_execz .LBB51_6027
; %bb.6026:
	v_cvt_i32_f32_e32 v1, v36
	flat_store_b32 v[2:3], v1
.LBB51_6027:
	s_wait_xcnt 0x0
	s_or_b32 exec_lo, exec_lo, s63
                                        ; implicit-def: $vgpr36
                                        ; implicit-def: $vgpr2_vgpr3
.LBB51_6028:
	s_and_not1_saveexec_b32 s62, s62
	s_cbranch_execz .LBB51_6030
; %bb.6029:
	v_cvt_i32_f32_e32 v1, v36
	flat_store_b16 v[2:3], v1
.LBB51_6030:
	s_wait_xcnt 0x0
	s_or_b32 exec_lo, exec_lo, s62
                                        ; implicit-def: $vgpr36
                                        ; implicit-def: $vgpr2_vgpr3
                                        ; implicit-def: $vgpr1
.LBB51_6031:
	s_and_not1_saveexec_b32 s61, s61
	s_cbranch_execz .LBB51_6037
; %bb.6032:
	s_mov_b32 s62, exec_lo
	v_cmpx_lt_i16_e32 0, v1
	s_xor_b32 s62, exec_lo, s62
	s_cbranch_execz .LBB51_6034
; %bb.6033:
	v_cvt_i32_f32_e32 v1, v36
                                        ; implicit-def: $vgpr36
	flat_store_b8 v[2:3], v1
                                        ; implicit-def: $vgpr2_vgpr3
.LBB51_6034:
	s_wait_xcnt 0x0
	s_and_not1_saveexec_b32 s62, s62
	s_cbranch_execz .LBB51_6036
; %bb.6035:
	v_trunc_f32_e32 v1, v36
	s_delay_alu instid0(VALU_DEP_1) | instskip(NEXT) | instid1(VALU_DEP_1)
	v_mul_f32_e64 v4, 0x2f800000, |v1|
	v_floor_f32_e32 v4, v4
	s_delay_alu instid0(VALU_DEP_1) | instskip(SKIP_1) | instid1(VALU_DEP_2)
	v_fma_f32 v4, 0xcf800000, v4, |v1|
	v_ashrrev_i32_e32 v1, 31, v1
	v_cvt_u32_f32_e32 v4, v4
	s_delay_alu instid0(VALU_DEP_1) | instskip(NEXT) | instid1(VALU_DEP_1)
	v_xor_b32_e32 v4, v4, v1
	v_sub_nc_u32_e32 v1, v4, v1
	flat_store_b8 v[2:3], v1
.LBB51_6036:
	s_wait_xcnt 0x0
	s_or_b32 exec_lo, exec_lo, s62
.LBB51_6037:
	s_delay_alu instid0(SALU_CYCLE_1)
	s_or_b32 exec_lo, exec_lo, s61
.LBB51_6038:
	s_delay_alu instid0(SALU_CYCLE_1) | instskip(NEXT) | instid1(SALU_CYCLE_1)
	s_or_b32 exec_lo, exec_lo, s60
	s_or_b32 s0, s0, exec_lo
.LBB51_6039:
	s_or_b32 exec_lo, exec_lo, s56
	s_mov_b32 s60, 0
	s_mov_b32 s56, 0
	s_and_saveexec_b32 s61, s0
; %bb.6040:
	v_add_nc_u32_e32 v103, 0x200, v103
	s_mov_b32 s60, exec_lo
	s_delay_alu instid0(VALU_DEP_1)
	v_cmp_lt_i32_e32 vcc_lo, v103, v8
	s_and_b32 s56, vcc_lo, exec_lo
; %bb.6041:
	s_or_b32 exec_lo, exec_lo, s61
	s_delay_alu instid0(SALU_CYCLE_1)
	s_and_not1_b32 s61, s46, exec_lo
	s_and_b32 s59, s59, exec_lo
	s_and_b32 s0, s56, exec_lo
	s_or_b32 s56, s61, s59
	s_or_not1_b32 s60, s60, exec_lo
.LBB51_6042:
	s_or_b32 exec_lo, exec_lo, s57
	s_mov_b32 s59, 0
	s_mov_b32 s61, 0
                                        ; implicit-def: $vgpr4
                                        ; implicit-def: $vgpr2_vgpr3
	s_and_saveexec_b32 s57, s60
	s_cbranch_execz .LBB51_7814
; %bb.6043:
	s_mov_b32 s62, -1
	s_mov_b32 s60, 0
	s_mov_b32 s58, s56
	s_mov_b32 s63, 0
	s_and_saveexec_b32 s59, s0
	s_cbranch_execz .LBB51_6171
; %bb.6044:
	v_dual_add_nc_u32 v1, s3, v103 :: v_dual_mov_b32 v3, 0
	s_mov_b32 s0, 0
	s_mov_b32 s61, s56
	s_mov_b32 s58, exec_lo
	s_delay_alu instid0(VALU_DEP_1) | instskip(SKIP_1) | instid1(VALU_DEP_2)
	v_mul_lo_u32 v2, v1, v14
	v_and_b32_e32 v1, 0xff, v13
	v_add_nc_u64_e32 v[2:3], v[114:115], v[2:3]
	s_delay_alu instid0(VALU_DEP_2)
	v_cmpx_lt_i16_e32 10, v1
	s_xor_b32 s58, exec_lo, s58
	s_cbranch_execz .LBB51_6126
; %bb.6045:
	s_mov_b32 s61, s56
	s_mov_b32 s62, exec_lo
	v_cmpx_lt_i16_e32 25, v1
	s_xor_b32 s62, exec_lo, s62
	s_cbranch_execz .LBB51_6081
; %bb.6046:
	s_mov_b32 s63, s56
	s_mov_b32 s61, exec_lo
	;; [unrolled: 6-line block ×3, first 2 shown]
	v_cmpx_lt_i16_e32 43, v1
	s_xor_b32 s63, exec_lo, s63
	s_cbranch_execz .LBB51_6059
; %bb.6048:
	s_mov_b32 s72, 0
	s_mov_b32 s73, s56
	s_mov_b32 s0, exec_lo
	v_cmpx_lt_i16_e32 45, v1
	s_xor_b32 s0, exec_lo, s0
	s_cbranch_execz .LBB51_6052
; %bb.6049:
	s_mov_b32 s74, -1
	s_mov_b32 s73, exec_lo
	v_cmpx_eq_u16_e32 46, v1
	s_cbranch_execz .LBB51_6051
; %bb.6050:
	v_bfe_u32 v1, v34, 16, 1
	v_cmp_o_f32_e32 vcc_lo, v34, v34
	s_mov_b32 s72, exec_lo
	s_xor_b32 s74, exec_lo, -1
	s_delay_alu instid0(VALU_DEP_2) | instskip(NEXT) | instid1(VALU_DEP_1)
	v_add3_u32 v1, v34, v1, 0x7fff
	v_lshrrev_b32_e32 v1, 16, v1
	s_delay_alu instid0(VALU_DEP_1)
	v_cndmask_b32_e32 v1, 0x7fc0, v1, vcc_lo
	flat_store_b32 v[2:3], v1
.LBB51_6051:
	s_wait_xcnt 0x0
	s_or_b32 exec_lo, exec_lo, s73
	s_delay_alu instid0(SALU_CYCLE_1)
	s_and_not1_b32 s73, s56, exec_lo
	s_and_b32 s74, s74, exec_lo
	s_and_b32 s72, s72, exec_lo
	s_or_b32 s73, s73, s74
                                        ; implicit-def: $vgpr1
                                        ; implicit-def: $vgpr2_vgpr3
                                        ; implicit-def: $vgpr34
.LBB51_6052:
	s_and_not1_saveexec_b32 s74, s0
	s_cbranch_execz .LBB51_6058
; %bb.6053:
	s_mov_b32 s76, -1
	s_mov_b32 s0, s72
	s_mov_b32 s75, exec_lo
	v_cmpx_eq_u16_e32 44, v1
	s_cbranch_execz .LBB51_6057
; %bb.6054:
	v_bfe_u32 v4, v34, 23, 8
	v_mov_b32_e32 v1, 0xff
	s_mov_b32 s76, exec_lo
	s_delay_alu instid0(VALU_DEP_2)
	v_cmpx_ne_u32_e32 0xff, v4
	s_cbranch_execz .LBB51_6056
; %bb.6055:
	v_and_b32_e32 v1, 0x400000, v34
	v_and_or_b32 v4, 0x3fffff, v34, v4
	s_delay_alu instid0(VALU_DEP_2) | instskip(NEXT) | instid1(VALU_DEP_2)
	v_cmp_ne_u32_e32 vcc_lo, 0, v1
	v_cmp_ne_u32_e64 s0, 0, v4
	v_lshrrev_b32_e32 v1, 23, v34
	s_and_b32 s0, vcc_lo, s0
	s_delay_alu instid0(SALU_CYCLE_1) | instskip(NEXT) | instid1(VALU_DEP_1)
	v_cndmask_b32_e64 v4, 0, 1, s0
	v_add_nc_u32_e32 v1, v1, v4
.LBB51_6056:
	s_or_b32 exec_lo, exec_lo, s76
	s_delay_alu instid0(SALU_CYCLE_1)
	s_xor_b32 s76, exec_lo, -1
	s_or_b32 s0, s72, exec_lo
	flat_store_b8 v[2:3], v1
.LBB51_6057:
	s_wait_xcnt 0x0
	s_or_b32 exec_lo, exec_lo, s75
	s_delay_alu instid0(SALU_CYCLE_1)
	s_and_not1_b32 s73, s73, exec_lo
	s_and_b32 s75, s76, exec_lo
	s_and_not1_b32 s72, s72, exec_lo
	s_and_b32 s0, s0, exec_lo
	s_or_b32 s73, s73, s75
	s_or_b32 s72, s72, s0
.LBB51_6058:
	s_or_b32 exec_lo, exec_lo, s74
	s_delay_alu instid0(SALU_CYCLE_1) | instskip(SKIP_1) | instid1(SALU_CYCLE_1)
	s_and_not1_b32 s0, s56, exec_lo
	s_and_b32 s73, s73, exec_lo
                                        ; implicit-def: $vgpr1
                                        ; implicit-def: $vgpr34
                                        ; implicit-def: $vgpr2_vgpr3
	s_or_b32 s73, s0, s73
	s_and_b32 s0, s72, exec_lo
.LBB51_6059:
	s_and_not1_saveexec_b32 s63, s63
	s_cbranch_execz .LBB51_6063
; %bb.6060:
	s_mov_b32 s75, -1
	s_mov_b32 s74, s0
	s_mov_b32 s72, exec_lo
	v_cmpx_eq_u16_e32 29, v1
	s_cbranch_execz .LBB51_6062
; %bb.6061:
	v_trunc_f32_e32 v1, v34
	s_xor_b32 s75, exec_lo, -1
	s_or_b32 s74, s0, exec_lo
	s_delay_alu instid0(VALU_DEP_1) | instskip(NEXT) | instid1(VALU_DEP_1)
	v_mul_f32_e32 v4, 0x2f800000, v1
	v_floor_f32_e32 v4, v4
	s_delay_alu instid0(VALU_DEP_1) | instskip(SKIP_1) | instid1(VALU_DEP_2)
	v_fmamk_f32 v1, v4, 0xcf800000, v1
	v_cvt_u32_f32_e32 v5, v4
	v_cvt_u32_f32_e32 v4, v1
	flat_store_b64 v[2:3], v[4:5]
.LBB51_6062:
	s_wait_xcnt 0x0
	s_or_b32 exec_lo, exec_lo, s72
	s_delay_alu instid0(SALU_CYCLE_1)
	s_and_not1_b32 s72, s73, exec_lo
	s_and_b32 s73, s75, exec_lo
	s_and_not1_b32 s0, s0, exec_lo
	s_and_b32 s74, s74, exec_lo
	s_or_b32 s73, s72, s73
	s_or_b32 s0, s0, s74
.LBB51_6063:
	s_or_b32 exec_lo, exec_lo, s63
	s_delay_alu instid0(SALU_CYCLE_1)
	s_and_not1_b32 s63, s56, exec_lo
	s_and_b32 s72, s73, exec_lo
	s_and_b32 s0, s0, exec_lo
	s_or_b32 s63, s63, s72
                                        ; implicit-def: $vgpr2_vgpr3
                                        ; implicit-def: $vgpr1
                                        ; implicit-def: $vgpr34
.LBB51_6064:
	s_and_not1_saveexec_b32 s61, s61
	s_cbranch_execz .LBB51_6080
; %bb.6065:
	s_mov_b32 s72, exec_lo
	v_cmpx_lt_i16_e32 26, v1
	s_xor_b32 s72, exec_lo, s72
	s_cbranch_execz .LBB51_6071
; %bb.6066:
	v_cmp_lt_i16_e32 vcc_lo, 27, v1
	v_cvt_u32_f32_e32 v1, v34
	s_and_saveexec_b32 s73, vcc_lo
	s_delay_alu instid0(SALU_CYCLE_1)
	s_xor_b32 s73, exec_lo, s73
	s_cbranch_execz .LBB51_6068
; %bb.6067:
	flat_store_b32 v[2:3], v1
                                        ; implicit-def: $vgpr2_vgpr3
                                        ; implicit-def: $vgpr1
.LBB51_6068:
	s_wait_xcnt 0x0
	s_and_not1_saveexec_b32 s73, s73
	s_cbranch_execz .LBB51_6070
; %bb.6069:
	flat_store_b16 v[2:3], v1
.LBB51_6070:
	s_wait_xcnt 0x0
	s_or_b32 exec_lo, exec_lo, s73
                                        ; implicit-def: $vgpr2_vgpr3
                                        ; implicit-def: $vgpr34
.LBB51_6071:
	s_and_not1_saveexec_b32 s72, s72
	s_cbranch_execz .LBB51_6079
; %bb.6072:
	v_and_b32_e32 v1, 0x7fffffff, v34
	v_mov_b32_e32 v4, 0x80
	s_mov_b32 s73, exec_lo
	s_delay_alu instid0(VALU_DEP_2)
	v_cmpx_gt_u32_e32 0x43800000, v1
	s_cbranch_execz .LBB51_6078
; %bb.6073:
	v_cmp_lt_u32_e32 vcc_lo, 0x3bffffff, v1
	s_mov_b32 s74, 0
                                        ; implicit-def: $vgpr1
	s_and_saveexec_b32 s75, vcc_lo
	s_delay_alu instid0(SALU_CYCLE_1)
	s_xor_b32 s75, exec_lo, s75
	s_cbranch_execnz .LBB51_7951
; %bb.6074:
	s_and_not1_saveexec_b32 s75, s75
	s_cbranch_execnz .LBB51_7952
.LBB51_6075:
	s_or_b32 exec_lo, exec_lo, s75
	v_mov_b32_e32 v4, 0
	s_and_saveexec_b32 s75, s74
.LBB51_6076:
	v_lshrrev_b32_e32 v4, 24, v34
	s_delay_alu instid0(VALU_DEP_1)
	v_and_or_b32 v4, 0x80, v4, v1
.LBB51_6077:
	s_or_b32 exec_lo, exec_lo, s75
.LBB51_6078:
	s_delay_alu instid0(SALU_CYCLE_1)
	s_or_b32 exec_lo, exec_lo, s73
	flat_store_b8 v[2:3], v4
.LBB51_6079:
	s_wait_xcnt 0x0
	s_or_b32 exec_lo, exec_lo, s72
	s_delay_alu instid0(SALU_CYCLE_1)
	s_or_b32 s0, s0, exec_lo
.LBB51_6080:
	s_or_b32 exec_lo, exec_lo, s61
	s_delay_alu instid0(SALU_CYCLE_1)
	s_and_not1_b32 s61, s56, exec_lo
	s_and_b32 s63, s63, exec_lo
	s_and_b32 s0, s0, exec_lo
	s_or_b32 s61, s61, s63
                                        ; implicit-def: $vgpr1
                                        ; implicit-def: $vgpr34
                                        ; implicit-def: $vgpr2_vgpr3
.LBB51_6081:
	s_and_not1_saveexec_b32 s62, s62
	s_cbranch_execz .LBB51_6125
; %bb.6082:
	s_mov_b32 s72, s0
	s_mov_b32 s63, exec_lo
	v_cmpx_lt_i16_e32 22, v1
	s_xor_b32 s63, exec_lo, s63
	s_cbranch_execz .LBB51_6114
; %bb.6083:
	s_mov_b32 s72, exec_lo
	v_cmpx_lt_i16_e32 23, v1
	s_xor_b32 s72, exec_lo, s72
	s_cbranch_execz .LBB51_6103
; %bb.6084:
	;; [unrolled: 5-line block ×3, first 2 shown]
	v_and_b32_e32 v1, 0x7fffffff, v34
	v_mov_b32_e32 v4, 0x80
	s_mov_b32 s74, exec_lo
	s_delay_alu instid0(VALU_DEP_2)
	v_cmpx_gt_u32_e32 0x47800000, v1
	s_cbranch_execz .LBB51_6091
; %bb.6086:
	v_cmp_lt_u32_e32 vcc_lo, 0x37ffffff, v1
	s_mov_b32 s75, 0
                                        ; implicit-def: $vgpr1
	s_and_saveexec_b32 s76, vcc_lo
	s_delay_alu instid0(SALU_CYCLE_1)
	s_xor_b32 s76, exec_lo, s76
	s_cbranch_execnz .LBB51_7953
; %bb.6087:
	s_and_not1_saveexec_b32 s76, s76
	s_cbranch_execnz .LBB51_7954
.LBB51_6088:
	s_or_b32 exec_lo, exec_lo, s76
	v_mov_b32_e32 v4, 0
	s_and_saveexec_b32 s76, s75
.LBB51_6089:
	v_lshrrev_b32_e32 v4, 24, v34
	s_delay_alu instid0(VALU_DEP_1)
	v_and_or_b32 v4, 0x80, v4, v1
.LBB51_6090:
	s_or_b32 exec_lo, exec_lo, s76
.LBB51_6091:
	s_delay_alu instid0(SALU_CYCLE_1)
	s_or_b32 exec_lo, exec_lo, s74
	flat_store_b8 v[2:3], v4
                                        ; implicit-def: $vgpr34
                                        ; implicit-def: $vgpr2_vgpr3
.LBB51_6092:
	s_wait_xcnt 0x0
	s_and_not1_saveexec_b32 s73, s73
	s_cbranch_execz .LBB51_6102
; %bb.6093:
	v_and_b32_e32 v4, 0x7fffffff, v34
	s_mov_b32 s74, exec_lo
                                        ; implicit-def: $vgpr1
	s_delay_alu instid0(VALU_DEP_1)
	v_cmpx_gt_u32_e32 0x43f00000, v4
	s_xor_b32 s74, exec_lo, s74
	s_cbranch_execz .LBB51_6099
; %bb.6094:
	s_mov_b32 s75, exec_lo
                                        ; implicit-def: $vgpr1
	v_cmpx_lt_u32_e32 0x3c7fffff, v4
	s_xor_b32 s75, exec_lo, s75
; %bb.6095:
	v_bfe_u32 v1, v34, 20, 1
	s_delay_alu instid0(VALU_DEP_1) | instskip(NEXT) | instid1(VALU_DEP_1)
	v_add3_u32 v1, v34, v1, 0x407ffff
	v_and_b32_e32 v4, 0xff00000, v1
	v_lshrrev_b32_e32 v1, 20, v1
	s_delay_alu instid0(VALU_DEP_2) | instskip(NEXT) | instid1(VALU_DEP_2)
	v_cmp_ne_u32_e32 vcc_lo, 0x7f00000, v4
	v_cndmask_b32_e32 v1, 0x7e, v1, vcc_lo
; %bb.6096:
	s_and_not1_saveexec_b32 s75, s75
; %bb.6097:
	v_add_f32_e64 v1, 0x46800000, |v34|
; %bb.6098:
	s_or_b32 exec_lo, exec_lo, s75
                                        ; implicit-def: $vgpr4
.LBB51_6099:
	s_and_not1_saveexec_b32 s74, s74
; %bb.6100:
	v_mov_b32_e32 v1, 0x7f
	v_cmp_lt_u32_e32 vcc_lo, 0x7f800000, v4
	s_delay_alu instid0(VALU_DEP_2)
	v_cndmask_b32_e32 v1, 0x7e, v1, vcc_lo
; %bb.6101:
	s_or_b32 exec_lo, exec_lo, s74
	v_lshrrev_b32_e32 v4, 24, v34
	s_delay_alu instid0(VALU_DEP_1)
	v_and_or_b32 v1, 0x80, v4, v1
	flat_store_b8 v[2:3], v1
.LBB51_6102:
	s_wait_xcnt 0x0
	s_or_b32 exec_lo, exec_lo, s73
                                        ; implicit-def: $vgpr34
                                        ; implicit-def: $vgpr2_vgpr3
.LBB51_6103:
	s_and_not1_saveexec_b32 s72, s72
	s_cbranch_execz .LBB51_6113
; %bb.6104:
	v_and_b32_e32 v4, 0x7fffffff, v34
	s_mov_b32 s73, exec_lo
                                        ; implicit-def: $vgpr1
	s_delay_alu instid0(VALU_DEP_1)
	v_cmpx_gt_u32_e32 0x47800000, v4
	s_xor_b32 s73, exec_lo, s73
	s_cbranch_execz .LBB51_6110
; %bb.6105:
	s_mov_b32 s74, exec_lo
                                        ; implicit-def: $vgpr1
	v_cmpx_lt_u32_e32 0x387fffff, v4
	s_xor_b32 s74, exec_lo, s74
; %bb.6106:
	v_bfe_u32 v1, v34, 21, 1
	s_delay_alu instid0(VALU_DEP_1) | instskip(NEXT) | instid1(VALU_DEP_1)
	v_add3_u32 v1, v34, v1, 0x80fffff
	v_lshrrev_b32_e32 v1, 21, v1
; %bb.6107:
	s_and_not1_saveexec_b32 s74, s74
; %bb.6108:
	v_add_f32_e64 v1, 0x43000000, |v34|
; %bb.6109:
	s_or_b32 exec_lo, exec_lo, s74
                                        ; implicit-def: $vgpr4
.LBB51_6110:
	s_and_not1_saveexec_b32 s73, s73
; %bb.6111:
	v_mov_b32_e32 v1, 0x7f
	v_cmp_lt_u32_e32 vcc_lo, 0x7f800000, v4
	s_delay_alu instid0(VALU_DEP_2)
	v_cndmask_b32_e32 v1, 0x7c, v1, vcc_lo
; %bb.6112:
	s_or_b32 exec_lo, exec_lo, s73
	v_lshrrev_b32_e32 v4, 24, v34
	s_delay_alu instid0(VALU_DEP_1)
	v_and_or_b32 v1, 0x80, v4, v1
	flat_store_b8 v[2:3], v1
.LBB51_6113:
	s_wait_xcnt 0x0
	s_or_b32 exec_lo, exec_lo, s72
	s_delay_alu instid0(SALU_CYCLE_1)
	s_or_b32 s72, s0, exec_lo
                                        ; implicit-def: $vgpr1
                                        ; implicit-def: $vgpr34
                                        ; implicit-def: $vgpr2_vgpr3
.LBB51_6114:
	s_or_saveexec_b32 s63, s63
	s_mov_b32 s73, s61
	s_xor_b32 exec_lo, exec_lo, s63
	s_cbranch_execz .LBB51_6124
; %bb.6115:
	s_mov_b32 s73, s72
	s_mov_b32 s74, s61
	s_mov_b32 s75, exec_lo
	v_cmpx_lt_i16_e32 14, v1
	s_xor_b32 s75, exec_lo, s75
	s_cbranch_execz .LBB51_6119
; %bb.6116:
	s_mov_b32 s76, -1
	s_mov_b32 s73, s72
	s_mov_b32 s74, exec_lo
	v_cmpx_eq_u16_e32 15, v1
	s_cbranch_execz .LBB51_6118
; %bb.6117:
	v_bfe_u32 v1, v34, 16, 1
	v_cmp_o_f32_e32 vcc_lo, v34, v34
	s_xor_b32 s76, exec_lo, -1
	s_or_b32 s73, s72, exec_lo
	s_delay_alu instid0(VALU_DEP_2) | instskip(NEXT) | instid1(VALU_DEP_1)
	v_add3_u32 v1, v34, v1, 0x7fff
	v_lshrrev_b32_e32 v1, 16, v1
	s_delay_alu instid0(VALU_DEP_1)
	v_cndmask_b32_e32 v1, 0x7fc0, v1, vcc_lo
	flat_store_b16 v[2:3], v1
.LBB51_6118:
	s_wait_xcnt 0x0
	s_or_b32 exec_lo, exec_lo, s74
	s_delay_alu instid0(SALU_CYCLE_1)
	s_and_not1_b32 s74, s61, exec_lo
	s_and_b32 s76, s76, exec_lo
	s_and_not1_b32 s77, s72, exec_lo
	s_and_b32 s73, s73, exec_lo
	s_or_b32 s74, s74, s76
	s_or_b32 s73, s77, s73
                                        ; implicit-def: $vgpr1
                                        ; implicit-def: $vgpr34
                                        ; implicit-def: $vgpr2_vgpr3
.LBB51_6119:
	s_and_not1_saveexec_b32 s75, s75
	s_cbranch_execz .LBB51_6123
; %bb.6120:
	s_mov_b32 s77, -1
	s_mov_b32 s76, s73
	s_mov_b32 s78, exec_lo
	v_cmpx_eq_u16_e32 11, v1
	s_cbranch_execz .LBB51_6122
; %bb.6121:
	v_cmp_neq_f32_e32 vcc_lo, 0, v34
	s_xor_b32 s77, exec_lo, -1
	s_or_b32 s76, s73, exec_lo
	v_cndmask_b32_e64 v1, 0, 1, vcc_lo
	flat_store_b8 v[2:3], v1
.LBB51_6122:
	s_wait_xcnt 0x0
	s_or_b32 exec_lo, exec_lo, s78
	s_delay_alu instid0(SALU_CYCLE_1)
	s_and_not1_b32 s74, s74, exec_lo
	s_and_b32 s77, s77, exec_lo
	s_and_not1_b32 s73, s73, exec_lo
	s_and_b32 s76, s76, exec_lo
	s_or_b32 s74, s74, s77
	s_or_b32 s73, s73, s76
.LBB51_6123:
	s_or_b32 exec_lo, exec_lo, s75
	s_delay_alu instid0(SALU_CYCLE_1)
	s_and_not1_b32 s75, s61, exec_lo
	s_and_b32 s74, s74, exec_lo
	s_and_not1_b32 s72, s72, exec_lo
	s_and_b32 s76, s73, exec_lo
	s_or_b32 s73, s75, s74
	s_or_b32 s72, s72, s76
.LBB51_6124:
	s_or_b32 exec_lo, exec_lo, s63
	s_delay_alu instid0(SALU_CYCLE_1)
	s_and_not1_b32 s61, s61, exec_lo
	s_and_b32 s63, s73, exec_lo
	s_and_not1_b32 s0, s0, exec_lo
	s_and_b32 s72, s72, exec_lo
	s_or_b32 s61, s61, s63
	s_or_b32 s0, s0, s72
.LBB51_6125:
	s_or_b32 exec_lo, exec_lo, s62
	s_delay_alu instid0(SALU_CYCLE_1)
	s_and_not1_b32 s62, s56, exec_lo
	s_and_b32 s61, s61, exec_lo
	s_and_b32 s0, s0, exec_lo
	s_or_b32 s61, s62, s61
                                        ; implicit-def: $vgpr1
                                        ; implicit-def: $vgpr34
                                        ; implicit-def: $vgpr2_vgpr3
.LBB51_6126:
	s_and_not1_saveexec_b32 s58, s58
	s_cbranch_execz .LBB51_6168
; %bb.6127:
	s_mov_b32 s62, exec_lo
	v_cmpx_lt_i16_e32 4, v1
	s_xor_b32 s62, exec_lo, s62
	s_cbranch_execz .LBB51_6149
; %bb.6128:
	s_mov_b32 s63, exec_lo
	v_cmpx_lt_i16_e32 7, v1
	s_xor_b32 s63, exec_lo, s63
	;; [unrolled: 5-line block ×4, first 2 shown]
	s_cbranch_execz .LBB51_6132
; %bb.6131:
	v_cvt_f64_f32_e32 v[4:5], v34
	v_mov_b32_e32 v6, 0
                                        ; implicit-def: $vgpr34
	s_delay_alu instid0(VALU_DEP_1)
	v_mov_b32_e32 v7, v6
	flat_store_b128 v[2:3], v[4:7]
                                        ; implicit-def: $vgpr2_vgpr3
.LBB51_6132:
	s_wait_xcnt 0x0
	s_and_not1_saveexec_b32 s73, s73
	s_cbranch_execz .LBB51_6134
; %bb.6133:
	v_mov_b32_e32 v35, 0
	flat_store_b64 v[2:3], v[34:35]
.LBB51_6134:
	s_wait_xcnt 0x0
	s_or_b32 exec_lo, exec_lo, s73
                                        ; implicit-def: $vgpr34
                                        ; implicit-def: $vgpr2_vgpr3
.LBB51_6135:
	s_and_not1_saveexec_b32 s72, s72
	s_cbranch_execz .LBB51_6137
; %bb.6136:
	v_cvt_f16_f32_e32 v1, v34
	s_delay_alu instid0(VALU_DEP_1)
	v_and_b32_e32 v1, 0xffff, v1
	flat_store_b32 v[2:3], v1
.LBB51_6137:
	s_wait_xcnt 0x0
	s_or_b32 exec_lo, exec_lo, s72
                                        ; implicit-def: $vgpr34
                                        ; implicit-def: $vgpr2_vgpr3
                                        ; implicit-def: $vgpr1
.LBB51_6138:
	s_and_not1_saveexec_b32 s63, s63
	s_cbranch_execz .LBB51_6148
; %bb.6139:
	s_mov_b32 s72, exec_lo
	v_cmpx_lt_i16_e32 5, v1
	s_xor_b32 s72, exec_lo, s72
	s_cbranch_execz .LBB51_6145
; %bb.6140:
	s_mov_b32 s73, exec_lo
	v_cmpx_lt_i16_e32 6, v1
	s_xor_b32 s73, exec_lo, s73
	s_cbranch_execz .LBB51_6142
; %bb.6141:
	v_cvt_f64_f32_e32 v[4:5], v34
                                        ; implicit-def: $vgpr34
	flat_store_b64 v[2:3], v[4:5]
                                        ; implicit-def: $vgpr2_vgpr3
.LBB51_6142:
	s_wait_xcnt 0x0
	s_and_not1_saveexec_b32 s73, s73
	s_cbranch_execz .LBB51_6144
; %bb.6143:
	flat_store_b32 v[2:3], v34
.LBB51_6144:
	s_wait_xcnt 0x0
	s_or_b32 exec_lo, exec_lo, s73
                                        ; implicit-def: $vgpr34
                                        ; implicit-def: $vgpr2_vgpr3
.LBB51_6145:
	s_and_not1_saveexec_b32 s72, s72
	s_cbranch_execz .LBB51_6147
; %bb.6146:
	v_cvt_f16_f32_e32 v1, v34
	flat_store_b16 v[2:3], v1
.LBB51_6147:
	s_wait_xcnt 0x0
	s_or_b32 exec_lo, exec_lo, s72
.LBB51_6148:
	s_delay_alu instid0(SALU_CYCLE_1)
	s_or_b32 exec_lo, exec_lo, s63
                                        ; implicit-def: $vgpr1
                                        ; implicit-def: $vgpr34
                                        ; implicit-def: $vgpr2_vgpr3
.LBB51_6149:
	s_and_not1_saveexec_b32 s62, s62
	s_cbranch_execz .LBB51_6167
; %bb.6150:
	s_mov_b32 s63, exec_lo
	v_cmpx_lt_i16_e32 1, v1
	s_xor_b32 s63, exec_lo, s63
	s_cbranch_execz .LBB51_6160
; %bb.6151:
	s_mov_b32 s72, exec_lo
	v_cmpx_lt_i16_e32 2, v1
	s_xor_b32 s72, exec_lo, s72
	;; [unrolled: 5-line block ×3, first 2 shown]
	s_cbranch_execz .LBB51_6154
; %bb.6153:
	v_trunc_f32_e32 v1, v34
                                        ; implicit-def: $vgpr34
	s_delay_alu instid0(VALU_DEP_1) | instskip(NEXT) | instid1(VALU_DEP_1)
	v_mul_f32_e64 v4, 0x2f800000, |v1|
	v_floor_f32_e32 v5, v4
	v_ashrrev_i32_e32 v4, 31, v1
	s_delay_alu instid0(VALU_DEP_2) | instskip(SKIP_1) | instid1(VALU_DEP_3)
	v_fma_f32 v6, 0xcf800000, v5, |v1|
	v_cvt_u32_f32_e32 v1, v5
	v_mov_b32_e32 v5, v4
	s_delay_alu instid0(VALU_DEP_3) | instskip(NEXT) | instid1(VALU_DEP_3)
	v_cvt_u32_f32_e32 v6, v6
	v_xor_b32_e32 v7, v1, v4
	s_delay_alu instid0(VALU_DEP_2) | instskip(NEXT) | instid1(VALU_DEP_1)
	v_xor_b32_e32 v6, v6, v4
	v_sub_nc_u64_e32 v[4:5], v[6:7], v[4:5]
	flat_store_b64 v[2:3], v[4:5]
                                        ; implicit-def: $vgpr2_vgpr3
.LBB51_6154:
	s_wait_xcnt 0x0
	s_and_not1_saveexec_b32 s73, s73
	s_cbranch_execz .LBB51_6156
; %bb.6155:
	v_cvt_i32_f32_e32 v1, v34
	flat_store_b32 v[2:3], v1
.LBB51_6156:
	s_wait_xcnt 0x0
	s_or_b32 exec_lo, exec_lo, s73
                                        ; implicit-def: $vgpr34
                                        ; implicit-def: $vgpr2_vgpr3
.LBB51_6157:
	s_and_not1_saveexec_b32 s72, s72
	s_cbranch_execz .LBB51_6159
; %bb.6158:
	v_cvt_i32_f32_e32 v1, v34
	flat_store_b16 v[2:3], v1
.LBB51_6159:
	s_wait_xcnt 0x0
	s_or_b32 exec_lo, exec_lo, s72
                                        ; implicit-def: $vgpr34
                                        ; implicit-def: $vgpr2_vgpr3
                                        ; implicit-def: $vgpr1
.LBB51_6160:
	s_and_not1_saveexec_b32 s63, s63
	s_cbranch_execz .LBB51_6166
; %bb.6161:
	s_mov_b32 s72, exec_lo
	v_cmpx_lt_i16_e32 0, v1
	s_xor_b32 s72, exec_lo, s72
	s_cbranch_execz .LBB51_6163
; %bb.6162:
	v_cvt_i32_f32_e32 v1, v34
                                        ; implicit-def: $vgpr34
	flat_store_b8 v[2:3], v1
                                        ; implicit-def: $vgpr2_vgpr3
.LBB51_6163:
	s_wait_xcnt 0x0
	s_and_not1_saveexec_b32 s72, s72
	s_cbranch_execz .LBB51_6165
; %bb.6164:
	v_trunc_f32_e32 v1, v34
	s_delay_alu instid0(VALU_DEP_1) | instskip(NEXT) | instid1(VALU_DEP_1)
	v_mul_f32_e64 v4, 0x2f800000, |v1|
	v_floor_f32_e32 v4, v4
	s_delay_alu instid0(VALU_DEP_1) | instskip(SKIP_1) | instid1(VALU_DEP_2)
	v_fma_f32 v4, 0xcf800000, v4, |v1|
	v_ashrrev_i32_e32 v1, 31, v1
	v_cvt_u32_f32_e32 v4, v4
	s_delay_alu instid0(VALU_DEP_1) | instskip(NEXT) | instid1(VALU_DEP_1)
	v_xor_b32_e32 v4, v4, v1
	v_sub_nc_u32_e32 v1, v4, v1
	flat_store_b8 v[2:3], v1
.LBB51_6165:
	s_wait_xcnt 0x0
	s_or_b32 exec_lo, exec_lo, s72
.LBB51_6166:
	s_delay_alu instid0(SALU_CYCLE_1)
	s_or_b32 exec_lo, exec_lo, s63
.LBB51_6167:
	s_delay_alu instid0(SALU_CYCLE_1) | instskip(NEXT) | instid1(SALU_CYCLE_1)
	s_or_b32 exec_lo, exec_lo, s62
	s_or_b32 s0, s0, exec_lo
.LBB51_6168:
	s_or_b32 exec_lo, exec_lo, s58
	s_mov_b32 s62, 0
	s_mov_b32 s58, 0
	s_and_saveexec_b32 s63, s0
; %bb.6169:
	v_add_nc_u32_e32 v103, 0x200, v103
	s_mov_b32 s62, exec_lo
	s_delay_alu instid0(VALU_DEP_1)
	v_cmp_lt_i32_e32 vcc_lo, v103, v8
	s_and_b32 s58, vcc_lo, exec_lo
; %bb.6170:
	s_or_b32 exec_lo, exec_lo, s63
	s_delay_alu instid0(SALU_CYCLE_1)
	s_and_not1_b32 s0, s56, exec_lo
	s_and_b32 s61, s61, exec_lo
	s_and_b32 s63, s58, exec_lo
	s_or_b32 s58, s0, s61
	s_or_not1_b32 s62, s62, exec_lo
.LBB51_6171:
	s_or_b32 exec_lo, exec_lo, s59
	s_mov_b32 s0, 0
	s_mov_b32 s61, 0
                                        ; implicit-def: $vgpr4
                                        ; implicit-def: $vgpr2_vgpr3
	s_and_saveexec_b32 s59, s62
	s_cbranch_execz .LBB51_7813
; %bb.6172:
	s_mov_b32 s72, -1
	s_mov_b32 s62, 0
	s_mov_b32 s60, s58
	s_and_saveexec_b32 s61, s63
	s_cbranch_execz .LBB51_6300
; %bb.6173:
	v_dual_add_nc_u32 v1, s3, v103 :: v_dual_mov_b32 v3, 0
	s_mov_b32 s63, s58
	s_mov_b32 s60, exec_lo
	s_delay_alu instid0(VALU_DEP_1) | instskip(SKIP_1) | instid1(VALU_DEP_2)
	v_mul_lo_u32 v2, v1, v14
	v_and_b32_e32 v1, 0xff, v13
	v_add_nc_u64_e32 v[2:3], v[114:115], v[2:3]
	s_delay_alu instid0(VALU_DEP_2)
	v_cmpx_lt_i16_e32 10, v1
	s_xor_b32 s60, exec_lo, s60
	s_cbranch_execz .LBB51_6255
; %bb.6174:
	s_mov_b32 s63, s58
	s_mov_b32 s72, exec_lo
	v_cmpx_lt_i16_e32 25, v1
	s_xor_b32 s72, exec_lo, s72
	s_cbranch_execz .LBB51_6210
; %bb.6175:
	s_mov_b32 s73, s58
	s_mov_b32 s63, exec_lo
	;; [unrolled: 6-line block ×3, first 2 shown]
	v_cmpx_lt_i16_e32 43, v1
	s_xor_b32 s73, exec_lo, s73
	s_cbranch_execz .LBB51_6188
; %bb.6177:
	s_mov_b32 s74, 0
	s_mov_b32 s75, s58
	s_mov_b32 s0, exec_lo
	v_cmpx_lt_i16_e32 45, v1
	s_xor_b32 s0, exec_lo, s0
	s_cbranch_execz .LBB51_6181
; %bb.6178:
	s_mov_b32 s76, -1
	s_mov_b32 s75, exec_lo
	v_cmpx_eq_u16_e32 46, v1
	s_cbranch_execz .LBB51_6180
; %bb.6179:
	v_bfe_u32 v1, v32, 16, 1
	v_cmp_o_f32_e32 vcc_lo, v32, v32
	s_mov_b32 s74, exec_lo
	s_xor_b32 s76, exec_lo, -1
	s_delay_alu instid0(VALU_DEP_2) | instskip(NEXT) | instid1(VALU_DEP_1)
	v_add3_u32 v1, v32, v1, 0x7fff
	v_lshrrev_b32_e32 v1, 16, v1
	s_delay_alu instid0(VALU_DEP_1)
	v_cndmask_b32_e32 v1, 0x7fc0, v1, vcc_lo
	flat_store_b32 v[2:3], v1
.LBB51_6180:
	s_wait_xcnt 0x0
	s_or_b32 exec_lo, exec_lo, s75
	s_delay_alu instid0(SALU_CYCLE_1)
	s_and_not1_b32 s75, s58, exec_lo
	s_and_b32 s76, s76, exec_lo
	s_and_b32 s74, s74, exec_lo
	s_or_b32 s75, s75, s76
                                        ; implicit-def: $vgpr1
                                        ; implicit-def: $vgpr2_vgpr3
                                        ; implicit-def: $vgpr32
.LBB51_6181:
	s_and_not1_saveexec_b32 s76, s0
	s_cbranch_execz .LBB51_6187
; %bb.6182:
	s_mov_b32 s78, -1
	s_mov_b32 s0, s74
	s_mov_b32 s77, exec_lo
	v_cmpx_eq_u16_e32 44, v1
	s_cbranch_execz .LBB51_6186
; %bb.6183:
	v_bfe_u32 v4, v32, 23, 8
	v_mov_b32_e32 v1, 0xff
	s_mov_b32 s78, exec_lo
	s_delay_alu instid0(VALU_DEP_2)
	v_cmpx_ne_u32_e32 0xff, v4
	s_cbranch_execz .LBB51_6185
; %bb.6184:
	v_and_b32_e32 v1, 0x400000, v32
	v_and_or_b32 v4, 0x3fffff, v32, v4
	s_delay_alu instid0(VALU_DEP_2) | instskip(NEXT) | instid1(VALU_DEP_2)
	v_cmp_ne_u32_e32 vcc_lo, 0, v1
	v_cmp_ne_u32_e64 s0, 0, v4
	v_lshrrev_b32_e32 v1, 23, v32
	s_and_b32 s0, vcc_lo, s0
	s_delay_alu instid0(SALU_CYCLE_1) | instskip(NEXT) | instid1(VALU_DEP_1)
	v_cndmask_b32_e64 v4, 0, 1, s0
	v_add_nc_u32_e32 v1, v1, v4
.LBB51_6185:
	s_or_b32 exec_lo, exec_lo, s78
	s_delay_alu instid0(SALU_CYCLE_1)
	s_xor_b32 s78, exec_lo, -1
	s_or_b32 s0, s74, exec_lo
	flat_store_b8 v[2:3], v1
.LBB51_6186:
	s_wait_xcnt 0x0
	s_or_b32 exec_lo, exec_lo, s77
	s_delay_alu instid0(SALU_CYCLE_1)
	s_and_not1_b32 s75, s75, exec_lo
	s_and_b32 s77, s78, exec_lo
	s_and_not1_b32 s74, s74, exec_lo
	s_and_b32 s0, s0, exec_lo
	s_or_b32 s75, s75, s77
	s_or_b32 s74, s74, s0
.LBB51_6187:
	s_or_b32 exec_lo, exec_lo, s76
	s_delay_alu instid0(SALU_CYCLE_1) | instskip(SKIP_1) | instid1(SALU_CYCLE_1)
	s_and_not1_b32 s0, s58, exec_lo
	s_and_b32 s75, s75, exec_lo
                                        ; implicit-def: $vgpr1
                                        ; implicit-def: $vgpr32
                                        ; implicit-def: $vgpr2_vgpr3
	s_or_b32 s75, s0, s75
	s_and_b32 s0, s74, exec_lo
.LBB51_6188:
	s_and_not1_saveexec_b32 s73, s73
	s_cbranch_execz .LBB51_6192
; %bb.6189:
	s_mov_b32 s77, -1
	s_mov_b32 s76, s0
	s_mov_b32 s74, exec_lo
	v_cmpx_eq_u16_e32 29, v1
	s_cbranch_execz .LBB51_6191
; %bb.6190:
	v_trunc_f32_e32 v1, v32
	s_xor_b32 s77, exec_lo, -1
	s_or_b32 s76, s0, exec_lo
	s_delay_alu instid0(VALU_DEP_1) | instskip(NEXT) | instid1(VALU_DEP_1)
	v_mul_f32_e32 v4, 0x2f800000, v1
	v_floor_f32_e32 v4, v4
	s_delay_alu instid0(VALU_DEP_1) | instskip(SKIP_1) | instid1(VALU_DEP_2)
	v_fmamk_f32 v1, v4, 0xcf800000, v1
	v_cvt_u32_f32_e32 v5, v4
	v_cvt_u32_f32_e32 v4, v1
	flat_store_b64 v[2:3], v[4:5]
.LBB51_6191:
	s_wait_xcnt 0x0
	s_or_b32 exec_lo, exec_lo, s74
	s_delay_alu instid0(SALU_CYCLE_1)
	s_and_not1_b32 s74, s75, exec_lo
	s_and_b32 s75, s77, exec_lo
	s_and_not1_b32 s0, s0, exec_lo
	s_and_b32 s76, s76, exec_lo
	s_or_b32 s75, s74, s75
	s_or_b32 s0, s0, s76
.LBB51_6192:
	s_or_b32 exec_lo, exec_lo, s73
	s_delay_alu instid0(SALU_CYCLE_1)
	s_and_not1_b32 s73, s58, exec_lo
	s_and_b32 s74, s75, exec_lo
	s_and_b32 s0, s0, exec_lo
	s_or_b32 s73, s73, s74
                                        ; implicit-def: $vgpr2_vgpr3
                                        ; implicit-def: $vgpr1
                                        ; implicit-def: $vgpr32
.LBB51_6193:
	s_and_not1_saveexec_b32 s63, s63
	s_cbranch_execz .LBB51_6209
; %bb.6194:
	s_mov_b32 s74, exec_lo
	v_cmpx_lt_i16_e32 26, v1
	s_xor_b32 s74, exec_lo, s74
	s_cbranch_execz .LBB51_6200
; %bb.6195:
	v_cmp_lt_i16_e32 vcc_lo, 27, v1
	v_cvt_u32_f32_e32 v1, v32
	s_and_saveexec_b32 s75, vcc_lo
	s_delay_alu instid0(SALU_CYCLE_1)
	s_xor_b32 s75, exec_lo, s75
	s_cbranch_execz .LBB51_6197
; %bb.6196:
	flat_store_b32 v[2:3], v1
                                        ; implicit-def: $vgpr2_vgpr3
                                        ; implicit-def: $vgpr1
.LBB51_6197:
	s_wait_xcnt 0x0
	s_and_not1_saveexec_b32 s75, s75
	s_cbranch_execz .LBB51_6199
; %bb.6198:
	flat_store_b16 v[2:3], v1
.LBB51_6199:
	s_wait_xcnt 0x0
	s_or_b32 exec_lo, exec_lo, s75
                                        ; implicit-def: $vgpr2_vgpr3
                                        ; implicit-def: $vgpr32
.LBB51_6200:
	s_and_not1_saveexec_b32 s74, s74
	s_cbranch_execz .LBB51_6208
; %bb.6201:
	v_and_b32_e32 v1, 0x7fffffff, v32
	v_mov_b32_e32 v4, 0x80
	s_mov_b32 s75, exec_lo
	s_delay_alu instid0(VALU_DEP_2)
	v_cmpx_gt_u32_e32 0x43800000, v1
	s_cbranch_execz .LBB51_6207
; %bb.6202:
	v_cmp_lt_u32_e32 vcc_lo, 0x3bffffff, v1
	s_mov_b32 s76, 0
                                        ; implicit-def: $vgpr1
	s_and_saveexec_b32 s77, vcc_lo
	s_delay_alu instid0(SALU_CYCLE_1)
	s_xor_b32 s77, exec_lo, s77
	s_cbranch_execnz .LBB51_7955
; %bb.6203:
	s_and_not1_saveexec_b32 s77, s77
	s_cbranch_execnz .LBB51_7956
.LBB51_6204:
	s_or_b32 exec_lo, exec_lo, s77
	v_mov_b32_e32 v4, 0
	s_and_saveexec_b32 s77, s76
.LBB51_6205:
	v_lshrrev_b32_e32 v4, 24, v32
	s_delay_alu instid0(VALU_DEP_1)
	v_and_or_b32 v4, 0x80, v4, v1
.LBB51_6206:
	s_or_b32 exec_lo, exec_lo, s77
.LBB51_6207:
	s_delay_alu instid0(SALU_CYCLE_1)
	s_or_b32 exec_lo, exec_lo, s75
	flat_store_b8 v[2:3], v4
.LBB51_6208:
	s_wait_xcnt 0x0
	s_or_b32 exec_lo, exec_lo, s74
	s_delay_alu instid0(SALU_CYCLE_1)
	s_or_b32 s0, s0, exec_lo
.LBB51_6209:
	s_or_b32 exec_lo, exec_lo, s63
	s_delay_alu instid0(SALU_CYCLE_1)
	s_and_not1_b32 s63, s58, exec_lo
	s_and_b32 s73, s73, exec_lo
	s_and_b32 s0, s0, exec_lo
	s_or_b32 s63, s63, s73
                                        ; implicit-def: $vgpr1
                                        ; implicit-def: $vgpr32
                                        ; implicit-def: $vgpr2_vgpr3
.LBB51_6210:
	s_and_not1_saveexec_b32 s72, s72
	s_cbranch_execz .LBB51_6254
; %bb.6211:
	s_mov_b32 s74, s0
	s_mov_b32 s73, exec_lo
	v_cmpx_lt_i16_e32 22, v1
	s_xor_b32 s73, exec_lo, s73
	s_cbranch_execz .LBB51_6243
; %bb.6212:
	s_mov_b32 s74, exec_lo
	v_cmpx_lt_i16_e32 23, v1
	s_xor_b32 s74, exec_lo, s74
	s_cbranch_execz .LBB51_6232
; %bb.6213:
	;; [unrolled: 5-line block ×3, first 2 shown]
	v_and_b32_e32 v1, 0x7fffffff, v32
	v_mov_b32_e32 v4, 0x80
	s_mov_b32 s76, exec_lo
	s_delay_alu instid0(VALU_DEP_2)
	v_cmpx_gt_u32_e32 0x47800000, v1
	s_cbranch_execz .LBB51_6220
; %bb.6215:
	v_cmp_lt_u32_e32 vcc_lo, 0x37ffffff, v1
	s_mov_b32 s77, 0
                                        ; implicit-def: $vgpr1
	s_and_saveexec_b32 s78, vcc_lo
	s_delay_alu instid0(SALU_CYCLE_1)
	s_xor_b32 s78, exec_lo, s78
	s_cbranch_execnz .LBB51_7957
; %bb.6216:
	s_and_not1_saveexec_b32 s78, s78
	s_cbranch_execnz .LBB51_7958
.LBB51_6217:
	s_or_b32 exec_lo, exec_lo, s78
	v_mov_b32_e32 v4, 0
	s_and_saveexec_b32 s78, s77
.LBB51_6218:
	v_lshrrev_b32_e32 v4, 24, v32
	s_delay_alu instid0(VALU_DEP_1)
	v_and_or_b32 v4, 0x80, v4, v1
.LBB51_6219:
	s_or_b32 exec_lo, exec_lo, s78
.LBB51_6220:
	s_delay_alu instid0(SALU_CYCLE_1)
	s_or_b32 exec_lo, exec_lo, s76
	flat_store_b8 v[2:3], v4
                                        ; implicit-def: $vgpr32
                                        ; implicit-def: $vgpr2_vgpr3
.LBB51_6221:
	s_wait_xcnt 0x0
	s_and_not1_saveexec_b32 s75, s75
	s_cbranch_execz .LBB51_6231
; %bb.6222:
	v_and_b32_e32 v4, 0x7fffffff, v32
	s_mov_b32 s76, exec_lo
                                        ; implicit-def: $vgpr1
	s_delay_alu instid0(VALU_DEP_1)
	v_cmpx_gt_u32_e32 0x43f00000, v4
	s_xor_b32 s76, exec_lo, s76
	s_cbranch_execz .LBB51_6228
; %bb.6223:
	s_mov_b32 s77, exec_lo
                                        ; implicit-def: $vgpr1
	v_cmpx_lt_u32_e32 0x3c7fffff, v4
	s_xor_b32 s77, exec_lo, s77
; %bb.6224:
	v_bfe_u32 v1, v32, 20, 1
	s_delay_alu instid0(VALU_DEP_1) | instskip(NEXT) | instid1(VALU_DEP_1)
	v_add3_u32 v1, v32, v1, 0x407ffff
	v_and_b32_e32 v4, 0xff00000, v1
	v_lshrrev_b32_e32 v1, 20, v1
	s_delay_alu instid0(VALU_DEP_2) | instskip(NEXT) | instid1(VALU_DEP_2)
	v_cmp_ne_u32_e32 vcc_lo, 0x7f00000, v4
	v_cndmask_b32_e32 v1, 0x7e, v1, vcc_lo
; %bb.6225:
	s_and_not1_saveexec_b32 s77, s77
; %bb.6226:
	v_add_f32_e64 v1, 0x46800000, |v32|
; %bb.6227:
	s_or_b32 exec_lo, exec_lo, s77
                                        ; implicit-def: $vgpr4
.LBB51_6228:
	s_and_not1_saveexec_b32 s76, s76
; %bb.6229:
	v_mov_b32_e32 v1, 0x7f
	v_cmp_lt_u32_e32 vcc_lo, 0x7f800000, v4
	s_delay_alu instid0(VALU_DEP_2)
	v_cndmask_b32_e32 v1, 0x7e, v1, vcc_lo
; %bb.6230:
	s_or_b32 exec_lo, exec_lo, s76
	v_lshrrev_b32_e32 v4, 24, v32
	s_delay_alu instid0(VALU_DEP_1)
	v_and_or_b32 v1, 0x80, v4, v1
	flat_store_b8 v[2:3], v1
.LBB51_6231:
	s_wait_xcnt 0x0
	s_or_b32 exec_lo, exec_lo, s75
                                        ; implicit-def: $vgpr32
                                        ; implicit-def: $vgpr2_vgpr3
.LBB51_6232:
	s_and_not1_saveexec_b32 s74, s74
	s_cbranch_execz .LBB51_6242
; %bb.6233:
	v_and_b32_e32 v4, 0x7fffffff, v32
	s_mov_b32 s75, exec_lo
                                        ; implicit-def: $vgpr1
	s_delay_alu instid0(VALU_DEP_1)
	v_cmpx_gt_u32_e32 0x47800000, v4
	s_xor_b32 s75, exec_lo, s75
	s_cbranch_execz .LBB51_6239
; %bb.6234:
	s_mov_b32 s76, exec_lo
                                        ; implicit-def: $vgpr1
	v_cmpx_lt_u32_e32 0x387fffff, v4
	s_xor_b32 s76, exec_lo, s76
; %bb.6235:
	v_bfe_u32 v1, v32, 21, 1
	s_delay_alu instid0(VALU_DEP_1) | instskip(NEXT) | instid1(VALU_DEP_1)
	v_add3_u32 v1, v32, v1, 0x80fffff
	v_lshrrev_b32_e32 v1, 21, v1
; %bb.6236:
	s_and_not1_saveexec_b32 s76, s76
; %bb.6237:
	v_add_f32_e64 v1, 0x43000000, |v32|
; %bb.6238:
	s_or_b32 exec_lo, exec_lo, s76
                                        ; implicit-def: $vgpr4
.LBB51_6239:
	s_and_not1_saveexec_b32 s75, s75
; %bb.6240:
	v_mov_b32_e32 v1, 0x7f
	v_cmp_lt_u32_e32 vcc_lo, 0x7f800000, v4
	s_delay_alu instid0(VALU_DEP_2)
	v_cndmask_b32_e32 v1, 0x7c, v1, vcc_lo
; %bb.6241:
	s_or_b32 exec_lo, exec_lo, s75
	v_lshrrev_b32_e32 v4, 24, v32
	s_delay_alu instid0(VALU_DEP_1)
	v_and_or_b32 v1, 0x80, v4, v1
	flat_store_b8 v[2:3], v1
.LBB51_6242:
	s_wait_xcnt 0x0
	s_or_b32 exec_lo, exec_lo, s74
	s_delay_alu instid0(SALU_CYCLE_1)
	s_or_b32 s74, s0, exec_lo
                                        ; implicit-def: $vgpr1
                                        ; implicit-def: $vgpr32
                                        ; implicit-def: $vgpr2_vgpr3
.LBB51_6243:
	s_or_saveexec_b32 s73, s73
	s_mov_b32 s75, s63
	s_xor_b32 exec_lo, exec_lo, s73
	s_cbranch_execz .LBB51_6253
; %bb.6244:
	s_mov_b32 s75, s74
	s_mov_b32 s76, s63
	s_mov_b32 s77, exec_lo
	v_cmpx_lt_i16_e32 14, v1
	s_xor_b32 s77, exec_lo, s77
	s_cbranch_execz .LBB51_6248
; %bb.6245:
	s_mov_b32 s78, -1
	s_mov_b32 s75, s74
	s_mov_b32 s76, exec_lo
	v_cmpx_eq_u16_e32 15, v1
	s_cbranch_execz .LBB51_6247
; %bb.6246:
	v_bfe_u32 v1, v32, 16, 1
	v_cmp_o_f32_e32 vcc_lo, v32, v32
	s_xor_b32 s78, exec_lo, -1
	s_or_b32 s75, s74, exec_lo
	s_delay_alu instid0(VALU_DEP_2) | instskip(NEXT) | instid1(VALU_DEP_1)
	v_add3_u32 v1, v32, v1, 0x7fff
	v_lshrrev_b32_e32 v1, 16, v1
	s_delay_alu instid0(VALU_DEP_1)
	v_cndmask_b32_e32 v1, 0x7fc0, v1, vcc_lo
	flat_store_b16 v[2:3], v1
.LBB51_6247:
	s_wait_xcnt 0x0
	s_or_b32 exec_lo, exec_lo, s76
	s_delay_alu instid0(SALU_CYCLE_1)
	s_and_not1_b32 s76, s63, exec_lo
	s_and_b32 s78, s78, exec_lo
	s_and_not1_b32 s79, s74, exec_lo
	s_and_b32 s75, s75, exec_lo
	s_or_b32 s76, s76, s78
	s_or_b32 s75, s79, s75
                                        ; implicit-def: $vgpr1
                                        ; implicit-def: $vgpr32
                                        ; implicit-def: $vgpr2_vgpr3
.LBB51_6248:
	s_and_not1_saveexec_b32 s77, s77
	s_cbranch_execz .LBB51_6252
; %bb.6249:
	s_mov_b32 s79, -1
	s_mov_b32 s78, s75
	s_mov_b32 s88, exec_lo
	v_cmpx_eq_u16_e32 11, v1
	s_cbranch_execz .LBB51_6251
; %bb.6250:
	v_cmp_neq_f32_e32 vcc_lo, 0, v32
	s_xor_b32 s79, exec_lo, -1
	s_or_b32 s78, s75, exec_lo
	v_cndmask_b32_e64 v1, 0, 1, vcc_lo
	flat_store_b8 v[2:3], v1
.LBB51_6251:
	s_wait_xcnt 0x0
	s_or_b32 exec_lo, exec_lo, s88
	s_delay_alu instid0(SALU_CYCLE_1)
	s_and_not1_b32 s76, s76, exec_lo
	s_and_b32 s79, s79, exec_lo
	s_and_not1_b32 s75, s75, exec_lo
	s_and_b32 s78, s78, exec_lo
	s_or_b32 s76, s76, s79
	s_or_b32 s75, s75, s78
.LBB51_6252:
	s_or_b32 exec_lo, exec_lo, s77
	s_delay_alu instid0(SALU_CYCLE_1)
	s_and_not1_b32 s77, s63, exec_lo
	s_and_b32 s76, s76, exec_lo
	s_and_not1_b32 s74, s74, exec_lo
	s_and_b32 s78, s75, exec_lo
	s_or_b32 s75, s77, s76
	s_or_b32 s74, s74, s78
.LBB51_6253:
	s_or_b32 exec_lo, exec_lo, s73
	s_delay_alu instid0(SALU_CYCLE_1)
	s_and_not1_b32 s63, s63, exec_lo
	s_and_b32 s73, s75, exec_lo
	s_and_not1_b32 s0, s0, exec_lo
	s_and_b32 s74, s74, exec_lo
	s_or_b32 s63, s63, s73
	s_or_b32 s0, s0, s74
.LBB51_6254:
	s_or_b32 exec_lo, exec_lo, s72
	s_delay_alu instid0(SALU_CYCLE_1)
	s_and_not1_b32 s72, s58, exec_lo
	s_and_b32 s63, s63, exec_lo
	s_and_b32 s0, s0, exec_lo
	s_or_b32 s63, s72, s63
                                        ; implicit-def: $vgpr1
                                        ; implicit-def: $vgpr32
                                        ; implicit-def: $vgpr2_vgpr3
.LBB51_6255:
	s_and_not1_saveexec_b32 s60, s60
	s_cbranch_execz .LBB51_6297
; %bb.6256:
	s_mov_b32 s72, exec_lo
	v_cmpx_lt_i16_e32 4, v1
	s_xor_b32 s72, exec_lo, s72
	s_cbranch_execz .LBB51_6278
; %bb.6257:
	s_mov_b32 s73, exec_lo
	v_cmpx_lt_i16_e32 7, v1
	s_xor_b32 s73, exec_lo, s73
	;; [unrolled: 5-line block ×4, first 2 shown]
	s_cbranch_execz .LBB51_6261
; %bb.6260:
	v_cvt_f64_f32_e32 v[4:5], v32
	v_mov_b32_e32 v6, 0
                                        ; implicit-def: $vgpr32
	s_delay_alu instid0(VALU_DEP_1)
	v_mov_b32_e32 v7, v6
	flat_store_b128 v[2:3], v[4:7]
                                        ; implicit-def: $vgpr2_vgpr3
.LBB51_6261:
	s_wait_xcnt 0x0
	s_and_not1_saveexec_b32 s75, s75
	s_cbranch_execz .LBB51_6263
; %bb.6262:
	v_mov_b32_e32 v33, 0
	flat_store_b64 v[2:3], v[32:33]
.LBB51_6263:
	s_wait_xcnt 0x0
	s_or_b32 exec_lo, exec_lo, s75
                                        ; implicit-def: $vgpr32
                                        ; implicit-def: $vgpr2_vgpr3
.LBB51_6264:
	s_and_not1_saveexec_b32 s74, s74
	s_cbranch_execz .LBB51_6266
; %bb.6265:
	v_cvt_f16_f32_e32 v1, v32
	s_delay_alu instid0(VALU_DEP_1)
	v_and_b32_e32 v1, 0xffff, v1
	flat_store_b32 v[2:3], v1
.LBB51_6266:
	s_wait_xcnt 0x0
	s_or_b32 exec_lo, exec_lo, s74
                                        ; implicit-def: $vgpr32
                                        ; implicit-def: $vgpr2_vgpr3
                                        ; implicit-def: $vgpr1
.LBB51_6267:
	s_and_not1_saveexec_b32 s73, s73
	s_cbranch_execz .LBB51_6277
; %bb.6268:
	s_mov_b32 s74, exec_lo
	v_cmpx_lt_i16_e32 5, v1
	s_xor_b32 s74, exec_lo, s74
	s_cbranch_execz .LBB51_6274
; %bb.6269:
	s_mov_b32 s75, exec_lo
	v_cmpx_lt_i16_e32 6, v1
	s_xor_b32 s75, exec_lo, s75
	s_cbranch_execz .LBB51_6271
; %bb.6270:
	v_cvt_f64_f32_e32 v[4:5], v32
                                        ; implicit-def: $vgpr32
	flat_store_b64 v[2:3], v[4:5]
                                        ; implicit-def: $vgpr2_vgpr3
.LBB51_6271:
	s_wait_xcnt 0x0
	s_and_not1_saveexec_b32 s75, s75
	s_cbranch_execz .LBB51_6273
; %bb.6272:
	flat_store_b32 v[2:3], v32
.LBB51_6273:
	s_wait_xcnt 0x0
	s_or_b32 exec_lo, exec_lo, s75
                                        ; implicit-def: $vgpr32
                                        ; implicit-def: $vgpr2_vgpr3
.LBB51_6274:
	s_and_not1_saveexec_b32 s74, s74
	s_cbranch_execz .LBB51_6276
; %bb.6275:
	v_cvt_f16_f32_e32 v1, v32
	flat_store_b16 v[2:3], v1
.LBB51_6276:
	s_wait_xcnt 0x0
	s_or_b32 exec_lo, exec_lo, s74
.LBB51_6277:
	s_delay_alu instid0(SALU_CYCLE_1)
	s_or_b32 exec_lo, exec_lo, s73
                                        ; implicit-def: $vgpr1
                                        ; implicit-def: $vgpr32
                                        ; implicit-def: $vgpr2_vgpr3
.LBB51_6278:
	s_and_not1_saveexec_b32 s72, s72
	s_cbranch_execz .LBB51_6296
; %bb.6279:
	s_mov_b32 s73, exec_lo
	v_cmpx_lt_i16_e32 1, v1
	s_xor_b32 s73, exec_lo, s73
	s_cbranch_execz .LBB51_6289
; %bb.6280:
	s_mov_b32 s74, exec_lo
	v_cmpx_lt_i16_e32 2, v1
	s_xor_b32 s74, exec_lo, s74
	;; [unrolled: 5-line block ×3, first 2 shown]
	s_cbranch_execz .LBB51_6283
; %bb.6282:
	v_trunc_f32_e32 v1, v32
                                        ; implicit-def: $vgpr32
	s_delay_alu instid0(VALU_DEP_1) | instskip(NEXT) | instid1(VALU_DEP_1)
	v_mul_f32_e64 v4, 0x2f800000, |v1|
	v_floor_f32_e32 v5, v4
	v_ashrrev_i32_e32 v4, 31, v1
	s_delay_alu instid0(VALU_DEP_2) | instskip(SKIP_1) | instid1(VALU_DEP_3)
	v_fma_f32 v6, 0xcf800000, v5, |v1|
	v_cvt_u32_f32_e32 v1, v5
	v_mov_b32_e32 v5, v4
	s_delay_alu instid0(VALU_DEP_3) | instskip(NEXT) | instid1(VALU_DEP_3)
	v_cvt_u32_f32_e32 v6, v6
	v_xor_b32_e32 v7, v1, v4
	s_delay_alu instid0(VALU_DEP_2) | instskip(NEXT) | instid1(VALU_DEP_1)
	v_xor_b32_e32 v6, v6, v4
	v_sub_nc_u64_e32 v[4:5], v[6:7], v[4:5]
	flat_store_b64 v[2:3], v[4:5]
                                        ; implicit-def: $vgpr2_vgpr3
.LBB51_6283:
	s_wait_xcnt 0x0
	s_and_not1_saveexec_b32 s75, s75
	s_cbranch_execz .LBB51_6285
; %bb.6284:
	v_cvt_i32_f32_e32 v1, v32
	flat_store_b32 v[2:3], v1
.LBB51_6285:
	s_wait_xcnt 0x0
	s_or_b32 exec_lo, exec_lo, s75
                                        ; implicit-def: $vgpr32
                                        ; implicit-def: $vgpr2_vgpr3
.LBB51_6286:
	s_and_not1_saveexec_b32 s74, s74
	s_cbranch_execz .LBB51_6288
; %bb.6287:
	v_cvt_i32_f32_e32 v1, v32
	flat_store_b16 v[2:3], v1
.LBB51_6288:
	s_wait_xcnt 0x0
	s_or_b32 exec_lo, exec_lo, s74
                                        ; implicit-def: $vgpr32
                                        ; implicit-def: $vgpr2_vgpr3
                                        ; implicit-def: $vgpr1
.LBB51_6289:
	s_and_not1_saveexec_b32 s73, s73
	s_cbranch_execz .LBB51_6295
; %bb.6290:
	s_mov_b32 s74, exec_lo
	v_cmpx_lt_i16_e32 0, v1
	s_xor_b32 s74, exec_lo, s74
	s_cbranch_execz .LBB51_6292
; %bb.6291:
	v_cvt_i32_f32_e32 v1, v32
                                        ; implicit-def: $vgpr32
	flat_store_b8 v[2:3], v1
                                        ; implicit-def: $vgpr2_vgpr3
.LBB51_6292:
	s_wait_xcnt 0x0
	s_and_not1_saveexec_b32 s74, s74
	s_cbranch_execz .LBB51_6294
; %bb.6293:
	v_trunc_f32_e32 v1, v32
	s_delay_alu instid0(VALU_DEP_1) | instskip(NEXT) | instid1(VALU_DEP_1)
	v_mul_f32_e64 v4, 0x2f800000, |v1|
	v_floor_f32_e32 v4, v4
	s_delay_alu instid0(VALU_DEP_1) | instskip(SKIP_1) | instid1(VALU_DEP_2)
	v_fma_f32 v4, 0xcf800000, v4, |v1|
	v_ashrrev_i32_e32 v1, 31, v1
	v_cvt_u32_f32_e32 v4, v4
	s_delay_alu instid0(VALU_DEP_1) | instskip(NEXT) | instid1(VALU_DEP_1)
	v_xor_b32_e32 v4, v4, v1
	v_sub_nc_u32_e32 v1, v4, v1
	flat_store_b8 v[2:3], v1
.LBB51_6294:
	s_wait_xcnt 0x0
	s_or_b32 exec_lo, exec_lo, s74
.LBB51_6295:
	s_delay_alu instid0(SALU_CYCLE_1)
	s_or_b32 exec_lo, exec_lo, s73
.LBB51_6296:
	s_delay_alu instid0(SALU_CYCLE_1) | instskip(NEXT) | instid1(SALU_CYCLE_1)
	s_or_b32 exec_lo, exec_lo, s72
	s_or_b32 s0, s0, exec_lo
.LBB51_6297:
	s_or_b32 exec_lo, exec_lo, s60
	s_mov_b32 s72, 0
	s_mov_b32 s60, 0
	s_and_saveexec_b32 s73, s0
; %bb.6298:
	v_add_nc_u32_e32 v103, 0x200, v103
	s_mov_b32 s72, exec_lo
	s_delay_alu instid0(VALU_DEP_1)
	v_cmp_lt_i32_e32 vcc_lo, v103, v8
	s_and_b32 s60, vcc_lo, exec_lo
; %bb.6299:
	s_or_b32 exec_lo, exec_lo, s73
	s_delay_alu instid0(SALU_CYCLE_1)
	s_and_not1_b32 s73, s58, exec_lo
	s_and_b32 s63, s63, exec_lo
	s_and_b32 s0, s60, exec_lo
	s_or_b32 s60, s73, s63
	s_or_not1_b32 s72, s72, exec_lo
.LBB51_6300:
	s_or_b32 exec_lo, exec_lo, s61
	s_mov_b32 s63, 0
	s_mov_b32 s73, 0
                                        ; implicit-def: $vgpr4
                                        ; implicit-def: $vgpr2_vgpr3
	s_and_saveexec_b32 s61, s72
	s_cbranch_execz .LBB51_7812
; %bb.6301:
	s_mov_b32 s74, -1
	s_mov_b32 s72, 0
	s_mov_b32 s62, s60
	;; [unrolled: 1-line block ×3, first 2 shown]
	s_and_saveexec_b32 s63, s0
	s_cbranch_execz .LBB51_6429
; %bb.6302:
	v_dual_add_nc_u32 v1, s3, v103 :: v_dual_mov_b32 v3, 0
	s_mov_b32 s0, 0
	s_mov_b32 s73, s60
	s_mov_b32 s62, exec_lo
	s_delay_alu instid0(VALU_DEP_1) | instskip(SKIP_1) | instid1(VALU_DEP_2)
	v_mul_lo_u32 v2, v1, v14
	v_and_b32_e32 v1, 0xff, v13
	v_add_nc_u64_e32 v[2:3], v[114:115], v[2:3]
	s_delay_alu instid0(VALU_DEP_2)
	v_cmpx_lt_i16_e32 10, v1
	s_xor_b32 s62, exec_lo, s62
	s_cbranch_execz .LBB51_6384
; %bb.6303:
	s_mov_b32 s73, s60
	s_mov_b32 s74, exec_lo
	v_cmpx_lt_i16_e32 25, v1
	s_xor_b32 s74, exec_lo, s74
	s_cbranch_execz .LBB51_6339
; %bb.6304:
	s_mov_b32 s75, s60
	s_mov_b32 s73, exec_lo
	;; [unrolled: 6-line block ×3, first 2 shown]
	v_cmpx_lt_i16_e32 43, v1
	s_xor_b32 s75, exec_lo, s75
	s_cbranch_execz .LBB51_6317
; %bb.6306:
	s_mov_b32 s76, 0
	s_mov_b32 s77, s60
	s_mov_b32 s0, exec_lo
	v_cmpx_lt_i16_e32 45, v1
	s_xor_b32 s0, exec_lo, s0
	s_cbranch_execz .LBB51_6310
; %bb.6307:
	s_mov_b32 s78, -1
	s_mov_b32 s77, exec_lo
	v_cmpx_eq_u16_e32 46, v1
	s_cbranch_execz .LBB51_6309
; %bb.6308:
	v_bfe_u32 v1, v30, 16, 1
	v_cmp_o_f32_e32 vcc_lo, v30, v30
	s_mov_b32 s76, exec_lo
	s_xor_b32 s78, exec_lo, -1
	s_delay_alu instid0(VALU_DEP_2) | instskip(NEXT) | instid1(VALU_DEP_1)
	v_add3_u32 v1, v30, v1, 0x7fff
	v_lshrrev_b32_e32 v1, 16, v1
	s_delay_alu instid0(VALU_DEP_1)
	v_cndmask_b32_e32 v1, 0x7fc0, v1, vcc_lo
	flat_store_b32 v[2:3], v1
.LBB51_6309:
	s_wait_xcnt 0x0
	s_or_b32 exec_lo, exec_lo, s77
	s_delay_alu instid0(SALU_CYCLE_1)
	s_and_not1_b32 s77, s60, exec_lo
	s_and_b32 s78, s78, exec_lo
	s_and_b32 s76, s76, exec_lo
	s_or_b32 s77, s77, s78
                                        ; implicit-def: $vgpr1
                                        ; implicit-def: $vgpr2_vgpr3
                                        ; implicit-def: $vgpr30
.LBB51_6310:
	s_and_not1_saveexec_b32 s78, s0
	s_cbranch_execz .LBB51_6316
; %bb.6311:
	s_mov_b32 s88, -1
	s_mov_b32 s0, s76
	s_mov_b32 s79, exec_lo
	v_cmpx_eq_u16_e32 44, v1
	s_cbranch_execz .LBB51_6315
; %bb.6312:
	v_bfe_u32 v4, v30, 23, 8
	v_mov_b32_e32 v1, 0xff
	s_mov_b32 s88, exec_lo
	s_delay_alu instid0(VALU_DEP_2)
	v_cmpx_ne_u32_e32 0xff, v4
	s_cbranch_execz .LBB51_6314
; %bb.6313:
	v_and_b32_e32 v1, 0x400000, v30
	v_and_or_b32 v4, 0x3fffff, v30, v4
	s_delay_alu instid0(VALU_DEP_2) | instskip(NEXT) | instid1(VALU_DEP_2)
	v_cmp_ne_u32_e32 vcc_lo, 0, v1
	v_cmp_ne_u32_e64 s0, 0, v4
	v_lshrrev_b32_e32 v1, 23, v30
	s_and_b32 s0, vcc_lo, s0
	s_delay_alu instid0(SALU_CYCLE_1) | instskip(NEXT) | instid1(VALU_DEP_1)
	v_cndmask_b32_e64 v4, 0, 1, s0
	v_add_nc_u32_e32 v1, v1, v4
.LBB51_6314:
	s_or_b32 exec_lo, exec_lo, s88
	s_delay_alu instid0(SALU_CYCLE_1)
	s_xor_b32 s88, exec_lo, -1
	s_or_b32 s0, s76, exec_lo
	flat_store_b8 v[2:3], v1
.LBB51_6315:
	s_wait_xcnt 0x0
	s_or_b32 exec_lo, exec_lo, s79
	s_delay_alu instid0(SALU_CYCLE_1)
	s_and_not1_b32 s77, s77, exec_lo
	s_and_b32 s79, s88, exec_lo
	s_and_not1_b32 s76, s76, exec_lo
	s_and_b32 s0, s0, exec_lo
	s_or_b32 s77, s77, s79
	s_or_b32 s76, s76, s0
.LBB51_6316:
	s_or_b32 exec_lo, exec_lo, s78
	s_delay_alu instid0(SALU_CYCLE_1) | instskip(SKIP_1) | instid1(SALU_CYCLE_1)
	s_and_not1_b32 s0, s60, exec_lo
	s_and_b32 s77, s77, exec_lo
                                        ; implicit-def: $vgpr1
                                        ; implicit-def: $vgpr30
                                        ; implicit-def: $vgpr2_vgpr3
	s_or_b32 s77, s0, s77
	s_and_b32 s0, s76, exec_lo
.LBB51_6317:
	s_and_not1_saveexec_b32 s75, s75
	s_cbranch_execz .LBB51_6321
; %bb.6318:
	s_mov_b32 s79, -1
	s_mov_b32 s78, s0
	s_mov_b32 s76, exec_lo
	v_cmpx_eq_u16_e32 29, v1
	s_cbranch_execz .LBB51_6320
; %bb.6319:
	v_trunc_f32_e32 v1, v30
	s_xor_b32 s79, exec_lo, -1
	s_or_b32 s78, s0, exec_lo
	s_delay_alu instid0(VALU_DEP_1) | instskip(NEXT) | instid1(VALU_DEP_1)
	v_mul_f32_e32 v4, 0x2f800000, v1
	v_floor_f32_e32 v4, v4
	s_delay_alu instid0(VALU_DEP_1) | instskip(SKIP_1) | instid1(VALU_DEP_2)
	v_fmamk_f32 v1, v4, 0xcf800000, v1
	v_cvt_u32_f32_e32 v5, v4
	v_cvt_u32_f32_e32 v4, v1
	flat_store_b64 v[2:3], v[4:5]
.LBB51_6320:
	s_wait_xcnt 0x0
	s_or_b32 exec_lo, exec_lo, s76
	s_delay_alu instid0(SALU_CYCLE_1)
	s_and_not1_b32 s76, s77, exec_lo
	s_and_b32 s77, s79, exec_lo
	s_and_not1_b32 s0, s0, exec_lo
	s_and_b32 s78, s78, exec_lo
	s_or_b32 s77, s76, s77
	s_or_b32 s0, s0, s78
.LBB51_6321:
	s_or_b32 exec_lo, exec_lo, s75
	s_delay_alu instid0(SALU_CYCLE_1)
	s_and_not1_b32 s75, s60, exec_lo
	s_and_b32 s76, s77, exec_lo
	s_and_b32 s0, s0, exec_lo
	s_or_b32 s75, s75, s76
                                        ; implicit-def: $vgpr2_vgpr3
                                        ; implicit-def: $vgpr1
                                        ; implicit-def: $vgpr30
.LBB51_6322:
	s_and_not1_saveexec_b32 s73, s73
	s_cbranch_execz .LBB51_6338
; %bb.6323:
	s_mov_b32 s76, exec_lo
	v_cmpx_lt_i16_e32 26, v1
	s_xor_b32 s76, exec_lo, s76
	s_cbranch_execz .LBB51_6329
; %bb.6324:
	v_cmp_lt_i16_e32 vcc_lo, 27, v1
	v_cvt_u32_f32_e32 v1, v30
	s_and_saveexec_b32 s77, vcc_lo
	s_delay_alu instid0(SALU_CYCLE_1)
	s_xor_b32 s77, exec_lo, s77
	s_cbranch_execz .LBB51_6326
; %bb.6325:
	flat_store_b32 v[2:3], v1
                                        ; implicit-def: $vgpr2_vgpr3
                                        ; implicit-def: $vgpr1
.LBB51_6326:
	s_wait_xcnt 0x0
	s_and_not1_saveexec_b32 s77, s77
	s_cbranch_execz .LBB51_6328
; %bb.6327:
	flat_store_b16 v[2:3], v1
.LBB51_6328:
	s_wait_xcnt 0x0
	s_or_b32 exec_lo, exec_lo, s77
                                        ; implicit-def: $vgpr2_vgpr3
                                        ; implicit-def: $vgpr30
.LBB51_6329:
	s_and_not1_saveexec_b32 s76, s76
	s_cbranch_execz .LBB51_6337
; %bb.6330:
	v_and_b32_e32 v1, 0x7fffffff, v30
	v_mov_b32_e32 v4, 0x80
	s_mov_b32 s77, exec_lo
	s_delay_alu instid0(VALU_DEP_2)
	v_cmpx_gt_u32_e32 0x43800000, v1
	s_cbranch_execz .LBB51_6336
; %bb.6331:
	v_cmp_lt_u32_e32 vcc_lo, 0x3bffffff, v1
	s_mov_b32 s78, 0
                                        ; implicit-def: $vgpr1
	s_and_saveexec_b32 s79, vcc_lo
	s_delay_alu instid0(SALU_CYCLE_1)
	s_xor_b32 s79, exec_lo, s79
	s_cbranch_execnz .LBB51_7959
; %bb.6332:
	s_and_not1_saveexec_b32 s79, s79
	s_cbranch_execnz .LBB51_7960
.LBB51_6333:
	s_or_b32 exec_lo, exec_lo, s79
	v_mov_b32_e32 v4, 0
	s_and_saveexec_b32 s79, s78
.LBB51_6334:
	v_lshrrev_b32_e32 v4, 24, v30
	s_delay_alu instid0(VALU_DEP_1)
	v_and_or_b32 v4, 0x80, v4, v1
.LBB51_6335:
	s_or_b32 exec_lo, exec_lo, s79
.LBB51_6336:
	s_delay_alu instid0(SALU_CYCLE_1)
	s_or_b32 exec_lo, exec_lo, s77
	flat_store_b8 v[2:3], v4
.LBB51_6337:
	s_wait_xcnt 0x0
	s_or_b32 exec_lo, exec_lo, s76
	s_delay_alu instid0(SALU_CYCLE_1)
	s_or_b32 s0, s0, exec_lo
.LBB51_6338:
	s_or_b32 exec_lo, exec_lo, s73
	s_delay_alu instid0(SALU_CYCLE_1)
	s_and_not1_b32 s73, s60, exec_lo
	s_and_b32 s75, s75, exec_lo
	s_and_b32 s0, s0, exec_lo
	s_or_b32 s73, s73, s75
                                        ; implicit-def: $vgpr1
                                        ; implicit-def: $vgpr30
                                        ; implicit-def: $vgpr2_vgpr3
.LBB51_6339:
	s_and_not1_saveexec_b32 s74, s74
	s_cbranch_execz .LBB51_6383
; %bb.6340:
	s_mov_b32 s76, s0
	s_mov_b32 s75, exec_lo
	v_cmpx_lt_i16_e32 22, v1
	s_xor_b32 s75, exec_lo, s75
	s_cbranch_execz .LBB51_6372
; %bb.6341:
	s_mov_b32 s76, exec_lo
	v_cmpx_lt_i16_e32 23, v1
	s_xor_b32 s76, exec_lo, s76
	s_cbranch_execz .LBB51_6361
; %bb.6342:
	s_mov_b32 s77, exec_lo
	v_cmpx_lt_i16_e32 24, v1
	s_xor_b32 s77, exec_lo, s77
	s_cbranch_execz .LBB51_6350
; %bb.6343:
	v_and_b32_e32 v1, 0x7fffffff, v30
	v_mov_b32_e32 v4, 0x80
	s_mov_b32 s78, exec_lo
	s_delay_alu instid0(VALU_DEP_2)
	v_cmpx_gt_u32_e32 0x47800000, v1
	s_cbranch_execz .LBB51_6349
; %bb.6344:
	v_cmp_lt_u32_e32 vcc_lo, 0x37ffffff, v1
	s_mov_b32 s79, 0
                                        ; implicit-def: $vgpr1
	s_and_saveexec_b32 s88, vcc_lo
	s_delay_alu instid0(SALU_CYCLE_1)
	s_xor_b32 s88, exec_lo, s88
	s_cbranch_execnz .LBB51_7961
; %bb.6345:
	s_and_not1_saveexec_b32 s88, s88
	s_cbranch_execnz .LBB51_7962
.LBB51_6346:
	s_or_b32 exec_lo, exec_lo, s88
	v_mov_b32_e32 v4, 0
	s_and_saveexec_b32 s88, s79
.LBB51_6347:
	v_lshrrev_b32_e32 v4, 24, v30
	s_delay_alu instid0(VALU_DEP_1)
	v_and_or_b32 v4, 0x80, v4, v1
.LBB51_6348:
	s_or_b32 exec_lo, exec_lo, s88
.LBB51_6349:
	s_delay_alu instid0(SALU_CYCLE_1)
	s_or_b32 exec_lo, exec_lo, s78
	flat_store_b8 v[2:3], v4
                                        ; implicit-def: $vgpr30
                                        ; implicit-def: $vgpr2_vgpr3
.LBB51_6350:
	s_wait_xcnt 0x0
	s_and_not1_saveexec_b32 s77, s77
	s_cbranch_execz .LBB51_6360
; %bb.6351:
	v_and_b32_e32 v4, 0x7fffffff, v30
	s_mov_b32 s78, exec_lo
                                        ; implicit-def: $vgpr1
	s_delay_alu instid0(VALU_DEP_1)
	v_cmpx_gt_u32_e32 0x43f00000, v4
	s_xor_b32 s78, exec_lo, s78
	s_cbranch_execz .LBB51_6357
; %bb.6352:
	s_mov_b32 s79, exec_lo
                                        ; implicit-def: $vgpr1
	v_cmpx_lt_u32_e32 0x3c7fffff, v4
	s_xor_b32 s79, exec_lo, s79
; %bb.6353:
	v_bfe_u32 v1, v30, 20, 1
	s_delay_alu instid0(VALU_DEP_1) | instskip(NEXT) | instid1(VALU_DEP_1)
	v_add3_u32 v1, v30, v1, 0x407ffff
	v_and_b32_e32 v4, 0xff00000, v1
	v_lshrrev_b32_e32 v1, 20, v1
	s_delay_alu instid0(VALU_DEP_2) | instskip(NEXT) | instid1(VALU_DEP_2)
	v_cmp_ne_u32_e32 vcc_lo, 0x7f00000, v4
	v_cndmask_b32_e32 v1, 0x7e, v1, vcc_lo
; %bb.6354:
	s_and_not1_saveexec_b32 s79, s79
; %bb.6355:
	v_add_f32_e64 v1, 0x46800000, |v30|
; %bb.6356:
	s_or_b32 exec_lo, exec_lo, s79
                                        ; implicit-def: $vgpr4
.LBB51_6357:
	s_and_not1_saveexec_b32 s78, s78
; %bb.6358:
	v_mov_b32_e32 v1, 0x7f
	v_cmp_lt_u32_e32 vcc_lo, 0x7f800000, v4
	s_delay_alu instid0(VALU_DEP_2)
	v_cndmask_b32_e32 v1, 0x7e, v1, vcc_lo
; %bb.6359:
	s_or_b32 exec_lo, exec_lo, s78
	v_lshrrev_b32_e32 v4, 24, v30
	s_delay_alu instid0(VALU_DEP_1)
	v_and_or_b32 v1, 0x80, v4, v1
	flat_store_b8 v[2:3], v1
.LBB51_6360:
	s_wait_xcnt 0x0
	s_or_b32 exec_lo, exec_lo, s77
                                        ; implicit-def: $vgpr30
                                        ; implicit-def: $vgpr2_vgpr3
.LBB51_6361:
	s_and_not1_saveexec_b32 s76, s76
	s_cbranch_execz .LBB51_6371
; %bb.6362:
	v_and_b32_e32 v4, 0x7fffffff, v30
	s_mov_b32 s77, exec_lo
                                        ; implicit-def: $vgpr1
	s_delay_alu instid0(VALU_DEP_1)
	v_cmpx_gt_u32_e32 0x47800000, v4
	s_xor_b32 s77, exec_lo, s77
	s_cbranch_execz .LBB51_6368
; %bb.6363:
	s_mov_b32 s78, exec_lo
                                        ; implicit-def: $vgpr1
	v_cmpx_lt_u32_e32 0x387fffff, v4
	s_xor_b32 s78, exec_lo, s78
; %bb.6364:
	v_bfe_u32 v1, v30, 21, 1
	s_delay_alu instid0(VALU_DEP_1) | instskip(NEXT) | instid1(VALU_DEP_1)
	v_add3_u32 v1, v30, v1, 0x80fffff
	v_lshrrev_b32_e32 v1, 21, v1
; %bb.6365:
	s_and_not1_saveexec_b32 s78, s78
; %bb.6366:
	v_add_f32_e64 v1, 0x43000000, |v30|
; %bb.6367:
	s_or_b32 exec_lo, exec_lo, s78
                                        ; implicit-def: $vgpr4
.LBB51_6368:
	s_and_not1_saveexec_b32 s77, s77
; %bb.6369:
	v_mov_b32_e32 v1, 0x7f
	v_cmp_lt_u32_e32 vcc_lo, 0x7f800000, v4
	s_delay_alu instid0(VALU_DEP_2)
	v_cndmask_b32_e32 v1, 0x7c, v1, vcc_lo
; %bb.6370:
	s_or_b32 exec_lo, exec_lo, s77
	v_lshrrev_b32_e32 v4, 24, v30
	s_delay_alu instid0(VALU_DEP_1)
	v_and_or_b32 v1, 0x80, v4, v1
	flat_store_b8 v[2:3], v1
.LBB51_6371:
	s_wait_xcnt 0x0
	s_or_b32 exec_lo, exec_lo, s76
	s_delay_alu instid0(SALU_CYCLE_1)
	s_or_b32 s76, s0, exec_lo
                                        ; implicit-def: $vgpr1
                                        ; implicit-def: $vgpr30
                                        ; implicit-def: $vgpr2_vgpr3
.LBB51_6372:
	s_or_saveexec_b32 s75, s75
	s_mov_b32 s77, s73
	s_xor_b32 exec_lo, exec_lo, s75
	s_cbranch_execz .LBB51_6382
; %bb.6373:
	s_mov_b32 s77, s76
	s_mov_b32 s78, s73
	s_mov_b32 s79, exec_lo
	v_cmpx_lt_i16_e32 14, v1
	s_xor_b32 s79, exec_lo, s79
	s_cbranch_execz .LBB51_6377
; %bb.6374:
	s_mov_b32 s88, -1
	s_mov_b32 s77, s76
	s_mov_b32 s78, exec_lo
	v_cmpx_eq_u16_e32 15, v1
	s_cbranch_execz .LBB51_6376
; %bb.6375:
	v_bfe_u32 v1, v30, 16, 1
	v_cmp_o_f32_e32 vcc_lo, v30, v30
	s_xor_b32 s88, exec_lo, -1
	s_or_b32 s77, s76, exec_lo
	s_delay_alu instid0(VALU_DEP_2) | instskip(NEXT) | instid1(VALU_DEP_1)
	v_add3_u32 v1, v30, v1, 0x7fff
	v_lshrrev_b32_e32 v1, 16, v1
	s_delay_alu instid0(VALU_DEP_1)
	v_cndmask_b32_e32 v1, 0x7fc0, v1, vcc_lo
	flat_store_b16 v[2:3], v1
.LBB51_6376:
	s_wait_xcnt 0x0
	s_or_b32 exec_lo, exec_lo, s78
	s_delay_alu instid0(SALU_CYCLE_1)
	s_and_not1_b32 s78, s73, exec_lo
	s_and_b32 s88, s88, exec_lo
	s_and_not1_b32 s89, s76, exec_lo
	s_and_b32 s77, s77, exec_lo
	s_or_b32 s78, s78, s88
	s_or_b32 s77, s89, s77
                                        ; implicit-def: $vgpr1
                                        ; implicit-def: $vgpr30
                                        ; implicit-def: $vgpr2_vgpr3
.LBB51_6377:
	s_and_not1_saveexec_b32 s79, s79
	s_cbranch_execz .LBB51_6381
; %bb.6378:
	s_mov_b32 s89, -1
	s_mov_b32 s88, s77
	s_mov_b32 s90, exec_lo
	v_cmpx_eq_u16_e32 11, v1
	s_cbranch_execz .LBB51_6380
; %bb.6379:
	v_cmp_neq_f32_e32 vcc_lo, 0, v30
	s_xor_b32 s89, exec_lo, -1
	s_or_b32 s88, s77, exec_lo
	v_cndmask_b32_e64 v1, 0, 1, vcc_lo
	flat_store_b8 v[2:3], v1
.LBB51_6380:
	s_wait_xcnt 0x0
	s_or_b32 exec_lo, exec_lo, s90
	s_delay_alu instid0(SALU_CYCLE_1)
	s_and_not1_b32 s78, s78, exec_lo
	s_and_b32 s89, s89, exec_lo
	s_and_not1_b32 s77, s77, exec_lo
	s_and_b32 s88, s88, exec_lo
	s_or_b32 s78, s78, s89
	s_or_b32 s77, s77, s88
.LBB51_6381:
	s_or_b32 exec_lo, exec_lo, s79
	s_delay_alu instid0(SALU_CYCLE_1)
	s_and_not1_b32 s79, s73, exec_lo
	s_and_b32 s78, s78, exec_lo
	s_and_not1_b32 s76, s76, exec_lo
	s_and_b32 s88, s77, exec_lo
	s_or_b32 s77, s79, s78
	s_or_b32 s76, s76, s88
.LBB51_6382:
	s_or_b32 exec_lo, exec_lo, s75
	s_delay_alu instid0(SALU_CYCLE_1)
	s_and_not1_b32 s73, s73, exec_lo
	s_and_b32 s75, s77, exec_lo
	s_and_not1_b32 s0, s0, exec_lo
	s_and_b32 s76, s76, exec_lo
	s_or_b32 s73, s73, s75
	s_or_b32 s0, s0, s76
.LBB51_6383:
	s_or_b32 exec_lo, exec_lo, s74
	s_delay_alu instid0(SALU_CYCLE_1)
	s_and_not1_b32 s74, s60, exec_lo
	s_and_b32 s73, s73, exec_lo
	s_and_b32 s0, s0, exec_lo
	s_or_b32 s73, s74, s73
                                        ; implicit-def: $vgpr1
                                        ; implicit-def: $vgpr30
                                        ; implicit-def: $vgpr2_vgpr3
.LBB51_6384:
	s_and_not1_saveexec_b32 s62, s62
	s_cbranch_execz .LBB51_6426
; %bb.6385:
	s_mov_b32 s74, exec_lo
	v_cmpx_lt_i16_e32 4, v1
	s_xor_b32 s74, exec_lo, s74
	s_cbranch_execz .LBB51_6407
; %bb.6386:
	s_mov_b32 s75, exec_lo
	v_cmpx_lt_i16_e32 7, v1
	s_xor_b32 s75, exec_lo, s75
	;; [unrolled: 5-line block ×4, first 2 shown]
	s_cbranch_execz .LBB51_6390
; %bb.6389:
	v_cvt_f64_f32_e32 v[4:5], v30
	v_mov_b32_e32 v6, 0
                                        ; implicit-def: $vgpr30
	s_delay_alu instid0(VALU_DEP_1)
	v_mov_b32_e32 v7, v6
	flat_store_b128 v[2:3], v[4:7]
                                        ; implicit-def: $vgpr2_vgpr3
.LBB51_6390:
	s_wait_xcnt 0x0
	s_and_not1_saveexec_b32 s77, s77
	s_cbranch_execz .LBB51_6392
; %bb.6391:
	v_mov_b32_e32 v31, 0
	flat_store_b64 v[2:3], v[30:31]
.LBB51_6392:
	s_wait_xcnt 0x0
	s_or_b32 exec_lo, exec_lo, s77
                                        ; implicit-def: $vgpr30
                                        ; implicit-def: $vgpr2_vgpr3
.LBB51_6393:
	s_and_not1_saveexec_b32 s76, s76
	s_cbranch_execz .LBB51_6395
; %bb.6394:
	v_cvt_f16_f32_e32 v1, v30
	s_delay_alu instid0(VALU_DEP_1)
	v_and_b32_e32 v1, 0xffff, v1
	flat_store_b32 v[2:3], v1
.LBB51_6395:
	s_wait_xcnt 0x0
	s_or_b32 exec_lo, exec_lo, s76
                                        ; implicit-def: $vgpr30
                                        ; implicit-def: $vgpr2_vgpr3
                                        ; implicit-def: $vgpr1
.LBB51_6396:
	s_and_not1_saveexec_b32 s75, s75
	s_cbranch_execz .LBB51_6406
; %bb.6397:
	s_mov_b32 s76, exec_lo
	v_cmpx_lt_i16_e32 5, v1
	s_xor_b32 s76, exec_lo, s76
	s_cbranch_execz .LBB51_6403
; %bb.6398:
	s_mov_b32 s77, exec_lo
	v_cmpx_lt_i16_e32 6, v1
	s_xor_b32 s77, exec_lo, s77
	s_cbranch_execz .LBB51_6400
; %bb.6399:
	v_cvt_f64_f32_e32 v[4:5], v30
                                        ; implicit-def: $vgpr30
	flat_store_b64 v[2:3], v[4:5]
                                        ; implicit-def: $vgpr2_vgpr3
.LBB51_6400:
	s_wait_xcnt 0x0
	s_and_not1_saveexec_b32 s77, s77
	s_cbranch_execz .LBB51_6402
; %bb.6401:
	flat_store_b32 v[2:3], v30
.LBB51_6402:
	s_wait_xcnt 0x0
	s_or_b32 exec_lo, exec_lo, s77
                                        ; implicit-def: $vgpr30
                                        ; implicit-def: $vgpr2_vgpr3
.LBB51_6403:
	s_and_not1_saveexec_b32 s76, s76
	s_cbranch_execz .LBB51_6405
; %bb.6404:
	v_cvt_f16_f32_e32 v1, v30
	flat_store_b16 v[2:3], v1
.LBB51_6405:
	s_wait_xcnt 0x0
	s_or_b32 exec_lo, exec_lo, s76
.LBB51_6406:
	s_delay_alu instid0(SALU_CYCLE_1)
	s_or_b32 exec_lo, exec_lo, s75
                                        ; implicit-def: $vgpr1
                                        ; implicit-def: $vgpr30
                                        ; implicit-def: $vgpr2_vgpr3
.LBB51_6407:
	s_and_not1_saveexec_b32 s74, s74
	s_cbranch_execz .LBB51_6425
; %bb.6408:
	s_mov_b32 s75, exec_lo
	v_cmpx_lt_i16_e32 1, v1
	s_xor_b32 s75, exec_lo, s75
	s_cbranch_execz .LBB51_6418
; %bb.6409:
	s_mov_b32 s76, exec_lo
	v_cmpx_lt_i16_e32 2, v1
	s_xor_b32 s76, exec_lo, s76
	s_cbranch_execz .LBB51_6415
; %bb.6410:
	s_mov_b32 s77, exec_lo
	v_cmpx_lt_i16_e32 3, v1
	s_xor_b32 s77, exec_lo, s77
	s_cbranch_execz .LBB51_6412
; %bb.6411:
	v_trunc_f32_e32 v1, v30
                                        ; implicit-def: $vgpr30
	s_delay_alu instid0(VALU_DEP_1) | instskip(NEXT) | instid1(VALU_DEP_1)
	v_mul_f32_e64 v4, 0x2f800000, |v1|
	v_floor_f32_e32 v5, v4
	v_ashrrev_i32_e32 v4, 31, v1
	s_delay_alu instid0(VALU_DEP_2) | instskip(SKIP_1) | instid1(VALU_DEP_3)
	v_fma_f32 v6, 0xcf800000, v5, |v1|
	v_cvt_u32_f32_e32 v1, v5
	v_mov_b32_e32 v5, v4
	s_delay_alu instid0(VALU_DEP_3) | instskip(NEXT) | instid1(VALU_DEP_3)
	v_cvt_u32_f32_e32 v6, v6
	v_xor_b32_e32 v7, v1, v4
	s_delay_alu instid0(VALU_DEP_2) | instskip(NEXT) | instid1(VALU_DEP_1)
	v_xor_b32_e32 v6, v6, v4
	v_sub_nc_u64_e32 v[4:5], v[6:7], v[4:5]
	flat_store_b64 v[2:3], v[4:5]
                                        ; implicit-def: $vgpr2_vgpr3
.LBB51_6412:
	s_wait_xcnt 0x0
	s_and_not1_saveexec_b32 s77, s77
	s_cbranch_execz .LBB51_6414
; %bb.6413:
	v_cvt_i32_f32_e32 v1, v30
	flat_store_b32 v[2:3], v1
.LBB51_6414:
	s_wait_xcnt 0x0
	s_or_b32 exec_lo, exec_lo, s77
                                        ; implicit-def: $vgpr30
                                        ; implicit-def: $vgpr2_vgpr3
.LBB51_6415:
	s_and_not1_saveexec_b32 s76, s76
	s_cbranch_execz .LBB51_6417
; %bb.6416:
	v_cvt_i32_f32_e32 v1, v30
	flat_store_b16 v[2:3], v1
.LBB51_6417:
	s_wait_xcnt 0x0
	s_or_b32 exec_lo, exec_lo, s76
                                        ; implicit-def: $vgpr30
                                        ; implicit-def: $vgpr2_vgpr3
                                        ; implicit-def: $vgpr1
.LBB51_6418:
	s_and_not1_saveexec_b32 s75, s75
	s_cbranch_execz .LBB51_6424
; %bb.6419:
	s_mov_b32 s76, exec_lo
	v_cmpx_lt_i16_e32 0, v1
	s_xor_b32 s76, exec_lo, s76
	s_cbranch_execz .LBB51_6421
; %bb.6420:
	v_cvt_i32_f32_e32 v1, v30
                                        ; implicit-def: $vgpr30
	flat_store_b8 v[2:3], v1
                                        ; implicit-def: $vgpr2_vgpr3
.LBB51_6421:
	s_wait_xcnt 0x0
	s_and_not1_saveexec_b32 s76, s76
	s_cbranch_execz .LBB51_6423
; %bb.6422:
	v_trunc_f32_e32 v1, v30
	s_delay_alu instid0(VALU_DEP_1) | instskip(NEXT) | instid1(VALU_DEP_1)
	v_mul_f32_e64 v4, 0x2f800000, |v1|
	v_floor_f32_e32 v4, v4
	s_delay_alu instid0(VALU_DEP_1) | instskip(SKIP_1) | instid1(VALU_DEP_2)
	v_fma_f32 v4, 0xcf800000, v4, |v1|
	v_ashrrev_i32_e32 v1, 31, v1
	v_cvt_u32_f32_e32 v4, v4
	s_delay_alu instid0(VALU_DEP_1) | instskip(NEXT) | instid1(VALU_DEP_1)
	v_xor_b32_e32 v4, v4, v1
	v_sub_nc_u32_e32 v1, v4, v1
	flat_store_b8 v[2:3], v1
.LBB51_6423:
	s_wait_xcnt 0x0
	s_or_b32 exec_lo, exec_lo, s76
.LBB51_6424:
	s_delay_alu instid0(SALU_CYCLE_1)
	s_or_b32 exec_lo, exec_lo, s75
.LBB51_6425:
	s_delay_alu instid0(SALU_CYCLE_1) | instskip(NEXT) | instid1(SALU_CYCLE_1)
	s_or_b32 exec_lo, exec_lo, s74
	s_or_b32 s0, s0, exec_lo
.LBB51_6426:
	s_or_b32 exec_lo, exec_lo, s62
	s_mov_b32 s74, 0
	s_mov_b32 s62, 0
	s_and_saveexec_b32 s75, s0
; %bb.6427:
	v_add_nc_u32_e32 v103, 0x200, v103
	s_mov_b32 s74, exec_lo
	s_delay_alu instid0(VALU_DEP_1)
	v_cmp_lt_i32_e32 vcc_lo, v103, v8
	s_and_b32 s62, vcc_lo, exec_lo
; %bb.6428:
	s_or_b32 exec_lo, exec_lo, s75
	s_delay_alu instid0(SALU_CYCLE_1)
	s_and_not1_b32 s0, s60, exec_lo
	s_and_b32 s73, s73, exec_lo
	s_and_b32 s75, s62, exec_lo
	s_or_b32 s62, s0, s73
	s_or_not1_b32 s74, s74, exec_lo
.LBB51_6429:
	s_or_b32 exec_lo, exec_lo, s63
	s_mov_b32 s0, 0
	s_mov_b32 s73, 0
                                        ; implicit-def: $vgpr4
                                        ; implicit-def: $vgpr2_vgpr3
	s_and_saveexec_b32 s63, s74
	s_cbranch_execz .LBB51_7811
; %bb.6430:
	s_mov_b32 s76, -1
	s_mov_b32 s74, 0
	s_mov_b32 s72, s62
	s_and_saveexec_b32 s73, s75
	s_cbranch_execz .LBB51_6558
; %bb.6431:
	v_dual_add_nc_u32 v1, s3, v103 :: v_dual_mov_b32 v3, 0
	s_mov_b32 s75, s62
	s_mov_b32 s72, exec_lo
	s_delay_alu instid0(VALU_DEP_1) | instskip(SKIP_1) | instid1(VALU_DEP_2)
	v_mul_lo_u32 v2, v1, v14
	v_and_b32_e32 v1, 0xff, v13
	v_add_nc_u64_e32 v[2:3], v[114:115], v[2:3]
	s_delay_alu instid0(VALU_DEP_2)
	v_cmpx_lt_i16_e32 10, v1
	s_xor_b32 s72, exec_lo, s72
	s_cbranch_execz .LBB51_6513
; %bb.6432:
	s_mov_b32 s75, s62
	s_mov_b32 s76, exec_lo
	v_cmpx_lt_i16_e32 25, v1
	s_xor_b32 s76, exec_lo, s76
	s_cbranch_execz .LBB51_6468
; %bb.6433:
	s_mov_b32 s77, s62
	s_mov_b32 s75, exec_lo
	;; [unrolled: 6-line block ×3, first 2 shown]
	v_cmpx_lt_i16_e32 43, v1
	s_xor_b32 s77, exec_lo, s77
	s_cbranch_execz .LBB51_6446
; %bb.6435:
	s_mov_b32 s78, 0
	s_mov_b32 s79, s62
	s_mov_b32 s0, exec_lo
	v_cmpx_lt_i16_e32 45, v1
	s_xor_b32 s0, exec_lo, s0
	s_cbranch_execz .LBB51_6439
; %bb.6436:
	s_mov_b32 s88, -1
	s_mov_b32 s79, exec_lo
	v_cmpx_eq_u16_e32 46, v1
	s_cbranch_execz .LBB51_6438
; %bb.6437:
	v_bfe_u32 v1, v28, 16, 1
	v_cmp_o_f32_e32 vcc_lo, v28, v28
	s_mov_b32 s78, exec_lo
	s_xor_b32 s88, exec_lo, -1
	s_delay_alu instid0(VALU_DEP_2) | instskip(NEXT) | instid1(VALU_DEP_1)
	v_add3_u32 v1, v28, v1, 0x7fff
	v_lshrrev_b32_e32 v1, 16, v1
	s_delay_alu instid0(VALU_DEP_1)
	v_cndmask_b32_e32 v1, 0x7fc0, v1, vcc_lo
	flat_store_b32 v[2:3], v1
.LBB51_6438:
	s_wait_xcnt 0x0
	s_or_b32 exec_lo, exec_lo, s79
	s_delay_alu instid0(SALU_CYCLE_1)
	s_and_not1_b32 s79, s62, exec_lo
	s_and_b32 s88, s88, exec_lo
	s_and_b32 s78, s78, exec_lo
	s_or_b32 s79, s79, s88
                                        ; implicit-def: $vgpr1
                                        ; implicit-def: $vgpr2_vgpr3
                                        ; implicit-def: $vgpr28
.LBB51_6439:
	s_and_not1_saveexec_b32 s88, s0
	s_cbranch_execz .LBB51_6445
; %bb.6440:
	s_mov_b32 s90, -1
	s_mov_b32 s0, s78
	s_mov_b32 s89, exec_lo
	v_cmpx_eq_u16_e32 44, v1
	s_cbranch_execz .LBB51_6444
; %bb.6441:
	v_bfe_u32 v4, v28, 23, 8
	v_mov_b32_e32 v1, 0xff
	s_mov_b32 s90, exec_lo
	s_delay_alu instid0(VALU_DEP_2)
	v_cmpx_ne_u32_e32 0xff, v4
	s_cbranch_execz .LBB51_6443
; %bb.6442:
	v_and_b32_e32 v1, 0x400000, v28
	v_and_or_b32 v4, 0x3fffff, v28, v4
	s_delay_alu instid0(VALU_DEP_2) | instskip(NEXT) | instid1(VALU_DEP_2)
	v_cmp_ne_u32_e32 vcc_lo, 0, v1
	v_cmp_ne_u32_e64 s0, 0, v4
	v_lshrrev_b32_e32 v1, 23, v28
	s_and_b32 s0, vcc_lo, s0
	s_delay_alu instid0(SALU_CYCLE_1) | instskip(NEXT) | instid1(VALU_DEP_1)
	v_cndmask_b32_e64 v4, 0, 1, s0
	v_add_nc_u32_e32 v1, v1, v4
.LBB51_6443:
	s_or_b32 exec_lo, exec_lo, s90
	s_delay_alu instid0(SALU_CYCLE_1)
	s_xor_b32 s90, exec_lo, -1
	s_or_b32 s0, s78, exec_lo
	flat_store_b8 v[2:3], v1
.LBB51_6444:
	s_wait_xcnt 0x0
	s_or_b32 exec_lo, exec_lo, s89
	s_delay_alu instid0(SALU_CYCLE_1)
	s_and_not1_b32 s79, s79, exec_lo
	s_and_b32 s89, s90, exec_lo
	s_and_not1_b32 s78, s78, exec_lo
	s_and_b32 s0, s0, exec_lo
	s_or_b32 s79, s79, s89
	s_or_b32 s78, s78, s0
.LBB51_6445:
	s_or_b32 exec_lo, exec_lo, s88
	s_delay_alu instid0(SALU_CYCLE_1) | instskip(SKIP_1) | instid1(SALU_CYCLE_1)
	s_and_not1_b32 s0, s62, exec_lo
	s_and_b32 s79, s79, exec_lo
                                        ; implicit-def: $vgpr1
                                        ; implicit-def: $vgpr28
                                        ; implicit-def: $vgpr2_vgpr3
	s_or_b32 s79, s0, s79
	s_and_b32 s0, s78, exec_lo
.LBB51_6446:
	s_and_not1_saveexec_b32 s77, s77
	s_cbranch_execz .LBB51_6450
; %bb.6447:
	s_mov_b32 s89, -1
	s_mov_b32 s88, s0
	s_mov_b32 s78, exec_lo
	v_cmpx_eq_u16_e32 29, v1
	s_cbranch_execz .LBB51_6449
; %bb.6448:
	v_trunc_f32_e32 v1, v28
	s_xor_b32 s89, exec_lo, -1
	s_or_b32 s88, s0, exec_lo
	s_delay_alu instid0(VALU_DEP_1) | instskip(NEXT) | instid1(VALU_DEP_1)
	v_mul_f32_e32 v4, 0x2f800000, v1
	v_floor_f32_e32 v4, v4
	s_delay_alu instid0(VALU_DEP_1) | instskip(SKIP_1) | instid1(VALU_DEP_2)
	v_fmamk_f32 v1, v4, 0xcf800000, v1
	v_cvt_u32_f32_e32 v5, v4
	v_cvt_u32_f32_e32 v4, v1
	flat_store_b64 v[2:3], v[4:5]
.LBB51_6449:
	s_wait_xcnt 0x0
	s_or_b32 exec_lo, exec_lo, s78
	s_delay_alu instid0(SALU_CYCLE_1)
	s_and_not1_b32 s78, s79, exec_lo
	s_and_b32 s79, s89, exec_lo
	s_and_not1_b32 s0, s0, exec_lo
	s_and_b32 s88, s88, exec_lo
	s_or_b32 s79, s78, s79
	s_or_b32 s0, s0, s88
.LBB51_6450:
	s_or_b32 exec_lo, exec_lo, s77
	s_delay_alu instid0(SALU_CYCLE_1)
	s_and_not1_b32 s77, s62, exec_lo
	s_and_b32 s78, s79, exec_lo
	s_and_b32 s0, s0, exec_lo
	s_or_b32 s77, s77, s78
                                        ; implicit-def: $vgpr2_vgpr3
                                        ; implicit-def: $vgpr1
                                        ; implicit-def: $vgpr28
.LBB51_6451:
	s_and_not1_saveexec_b32 s75, s75
	s_cbranch_execz .LBB51_6467
; %bb.6452:
	s_mov_b32 s78, exec_lo
	v_cmpx_lt_i16_e32 26, v1
	s_xor_b32 s78, exec_lo, s78
	s_cbranch_execz .LBB51_6458
; %bb.6453:
	v_cmp_lt_i16_e32 vcc_lo, 27, v1
	v_cvt_u32_f32_e32 v1, v28
	s_and_saveexec_b32 s79, vcc_lo
	s_delay_alu instid0(SALU_CYCLE_1)
	s_xor_b32 s79, exec_lo, s79
	s_cbranch_execz .LBB51_6455
; %bb.6454:
	flat_store_b32 v[2:3], v1
                                        ; implicit-def: $vgpr2_vgpr3
                                        ; implicit-def: $vgpr1
.LBB51_6455:
	s_wait_xcnt 0x0
	s_and_not1_saveexec_b32 s79, s79
	s_cbranch_execz .LBB51_6457
; %bb.6456:
	flat_store_b16 v[2:3], v1
.LBB51_6457:
	s_wait_xcnt 0x0
	s_or_b32 exec_lo, exec_lo, s79
                                        ; implicit-def: $vgpr2_vgpr3
                                        ; implicit-def: $vgpr28
.LBB51_6458:
	s_and_not1_saveexec_b32 s78, s78
	s_cbranch_execz .LBB51_6466
; %bb.6459:
	v_and_b32_e32 v1, 0x7fffffff, v28
	v_mov_b32_e32 v4, 0x80
	s_mov_b32 s79, exec_lo
	s_delay_alu instid0(VALU_DEP_2)
	v_cmpx_gt_u32_e32 0x43800000, v1
	s_cbranch_execz .LBB51_6465
; %bb.6460:
	v_cmp_lt_u32_e32 vcc_lo, 0x3bffffff, v1
	s_mov_b32 s88, 0
                                        ; implicit-def: $vgpr1
	s_and_saveexec_b32 s89, vcc_lo
	s_delay_alu instid0(SALU_CYCLE_1)
	s_xor_b32 s89, exec_lo, s89
	s_cbranch_execnz .LBB51_7963
; %bb.6461:
	s_and_not1_saveexec_b32 s89, s89
	s_cbranch_execnz .LBB51_7964
.LBB51_6462:
	s_or_b32 exec_lo, exec_lo, s89
	v_mov_b32_e32 v4, 0
	s_and_saveexec_b32 s89, s88
.LBB51_6463:
	v_lshrrev_b32_e32 v4, 24, v28
	s_delay_alu instid0(VALU_DEP_1)
	v_and_or_b32 v4, 0x80, v4, v1
.LBB51_6464:
	s_or_b32 exec_lo, exec_lo, s89
.LBB51_6465:
	s_delay_alu instid0(SALU_CYCLE_1)
	s_or_b32 exec_lo, exec_lo, s79
	flat_store_b8 v[2:3], v4
.LBB51_6466:
	s_wait_xcnt 0x0
	s_or_b32 exec_lo, exec_lo, s78
	s_delay_alu instid0(SALU_CYCLE_1)
	s_or_b32 s0, s0, exec_lo
.LBB51_6467:
	s_or_b32 exec_lo, exec_lo, s75
	s_delay_alu instid0(SALU_CYCLE_1)
	s_and_not1_b32 s75, s62, exec_lo
	s_and_b32 s77, s77, exec_lo
	s_and_b32 s0, s0, exec_lo
	s_or_b32 s75, s75, s77
                                        ; implicit-def: $vgpr1
                                        ; implicit-def: $vgpr28
                                        ; implicit-def: $vgpr2_vgpr3
.LBB51_6468:
	s_and_not1_saveexec_b32 s76, s76
	s_cbranch_execz .LBB51_6512
; %bb.6469:
	s_mov_b32 s78, s0
	s_mov_b32 s77, exec_lo
	v_cmpx_lt_i16_e32 22, v1
	s_xor_b32 s77, exec_lo, s77
	s_cbranch_execz .LBB51_6501
; %bb.6470:
	s_mov_b32 s78, exec_lo
	v_cmpx_lt_i16_e32 23, v1
	s_xor_b32 s78, exec_lo, s78
	s_cbranch_execz .LBB51_6490
; %bb.6471:
	s_mov_b32 s79, exec_lo
	v_cmpx_lt_i16_e32 24, v1
	s_xor_b32 s79, exec_lo, s79
	s_cbranch_execz .LBB51_6479
; %bb.6472:
	v_and_b32_e32 v1, 0x7fffffff, v28
	v_mov_b32_e32 v4, 0x80
	s_mov_b32 s88, exec_lo
	s_delay_alu instid0(VALU_DEP_2)
	v_cmpx_gt_u32_e32 0x47800000, v1
	s_cbranch_execz .LBB51_6478
; %bb.6473:
	v_cmp_lt_u32_e32 vcc_lo, 0x37ffffff, v1
	s_mov_b32 s89, 0
                                        ; implicit-def: $vgpr1
	s_and_saveexec_b32 s90, vcc_lo
	s_delay_alu instid0(SALU_CYCLE_1)
	s_xor_b32 s90, exec_lo, s90
	s_cbranch_execnz .LBB51_7965
; %bb.6474:
	s_and_not1_saveexec_b32 s90, s90
	s_cbranch_execnz .LBB51_7966
.LBB51_6475:
	s_or_b32 exec_lo, exec_lo, s90
	v_mov_b32_e32 v4, 0
	s_and_saveexec_b32 s90, s89
.LBB51_6476:
	v_lshrrev_b32_e32 v4, 24, v28
	s_delay_alu instid0(VALU_DEP_1)
	v_and_or_b32 v4, 0x80, v4, v1
.LBB51_6477:
	s_or_b32 exec_lo, exec_lo, s90
.LBB51_6478:
	s_delay_alu instid0(SALU_CYCLE_1)
	s_or_b32 exec_lo, exec_lo, s88
	flat_store_b8 v[2:3], v4
                                        ; implicit-def: $vgpr28
                                        ; implicit-def: $vgpr2_vgpr3
.LBB51_6479:
	s_wait_xcnt 0x0
	s_and_not1_saveexec_b32 s79, s79
	s_cbranch_execz .LBB51_6489
; %bb.6480:
	v_and_b32_e32 v4, 0x7fffffff, v28
	s_mov_b32 s88, exec_lo
                                        ; implicit-def: $vgpr1
	s_delay_alu instid0(VALU_DEP_1)
	v_cmpx_gt_u32_e32 0x43f00000, v4
	s_xor_b32 s88, exec_lo, s88
	s_cbranch_execz .LBB51_6486
; %bb.6481:
	s_mov_b32 s89, exec_lo
                                        ; implicit-def: $vgpr1
	v_cmpx_lt_u32_e32 0x3c7fffff, v4
	s_xor_b32 s89, exec_lo, s89
; %bb.6482:
	v_bfe_u32 v1, v28, 20, 1
	s_delay_alu instid0(VALU_DEP_1) | instskip(NEXT) | instid1(VALU_DEP_1)
	v_add3_u32 v1, v28, v1, 0x407ffff
	v_and_b32_e32 v4, 0xff00000, v1
	v_lshrrev_b32_e32 v1, 20, v1
	s_delay_alu instid0(VALU_DEP_2) | instskip(NEXT) | instid1(VALU_DEP_2)
	v_cmp_ne_u32_e32 vcc_lo, 0x7f00000, v4
	v_cndmask_b32_e32 v1, 0x7e, v1, vcc_lo
; %bb.6483:
	s_and_not1_saveexec_b32 s89, s89
; %bb.6484:
	v_add_f32_e64 v1, 0x46800000, |v28|
; %bb.6485:
	s_or_b32 exec_lo, exec_lo, s89
                                        ; implicit-def: $vgpr4
.LBB51_6486:
	s_and_not1_saveexec_b32 s88, s88
; %bb.6487:
	v_mov_b32_e32 v1, 0x7f
	v_cmp_lt_u32_e32 vcc_lo, 0x7f800000, v4
	s_delay_alu instid0(VALU_DEP_2)
	v_cndmask_b32_e32 v1, 0x7e, v1, vcc_lo
; %bb.6488:
	s_or_b32 exec_lo, exec_lo, s88
	v_lshrrev_b32_e32 v4, 24, v28
	s_delay_alu instid0(VALU_DEP_1)
	v_and_or_b32 v1, 0x80, v4, v1
	flat_store_b8 v[2:3], v1
.LBB51_6489:
	s_wait_xcnt 0x0
	s_or_b32 exec_lo, exec_lo, s79
                                        ; implicit-def: $vgpr28
                                        ; implicit-def: $vgpr2_vgpr3
.LBB51_6490:
	s_and_not1_saveexec_b32 s78, s78
	s_cbranch_execz .LBB51_6500
; %bb.6491:
	v_and_b32_e32 v4, 0x7fffffff, v28
	s_mov_b32 s79, exec_lo
                                        ; implicit-def: $vgpr1
	s_delay_alu instid0(VALU_DEP_1)
	v_cmpx_gt_u32_e32 0x47800000, v4
	s_xor_b32 s79, exec_lo, s79
	s_cbranch_execz .LBB51_6497
; %bb.6492:
	s_mov_b32 s88, exec_lo
                                        ; implicit-def: $vgpr1
	v_cmpx_lt_u32_e32 0x387fffff, v4
	s_xor_b32 s88, exec_lo, s88
; %bb.6493:
	v_bfe_u32 v1, v28, 21, 1
	s_delay_alu instid0(VALU_DEP_1) | instskip(NEXT) | instid1(VALU_DEP_1)
	v_add3_u32 v1, v28, v1, 0x80fffff
	v_lshrrev_b32_e32 v1, 21, v1
; %bb.6494:
	s_and_not1_saveexec_b32 s88, s88
; %bb.6495:
	v_add_f32_e64 v1, 0x43000000, |v28|
; %bb.6496:
	s_or_b32 exec_lo, exec_lo, s88
                                        ; implicit-def: $vgpr4
.LBB51_6497:
	s_and_not1_saveexec_b32 s79, s79
; %bb.6498:
	v_mov_b32_e32 v1, 0x7f
	v_cmp_lt_u32_e32 vcc_lo, 0x7f800000, v4
	s_delay_alu instid0(VALU_DEP_2)
	v_cndmask_b32_e32 v1, 0x7c, v1, vcc_lo
; %bb.6499:
	s_or_b32 exec_lo, exec_lo, s79
	v_lshrrev_b32_e32 v4, 24, v28
	s_delay_alu instid0(VALU_DEP_1)
	v_and_or_b32 v1, 0x80, v4, v1
	flat_store_b8 v[2:3], v1
.LBB51_6500:
	s_wait_xcnt 0x0
	s_or_b32 exec_lo, exec_lo, s78
	s_delay_alu instid0(SALU_CYCLE_1)
	s_or_b32 s78, s0, exec_lo
                                        ; implicit-def: $vgpr1
                                        ; implicit-def: $vgpr28
                                        ; implicit-def: $vgpr2_vgpr3
.LBB51_6501:
	s_or_saveexec_b32 s77, s77
	s_mov_b32 s79, s75
	s_xor_b32 exec_lo, exec_lo, s77
	s_cbranch_execz .LBB51_6511
; %bb.6502:
	s_mov_b32 s79, s78
	s_mov_b32 s88, s75
	s_mov_b32 s89, exec_lo
	v_cmpx_lt_i16_e32 14, v1
	s_xor_b32 s89, exec_lo, s89
	s_cbranch_execz .LBB51_6506
; %bb.6503:
	s_mov_b32 s90, -1
	s_mov_b32 s79, s78
	s_mov_b32 s88, exec_lo
	v_cmpx_eq_u16_e32 15, v1
	s_cbranch_execz .LBB51_6505
; %bb.6504:
	v_bfe_u32 v1, v28, 16, 1
	v_cmp_o_f32_e32 vcc_lo, v28, v28
	s_xor_b32 s90, exec_lo, -1
	s_or_b32 s79, s78, exec_lo
	s_delay_alu instid0(VALU_DEP_2) | instskip(NEXT) | instid1(VALU_DEP_1)
	v_add3_u32 v1, v28, v1, 0x7fff
	v_lshrrev_b32_e32 v1, 16, v1
	s_delay_alu instid0(VALU_DEP_1)
	v_cndmask_b32_e32 v1, 0x7fc0, v1, vcc_lo
	flat_store_b16 v[2:3], v1
.LBB51_6505:
	s_wait_xcnt 0x0
	s_or_b32 exec_lo, exec_lo, s88
	s_delay_alu instid0(SALU_CYCLE_1)
	s_and_not1_b32 s88, s75, exec_lo
	s_and_b32 s90, s90, exec_lo
	s_and_not1_b32 s91, s78, exec_lo
	s_and_b32 s79, s79, exec_lo
	s_or_b32 s88, s88, s90
	s_or_b32 s79, s91, s79
                                        ; implicit-def: $vgpr1
                                        ; implicit-def: $vgpr28
                                        ; implicit-def: $vgpr2_vgpr3
.LBB51_6506:
	s_and_not1_saveexec_b32 s89, s89
	s_cbranch_execz .LBB51_6510
; %bb.6507:
	s_mov_b32 s91, -1
	s_mov_b32 s90, s79
	s_mov_b32 s92, exec_lo
	v_cmpx_eq_u16_e32 11, v1
	s_cbranch_execz .LBB51_6509
; %bb.6508:
	v_cmp_neq_f32_e32 vcc_lo, 0, v28
	s_xor_b32 s91, exec_lo, -1
	s_or_b32 s90, s79, exec_lo
	v_cndmask_b32_e64 v1, 0, 1, vcc_lo
	flat_store_b8 v[2:3], v1
.LBB51_6509:
	s_wait_xcnt 0x0
	s_or_b32 exec_lo, exec_lo, s92
	s_delay_alu instid0(SALU_CYCLE_1)
	s_and_not1_b32 s88, s88, exec_lo
	s_and_b32 s91, s91, exec_lo
	s_and_not1_b32 s79, s79, exec_lo
	s_and_b32 s90, s90, exec_lo
	s_or_b32 s88, s88, s91
	s_or_b32 s79, s79, s90
.LBB51_6510:
	s_or_b32 exec_lo, exec_lo, s89
	s_delay_alu instid0(SALU_CYCLE_1)
	s_and_not1_b32 s89, s75, exec_lo
	s_and_b32 s88, s88, exec_lo
	s_and_not1_b32 s78, s78, exec_lo
	s_and_b32 s90, s79, exec_lo
	s_or_b32 s79, s89, s88
	s_or_b32 s78, s78, s90
.LBB51_6511:
	s_or_b32 exec_lo, exec_lo, s77
	s_delay_alu instid0(SALU_CYCLE_1)
	s_and_not1_b32 s75, s75, exec_lo
	s_and_b32 s77, s79, exec_lo
	s_and_not1_b32 s0, s0, exec_lo
	s_and_b32 s78, s78, exec_lo
	s_or_b32 s75, s75, s77
	s_or_b32 s0, s0, s78
.LBB51_6512:
	s_or_b32 exec_lo, exec_lo, s76
	s_delay_alu instid0(SALU_CYCLE_1)
	s_and_not1_b32 s76, s62, exec_lo
	s_and_b32 s75, s75, exec_lo
	s_and_b32 s0, s0, exec_lo
	s_or_b32 s75, s76, s75
                                        ; implicit-def: $vgpr1
                                        ; implicit-def: $vgpr28
                                        ; implicit-def: $vgpr2_vgpr3
.LBB51_6513:
	s_and_not1_saveexec_b32 s72, s72
	s_cbranch_execz .LBB51_6555
; %bb.6514:
	s_mov_b32 s76, exec_lo
	v_cmpx_lt_i16_e32 4, v1
	s_xor_b32 s76, exec_lo, s76
	s_cbranch_execz .LBB51_6536
; %bb.6515:
	s_mov_b32 s77, exec_lo
	v_cmpx_lt_i16_e32 7, v1
	s_xor_b32 s77, exec_lo, s77
	;; [unrolled: 5-line block ×4, first 2 shown]
	s_cbranch_execz .LBB51_6519
; %bb.6518:
	v_cvt_f64_f32_e32 v[4:5], v28
	v_mov_b32_e32 v6, 0
                                        ; implicit-def: $vgpr28
	s_delay_alu instid0(VALU_DEP_1)
	v_mov_b32_e32 v7, v6
	flat_store_b128 v[2:3], v[4:7]
                                        ; implicit-def: $vgpr2_vgpr3
.LBB51_6519:
	s_wait_xcnt 0x0
	s_and_not1_saveexec_b32 s79, s79
	s_cbranch_execz .LBB51_6521
; %bb.6520:
	v_mov_b32_e32 v29, 0
	flat_store_b64 v[2:3], v[28:29]
.LBB51_6521:
	s_wait_xcnt 0x0
	s_or_b32 exec_lo, exec_lo, s79
                                        ; implicit-def: $vgpr28
                                        ; implicit-def: $vgpr2_vgpr3
.LBB51_6522:
	s_and_not1_saveexec_b32 s78, s78
	s_cbranch_execz .LBB51_6524
; %bb.6523:
	v_cvt_f16_f32_e32 v1, v28
	s_delay_alu instid0(VALU_DEP_1)
	v_and_b32_e32 v1, 0xffff, v1
	flat_store_b32 v[2:3], v1
.LBB51_6524:
	s_wait_xcnt 0x0
	s_or_b32 exec_lo, exec_lo, s78
                                        ; implicit-def: $vgpr28
                                        ; implicit-def: $vgpr2_vgpr3
                                        ; implicit-def: $vgpr1
.LBB51_6525:
	s_and_not1_saveexec_b32 s77, s77
	s_cbranch_execz .LBB51_6535
; %bb.6526:
	s_mov_b32 s78, exec_lo
	v_cmpx_lt_i16_e32 5, v1
	s_xor_b32 s78, exec_lo, s78
	s_cbranch_execz .LBB51_6532
; %bb.6527:
	s_mov_b32 s79, exec_lo
	v_cmpx_lt_i16_e32 6, v1
	s_xor_b32 s79, exec_lo, s79
	s_cbranch_execz .LBB51_6529
; %bb.6528:
	v_cvt_f64_f32_e32 v[4:5], v28
                                        ; implicit-def: $vgpr28
	flat_store_b64 v[2:3], v[4:5]
                                        ; implicit-def: $vgpr2_vgpr3
.LBB51_6529:
	s_wait_xcnt 0x0
	s_and_not1_saveexec_b32 s79, s79
	s_cbranch_execz .LBB51_6531
; %bb.6530:
	flat_store_b32 v[2:3], v28
.LBB51_6531:
	s_wait_xcnt 0x0
	s_or_b32 exec_lo, exec_lo, s79
                                        ; implicit-def: $vgpr28
                                        ; implicit-def: $vgpr2_vgpr3
.LBB51_6532:
	s_and_not1_saveexec_b32 s78, s78
	s_cbranch_execz .LBB51_6534
; %bb.6533:
	v_cvt_f16_f32_e32 v1, v28
	flat_store_b16 v[2:3], v1
.LBB51_6534:
	s_wait_xcnt 0x0
	s_or_b32 exec_lo, exec_lo, s78
.LBB51_6535:
	s_delay_alu instid0(SALU_CYCLE_1)
	s_or_b32 exec_lo, exec_lo, s77
                                        ; implicit-def: $vgpr1
                                        ; implicit-def: $vgpr28
                                        ; implicit-def: $vgpr2_vgpr3
.LBB51_6536:
	s_and_not1_saveexec_b32 s76, s76
	s_cbranch_execz .LBB51_6554
; %bb.6537:
	s_mov_b32 s77, exec_lo
	v_cmpx_lt_i16_e32 1, v1
	s_xor_b32 s77, exec_lo, s77
	s_cbranch_execz .LBB51_6547
; %bb.6538:
	s_mov_b32 s78, exec_lo
	v_cmpx_lt_i16_e32 2, v1
	s_xor_b32 s78, exec_lo, s78
	;; [unrolled: 5-line block ×3, first 2 shown]
	s_cbranch_execz .LBB51_6541
; %bb.6540:
	v_trunc_f32_e32 v1, v28
                                        ; implicit-def: $vgpr28
	s_delay_alu instid0(VALU_DEP_1) | instskip(NEXT) | instid1(VALU_DEP_1)
	v_mul_f32_e64 v4, 0x2f800000, |v1|
	v_floor_f32_e32 v5, v4
	v_ashrrev_i32_e32 v4, 31, v1
	s_delay_alu instid0(VALU_DEP_2) | instskip(SKIP_1) | instid1(VALU_DEP_3)
	v_fma_f32 v6, 0xcf800000, v5, |v1|
	v_cvt_u32_f32_e32 v1, v5
	v_mov_b32_e32 v5, v4
	s_delay_alu instid0(VALU_DEP_3) | instskip(NEXT) | instid1(VALU_DEP_3)
	v_cvt_u32_f32_e32 v6, v6
	v_xor_b32_e32 v7, v1, v4
	s_delay_alu instid0(VALU_DEP_2) | instskip(NEXT) | instid1(VALU_DEP_1)
	v_xor_b32_e32 v6, v6, v4
	v_sub_nc_u64_e32 v[4:5], v[6:7], v[4:5]
	flat_store_b64 v[2:3], v[4:5]
                                        ; implicit-def: $vgpr2_vgpr3
.LBB51_6541:
	s_wait_xcnt 0x0
	s_and_not1_saveexec_b32 s79, s79
	s_cbranch_execz .LBB51_6543
; %bb.6542:
	v_cvt_i32_f32_e32 v1, v28
	flat_store_b32 v[2:3], v1
.LBB51_6543:
	s_wait_xcnt 0x0
	s_or_b32 exec_lo, exec_lo, s79
                                        ; implicit-def: $vgpr28
                                        ; implicit-def: $vgpr2_vgpr3
.LBB51_6544:
	s_and_not1_saveexec_b32 s78, s78
	s_cbranch_execz .LBB51_6546
; %bb.6545:
	v_cvt_i32_f32_e32 v1, v28
	flat_store_b16 v[2:3], v1
.LBB51_6546:
	s_wait_xcnt 0x0
	s_or_b32 exec_lo, exec_lo, s78
                                        ; implicit-def: $vgpr28
                                        ; implicit-def: $vgpr2_vgpr3
                                        ; implicit-def: $vgpr1
.LBB51_6547:
	s_and_not1_saveexec_b32 s77, s77
	s_cbranch_execz .LBB51_6553
; %bb.6548:
	s_mov_b32 s78, exec_lo
	v_cmpx_lt_i16_e32 0, v1
	s_xor_b32 s78, exec_lo, s78
	s_cbranch_execz .LBB51_6550
; %bb.6549:
	v_cvt_i32_f32_e32 v1, v28
                                        ; implicit-def: $vgpr28
	flat_store_b8 v[2:3], v1
                                        ; implicit-def: $vgpr2_vgpr3
.LBB51_6550:
	s_wait_xcnt 0x0
	s_and_not1_saveexec_b32 s78, s78
	s_cbranch_execz .LBB51_6552
; %bb.6551:
	v_trunc_f32_e32 v1, v28
	s_delay_alu instid0(VALU_DEP_1) | instskip(NEXT) | instid1(VALU_DEP_1)
	v_mul_f32_e64 v4, 0x2f800000, |v1|
	v_floor_f32_e32 v4, v4
	s_delay_alu instid0(VALU_DEP_1) | instskip(SKIP_1) | instid1(VALU_DEP_2)
	v_fma_f32 v4, 0xcf800000, v4, |v1|
	v_ashrrev_i32_e32 v1, 31, v1
	v_cvt_u32_f32_e32 v4, v4
	s_delay_alu instid0(VALU_DEP_1) | instskip(NEXT) | instid1(VALU_DEP_1)
	v_xor_b32_e32 v4, v4, v1
	v_sub_nc_u32_e32 v1, v4, v1
	flat_store_b8 v[2:3], v1
.LBB51_6552:
	s_wait_xcnt 0x0
	s_or_b32 exec_lo, exec_lo, s78
.LBB51_6553:
	s_delay_alu instid0(SALU_CYCLE_1)
	s_or_b32 exec_lo, exec_lo, s77
.LBB51_6554:
	s_delay_alu instid0(SALU_CYCLE_1) | instskip(NEXT) | instid1(SALU_CYCLE_1)
	s_or_b32 exec_lo, exec_lo, s76
	s_or_b32 s0, s0, exec_lo
.LBB51_6555:
	s_or_b32 exec_lo, exec_lo, s72
	s_mov_b32 s76, 0
	s_mov_b32 s72, 0
	s_and_saveexec_b32 s77, s0
; %bb.6556:
	v_add_nc_u32_e32 v103, 0x200, v103
	s_mov_b32 s76, exec_lo
	s_delay_alu instid0(VALU_DEP_1)
	v_cmp_lt_i32_e32 vcc_lo, v103, v8
	s_and_b32 s72, vcc_lo, exec_lo
; %bb.6557:
	s_or_b32 exec_lo, exec_lo, s77
	s_delay_alu instid0(SALU_CYCLE_1)
	s_and_not1_b32 s77, s62, exec_lo
	s_and_b32 s75, s75, exec_lo
	s_and_b32 s0, s72, exec_lo
	s_or_b32 s72, s77, s75
	s_or_not1_b32 s76, s76, exec_lo
.LBB51_6558:
	s_or_b32 exec_lo, exec_lo, s73
	s_mov_b32 s75, 0
	s_mov_b32 s77, 0
                                        ; implicit-def: $vgpr4
                                        ; implicit-def: $vgpr2_vgpr3
	s_and_saveexec_b32 s73, s76
	s_cbranch_execz .LBB51_7810
; %bb.6559:
	s_mov_b32 s78, -1
	s_mov_b32 s76, 0
	s_mov_b32 s74, s72
	;; [unrolled: 1-line block ×3, first 2 shown]
	s_and_saveexec_b32 s75, s0
	s_cbranch_execz .LBB51_6687
; %bb.6560:
	v_dual_add_nc_u32 v1, s3, v103 :: v_dual_mov_b32 v3, 0
	s_mov_b32 s0, 0
	s_mov_b32 s77, s72
	s_mov_b32 s74, exec_lo
	s_delay_alu instid0(VALU_DEP_1) | instskip(SKIP_1) | instid1(VALU_DEP_2)
	v_mul_lo_u32 v2, v1, v14
	v_and_b32_e32 v1, 0xff, v13
	v_add_nc_u64_e32 v[2:3], v[114:115], v[2:3]
	s_delay_alu instid0(VALU_DEP_2)
	v_cmpx_lt_i16_e32 10, v1
	s_xor_b32 s74, exec_lo, s74
	s_cbranch_execz .LBB51_6642
; %bb.6561:
	s_mov_b32 s77, s72
	s_mov_b32 s78, exec_lo
	v_cmpx_lt_i16_e32 25, v1
	s_xor_b32 s78, exec_lo, s78
	s_cbranch_execz .LBB51_6597
; %bb.6562:
	s_mov_b32 s79, s72
	s_mov_b32 s77, exec_lo
	v_cmpx_lt_i16_e32 28, v1
	s_xor_b32 s77, exec_lo, s77
	s_cbranch_execz .LBB51_6580
; %bb.6563:
	s_mov_b32 s89, s72
	s_mov_b32 s79, exec_lo
	v_cmpx_lt_i16_e32 43, v1
	s_xor_b32 s79, exec_lo, s79
	s_cbranch_execz .LBB51_6575
; %bb.6564:
	s_mov_b32 s88, 0
	s_mov_b32 s89, s72
	s_mov_b32 s0, exec_lo
	v_cmpx_lt_i16_e32 45, v1
	s_xor_b32 s0, exec_lo, s0
	s_cbranch_execz .LBB51_6568
; %bb.6565:
	s_mov_b32 s90, -1
	s_mov_b32 s89, exec_lo
	v_cmpx_eq_u16_e32 46, v1
	s_cbranch_execz .LBB51_6567
; %bb.6566:
	v_bfe_u32 v1, v26, 16, 1
	v_cmp_o_f32_e32 vcc_lo, v26, v26
	s_mov_b32 s88, exec_lo
	s_xor_b32 s90, exec_lo, -1
	s_delay_alu instid0(VALU_DEP_2) | instskip(NEXT) | instid1(VALU_DEP_1)
	v_add3_u32 v1, v26, v1, 0x7fff
	v_lshrrev_b32_e32 v1, 16, v1
	s_delay_alu instid0(VALU_DEP_1)
	v_cndmask_b32_e32 v1, 0x7fc0, v1, vcc_lo
	flat_store_b32 v[2:3], v1
.LBB51_6567:
	s_wait_xcnt 0x0
	s_or_b32 exec_lo, exec_lo, s89
	s_delay_alu instid0(SALU_CYCLE_1)
	s_and_not1_b32 s89, s72, exec_lo
	s_and_b32 s90, s90, exec_lo
	s_and_b32 s88, s88, exec_lo
	s_or_b32 s89, s89, s90
                                        ; implicit-def: $vgpr1
                                        ; implicit-def: $vgpr2_vgpr3
                                        ; implicit-def: $vgpr26
.LBB51_6568:
	s_and_not1_saveexec_b32 s90, s0
	s_cbranch_execz .LBB51_6574
; %bb.6569:
	s_mov_b32 s92, -1
	s_mov_b32 s0, s88
	s_mov_b32 s91, exec_lo
	v_cmpx_eq_u16_e32 44, v1
	s_cbranch_execz .LBB51_6573
; %bb.6570:
	v_bfe_u32 v4, v26, 23, 8
	v_mov_b32_e32 v1, 0xff
	s_mov_b32 s92, exec_lo
	s_delay_alu instid0(VALU_DEP_2)
	v_cmpx_ne_u32_e32 0xff, v4
	s_cbranch_execz .LBB51_6572
; %bb.6571:
	v_and_b32_e32 v1, 0x400000, v26
	v_and_or_b32 v4, 0x3fffff, v26, v4
	s_delay_alu instid0(VALU_DEP_2) | instskip(NEXT) | instid1(VALU_DEP_2)
	v_cmp_ne_u32_e32 vcc_lo, 0, v1
	v_cmp_ne_u32_e64 s0, 0, v4
	v_lshrrev_b32_e32 v1, 23, v26
	s_and_b32 s0, vcc_lo, s0
	s_delay_alu instid0(SALU_CYCLE_1) | instskip(NEXT) | instid1(VALU_DEP_1)
	v_cndmask_b32_e64 v4, 0, 1, s0
	v_add_nc_u32_e32 v1, v1, v4
.LBB51_6572:
	s_or_b32 exec_lo, exec_lo, s92
	s_delay_alu instid0(SALU_CYCLE_1)
	s_xor_b32 s92, exec_lo, -1
	s_or_b32 s0, s88, exec_lo
	flat_store_b8 v[2:3], v1
.LBB51_6573:
	s_wait_xcnt 0x0
	s_or_b32 exec_lo, exec_lo, s91
	s_delay_alu instid0(SALU_CYCLE_1)
	s_and_not1_b32 s89, s89, exec_lo
	s_and_b32 s91, s92, exec_lo
	s_and_not1_b32 s88, s88, exec_lo
	s_and_b32 s0, s0, exec_lo
	s_or_b32 s89, s89, s91
	s_or_b32 s88, s88, s0
.LBB51_6574:
	s_or_b32 exec_lo, exec_lo, s90
	s_delay_alu instid0(SALU_CYCLE_1) | instskip(SKIP_1) | instid1(SALU_CYCLE_1)
	s_and_not1_b32 s0, s72, exec_lo
	s_and_b32 s89, s89, exec_lo
                                        ; implicit-def: $vgpr1
                                        ; implicit-def: $vgpr26
                                        ; implicit-def: $vgpr2_vgpr3
	s_or_b32 s89, s0, s89
	s_and_b32 s0, s88, exec_lo
.LBB51_6575:
	s_and_not1_saveexec_b32 s79, s79
	s_cbranch_execz .LBB51_6579
; %bb.6576:
	s_mov_b32 s91, -1
	s_mov_b32 s90, s0
	s_mov_b32 s88, exec_lo
	v_cmpx_eq_u16_e32 29, v1
	s_cbranch_execz .LBB51_6578
; %bb.6577:
	v_trunc_f32_e32 v1, v26
	s_xor_b32 s91, exec_lo, -1
	s_or_b32 s90, s0, exec_lo
	s_delay_alu instid0(VALU_DEP_1) | instskip(NEXT) | instid1(VALU_DEP_1)
	v_mul_f32_e32 v4, 0x2f800000, v1
	v_floor_f32_e32 v4, v4
	s_delay_alu instid0(VALU_DEP_1) | instskip(SKIP_1) | instid1(VALU_DEP_2)
	v_fmamk_f32 v1, v4, 0xcf800000, v1
	v_cvt_u32_f32_e32 v5, v4
	v_cvt_u32_f32_e32 v4, v1
	flat_store_b64 v[2:3], v[4:5]
.LBB51_6578:
	s_wait_xcnt 0x0
	s_or_b32 exec_lo, exec_lo, s88
	s_delay_alu instid0(SALU_CYCLE_1)
	s_and_not1_b32 s88, s89, exec_lo
	s_and_b32 s89, s91, exec_lo
	s_and_not1_b32 s0, s0, exec_lo
	s_and_b32 s90, s90, exec_lo
	s_or_b32 s89, s88, s89
	s_or_b32 s0, s0, s90
.LBB51_6579:
	s_or_b32 exec_lo, exec_lo, s79
	s_delay_alu instid0(SALU_CYCLE_1)
	s_and_not1_b32 s79, s72, exec_lo
	s_and_b32 s88, s89, exec_lo
	s_and_b32 s0, s0, exec_lo
	s_or_b32 s79, s79, s88
                                        ; implicit-def: $vgpr2_vgpr3
                                        ; implicit-def: $vgpr1
                                        ; implicit-def: $vgpr26
.LBB51_6580:
	s_and_not1_saveexec_b32 s77, s77
	s_cbranch_execz .LBB51_6596
; %bb.6581:
	s_mov_b32 s88, exec_lo
	v_cmpx_lt_i16_e32 26, v1
	s_xor_b32 s88, exec_lo, s88
	s_cbranch_execz .LBB51_6587
; %bb.6582:
	v_cmp_lt_i16_e32 vcc_lo, 27, v1
	v_cvt_u32_f32_e32 v1, v26
	s_and_saveexec_b32 s89, vcc_lo
	s_delay_alu instid0(SALU_CYCLE_1)
	s_xor_b32 s89, exec_lo, s89
	s_cbranch_execz .LBB51_6584
; %bb.6583:
	flat_store_b32 v[2:3], v1
                                        ; implicit-def: $vgpr2_vgpr3
                                        ; implicit-def: $vgpr1
.LBB51_6584:
	s_wait_xcnt 0x0
	s_and_not1_saveexec_b32 s89, s89
	s_cbranch_execz .LBB51_6586
; %bb.6585:
	flat_store_b16 v[2:3], v1
.LBB51_6586:
	s_wait_xcnt 0x0
	s_or_b32 exec_lo, exec_lo, s89
                                        ; implicit-def: $vgpr2_vgpr3
                                        ; implicit-def: $vgpr26
.LBB51_6587:
	s_and_not1_saveexec_b32 s88, s88
	s_cbranch_execz .LBB51_6595
; %bb.6588:
	v_and_b32_e32 v1, 0x7fffffff, v26
	v_mov_b32_e32 v4, 0x80
	s_mov_b32 s89, exec_lo
	s_delay_alu instid0(VALU_DEP_2)
	v_cmpx_gt_u32_e32 0x43800000, v1
	s_cbranch_execz .LBB51_6594
; %bb.6589:
	v_cmp_lt_u32_e32 vcc_lo, 0x3bffffff, v1
	s_mov_b32 s90, 0
                                        ; implicit-def: $vgpr1
	s_and_saveexec_b32 s91, vcc_lo
	s_delay_alu instid0(SALU_CYCLE_1)
	s_xor_b32 s91, exec_lo, s91
	s_cbranch_execnz .LBB51_7967
; %bb.6590:
	s_and_not1_saveexec_b32 s91, s91
	s_cbranch_execnz .LBB51_7968
.LBB51_6591:
	s_or_b32 exec_lo, exec_lo, s91
	v_mov_b32_e32 v4, 0
	s_and_saveexec_b32 s91, s90
.LBB51_6592:
	v_lshrrev_b32_e32 v4, 24, v26
	s_delay_alu instid0(VALU_DEP_1)
	v_and_or_b32 v4, 0x80, v4, v1
.LBB51_6593:
	s_or_b32 exec_lo, exec_lo, s91
.LBB51_6594:
	s_delay_alu instid0(SALU_CYCLE_1)
	s_or_b32 exec_lo, exec_lo, s89
	flat_store_b8 v[2:3], v4
.LBB51_6595:
	s_wait_xcnt 0x0
	s_or_b32 exec_lo, exec_lo, s88
	s_delay_alu instid0(SALU_CYCLE_1)
	s_or_b32 s0, s0, exec_lo
.LBB51_6596:
	s_or_b32 exec_lo, exec_lo, s77
	s_delay_alu instid0(SALU_CYCLE_1)
	s_and_not1_b32 s77, s72, exec_lo
	s_and_b32 s79, s79, exec_lo
	s_and_b32 s0, s0, exec_lo
	s_or_b32 s77, s77, s79
                                        ; implicit-def: $vgpr1
                                        ; implicit-def: $vgpr26
                                        ; implicit-def: $vgpr2_vgpr3
.LBB51_6597:
	s_and_not1_saveexec_b32 s78, s78
	s_cbranch_execz .LBB51_6641
; %bb.6598:
	s_mov_b32 s88, s0
	s_mov_b32 s79, exec_lo
	v_cmpx_lt_i16_e32 22, v1
	s_xor_b32 s79, exec_lo, s79
	s_cbranch_execz .LBB51_6630
; %bb.6599:
	s_mov_b32 s88, exec_lo
	v_cmpx_lt_i16_e32 23, v1
	s_xor_b32 s88, exec_lo, s88
	s_cbranch_execz .LBB51_6619
; %bb.6600:
	;; [unrolled: 5-line block ×3, first 2 shown]
	v_and_b32_e32 v1, 0x7fffffff, v26
	v_mov_b32_e32 v4, 0x80
	s_mov_b32 s90, exec_lo
	s_delay_alu instid0(VALU_DEP_2)
	v_cmpx_gt_u32_e32 0x47800000, v1
	s_cbranch_execz .LBB51_6607
; %bb.6602:
	v_cmp_lt_u32_e32 vcc_lo, 0x37ffffff, v1
	s_mov_b32 s91, 0
                                        ; implicit-def: $vgpr1
	s_and_saveexec_b32 s92, vcc_lo
	s_delay_alu instid0(SALU_CYCLE_1)
	s_xor_b32 s92, exec_lo, s92
	s_cbranch_execnz .LBB51_7969
; %bb.6603:
	s_and_not1_saveexec_b32 s92, s92
	s_cbranch_execnz .LBB51_7970
.LBB51_6604:
	s_or_b32 exec_lo, exec_lo, s92
	v_mov_b32_e32 v4, 0
	s_and_saveexec_b32 s92, s91
.LBB51_6605:
	v_lshrrev_b32_e32 v4, 24, v26
	s_delay_alu instid0(VALU_DEP_1)
	v_and_or_b32 v4, 0x80, v4, v1
.LBB51_6606:
	s_or_b32 exec_lo, exec_lo, s92
.LBB51_6607:
	s_delay_alu instid0(SALU_CYCLE_1)
	s_or_b32 exec_lo, exec_lo, s90
	flat_store_b8 v[2:3], v4
                                        ; implicit-def: $vgpr26
                                        ; implicit-def: $vgpr2_vgpr3
.LBB51_6608:
	s_wait_xcnt 0x0
	s_and_not1_saveexec_b32 s89, s89
	s_cbranch_execz .LBB51_6618
; %bb.6609:
	v_and_b32_e32 v4, 0x7fffffff, v26
	s_mov_b32 s90, exec_lo
                                        ; implicit-def: $vgpr1
	s_delay_alu instid0(VALU_DEP_1)
	v_cmpx_gt_u32_e32 0x43f00000, v4
	s_xor_b32 s90, exec_lo, s90
	s_cbranch_execz .LBB51_6615
; %bb.6610:
	s_mov_b32 s91, exec_lo
                                        ; implicit-def: $vgpr1
	v_cmpx_lt_u32_e32 0x3c7fffff, v4
	s_xor_b32 s91, exec_lo, s91
; %bb.6611:
	v_bfe_u32 v1, v26, 20, 1
	s_delay_alu instid0(VALU_DEP_1) | instskip(NEXT) | instid1(VALU_DEP_1)
	v_add3_u32 v1, v26, v1, 0x407ffff
	v_and_b32_e32 v4, 0xff00000, v1
	v_lshrrev_b32_e32 v1, 20, v1
	s_delay_alu instid0(VALU_DEP_2) | instskip(NEXT) | instid1(VALU_DEP_2)
	v_cmp_ne_u32_e32 vcc_lo, 0x7f00000, v4
	v_cndmask_b32_e32 v1, 0x7e, v1, vcc_lo
; %bb.6612:
	s_and_not1_saveexec_b32 s91, s91
; %bb.6613:
	v_add_f32_e64 v1, 0x46800000, |v26|
; %bb.6614:
	s_or_b32 exec_lo, exec_lo, s91
                                        ; implicit-def: $vgpr4
.LBB51_6615:
	s_and_not1_saveexec_b32 s90, s90
; %bb.6616:
	v_mov_b32_e32 v1, 0x7f
	v_cmp_lt_u32_e32 vcc_lo, 0x7f800000, v4
	s_delay_alu instid0(VALU_DEP_2)
	v_cndmask_b32_e32 v1, 0x7e, v1, vcc_lo
; %bb.6617:
	s_or_b32 exec_lo, exec_lo, s90
	v_lshrrev_b32_e32 v4, 24, v26
	s_delay_alu instid0(VALU_DEP_1)
	v_and_or_b32 v1, 0x80, v4, v1
	flat_store_b8 v[2:3], v1
.LBB51_6618:
	s_wait_xcnt 0x0
	s_or_b32 exec_lo, exec_lo, s89
                                        ; implicit-def: $vgpr26
                                        ; implicit-def: $vgpr2_vgpr3
.LBB51_6619:
	s_and_not1_saveexec_b32 s88, s88
	s_cbranch_execz .LBB51_6629
; %bb.6620:
	v_and_b32_e32 v4, 0x7fffffff, v26
	s_mov_b32 s89, exec_lo
                                        ; implicit-def: $vgpr1
	s_delay_alu instid0(VALU_DEP_1)
	v_cmpx_gt_u32_e32 0x47800000, v4
	s_xor_b32 s89, exec_lo, s89
	s_cbranch_execz .LBB51_6626
; %bb.6621:
	s_mov_b32 s90, exec_lo
                                        ; implicit-def: $vgpr1
	v_cmpx_lt_u32_e32 0x387fffff, v4
	s_xor_b32 s90, exec_lo, s90
; %bb.6622:
	v_bfe_u32 v1, v26, 21, 1
	s_delay_alu instid0(VALU_DEP_1) | instskip(NEXT) | instid1(VALU_DEP_1)
	v_add3_u32 v1, v26, v1, 0x80fffff
	v_lshrrev_b32_e32 v1, 21, v1
; %bb.6623:
	s_and_not1_saveexec_b32 s90, s90
; %bb.6624:
	v_add_f32_e64 v1, 0x43000000, |v26|
; %bb.6625:
	s_or_b32 exec_lo, exec_lo, s90
                                        ; implicit-def: $vgpr4
.LBB51_6626:
	s_and_not1_saveexec_b32 s89, s89
; %bb.6627:
	v_mov_b32_e32 v1, 0x7f
	v_cmp_lt_u32_e32 vcc_lo, 0x7f800000, v4
	s_delay_alu instid0(VALU_DEP_2)
	v_cndmask_b32_e32 v1, 0x7c, v1, vcc_lo
; %bb.6628:
	s_or_b32 exec_lo, exec_lo, s89
	v_lshrrev_b32_e32 v4, 24, v26
	s_delay_alu instid0(VALU_DEP_1)
	v_and_or_b32 v1, 0x80, v4, v1
	flat_store_b8 v[2:3], v1
.LBB51_6629:
	s_wait_xcnt 0x0
	s_or_b32 exec_lo, exec_lo, s88
	s_delay_alu instid0(SALU_CYCLE_1)
	s_or_b32 s88, s0, exec_lo
                                        ; implicit-def: $vgpr1
                                        ; implicit-def: $vgpr26
                                        ; implicit-def: $vgpr2_vgpr3
.LBB51_6630:
	s_or_saveexec_b32 s79, s79
	s_mov_b32 s89, s77
	s_xor_b32 exec_lo, exec_lo, s79
	s_cbranch_execz .LBB51_6640
; %bb.6631:
	s_mov_b32 s89, s88
	s_mov_b32 s90, s77
	s_mov_b32 s91, exec_lo
	v_cmpx_lt_i16_e32 14, v1
	s_xor_b32 s91, exec_lo, s91
	s_cbranch_execz .LBB51_6635
; %bb.6632:
	s_mov_b32 s92, -1
	s_mov_b32 s89, s88
	s_mov_b32 s90, exec_lo
	v_cmpx_eq_u16_e32 15, v1
	s_cbranch_execz .LBB51_6634
; %bb.6633:
	v_bfe_u32 v1, v26, 16, 1
	v_cmp_o_f32_e32 vcc_lo, v26, v26
	s_xor_b32 s92, exec_lo, -1
	s_or_b32 s89, s88, exec_lo
	s_delay_alu instid0(VALU_DEP_2) | instskip(NEXT) | instid1(VALU_DEP_1)
	v_add3_u32 v1, v26, v1, 0x7fff
	v_lshrrev_b32_e32 v1, 16, v1
	s_delay_alu instid0(VALU_DEP_1)
	v_cndmask_b32_e32 v1, 0x7fc0, v1, vcc_lo
	flat_store_b16 v[2:3], v1
.LBB51_6634:
	s_wait_xcnt 0x0
	s_or_b32 exec_lo, exec_lo, s90
	s_delay_alu instid0(SALU_CYCLE_1)
	s_and_not1_b32 s90, s77, exec_lo
	s_and_b32 s92, s92, exec_lo
	s_and_not1_b32 s93, s88, exec_lo
	s_and_b32 s89, s89, exec_lo
	s_or_b32 s90, s90, s92
	s_or_b32 s89, s93, s89
                                        ; implicit-def: $vgpr1
                                        ; implicit-def: $vgpr26
                                        ; implicit-def: $vgpr2_vgpr3
.LBB51_6635:
	s_and_not1_saveexec_b32 s91, s91
	s_cbranch_execz .LBB51_6639
; %bb.6636:
	s_mov_b32 s93, -1
	s_mov_b32 s92, s89
	s_mov_b32 s94, exec_lo
	v_cmpx_eq_u16_e32 11, v1
	s_cbranch_execz .LBB51_6638
; %bb.6637:
	v_cmp_neq_f32_e32 vcc_lo, 0, v26
	s_xor_b32 s93, exec_lo, -1
	s_or_b32 s92, s89, exec_lo
	v_cndmask_b32_e64 v1, 0, 1, vcc_lo
	flat_store_b8 v[2:3], v1
.LBB51_6638:
	s_wait_xcnt 0x0
	s_or_b32 exec_lo, exec_lo, s94
	s_delay_alu instid0(SALU_CYCLE_1)
	s_and_not1_b32 s90, s90, exec_lo
	s_and_b32 s93, s93, exec_lo
	s_and_not1_b32 s89, s89, exec_lo
	s_and_b32 s92, s92, exec_lo
	s_or_b32 s90, s90, s93
	s_or_b32 s89, s89, s92
.LBB51_6639:
	s_or_b32 exec_lo, exec_lo, s91
	s_delay_alu instid0(SALU_CYCLE_1)
	s_and_not1_b32 s91, s77, exec_lo
	s_and_b32 s90, s90, exec_lo
	s_and_not1_b32 s88, s88, exec_lo
	s_and_b32 s92, s89, exec_lo
	s_or_b32 s89, s91, s90
	s_or_b32 s88, s88, s92
.LBB51_6640:
	s_or_b32 exec_lo, exec_lo, s79
	s_delay_alu instid0(SALU_CYCLE_1)
	s_and_not1_b32 s77, s77, exec_lo
	s_and_b32 s79, s89, exec_lo
	s_and_not1_b32 s0, s0, exec_lo
	s_and_b32 s88, s88, exec_lo
	s_or_b32 s77, s77, s79
	s_or_b32 s0, s0, s88
.LBB51_6641:
	s_or_b32 exec_lo, exec_lo, s78
	s_delay_alu instid0(SALU_CYCLE_1)
	s_and_not1_b32 s78, s72, exec_lo
	s_and_b32 s77, s77, exec_lo
	s_and_b32 s0, s0, exec_lo
	s_or_b32 s77, s78, s77
                                        ; implicit-def: $vgpr1
                                        ; implicit-def: $vgpr26
                                        ; implicit-def: $vgpr2_vgpr3
.LBB51_6642:
	s_and_not1_saveexec_b32 s74, s74
	s_cbranch_execz .LBB51_6684
; %bb.6643:
	s_mov_b32 s78, exec_lo
	v_cmpx_lt_i16_e32 4, v1
	s_xor_b32 s78, exec_lo, s78
	s_cbranch_execz .LBB51_6665
; %bb.6644:
	s_mov_b32 s79, exec_lo
	v_cmpx_lt_i16_e32 7, v1
	s_xor_b32 s79, exec_lo, s79
	;; [unrolled: 5-line block ×4, first 2 shown]
	s_cbranch_execz .LBB51_6648
; %bb.6647:
	v_cvt_f64_f32_e32 v[4:5], v26
	v_mov_b32_e32 v6, 0
                                        ; implicit-def: $vgpr26
	s_delay_alu instid0(VALU_DEP_1)
	v_mov_b32_e32 v7, v6
	flat_store_b128 v[2:3], v[4:7]
                                        ; implicit-def: $vgpr2_vgpr3
.LBB51_6648:
	s_wait_xcnt 0x0
	s_and_not1_saveexec_b32 s89, s89
	s_cbranch_execz .LBB51_6650
; %bb.6649:
	v_mov_b32_e32 v27, 0
	flat_store_b64 v[2:3], v[26:27]
.LBB51_6650:
	s_wait_xcnt 0x0
	s_or_b32 exec_lo, exec_lo, s89
                                        ; implicit-def: $vgpr26
                                        ; implicit-def: $vgpr2_vgpr3
.LBB51_6651:
	s_and_not1_saveexec_b32 s88, s88
	s_cbranch_execz .LBB51_6653
; %bb.6652:
	v_cvt_f16_f32_e32 v1, v26
	s_delay_alu instid0(VALU_DEP_1)
	v_and_b32_e32 v1, 0xffff, v1
	flat_store_b32 v[2:3], v1
.LBB51_6653:
	s_wait_xcnt 0x0
	s_or_b32 exec_lo, exec_lo, s88
                                        ; implicit-def: $vgpr26
                                        ; implicit-def: $vgpr2_vgpr3
                                        ; implicit-def: $vgpr1
.LBB51_6654:
	s_and_not1_saveexec_b32 s79, s79
	s_cbranch_execz .LBB51_6664
; %bb.6655:
	s_mov_b32 s88, exec_lo
	v_cmpx_lt_i16_e32 5, v1
	s_xor_b32 s88, exec_lo, s88
	s_cbranch_execz .LBB51_6661
; %bb.6656:
	s_mov_b32 s89, exec_lo
	v_cmpx_lt_i16_e32 6, v1
	s_xor_b32 s89, exec_lo, s89
	s_cbranch_execz .LBB51_6658
; %bb.6657:
	v_cvt_f64_f32_e32 v[4:5], v26
                                        ; implicit-def: $vgpr26
	flat_store_b64 v[2:3], v[4:5]
                                        ; implicit-def: $vgpr2_vgpr3
.LBB51_6658:
	s_wait_xcnt 0x0
	s_and_not1_saveexec_b32 s89, s89
	s_cbranch_execz .LBB51_6660
; %bb.6659:
	flat_store_b32 v[2:3], v26
.LBB51_6660:
	s_wait_xcnt 0x0
	s_or_b32 exec_lo, exec_lo, s89
                                        ; implicit-def: $vgpr26
                                        ; implicit-def: $vgpr2_vgpr3
.LBB51_6661:
	s_and_not1_saveexec_b32 s88, s88
	s_cbranch_execz .LBB51_6663
; %bb.6662:
	v_cvt_f16_f32_e32 v1, v26
	flat_store_b16 v[2:3], v1
.LBB51_6663:
	s_wait_xcnt 0x0
	s_or_b32 exec_lo, exec_lo, s88
.LBB51_6664:
	s_delay_alu instid0(SALU_CYCLE_1)
	s_or_b32 exec_lo, exec_lo, s79
                                        ; implicit-def: $vgpr1
                                        ; implicit-def: $vgpr26
                                        ; implicit-def: $vgpr2_vgpr3
.LBB51_6665:
	s_and_not1_saveexec_b32 s78, s78
	s_cbranch_execz .LBB51_6683
; %bb.6666:
	s_mov_b32 s79, exec_lo
	v_cmpx_lt_i16_e32 1, v1
	s_xor_b32 s79, exec_lo, s79
	s_cbranch_execz .LBB51_6676
; %bb.6667:
	s_mov_b32 s88, exec_lo
	v_cmpx_lt_i16_e32 2, v1
	s_xor_b32 s88, exec_lo, s88
	;; [unrolled: 5-line block ×3, first 2 shown]
	s_cbranch_execz .LBB51_6670
; %bb.6669:
	v_trunc_f32_e32 v1, v26
                                        ; implicit-def: $vgpr26
	s_delay_alu instid0(VALU_DEP_1) | instskip(NEXT) | instid1(VALU_DEP_1)
	v_mul_f32_e64 v4, 0x2f800000, |v1|
	v_floor_f32_e32 v5, v4
	v_ashrrev_i32_e32 v4, 31, v1
	s_delay_alu instid0(VALU_DEP_2) | instskip(SKIP_1) | instid1(VALU_DEP_3)
	v_fma_f32 v6, 0xcf800000, v5, |v1|
	v_cvt_u32_f32_e32 v1, v5
	v_mov_b32_e32 v5, v4
	s_delay_alu instid0(VALU_DEP_3) | instskip(NEXT) | instid1(VALU_DEP_3)
	v_cvt_u32_f32_e32 v6, v6
	v_xor_b32_e32 v7, v1, v4
	s_delay_alu instid0(VALU_DEP_2) | instskip(NEXT) | instid1(VALU_DEP_1)
	v_xor_b32_e32 v6, v6, v4
	v_sub_nc_u64_e32 v[4:5], v[6:7], v[4:5]
	flat_store_b64 v[2:3], v[4:5]
                                        ; implicit-def: $vgpr2_vgpr3
.LBB51_6670:
	s_wait_xcnt 0x0
	s_and_not1_saveexec_b32 s89, s89
	s_cbranch_execz .LBB51_6672
; %bb.6671:
	v_cvt_i32_f32_e32 v1, v26
	flat_store_b32 v[2:3], v1
.LBB51_6672:
	s_wait_xcnt 0x0
	s_or_b32 exec_lo, exec_lo, s89
                                        ; implicit-def: $vgpr26
                                        ; implicit-def: $vgpr2_vgpr3
.LBB51_6673:
	s_and_not1_saveexec_b32 s88, s88
	s_cbranch_execz .LBB51_6675
; %bb.6674:
	v_cvt_i32_f32_e32 v1, v26
	flat_store_b16 v[2:3], v1
.LBB51_6675:
	s_wait_xcnt 0x0
	s_or_b32 exec_lo, exec_lo, s88
                                        ; implicit-def: $vgpr26
                                        ; implicit-def: $vgpr2_vgpr3
                                        ; implicit-def: $vgpr1
.LBB51_6676:
	s_and_not1_saveexec_b32 s79, s79
	s_cbranch_execz .LBB51_6682
; %bb.6677:
	s_mov_b32 s88, exec_lo
	v_cmpx_lt_i16_e32 0, v1
	s_xor_b32 s88, exec_lo, s88
	s_cbranch_execz .LBB51_6679
; %bb.6678:
	v_cvt_i32_f32_e32 v1, v26
                                        ; implicit-def: $vgpr26
	flat_store_b8 v[2:3], v1
                                        ; implicit-def: $vgpr2_vgpr3
.LBB51_6679:
	s_wait_xcnt 0x0
	s_and_not1_saveexec_b32 s88, s88
	s_cbranch_execz .LBB51_6681
; %bb.6680:
	v_trunc_f32_e32 v1, v26
	s_delay_alu instid0(VALU_DEP_1) | instskip(NEXT) | instid1(VALU_DEP_1)
	v_mul_f32_e64 v4, 0x2f800000, |v1|
	v_floor_f32_e32 v4, v4
	s_delay_alu instid0(VALU_DEP_1) | instskip(SKIP_1) | instid1(VALU_DEP_2)
	v_fma_f32 v4, 0xcf800000, v4, |v1|
	v_ashrrev_i32_e32 v1, 31, v1
	v_cvt_u32_f32_e32 v4, v4
	s_delay_alu instid0(VALU_DEP_1) | instskip(NEXT) | instid1(VALU_DEP_1)
	v_xor_b32_e32 v4, v4, v1
	v_sub_nc_u32_e32 v1, v4, v1
	flat_store_b8 v[2:3], v1
.LBB51_6681:
	s_wait_xcnt 0x0
	s_or_b32 exec_lo, exec_lo, s88
.LBB51_6682:
	s_delay_alu instid0(SALU_CYCLE_1)
	s_or_b32 exec_lo, exec_lo, s79
.LBB51_6683:
	s_delay_alu instid0(SALU_CYCLE_1) | instskip(NEXT) | instid1(SALU_CYCLE_1)
	s_or_b32 exec_lo, exec_lo, s78
	s_or_b32 s0, s0, exec_lo
.LBB51_6684:
	s_or_b32 exec_lo, exec_lo, s74
	s_mov_b32 s78, 0
	s_mov_b32 s74, 0
	s_and_saveexec_b32 s79, s0
; %bb.6685:
	v_add_nc_u32_e32 v103, 0x200, v103
	s_mov_b32 s78, exec_lo
	s_delay_alu instid0(VALU_DEP_1)
	v_cmp_lt_i32_e32 vcc_lo, v103, v8
	s_and_b32 s74, vcc_lo, exec_lo
; %bb.6686:
	s_or_b32 exec_lo, exec_lo, s79
	s_delay_alu instid0(SALU_CYCLE_1)
	s_and_not1_b32 s0, s72, exec_lo
	s_and_b32 s77, s77, exec_lo
	s_and_b32 s79, s74, exec_lo
	s_or_b32 s74, s0, s77
	s_or_not1_b32 s78, s78, exec_lo
.LBB51_6687:
	s_or_b32 exec_lo, exec_lo, s75
	s_mov_b32 s0, 0
	s_mov_b32 s77, 0
                                        ; implicit-def: $vgpr4
                                        ; implicit-def: $vgpr2_vgpr3
	s_and_saveexec_b32 s75, s78
	s_cbranch_execz .LBB51_7809
; %bb.6688:
	s_mov_b32 s88, -1
	s_mov_b32 s78, 0
	s_mov_b32 s76, s74
	s_and_saveexec_b32 s77, s79
	s_cbranch_execz .LBB51_6816
; %bb.6689:
	v_dual_add_nc_u32 v1, s3, v103 :: v_dual_mov_b32 v3, 0
	s_mov_b32 s79, s74
	s_mov_b32 s76, exec_lo
	s_delay_alu instid0(VALU_DEP_1) | instskip(SKIP_1) | instid1(VALU_DEP_2)
	v_mul_lo_u32 v2, v1, v14
	v_and_b32_e32 v1, 0xff, v13
	v_add_nc_u64_e32 v[2:3], v[114:115], v[2:3]
	s_delay_alu instid0(VALU_DEP_2)
	v_cmpx_lt_i16_e32 10, v1
	s_xor_b32 s76, exec_lo, s76
	s_cbranch_execz .LBB51_6771
; %bb.6690:
	s_mov_b32 s79, s74
	s_mov_b32 s88, exec_lo
	v_cmpx_lt_i16_e32 25, v1
	s_xor_b32 s88, exec_lo, s88
	s_cbranch_execz .LBB51_6726
; %bb.6691:
	s_mov_b32 s89, s74
	s_mov_b32 s79, exec_lo
	;; [unrolled: 6-line block ×3, first 2 shown]
	v_cmpx_lt_i16_e32 43, v1
	s_xor_b32 s89, exec_lo, s89
	s_cbranch_execz .LBB51_6704
; %bb.6693:
	s_mov_b32 s90, 0
	s_mov_b32 s91, s74
	s_mov_b32 s0, exec_lo
	v_cmpx_lt_i16_e32 45, v1
	s_xor_b32 s0, exec_lo, s0
	s_cbranch_execz .LBB51_6697
; %bb.6694:
	s_mov_b32 s92, -1
	s_mov_b32 s91, exec_lo
	v_cmpx_eq_u16_e32 46, v1
	s_cbranch_execz .LBB51_6696
; %bb.6695:
	v_bfe_u32 v1, v24, 16, 1
	v_cmp_o_f32_e32 vcc_lo, v24, v24
	s_mov_b32 s90, exec_lo
	s_xor_b32 s92, exec_lo, -1
	s_delay_alu instid0(VALU_DEP_2) | instskip(NEXT) | instid1(VALU_DEP_1)
	v_add3_u32 v1, v24, v1, 0x7fff
	v_lshrrev_b32_e32 v1, 16, v1
	s_delay_alu instid0(VALU_DEP_1)
	v_cndmask_b32_e32 v1, 0x7fc0, v1, vcc_lo
	flat_store_b32 v[2:3], v1
.LBB51_6696:
	s_wait_xcnt 0x0
	s_or_b32 exec_lo, exec_lo, s91
	s_delay_alu instid0(SALU_CYCLE_1)
	s_and_not1_b32 s91, s74, exec_lo
	s_and_b32 s92, s92, exec_lo
	s_and_b32 s90, s90, exec_lo
	s_or_b32 s91, s91, s92
                                        ; implicit-def: $vgpr1
                                        ; implicit-def: $vgpr2_vgpr3
                                        ; implicit-def: $vgpr24
.LBB51_6697:
	s_and_not1_saveexec_b32 s92, s0
	s_cbranch_execz .LBB51_6703
; %bb.6698:
	s_mov_b32 s94, -1
	s_mov_b32 s0, s90
	s_mov_b32 s93, exec_lo
	v_cmpx_eq_u16_e32 44, v1
	s_cbranch_execz .LBB51_6702
; %bb.6699:
	v_bfe_u32 v4, v24, 23, 8
	v_mov_b32_e32 v1, 0xff
	s_mov_b32 s94, exec_lo
	s_delay_alu instid0(VALU_DEP_2)
	v_cmpx_ne_u32_e32 0xff, v4
	s_cbranch_execz .LBB51_6701
; %bb.6700:
	v_and_b32_e32 v1, 0x400000, v24
	v_and_or_b32 v4, 0x3fffff, v24, v4
	s_delay_alu instid0(VALU_DEP_2) | instskip(NEXT) | instid1(VALU_DEP_2)
	v_cmp_ne_u32_e32 vcc_lo, 0, v1
	v_cmp_ne_u32_e64 s0, 0, v4
	v_lshrrev_b32_e32 v1, 23, v24
	s_and_b32 s0, vcc_lo, s0
	s_delay_alu instid0(SALU_CYCLE_1) | instskip(NEXT) | instid1(VALU_DEP_1)
	v_cndmask_b32_e64 v4, 0, 1, s0
	v_add_nc_u32_e32 v1, v1, v4
.LBB51_6701:
	s_or_b32 exec_lo, exec_lo, s94
	s_delay_alu instid0(SALU_CYCLE_1)
	s_xor_b32 s94, exec_lo, -1
	s_or_b32 s0, s90, exec_lo
	flat_store_b8 v[2:3], v1
.LBB51_6702:
	s_wait_xcnt 0x0
	s_or_b32 exec_lo, exec_lo, s93
	s_delay_alu instid0(SALU_CYCLE_1)
	s_and_not1_b32 s91, s91, exec_lo
	s_and_b32 s93, s94, exec_lo
	s_and_not1_b32 s90, s90, exec_lo
	s_and_b32 s0, s0, exec_lo
	s_or_b32 s91, s91, s93
	s_or_b32 s90, s90, s0
.LBB51_6703:
	s_or_b32 exec_lo, exec_lo, s92
	s_delay_alu instid0(SALU_CYCLE_1) | instskip(SKIP_1) | instid1(SALU_CYCLE_1)
	s_and_not1_b32 s0, s74, exec_lo
	s_and_b32 s91, s91, exec_lo
                                        ; implicit-def: $vgpr1
                                        ; implicit-def: $vgpr24
                                        ; implicit-def: $vgpr2_vgpr3
	s_or_b32 s91, s0, s91
	s_and_b32 s0, s90, exec_lo
.LBB51_6704:
	s_and_not1_saveexec_b32 s89, s89
	s_cbranch_execz .LBB51_6708
; %bb.6705:
	s_mov_b32 s93, -1
	s_mov_b32 s92, s0
	s_mov_b32 s90, exec_lo
	v_cmpx_eq_u16_e32 29, v1
	s_cbranch_execz .LBB51_6707
; %bb.6706:
	v_trunc_f32_e32 v1, v24
	s_xor_b32 s93, exec_lo, -1
	s_or_b32 s92, s0, exec_lo
	s_delay_alu instid0(VALU_DEP_1) | instskip(NEXT) | instid1(VALU_DEP_1)
	v_mul_f32_e32 v4, 0x2f800000, v1
	v_floor_f32_e32 v4, v4
	s_delay_alu instid0(VALU_DEP_1) | instskip(SKIP_1) | instid1(VALU_DEP_2)
	v_fmamk_f32 v1, v4, 0xcf800000, v1
	v_cvt_u32_f32_e32 v5, v4
	v_cvt_u32_f32_e32 v4, v1
	flat_store_b64 v[2:3], v[4:5]
.LBB51_6707:
	s_wait_xcnt 0x0
	s_or_b32 exec_lo, exec_lo, s90
	s_delay_alu instid0(SALU_CYCLE_1)
	s_and_not1_b32 s90, s91, exec_lo
	s_and_b32 s91, s93, exec_lo
	s_and_not1_b32 s0, s0, exec_lo
	s_and_b32 s92, s92, exec_lo
	s_or_b32 s91, s90, s91
	s_or_b32 s0, s0, s92
.LBB51_6708:
	s_or_b32 exec_lo, exec_lo, s89
	s_delay_alu instid0(SALU_CYCLE_1)
	s_and_not1_b32 s89, s74, exec_lo
	s_and_b32 s90, s91, exec_lo
	s_and_b32 s0, s0, exec_lo
	s_or_b32 s89, s89, s90
                                        ; implicit-def: $vgpr2_vgpr3
                                        ; implicit-def: $vgpr1
                                        ; implicit-def: $vgpr24
.LBB51_6709:
	s_and_not1_saveexec_b32 s79, s79
	s_cbranch_execz .LBB51_6725
; %bb.6710:
	s_mov_b32 s90, exec_lo
	v_cmpx_lt_i16_e32 26, v1
	s_xor_b32 s90, exec_lo, s90
	s_cbranch_execz .LBB51_6716
; %bb.6711:
	v_cmp_lt_i16_e32 vcc_lo, 27, v1
	v_cvt_u32_f32_e32 v1, v24
	s_and_saveexec_b32 s91, vcc_lo
	s_delay_alu instid0(SALU_CYCLE_1)
	s_xor_b32 s91, exec_lo, s91
	s_cbranch_execz .LBB51_6713
; %bb.6712:
	flat_store_b32 v[2:3], v1
                                        ; implicit-def: $vgpr2_vgpr3
                                        ; implicit-def: $vgpr1
.LBB51_6713:
	s_wait_xcnt 0x0
	s_and_not1_saveexec_b32 s91, s91
	s_cbranch_execz .LBB51_6715
; %bb.6714:
	flat_store_b16 v[2:3], v1
.LBB51_6715:
	s_wait_xcnt 0x0
	s_or_b32 exec_lo, exec_lo, s91
                                        ; implicit-def: $vgpr2_vgpr3
                                        ; implicit-def: $vgpr24
.LBB51_6716:
	s_and_not1_saveexec_b32 s90, s90
	s_cbranch_execz .LBB51_6724
; %bb.6717:
	v_and_b32_e32 v1, 0x7fffffff, v24
	v_mov_b32_e32 v4, 0x80
	s_mov_b32 s91, exec_lo
	s_delay_alu instid0(VALU_DEP_2)
	v_cmpx_gt_u32_e32 0x43800000, v1
	s_cbranch_execz .LBB51_6723
; %bb.6718:
	v_cmp_lt_u32_e32 vcc_lo, 0x3bffffff, v1
	s_mov_b32 s92, 0
                                        ; implicit-def: $vgpr1
	s_and_saveexec_b32 s93, vcc_lo
	s_delay_alu instid0(SALU_CYCLE_1)
	s_xor_b32 s93, exec_lo, s93
	s_cbranch_execnz .LBB51_7971
; %bb.6719:
	s_and_not1_saveexec_b32 s93, s93
	s_cbranch_execnz .LBB51_7972
.LBB51_6720:
	s_or_b32 exec_lo, exec_lo, s93
	v_mov_b32_e32 v4, 0
	s_and_saveexec_b32 s93, s92
.LBB51_6721:
	v_lshrrev_b32_e32 v4, 24, v24
	s_delay_alu instid0(VALU_DEP_1)
	v_and_or_b32 v4, 0x80, v4, v1
.LBB51_6722:
	s_or_b32 exec_lo, exec_lo, s93
.LBB51_6723:
	s_delay_alu instid0(SALU_CYCLE_1)
	s_or_b32 exec_lo, exec_lo, s91
	flat_store_b8 v[2:3], v4
.LBB51_6724:
	s_wait_xcnt 0x0
	s_or_b32 exec_lo, exec_lo, s90
	s_delay_alu instid0(SALU_CYCLE_1)
	s_or_b32 s0, s0, exec_lo
.LBB51_6725:
	s_or_b32 exec_lo, exec_lo, s79
	s_delay_alu instid0(SALU_CYCLE_1)
	s_and_not1_b32 s79, s74, exec_lo
	s_and_b32 s89, s89, exec_lo
	s_and_b32 s0, s0, exec_lo
	s_or_b32 s79, s79, s89
                                        ; implicit-def: $vgpr1
                                        ; implicit-def: $vgpr24
                                        ; implicit-def: $vgpr2_vgpr3
.LBB51_6726:
	s_and_not1_saveexec_b32 s88, s88
	s_cbranch_execz .LBB51_6770
; %bb.6727:
	s_mov_b32 s90, s0
	s_mov_b32 s89, exec_lo
	v_cmpx_lt_i16_e32 22, v1
	s_xor_b32 s89, exec_lo, s89
	s_cbranch_execz .LBB51_6759
; %bb.6728:
	s_mov_b32 s90, exec_lo
	v_cmpx_lt_i16_e32 23, v1
	s_xor_b32 s90, exec_lo, s90
	s_cbranch_execz .LBB51_6748
; %bb.6729:
	;; [unrolled: 5-line block ×3, first 2 shown]
	v_and_b32_e32 v1, 0x7fffffff, v24
	v_mov_b32_e32 v4, 0x80
	s_mov_b32 s92, exec_lo
	s_delay_alu instid0(VALU_DEP_2)
	v_cmpx_gt_u32_e32 0x47800000, v1
	s_cbranch_execz .LBB51_6736
; %bb.6731:
	v_cmp_lt_u32_e32 vcc_lo, 0x37ffffff, v1
	s_mov_b32 s93, 0
                                        ; implicit-def: $vgpr1
	s_and_saveexec_b32 s94, vcc_lo
	s_delay_alu instid0(SALU_CYCLE_1)
	s_xor_b32 s94, exec_lo, s94
	s_cbranch_execnz .LBB51_7973
; %bb.6732:
	s_and_not1_saveexec_b32 s94, s94
	s_cbranch_execnz .LBB51_7974
.LBB51_6733:
	s_or_b32 exec_lo, exec_lo, s94
	v_mov_b32_e32 v4, 0
	s_and_saveexec_b32 s94, s93
.LBB51_6734:
	v_lshrrev_b32_e32 v4, 24, v24
	s_delay_alu instid0(VALU_DEP_1)
	v_and_or_b32 v4, 0x80, v4, v1
.LBB51_6735:
	s_or_b32 exec_lo, exec_lo, s94
.LBB51_6736:
	s_delay_alu instid0(SALU_CYCLE_1)
	s_or_b32 exec_lo, exec_lo, s92
	flat_store_b8 v[2:3], v4
                                        ; implicit-def: $vgpr24
                                        ; implicit-def: $vgpr2_vgpr3
.LBB51_6737:
	s_wait_xcnt 0x0
	s_and_not1_saveexec_b32 s91, s91
	s_cbranch_execz .LBB51_6747
; %bb.6738:
	v_and_b32_e32 v4, 0x7fffffff, v24
	s_mov_b32 s92, exec_lo
                                        ; implicit-def: $vgpr1
	s_delay_alu instid0(VALU_DEP_1)
	v_cmpx_gt_u32_e32 0x43f00000, v4
	s_xor_b32 s92, exec_lo, s92
	s_cbranch_execz .LBB51_6744
; %bb.6739:
	s_mov_b32 s93, exec_lo
                                        ; implicit-def: $vgpr1
	v_cmpx_lt_u32_e32 0x3c7fffff, v4
	s_xor_b32 s93, exec_lo, s93
; %bb.6740:
	v_bfe_u32 v1, v24, 20, 1
	s_delay_alu instid0(VALU_DEP_1) | instskip(NEXT) | instid1(VALU_DEP_1)
	v_add3_u32 v1, v24, v1, 0x407ffff
	v_and_b32_e32 v4, 0xff00000, v1
	v_lshrrev_b32_e32 v1, 20, v1
	s_delay_alu instid0(VALU_DEP_2) | instskip(NEXT) | instid1(VALU_DEP_2)
	v_cmp_ne_u32_e32 vcc_lo, 0x7f00000, v4
	v_cndmask_b32_e32 v1, 0x7e, v1, vcc_lo
; %bb.6741:
	s_and_not1_saveexec_b32 s93, s93
; %bb.6742:
	v_add_f32_e64 v1, 0x46800000, |v24|
; %bb.6743:
	s_or_b32 exec_lo, exec_lo, s93
                                        ; implicit-def: $vgpr4
.LBB51_6744:
	s_and_not1_saveexec_b32 s92, s92
; %bb.6745:
	v_mov_b32_e32 v1, 0x7f
	v_cmp_lt_u32_e32 vcc_lo, 0x7f800000, v4
	s_delay_alu instid0(VALU_DEP_2)
	v_cndmask_b32_e32 v1, 0x7e, v1, vcc_lo
; %bb.6746:
	s_or_b32 exec_lo, exec_lo, s92
	v_lshrrev_b32_e32 v4, 24, v24
	s_delay_alu instid0(VALU_DEP_1)
	v_and_or_b32 v1, 0x80, v4, v1
	flat_store_b8 v[2:3], v1
.LBB51_6747:
	s_wait_xcnt 0x0
	s_or_b32 exec_lo, exec_lo, s91
                                        ; implicit-def: $vgpr24
                                        ; implicit-def: $vgpr2_vgpr3
.LBB51_6748:
	s_and_not1_saveexec_b32 s90, s90
	s_cbranch_execz .LBB51_6758
; %bb.6749:
	v_and_b32_e32 v4, 0x7fffffff, v24
	s_mov_b32 s91, exec_lo
                                        ; implicit-def: $vgpr1
	s_delay_alu instid0(VALU_DEP_1)
	v_cmpx_gt_u32_e32 0x47800000, v4
	s_xor_b32 s91, exec_lo, s91
	s_cbranch_execz .LBB51_6755
; %bb.6750:
	s_mov_b32 s92, exec_lo
                                        ; implicit-def: $vgpr1
	v_cmpx_lt_u32_e32 0x387fffff, v4
	s_xor_b32 s92, exec_lo, s92
; %bb.6751:
	v_bfe_u32 v1, v24, 21, 1
	s_delay_alu instid0(VALU_DEP_1) | instskip(NEXT) | instid1(VALU_DEP_1)
	v_add3_u32 v1, v24, v1, 0x80fffff
	v_lshrrev_b32_e32 v1, 21, v1
; %bb.6752:
	s_and_not1_saveexec_b32 s92, s92
; %bb.6753:
	v_add_f32_e64 v1, 0x43000000, |v24|
; %bb.6754:
	s_or_b32 exec_lo, exec_lo, s92
                                        ; implicit-def: $vgpr4
.LBB51_6755:
	s_and_not1_saveexec_b32 s91, s91
; %bb.6756:
	v_mov_b32_e32 v1, 0x7f
	v_cmp_lt_u32_e32 vcc_lo, 0x7f800000, v4
	s_delay_alu instid0(VALU_DEP_2)
	v_cndmask_b32_e32 v1, 0x7c, v1, vcc_lo
; %bb.6757:
	s_or_b32 exec_lo, exec_lo, s91
	v_lshrrev_b32_e32 v4, 24, v24
	s_delay_alu instid0(VALU_DEP_1)
	v_and_or_b32 v1, 0x80, v4, v1
	flat_store_b8 v[2:3], v1
.LBB51_6758:
	s_wait_xcnt 0x0
	s_or_b32 exec_lo, exec_lo, s90
	s_delay_alu instid0(SALU_CYCLE_1)
	s_or_b32 s90, s0, exec_lo
                                        ; implicit-def: $vgpr1
                                        ; implicit-def: $vgpr24
                                        ; implicit-def: $vgpr2_vgpr3
.LBB51_6759:
	s_or_saveexec_b32 s89, s89
	s_mov_b32 s91, s79
	s_xor_b32 exec_lo, exec_lo, s89
	s_cbranch_execz .LBB51_6769
; %bb.6760:
	s_mov_b32 s91, s90
	s_mov_b32 s92, s79
	s_mov_b32 s93, exec_lo
	v_cmpx_lt_i16_e32 14, v1
	s_xor_b32 s93, exec_lo, s93
	s_cbranch_execz .LBB51_6764
; %bb.6761:
	s_mov_b32 s94, -1
	s_mov_b32 s91, s90
	s_mov_b32 s92, exec_lo
	v_cmpx_eq_u16_e32 15, v1
	s_cbranch_execz .LBB51_6763
; %bb.6762:
	v_bfe_u32 v1, v24, 16, 1
	v_cmp_o_f32_e32 vcc_lo, v24, v24
	s_xor_b32 s94, exec_lo, -1
	s_or_b32 s91, s90, exec_lo
	s_delay_alu instid0(VALU_DEP_2) | instskip(NEXT) | instid1(VALU_DEP_1)
	v_add3_u32 v1, v24, v1, 0x7fff
	v_lshrrev_b32_e32 v1, 16, v1
	s_delay_alu instid0(VALU_DEP_1)
	v_cndmask_b32_e32 v1, 0x7fc0, v1, vcc_lo
	flat_store_b16 v[2:3], v1
.LBB51_6763:
	s_wait_xcnt 0x0
	s_or_b32 exec_lo, exec_lo, s92
	s_delay_alu instid0(SALU_CYCLE_1)
	s_and_not1_b32 s92, s79, exec_lo
	s_and_b32 s94, s94, exec_lo
	s_and_not1_b32 s95, s90, exec_lo
	s_and_b32 s91, s91, exec_lo
	s_or_b32 s92, s92, s94
	s_or_b32 s91, s95, s91
                                        ; implicit-def: $vgpr1
                                        ; implicit-def: $vgpr24
                                        ; implicit-def: $vgpr2_vgpr3
.LBB51_6764:
	s_and_not1_saveexec_b32 s93, s93
	s_cbranch_execz .LBB51_6768
; %bb.6765:
	s_mov_b32 s95, -1
	s_mov_b32 s94, s91
	s_mov_b32 vcc_hi, exec_lo
	v_cmpx_eq_u16_e32 11, v1
	s_cbranch_execz .LBB51_6767
; %bb.6766:
	v_cmp_neq_f32_e32 vcc_lo, 0, v24
	s_xor_b32 s95, exec_lo, -1
	s_or_b32 s94, s91, exec_lo
	v_cndmask_b32_e64 v1, 0, 1, vcc_lo
	flat_store_b8 v[2:3], v1
.LBB51_6767:
	s_wait_xcnt 0x0
	s_or_b32 exec_lo, exec_lo, vcc_hi
	s_delay_alu instid0(SALU_CYCLE_1)
	s_and_not1_b32 s92, s92, exec_lo
	s_and_b32 s95, s95, exec_lo
	s_and_not1_b32 s91, s91, exec_lo
	s_and_b32 s94, s94, exec_lo
	s_or_b32 s92, s92, s95
	s_or_b32 s91, s91, s94
.LBB51_6768:
	s_or_b32 exec_lo, exec_lo, s93
	s_delay_alu instid0(SALU_CYCLE_1)
	s_and_not1_b32 s93, s79, exec_lo
	s_and_b32 s92, s92, exec_lo
	s_and_not1_b32 s90, s90, exec_lo
	s_and_b32 s94, s91, exec_lo
	s_or_b32 s91, s93, s92
	s_or_b32 s90, s90, s94
.LBB51_6769:
	s_or_b32 exec_lo, exec_lo, s89
	s_delay_alu instid0(SALU_CYCLE_1)
	s_and_not1_b32 s79, s79, exec_lo
	s_and_b32 s89, s91, exec_lo
	s_and_not1_b32 s0, s0, exec_lo
	s_and_b32 s90, s90, exec_lo
	s_or_b32 s79, s79, s89
	s_or_b32 s0, s0, s90
.LBB51_6770:
	s_or_b32 exec_lo, exec_lo, s88
	s_delay_alu instid0(SALU_CYCLE_1)
	s_and_not1_b32 s88, s74, exec_lo
	s_and_b32 s79, s79, exec_lo
	s_and_b32 s0, s0, exec_lo
	s_or_b32 s79, s88, s79
                                        ; implicit-def: $vgpr1
                                        ; implicit-def: $vgpr24
                                        ; implicit-def: $vgpr2_vgpr3
.LBB51_6771:
	s_and_not1_saveexec_b32 s76, s76
	s_cbranch_execz .LBB51_6813
; %bb.6772:
	s_mov_b32 s88, exec_lo
	v_cmpx_lt_i16_e32 4, v1
	s_xor_b32 s88, exec_lo, s88
	s_cbranch_execz .LBB51_6794
; %bb.6773:
	s_mov_b32 s89, exec_lo
	v_cmpx_lt_i16_e32 7, v1
	s_xor_b32 s89, exec_lo, s89
	s_cbranch_execz .LBB51_6783
; %bb.6774:
	s_mov_b32 s90, exec_lo
	v_cmpx_lt_i16_e32 8, v1
	s_xor_b32 s90, exec_lo, s90
	s_cbranch_execz .LBB51_6780
; %bb.6775:
	s_mov_b32 s91, exec_lo
	v_cmpx_lt_i16_e32 9, v1
	s_xor_b32 s91, exec_lo, s91
	s_cbranch_execz .LBB51_6777
; %bb.6776:
	v_cvt_f64_f32_e32 v[4:5], v24
	v_mov_b32_e32 v6, 0
                                        ; implicit-def: $vgpr24
	s_delay_alu instid0(VALU_DEP_1)
	v_mov_b32_e32 v7, v6
	flat_store_b128 v[2:3], v[4:7]
                                        ; implicit-def: $vgpr2_vgpr3
.LBB51_6777:
	s_wait_xcnt 0x0
	s_and_not1_saveexec_b32 s91, s91
	s_cbranch_execz .LBB51_6779
; %bb.6778:
	v_mov_b32_e32 v25, 0
	flat_store_b64 v[2:3], v[24:25]
.LBB51_6779:
	s_wait_xcnt 0x0
	s_or_b32 exec_lo, exec_lo, s91
                                        ; implicit-def: $vgpr24
                                        ; implicit-def: $vgpr2_vgpr3
.LBB51_6780:
	s_and_not1_saveexec_b32 s90, s90
	s_cbranch_execz .LBB51_6782
; %bb.6781:
	v_cvt_f16_f32_e32 v1, v24
	s_delay_alu instid0(VALU_DEP_1)
	v_and_b32_e32 v1, 0xffff, v1
	flat_store_b32 v[2:3], v1
.LBB51_6782:
	s_wait_xcnt 0x0
	s_or_b32 exec_lo, exec_lo, s90
                                        ; implicit-def: $vgpr24
                                        ; implicit-def: $vgpr2_vgpr3
                                        ; implicit-def: $vgpr1
.LBB51_6783:
	s_and_not1_saveexec_b32 s89, s89
	s_cbranch_execz .LBB51_6793
; %bb.6784:
	s_mov_b32 s90, exec_lo
	v_cmpx_lt_i16_e32 5, v1
	s_xor_b32 s90, exec_lo, s90
	s_cbranch_execz .LBB51_6790
; %bb.6785:
	s_mov_b32 s91, exec_lo
	v_cmpx_lt_i16_e32 6, v1
	s_xor_b32 s91, exec_lo, s91
	s_cbranch_execz .LBB51_6787
; %bb.6786:
	v_cvt_f64_f32_e32 v[4:5], v24
                                        ; implicit-def: $vgpr24
	flat_store_b64 v[2:3], v[4:5]
                                        ; implicit-def: $vgpr2_vgpr3
.LBB51_6787:
	s_wait_xcnt 0x0
	s_and_not1_saveexec_b32 s91, s91
	s_cbranch_execz .LBB51_6789
; %bb.6788:
	flat_store_b32 v[2:3], v24
.LBB51_6789:
	s_wait_xcnt 0x0
	s_or_b32 exec_lo, exec_lo, s91
                                        ; implicit-def: $vgpr24
                                        ; implicit-def: $vgpr2_vgpr3
.LBB51_6790:
	s_and_not1_saveexec_b32 s90, s90
	s_cbranch_execz .LBB51_6792
; %bb.6791:
	v_cvt_f16_f32_e32 v1, v24
	flat_store_b16 v[2:3], v1
.LBB51_6792:
	s_wait_xcnt 0x0
	s_or_b32 exec_lo, exec_lo, s90
.LBB51_6793:
	s_delay_alu instid0(SALU_CYCLE_1)
	s_or_b32 exec_lo, exec_lo, s89
                                        ; implicit-def: $vgpr1
                                        ; implicit-def: $vgpr24
                                        ; implicit-def: $vgpr2_vgpr3
.LBB51_6794:
	s_and_not1_saveexec_b32 s88, s88
	s_cbranch_execz .LBB51_6812
; %bb.6795:
	s_mov_b32 s89, exec_lo
	v_cmpx_lt_i16_e32 1, v1
	s_xor_b32 s89, exec_lo, s89
	s_cbranch_execz .LBB51_6805
; %bb.6796:
	s_mov_b32 s90, exec_lo
	v_cmpx_lt_i16_e32 2, v1
	s_xor_b32 s90, exec_lo, s90
	;; [unrolled: 5-line block ×3, first 2 shown]
	s_cbranch_execz .LBB51_6799
; %bb.6798:
	v_trunc_f32_e32 v1, v24
                                        ; implicit-def: $vgpr24
	s_delay_alu instid0(VALU_DEP_1) | instskip(NEXT) | instid1(VALU_DEP_1)
	v_mul_f32_e64 v4, 0x2f800000, |v1|
	v_floor_f32_e32 v5, v4
	v_ashrrev_i32_e32 v4, 31, v1
	s_delay_alu instid0(VALU_DEP_2) | instskip(SKIP_1) | instid1(VALU_DEP_3)
	v_fma_f32 v6, 0xcf800000, v5, |v1|
	v_cvt_u32_f32_e32 v1, v5
	v_mov_b32_e32 v5, v4
	s_delay_alu instid0(VALU_DEP_3) | instskip(NEXT) | instid1(VALU_DEP_3)
	v_cvt_u32_f32_e32 v6, v6
	v_xor_b32_e32 v7, v1, v4
	s_delay_alu instid0(VALU_DEP_2) | instskip(NEXT) | instid1(VALU_DEP_1)
	v_xor_b32_e32 v6, v6, v4
	v_sub_nc_u64_e32 v[4:5], v[6:7], v[4:5]
	flat_store_b64 v[2:3], v[4:5]
                                        ; implicit-def: $vgpr2_vgpr3
.LBB51_6799:
	s_wait_xcnt 0x0
	s_and_not1_saveexec_b32 s91, s91
	s_cbranch_execz .LBB51_6801
; %bb.6800:
	v_cvt_i32_f32_e32 v1, v24
	flat_store_b32 v[2:3], v1
.LBB51_6801:
	s_wait_xcnt 0x0
	s_or_b32 exec_lo, exec_lo, s91
                                        ; implicit-def: $vgpr24
                                        ; implicit-def: $vgpr2_vgpr3
.LBB51_6802:
	s_and_not1_saveexec_b32 s90, s90
	s_cbranch_execz .LBB51_6804
; %bb.6803:
	v_cvt_i32_f32_e32 v1, v24
	flat_store_b16 v[2:3], v1
.LBB51_6804:
	s_wait_xcnt 0x0
	s_or_b32 exec_lo, exec_lo, s90
                                        ; implicit-def: $vgpr24
                                        ; implicit-def: $vgpr2_vgpr3
                                        ; implicit-def: $vgpr1
.LBB51_6805:
	s_and_not1_saveexec_b32 s89, s89
	s_cbranch_execz .LBB51_6811
; %bb.6806:
	s_mov_b32 s90, exec_lo
	v_cmpx_lt_i16_e32 0, v1
	s_xor_b32 s90, exec_lo, s90
	s_cbranch_execz .LBB51_6808
; %bb.6807:
	v_cvt_i32_f32_e32 v1, v24
                                        ; implicit-def: $vgpr24
	flat_store_b8 v[2:3], v1
                                        ; implicit-def: $vgpr2_vgpr3
.LBB51_6808:
	s_wait_xcnt 0x0
	s_and_not1_saveexec_b32 s90, s90
	s_cbranch_execz .LBB51_6810
; %bb.6809:
	v_trunc_f32_e32 v1, v24
	s_delay_alu instid0(VALU_DEP_1) | instskip(NEXT) | instid1(VALU_DEP_1)
	v_mul_f32_e64 v4, 0x2f800000, |v1|
	v_floor_f32_e32 v4, v4
	s_delay_alu instid0(VALU_DEP_1) | instskip(SKIP_1) | instid1(VALU_DEP_2)
	v_fma_f32 v4, 0xcf800000, v4, |v1|
	v_ashrrev_i32_e32 v1, 31, v1
	v_cvt_u32_f32_e32 v4, v4
	s_delay_alu instid0(VALU_DEP_1) | instskip(NEXT) | instid1(VALU_DEP_1)
	v_xor_b32_e32 v4, v4, v1
	v_sub_nc_u32_e32 v1, v4, v1
	flat_store_b8 v[2:3], v1
.LBB51_6810:
	s_wait_xcnt 0x0
	s_or_b32 exec_lo, exec_lo, s90
.LBB51_6811:
	s_delay_alu instid0(SALU_CYCLE_1)
	s_or_b32 exec_lo, exec_lo, s89
.LBB51_6812:
	s_delay_alu instid0(SALU_CYCLE_1) | instskip(NEXT) | instid1(SALU_CYCLE_1)
	s_or_b32 exec_lo, exec_lo, s88
	s_or_b32 s0, s0, exec_lo
.LBB51_6813:
	s_or_b32 exec_lo, exec_lo, s76
	s_mov_b32 s88, 0
	s_mov_b32 s76, 0
	s_and_saveexec_b32 s89, s0
; %bb.6814:
	v_add_nc_u32_e32 v103, 0x200, v103
	s_mov_b32 s88, exec_lo
	s_delay_alu instid0(VALU_DEP_1)
	v_cmp_lt_i32_e32 vcc_lo, v103, v8
	s_and_b32 s76, vcc_lo, exec_lo
; %bb.6815:
	s_or_b32 exec_lo, exec_lo, s89
	s_delay_alu instid0(SALU_CYCLE_1)
	s_and_not1_b32 s89, s74, exec_lo
	s_and_b32 s79, s79, exec_lo
	s_and_b32 s0, s76, exec_lo
	s_or_b32 s76, s89, s79
	s_or_not1_b32 s88, s88, exec_lo
.LBB51_6816:
	s_or_b32 exec_lo, exec_lo, s77
	s_mov_b32 s79, 0
	s_mov_b32 s89, 0
                                        ; implicit-def: $vgpr4
                                        ; implicit-def: $vgpr2_vgpr3
	s_and_saveexec_b32 s77, s88
	s_cbranch_execz .LBB51_7808
; %bb.6817:
	s_mov_b32 s90, -1
	s_mov_b32 s88, 0
	s_mov_b32 s78, s76
	;; [unrolled: 1-line block ×3, first 2 shown]
	s_and_saveexec_b32 s79, s0
	s_cbranch_execz .LBB51_6945
; %bb.6818:
	v_dual_add_nc_u32 v1, s3, v103 :: v_dual_mov_b32 v3, 0
	s_mov_b32 s0, 0
	s_mov_b32 s89, s76
	s_mov_b32 s78, exec_lo
	s_delay_alu instid0(VALU_DEP_1) | instskip(SKIP_1) | instid1(VALU_DEP_2)
	v_mul_lo_u32 v2, v1, v14
	v_and_b32_e32 v1, 0xff, v13
	v_add_nc_u64_e32 v[2:3], v[114:115], v[2:3]
	s_delay_alu instid0(VALU_DEP_2)
	v_cmpx_lt_i16_e32 10, v1
	s_xor_b32 s78, exec_lo, s78
	s_cbranch_execz .LBB51_6900
; %bb.6819:
	s_mov_b32 s89, s76
	s_mov_b32 s90, exec_lo
	v_cmpx_lt_i16_e32 25, v1
	s_xor_b32 s90, exec_lo, s90
	s_cbranch_execz .LBB51_6855
; %bb.6820:
	s_mov_b32 s91, s76
	s_mov_b32 s89, exec_lo
	;; [unrolled: 6-line block ×3, first 2 shown]
	v_cmpx_lt_i16_e32 43, v1
	s_xor_b32 s91, exec_lo, s91
	s_cbranch_execz .LBB51_6833
; %bb.6822:
	s_mov_b32 s92, 0
	s_mov_b32 s93, s76
	s_mov_b32 s0, exec_lo
	v_cmpx_lt_i16_e32 45, v1
	s_xor_b32 s0, exec_lo, s0
	s_cbranch_execz .LBB51_6826
; %bb.6823:
	s_mov_b32 s94, -1
	s_mov_b32 s93, exec_lo
	v_cmpx_eq_u16_e32 46, v1
	s_cbranch_execz .LBB51_6825
; %bb.6824:
	v_bfe_u32 v1, v22, 16, 1
	v_cmp_o_f32_e32 vcc_lo, v22, v22
	s_mov_b32 s92, exec_lo
	s_xor_b32 s94, exec_lo, -1
	s_delay_alu instid0(VALU_DEP_2) | instskip(NEXT) | instid1(VALU_DEP_1)
	v_add3_u32 v1, v22, v1, 0x7fff
	v_lshrrev_b32_e32 v1, 16, v1
	s_delay_alu instid0(VALU_DEP_1)
	v_cndmask_b32_e32 v1, 0x7fc0, v1, vcc_lo
	flat_store_b32 v[2:3], v1
.LBB51_6825:
	s_wait_xcnt 0x0
	s_or_b32 exec_lo, exec_lo, s93
	s_delay_alu instid0(SALU_CYCLE_1)
	s_and_not1_b32 s93, s76, exec_lo
	s_and_b32 s94, s94, exec_lo
	s_and_b32 s92, s92, exec_lo
	s_or_b32 s93, s93, s94
                                        ; implicit-def: $vgpr1
                                        ; implicit-def: $vgpr2_vgpr3
                                        ; implicit-def: $vgpr22
.LBB51_6826:
	s_and_not1_saveexec_b32 s94, s0
	s_cbranch_execz .LBB51_6832
; %bb.6827:
	s_mov_b32 vcc_hi, -1
	s_mov_b32 s0, s92
	s_mov_b32 s95, exec_lo
	v_cmpx_eq_u16_e32 44, v1
	s_cbranch_execz .LBB51_6831
; %bb.6828:
	v_bfe_u32 v4, v22, 23, 8
	v_mov_b32_e32 v1, 0xff
	s_mov_b32 vcc_hi, exec_lo
	s_delay_alu instid0(VALU_DEP_2)
	v_cmpx_ne_u32_e32 0xff, v4
	s_cbranch_execz .LBB51_6830
; %bb.6829:
	v_and_b32_e32 v1, 0x400000, v22
	v_and_or_b32 v4, 0x3fffff, v22, v4
	s_delay_alu instid0(VALU_DEP_2) | instskip(NEXT) | instid1(VALU_DEP_2)
	v_cmp_ne_u32_e32 vcc_lo, 0, v1
	v_cmp_ne_u32_e64 s0, 0, v4
	v_lshrrev_b32_e32 v1, 23, v22
	s_and_b32 s0, vcc_lo, s0
	s_delay_alu instid0(SALU_CYCLE_1) | instskip(NEXT) | instid1(VALU_DEP_1)
	v_cndmask_b32_e64 v4, 0, 1, s0
	v_add_nc_u32_e32 v1, v1, v4
.LBB51_6830:
	s_or_b32 exec_lo, exec_lo, vcc_hi
	s_delay_alu instid0(SALU_CYCLE_1)
	s_xor_b32 vcc_hi, exec_lo, -1
	s_or_b32 s0, s92, exec_lo
	flat_store_b8 v[2:3], v1
.LBB51_6831:
	s_wait_xcnt 0x0
	s_or_b32 exec_lo, exec_lo, s95
	s_delay_alu instid0(SALU_CYCLE_1)
	s_and_not1_b32 s93, s93, exec_lo
	s_and_b32 s95, vcc_hi, exec_lo
	s_and_not1_b32 s92, s92, exec_lo
	s_and_b32 s0, s0, exec_lo
	s_or_b32 s93, s93, s95
	s_or_b32 s92, s92, s0
.LBB51_6832:
	s_or_b32 exec_lo, exec_lo, s94
	s_delay_alu instid0(SALU_CYCLE_1) | instskip(SKIP_1) | instid1(SALU_CYCLE_1)
	s_and_not1_b32 s0, s76, exec_lo
	s_and_b32 s93, s93, exec_lo
                                        ; implicit-def: $vgpr1
                                        ; implicit-def: $vgpr22
                                        ; implicit-def: $vgpr2_vgpr3
	s_or_b32 s93, s0, s93
	s_and_b32 s0, s92, exec_lo
.LBB51_6833:
	s_and_not1_saveexec_b32 s91, s91
	s_cbranch_execz .LBB51_6837
; %bb.6834:
	s_mov_b32 s95, -1
	s_mov_b32 s94, s0
	s_mov_b32 s92, exec_lo
	v_cmpx_eq_u16_e32 29, v1
	s_cbranch_execz .LBB51_6836
; %bb.6835:
	v_trunc_f32_e32 v1, v22
	s_xor_b32 s95, exec_lo, -1
	s_or_b32 s94, s0, exec_lo
	s_delay_alu instid0(VALU_DEP_1) | instskip(NEXT) | instid1(VALU_DEP_1)
	v_mul_f32_e32 v4, 0x2f800000, v1
	v_floor_f32_e32 v4, v4
	s_delay_alu instid0(VALU_DEP_1) | instskip(SKIP_1) | instid1(VALU_DEP_2)
	v_fmamk_f32 v1, v4, 0xcf800000, v1
	v_cvt_u32_f32_e32 v5, v4
	v_cvt_u32_f32_e32 v4, v1
	flat_store_b64 v[2:3], v[4:5]
.LBB51_6836:
	s_wait_xcnt 0x0
	s_or_b32 exec_lo, exec_lo, s92
	s_delay_alu instid0(SALU_CYCLE_1)
	s_and_not1_b32 s92, s93, exec_lo
	s_and_b32 s93, s95, exec_lo
	s_and_not1_b32 s0, s0, exec_lo
	s_and_b32 s94, s94, exec_lo
	s_or_b32 s93, s92, s93
	s_or_b32 s0, s0, s94
.LBB51_6837:
	s_or_b32 exec_lo, exec_lo, s91
	s_delay_alu instid0(SALU_CYCLE_1)
	s_and_not1_b32 s91, s76, exec_lo
	s_and_b32 s92, s93, exec_lo
	s_and_b32 s0, s0, exec_lo
	s_or_b32 s91, s91, s92
                                        ; implicit-def: $vgpr2_vgpr3
                                        ; implicit-def: $vgpr1
                                        ; implicit-def: $vgpr22
.LBB51_6838:
	s_and_not1_saveexec_b32 s89, s89
	s_cbranch_execz .LBB51_6854
; %bb.6839:
	s_mov_b32 s92, exec_lo
	v_cmpx_lt_i16_e32 26, v1
	s_xor_b32 s92, exec_lo, s92
	s_cbranch_execz .LBB51_6845
; %bb.6840:
	v_cmp_lt_i16_e32 vcc_lo, 27, v1
	v_cvt_u32_f32_e32 v1, v22
	s_and_saveexec_b32 s93, vcc_lo
	s_delay_alu instid0(SALU_CYCLE_1)
	s_xor_b32 s93, exec_lo, s93
	s_cbranch_execz .LBB51_6842
; %bb.6841:
	flat_store_b32 v[2:3], v1
                                        ; implicit-def: $vgpr2_vgpr3
                                        ; implicit-def: $vgpr1
.LBB51_6842:
	s_wait_xcnt 0x0
	s_and_not1_saveexec_b32 s93, s93
	s_cbranch_execz .LBB51_6844
; %bb.6843:
	flat_store_b16 v[2:3], v1
.LBB51_6844:
	s_wait_xcnt 0x0
	s_or_b32 exec_lo, exec_lo, s93
                                        ; implicit-def: $vgpr2_vgpr3
                                        ; implicit-def: $vgpr22
.LBB51_6845:
	s_and_not1_saveexec_b32 s92, s92
	s_cbranch_execz .LBB51_6853
; %bb.6846:
	v_and_b32_e32 v1, 0x7fffffff, v22
	v_mov_b32_e32 v4, 0x80
	s_mov_b32 s93, exec_lo
	s_delay_alu instid0(VALU_DEP_2)
	v_cmpx_gt_u32_e32 0x43800000, v1
	s_cbranch_execz .LBB51_6852
; %bb.6847:
	v_cmp_lt_u32_e32 vcc_lo, 0x3bffffff, v1
	s_mov_b32 s94, 0
                                        ; implicit-def: $vgpr1
	s_and_saveexec_b32 s95, vcc_lo
	s_delay_alu instid0(SALU_CYCLE_1)
	s_xor_b32 s95, exec_lo, s95
	s_cbranch_execnz .LBB51_7975
; %bb.6848:
	s_and_not1_saveexec_b32 s95, s95
	s_cbranch_execnz .LBB51_7976
.LBB51_6849:
	s_or_b32 exec_lo, exec_lo, s95
	v_mov_b32_e32 v4, 0
	s_and_saveexec_b32 s95, s94
.LBB51_6850:
	v_lshrrev_b32_e32 v4, 24, v22
	s_delay_alu instid0(VALU_DEP_1)
	v_and_or_b32 v4, 0x80, v4, v1
.LBB51_6851:
	s_or_b32 exec_lo, exec_lo, s95
.LBB51_6852:
	s_delay_alu instid0(SALU_CYCLE_1)
	s_or_b32 exec_lo, exec_lo, s93
	flat_store_b8 v[2:3], v4
.LBB51_6853:
	s_wait_xcnt 0x0
	s_or_b32 exec_lo, exec_lo, s92
	s_delay_alu instid0(SALU_CYCLE_1)
	s_or_b32 s0, s0, exec_lo
.LBB51_6854:
	s_or_b32 exec_lo, exec_lo, s89
	s_delay_alu instid0(SALU_CYCLE_1)
	s_and_not1_b32 s89, s76, exec_lo
	s_and_b32 s91, s91, exec_lo
	s_and_b32 s0, s0, exec_lo
	s_or_b32 s89, s89, s91
                                        ; implicit-def: $vgpr1
                                        ; implicit-def: $vgpr22
                                        ; implicit-def: $vgpr2_vgpr3
.LBB51_6855:
	s_and_not1_saveexec_b32 s90, s90
	s_cbranch_execz .LBB51_6899
; %bb.6856:
	s_mov_b32 s92, s0
	s_mov_b32 s91, exec_lo
	v_cmpx_lt_i16_e32 22, v1
	s_xor_b32 s91, exec_lo, s91
	s_cbranch_execz .LBB51_6888
; %bb.6857:
	s_mov_b32 s92, exec_lo
	v_cmpx_lt_i16_e32 23, v1
	s_xor_b32 s92, exec_lo, s92
	s_cbranch_execz .LBB51_6877
; %bb.6858:
	;; [unrolled: 5-line block ×3, first 2 shown]
	v_and_b32_e32 v1, 0x7fffffff, v22
	v_mov_b32_e32 v4, 0x80
	s_mov_b32 s94, exec_lo
	s_delay_alu instid0(VALU_DEP_2)
	v_cmpx_gt_u32_e32 0x47800000, v1
	s_cbranch_execz .LBB51_6865
; %bb.6860:
	v_cmp_lt_u32_e32 vcc_lo, 0x37ffffff, v1
	s_mov_b32 s95, 0
                                        ; implicit-def: $vgpr1
	s_and_saveexec_b32 vcc_hi, vcc_lo
	s_delay_alu instid0(SALU_CYCLE_1)
	s_xor_b32 vcc_lo, exec_lo, vcc_hi
	s_cbranch_execnz .LBB51_7977
; %bb.6861:
	s_and_not1_saveexec_b32 vcc_hi, vcc_lo
	s_cbranch_execnz .LBB51_7978
.LBB51_6862:
	s_or_b32 exec_lo, exec_lo, vcc_hi
	v_mov_b32_e32 v4, 0
	s_and_saveexec_b32 vcc_lo, s95
.LBB51_6863:
	v_lshrrev_b32_e32 v4, 24, v22
	s_delay_alu instid0(VALU_DEP_1)
	v_and_or_b32 v4, 0x80, v4, v1
.LBB51_6864:
	s_or_b32 exec_lo, exec_lo, vcc_lo
.LBB51_6865:
	s_delay_alu instid0(SALU_CYCLE_1)
	s_or_b32 exec_lo, exec_lo, s94
	flat_store_b8 v[2:3], v4
                                        ; implicit-def: $vgpr22
                                        ; implicit-def: $vgpr2_vgpr3
.LBB51_6866:
	s_wait_xcnt 0x0
	s_and_not1_saveexec_b32 s93, s93
	s_cbranch_execz .LBB51_6876
; %bb.6867:
	v_and_b32_e32 v4, 0x7fffffff, v22
	s_mov_b32 s94, exec_lo
                                        ; implicit-def: $vgpr1
	s_delay_alu instid0(VALU_DEP_1)
	v_cmpx_gt_u32_e32 0x43f00000, v4
	s_xor_b32 s94, exec_lo, s94
	s_cbranch_execz .LBB51_6873
; %bb.6868:
	s_mov_b32 s95, exec_lo
                                        ; implicit-def: $vgpr1
	v_cmpx_lt_u32_e32 0x3c7fffff, v4
	s_xor_b32 s95, exec_lo, s95
; %bb.6869:
	v_bfe_u32 v1, v22, 20, 1
	s_delay_alu instid0(VALU_DEP_1) | instskip(NEXT) | instid1(VALU_DEP_1)
	v_add3_u32 v1, v22, v1, 0x407ffff
	v_and_b32_e32 v4, 0xff00000, v1
	v_lshrrev_b32_e32 v1, 20, v1
	s_delay_alu instid0(VALU_DEP_2) | instskip(NEXT) | instid1(VALU_DEP_2)
	v_cmp_ne_u32_e32 vcc_lo, 0x7f00000, v4
	v_cndmask_b32_e32 v1, 0x7e, v1, vcc_lo
; %bb.6870:
	s_and_not1_saveexec_b32 s95, s95
; %bb.6871:
	v_add_f32_e64 v1, 0x46800000, |v22|
; %bb.6872:
	s_or_b32 exec_lo, exec_lo, s95
                                        ; implicit-def: $vgpr4
.LBB51_6873:
	s_and_not1_saveexec_b32 s94, s94
; %bb.6874:
	v_mov_b32_e32 v1, 0x7f
	v_cmp_lt_u32_e32 vcc_lo, 0x7f800000, v4
	s_delay_alu instid0(VALU_DEP_2)
	v_cndmask_b32_e32 v1, 0x7e, v1, vcc_lo
; %bb.6875:
	s_or_b32 exec_lo, exec_lo, s94
	v_lshrrev_b32_e32 v4, 24, v22
	s_delay_alu instid0(VALU_DEP_1)
	v_and_or_b32 v1, 0x80, v4, v1
	flat_store_b8 v[2:3], v1
.LBB51_6876:
	s_wait_xcnt 0x0
	s_or_b32 exec_lo, exec_lo, s93
                                        ; implicit-def: $vgpr22
                                        ; implicit-def: $vgpr2_vgpr3
.LBB51_6877:
	s_and_not1_saveexec_b32 s92, s92
	s_cbranch_execz .LBB51_6887
; %bb.6878:
	v_and_b32_e32 v4, 0x7fffffff, v22
	s_mov_b32 s93, exec_lo
                                        ; implicit-def: $vgpr1
	s_delay_alu instid0(VALU_DEP_1)
	v_cmpx_gt_u32_e32 0x47800000, v4
	s_xor_b32 s93, exec_lo, s93
	s_cbranch_execz .LBB51_6884
; %bb.6879:
	s_mov_b32 s94, exec_lo
                                        ; implicit-def: $vgpr1
	v_cmpx_lt_u32_e32 0x387fffff, v4
	s_xor_b32 s94, exec_lo, s94
; %bb.6880:
	v_bfe_u32 v1, v22, 21, 1
	s_delay_alu instid0(VALU_DEP_1) | instskip(NEXT) | instid1(VALU_DEP_1)
	v_add3_u32 v1, v22, v1, 0x80fffff
	v_lshrrev_b32_e32 v1, 21, v1
; %bb.6881:
	s_and_not1_saveexec_b32 s94, s94
; %bb.6882:
	v_add_f32_e64 v1, 0x43000000, |v22|
; %bb.6883:
	s_or_b32 exec_lo, exec_lo, s94
                                        ; implicit-def: $vgpr4
.LBB51_6884:
	s_and_not1_saveexec_b32 s93, s93
; %bb.6885:
	v_mov_b32_e32 v1, 0x7f
	v_cmp_lt_u32_e32 vcc_lo, 0x7f800000, v4
	s_delay_alu instid0(VALU_DEP_2)
	v_cndmask_b32_e32 v1, 0x7c, v1, vcc_lo
; %bb.6886:
	s_or_b32 exec_lo, exec_lo, s93
	v_lshrrev_b32_e32 v4, 24, v22
	s_delay_alu instid0(VALU_DEP_1)
	v_and_or_b32 v1, 0x80, v4, v1
	flat_store_b8 v[2:3], v1
.LBB51_6887:
	s_wait_xcnt 0x0
	s_or_b32 exec_lo, exec_lo, s92
	s_delay_alu instid0(SALU_CYCLE_1)
	s_or_b32 s92, s0, exec_lo
                                        ; implicit-def: $vgpr1
                                        ; implicit-def: $vgpr22
                                        ; implicit-def: $vgpr2_vgpr3
.LBB51_6888:
	s_or_saveexec_b32 s91, s91
	s_mov_b32 s93, s89
	s_xor_b32 exec_lo, exec_lo, s91
	s_cbranch_execz .LBB51_6898
; %bb.6889:
	s_mov_b32 s93, s92
	s_mov_b32 s94, s89
	s_mov_b32 s95, exec_lo
	v_cmpx_lt_i16_e32 14, v1
	s_xor_b32 s95, exec_lo, s95
	s_cbranch_execz .LBB51_6893
; %bb.6890:
	s_mov_b32 vcc_hi, -1
	s_mov_b32 s93, s92
	s_mov_b32 s94, exec_lo
	v_cmpx_eq_u16_e32 15, v1
	s_cbranch_execz .LBB51_6892
; %bb.6891:
	v_bfe_u32 v1, v22, 16, 1
	v_cmp_o_f32_e32 vcc_lo, v22, v22
	s_xor_b32 vcc_hi, exec_lo, -1
	s_or_b32 s93, s92, exec_lo
	s_delay_alu instid0(VALU_DEP_2) | instskip(NEXT) | instid1(VALU_DEP_1)
	v_add3_u32 v1, v22, v1, 0x7fff
	v_lshrrev_b32_e32 v1, 16, v1
	s_delay_alu instid0(VALU_DEP_1)
	v_cndmask_b32_e32 v1, 0x7fc0, v1, vcc_lo
	flat_store_b16 v[2:3], v1
.LBB51_6892:
	s_wait_xcnt 0x0
	s_or_b32 exec_lo, exec_lo, s94
	s_delay_alu instid0(SALU_CYCLE_1)
	s_and_not1_b32 s94, s89, exec_lo
	s_and_b32 vcc_lo, vcc_hi, exec_lo
	s_and_not1_b32 vcc_hi, s92, exec_lo
	s_and_b32 s93, s93, exec_lo
	s_or_b32 s94, s94, vcc_lo
	s_or_b32 s93, vcc_hi, s93
                                        ; implicit-def: $vgpr1
                                        ; implicit-def: $vgpr22
                                        ; implicit-def: $vgpr2_vgpr3
.LBB51_6893:
	s_and_not1_saveexec_b32 s95, s95
	s_cbranch_execz .LBB51_6897
; %bb.6894:
	s_mov_b32 s30, -1
	s_mov_b32 vcc_hi, s93
	s_mov_b32 s31, exec_lo
	v_cmpx_eq_u16_e32 11, v1
	s_cbranch_execz .LBB51_6896
; %bb.6895:
	v_cmp_neq_f32_e32 vcc_lo, 0, v22
	s_xor_b32 s30, exec_lo, -1
	s_or_b32 vcc_hi, s93, exec_lo
	v_cndmask_b32_e64 v1, 0, 1, vcc_lo
	flat_store_b8 v[2:3], v1
.LBB51_6896:
	s_wait_xcnt 0x0
	s_or_b32 exec_lo, exec_lo, s31
	s_delay_alu instid0(SALU_CYCLE_1)
	s_and_not1_b32 s94, s94, exec_lo
	s_and_b32 vcc_lo, s30, exec_lo
	s_and_not1_b32 s93, s93, exec_lo
	s_and_b32 vcc_hi, vcc_hi, exec_lo
	s_or_b32 s94, s94, vcc_lo
	s_or_b32 s93, s93, vcc_hi
.LBB51_6897:
	s_or_b32 exec_lo, exec_lo, s95
	s_delay_alu instid0(SALU_CYCLE_1)
	s_and_not1_b32 s95, s89, exec_lo
	s_and_b32 s94, s94, exec_lo
	s_and_not1_b32 s92, s92, exec_lo
	s_and_b32 vcc_lo, s93, exec_lo
	s_or_b32 s93, s95, s94
	s_or_b32 s92, s92, vcc_lo
.LBB51_6898:
	s_or_b32 exec_lo, exec_lo, s91
	s_delay_alu instid0(SALU_CYCLE_1)
	s_and_not1_b32 s89, s89, exec_lo
	s_and_b32 s91, s93, exec_lo
	s_and_not1_b32 s0, s0, exec_lo
	s_and_b32 s92, s92, exec_lo
	s_or_b32 s89, s89, s91
	s_or_b32 s0, s0, s92
.LBB51_6899:
	s_or_b32 exec_lo, exec_lo, s90
	s_delay_alu instid0(SALU_CYCLE_1)
	s_and_not1_b32 s90, s76, exec_lo
	s_and_b32 s89, s89, exec_lo
	s_and_b32 s0, s0, exec_lo
	s_or_b32 s89, s90, s89
                                        ; implicit-def: $vgpr1
                                        ; implicit-def: $vgpr22
                                        ; implicit-def: $vgpr2_vgpr3
.LBB51_6900:
	s_and_not1_saveexec_b32 s78, s78
	s_cbranch_execz .LBB51_6942
; %bb.6901:
	s_mov_b32 s90, exec_lo
	v_cmpx_lt_i16_e32 4, v1
	s_xor_b32 s90, exec_lo, s90
	s_cbranch_execz .LBB51_6923
; %bb.6902:
	s_mov_b32 s91, exec_lo
	v_cmpx_lt_i16_e32 7, v1
	s_xor_b32 s91, exec_lo, s91
	s_cbranch_execz .LBB51_6912
; %bb.6903:
	s_mov_b32 s92, exec_lo
	v_cmpx_lt_i16_e32 8, v1
	s_xor_b32 s92, exec_lo, s92
	s_cbranch_execz .LBB51_6909
; %bb.6904:
	s_mov_b32 s93, exec_lo
	v_cmpx_lt_i16_e32 9, v1
	s_xor_b32 s93, exec_lo, s93
	s_cbranch_execz .LBB51_6906
; %bb.6905:
	v_cvt_f64_f32_e32 v[4:5], v22
	v_mov_b32_e32 v6, 0
                                        ; implicit-def: $vgpr22
	s_delay_alu instid0(VALU_DEP_1)
	v_mov_b32_e32 v7, v6
	flat_store_b128 v[2:3], v[4:7]
                                        ; implicit-def: $vgpr2_vgpr3
.LBB51_6906:
	s_wait_xcnt 0x0
	s_and_not1_saveexec_b32 s93, s93
	s_cbranch_execz .LBB51_6908
; %bb.6907:
	v_mov_b32_e32 v23, 0
	flat_store_b64 v[2:3], v[22:23]
.LBB51_6908:
	s_wait_xcnt 0x0
	s_or_b32 exec_lo, exec_lo, s93
                                        ; implicit-def: $vgpr22
                                        ; implicit-def: $vgpr2_vgpr3
.LBB51_6909:
	s_and_not1_saveexec_b32 s92, s92
	s_cbranch_execz .LBB51_6911
; %bb.6910:
	v_cvt_f16_f32_e32 v1, v22
	s_delay_alu instid0(VALU_DEP_1)
	v_and_b32_e32 v1, 0xffff, v1
	flat_store_b32 v[2:3], v1
.LBB51_6911:
	s_wait_xcnt 0x0
	s_or_b32 exec_lo, exec_lo, s92
                                        ; implicit-def: $vgpr22
                                        ; implicit-def: $vgpr2_vgpr3
                                        ; implicit-def: $vgpr1
.LBB51_6912:
	s_and_not1_saveexec_b32 s91, s91
	s_cbranch_execz .LBB51_6922
; %bb.6913:
	s_mov_b32 s92, exec_lo
	v_cmpx_lt_i16_e32 5, v1
	s_xor_b32 s92, exec_lo, s92
	s_cbranch_execz .LBB51_6919
; %bb.6914:
	s_mov_b32 s93, exec_lo
	v_cmpx_lt_i16_e32 6, v1
	s_xor_b32 s93, exec_lo, s93
	s_cbranch_execz .LBB51_6916
; %bb.6915:
	v_cvt_f64_f32_e32 v[4:5], v22
                                        ; implicit-def: $vgpr22
	flat_store_b64 v[2:3], v[4:5]
                                        ; implicit-def: $vgpr2_vgpr3
.LBB51_6916:
	s_wait_xcnt 0x0
	s_and_not1_saveexec_b32 s93, s93
	s_cbranch_execz .LBB51_6918
; %bb.6917:
	flat_store_b32 v[2:3], v22
.LBB51_6918:
	s_wait_xcnt 0x0
	s_or_b32 exec_lo, exec_lo, s93
                                        ; implicit-def: $vgpr22
                                        ; implicit-def: $vgpr2_vgpr3
.LBB51_6919:
	s_and_not1_saveexec_b32 s92, s92
	s_cbranch_execz .LBB51_6921
; %bb.6920:
	v_cvt_f16_f32_e32 v1, v22
	flat_store_b16 v[2:3], v1
.LBB51_6921:
	s_wait_xcnt 0x0
	s_or_b32 exec_lo, exec_lo, s92
.LBB51_6922:
	s_delay_alu instid0(SALU_CYCLE_1)
	s_or_b32 exec_lo, exec_lo, s91
                                        ; implicit-def: $vgpr1
                                        ; implicit-def: $vgpr22
                                        ; implicit-def: $vgpr2_vgpr3
.LBB51_6923:
	s_and_not1_saveexec_b32 s90, s90
	s_cbranch_execz .LBB51_6941
; %bb.6924:
	s_mov_b32 s91, exec_lo
	v_cmpx_lt_i16_e32 1, v1
	s_xor_b32 s91, exec_lo, s91
	s_cbranch_execz .LBB51_6934
; %bb.6925:
	s_mov_b32 s92, exec_lo
	v_cmpx_lt_i16_e32 2, v1
	s_xor_b32 s92, exec_lo, s92
	;; [unrolled: 5-line block ×3, first 2 shown]
	s_cbranch_execz .LBB51_6928
; %bb.6927:
	v_trunc_f32_e32 v1, v22
                                        ; implicit-def: $vgpr22
	s_delay_alu instid0(VALU_DEP_1) | instskip(NEXT) | instid1(VALU_DEP_1)
	v_mul_f32_e64 v4, 0x2f800000, |v1|
	v_floor_f32_e32 v5, v4
	v_ashrrev_i32_e32 v4, 31, v1
	s_delay_alu instid0(VALU_DEP_2) | instskip(SKIP_1) | instid1(VALU_DEP_3)
	v_fma_f32 v6, 0xcf800000, v5, |v1|
	v_cvt_u32_f32_e32 v1, v5
	v_mov_b32_e32 v5, v4
	s_delay_alu instid0(VALU_DEP_3) | instskip(NEXT) | instid1(VALU_DEP_3)
	v_cvt_u32_f32_e32 v6, v6
	v_xor_b32_e32 v7, v1, v4
	s_delay_alu instid0(VALU_DEP_2) | instskip(NEXT) | instid1(VALU_DEP_1)
	v_xor_b32_e32 v6, v6, v4
	v_sub_nc_u64_e32 v[4:5], v[6:7], v[4:5]
	flat_store_b64 v[2:3], v[4:5]
                                        ; implicit-def: $vgpr2_vgpr3
.LBB51_6928:
	s_wait_xcnt 0x0
	s_and_not1_saveexec_b32 s93, s93
	s_cbranch_execz .LBB51_6930
; %bb.6929:
	v_cvt_i32_f32_e32 v1, v22
	flat_store_b32 v[2:3], v1
.LBB51_6930:
	s_wait_xcnt 0x0
	s_or_b32 exec_lo, exec_lo, s93
                                        ; implicit-def: $vgpr22
                                        ; implicit-def: $vgpr2_vgpr3
.LBB51_6931:
	s_and_not1_saveexec_b32 s92, s92
	s_cbranch_execz .LBB51_6933
; %bb.6932:
	v_cvt_i32_f32_e32 v1, v22
	flat_store_b16 v[2:3], v1
.LBB51_6933:
	s_wait_xcnt 0x0
	s_or_b32 exec_lo, exec_lo, s92
                                        ; implicit-def: $vgpr22
                                        ; implicit-def: $vgpr2_vgpr3
                                        ; implicit-def: $vgpr1
.LBB51_6934:
	s_and_not1_saveexec_b32 s91, s91
	s_cbranch_execz .LBB51_6940
; %bb.6935:
	s_mov_b32 s92, exec_lo
	v_cmpx_lt_i16_e32 0, v1
	s_xor_b32 s92, exec_lo, s92
	s_cbranch_execz .LBB51_6937
; %bb.6936:
	v_cvt_i32_f32_e32 v1, v22
                                        ; implicit-def: $vgpr22
	flat_store_b8 v[2:3], v1
                                        ; implicit-def: $vgpr2_vgpr3
.LBB51_6937:
	s_wait_xcnt 0x0
	s_and_not1_saveexec_b32 s92, s92
	s_cbranch_execz .LBB51_6939
; %bb.6938:
	v_trunc_f32_e32 v1, v22
	s_delay_alu instid0(VALU_DEP_1) | instskip(NEXT) | instid1(VALU_DEP_1)
	v_mul_f32_e64 v4, 0x2f800000, |v1|
	v_floor_f32_e32 v4, v4
	s_delay_alu instid0(VALU_DEP_1) | instskip(SKIP_1) | instid1(VALU_DEP_2)
	v_fma_f32 v4, 0xcf800000, v4, |v1|
	v_ashrrev_i32_e32 v1, 31, v1
	v_cvt_u32_f32_e32 v4, v4
	s_delay_alu instid0(VALU_DEP_1) | instskip(NEXT) | instid1(VALU_DEP_1)
	v_xor_b32_e32 v4, v4, v1
	v_sub_nc_u32_e32 v1, v4, v1
	flat_store_b8 v[2:3], v1
.LBB51_6939:
	s_wait_xcnt 0x0
	s_or_b32 exec_lo, exec_lo, s92
.LBB51_6940:
	s_delay_alu instid0(SALU_CYCLE_1)
	s_or_b32 exec_lo, exec_lo, s91
.LBB51_6941:
	s_delay_alu instid0(SALU_CYCLE_1) | instskip(NEXT) | instid1(SALU_CYCLE_1)
	s_or_b32 exec_lo, exec_lo, s90
	s_or_b32 s0, s0, exec_lo
.LBB51_6942:
	s_or_b32 exec_lo, exec_lo, s78
	s_mov_b32 s90, 0
	s_mov_b32 s78, 0
	s_and_saveexec_b32 s91, s0
; %bb.6943:
	v_add_nc_u32_e32 v103, 0x200, v103
	s_mov_b32 s90, exec_lo
	s_delay_alu instid0(VALU_DEP_1)
	v_cmp_lt_i32_e32 vcc_lo, v103, v8
	s_and_b32 s78, vcc_lo, exec_lo
; %bb.6944:
	s_or_b32 exec_lo, exec_lo, s91
	s_delay_alu instid0(SALU_CYCLE_1)
	s_and_not1_b32 s0, s76, exec_lo
	s_and_b32 s89, s89, exec_lo
	s_and_b32 s91, s78, exec_lo
	s_or_b32 s78, s0, s89
	s_or_not1_b32 s90, s90, exec_lo
.LBB51_6945:
	s_or_b32 exec_lo, exec_lo, s79
	s_mov_b32 s0, 0
	s_mov_b32 s89, 0
                                        ; implicit-def: $vgpr4
                                        ; implicit-def: $vgpr2_vgpr3
	s_and_saveexec_b32 s79, s90
	s_cbranch_execz .LBB51_7807
; %bb.6946:
	s_mov_b32 s92, -1
	s_mov_b32 s90, 0
	s_mov_b32 s88, s78
	s_and_saveexec_b32 s89, s91
	s_cbranch_execz .LBB51_7074
; %bb.6947:
	v_dual_add_nc_u32 v1, s3, v103 :: v_dual_mov_b32 v3, 0
	s_mov_b32 s91, s78
	s_mov_b32 s88, exec_lo
	s_delay_alu instid0(VALU_DEP_1) | instskip(SKIP_1) | instid1(VALU_DEP_2)
	v_mul_lo_u32 v2, v1, v14
	v_and_b32_e32 v1, 0xff, v13
	v_add_nc_u64_e32 v[2:3], v[114:115], v[2:3]
	s_delay_alu instid0(VALU_DEP_2)
	v_cmpx_lt_i16_e32 10, v1
	s_xor_b32 s88, exec_lo, s88
	s_cbranch_execz .LBB51_7029
; %bb.6948:
	s_mov_b32 s91, s78
	s_mov_b32 s92, exec_lo
	v_cmpx_lt_i16_e32 25, v1
	s_xor_b32 s92, exec_lo, s92
	s_cbranch_execz .LBB51_6984
; %bb.6949:
	s_mov_b32 s93, s78
	s_mov_b32 s91, exec_lo
	;; [unrolled: 6-line block ×3, first 2 shown]
	v_cmpx_lt_i16_e32 43, v1
	s_xor_b32 s93, exec_lo, s93
	s_cbranch_execz .LBB51_6962
; %bb.6951:
	s_mov_b32 s94, 0
	s_mov_b32 s95, s78
	s_mov_b32 s0, exec_lo
	v_cmpx_lt_i16_e32 45, v1
	s_xor_b32 s0, exec_lo, s0
	s_cbranch_execz .LBB51_6955
; %bb.6952:
	s_mov_b32 vcc_hi, -1
	s_mov_b32 s95, exec_lo
	v_cmpx_eq_u16_e32 46, v1
	s_cbranch_execz .LBB51_6954
; %bb.6953:
	v_bfe_u32 v1, v20, 16, 1
	v_cmp_o_f32_e32 vcc_lo, v20, v20
	s_mov_b32 s94, exec_lo
	s_xor_b32 vcc_hi, exec_lo, -1
	s_delay_alu instid0(VALU_DEP_2) | instskip(NEXT) | instid1(VALU_DEP_1)
	v_add3_u32 v1, v20, v1, 0x7fff
	v_lshrrev_b32_e32 v1, 16, v1
	s_delay_alu instid0(VALU_DEP_1)
	v_cndmask_b32_e32 v1, 0x7fc0, v1, vcc_lo
	flat_store_b32 v[2:3], v1
.LBB51_6954:
	s_wait_xcnt 0x0
	s_or_b32 exec_lo, exec_lo, s95
	s_delay_alu instid0(SALU_CYCLE_1)
	s_and_not1_b32 s95, s78, exec_lo
	s_and_b32 vcc_lo, vcc_hi, exec_lo
	s_and_b32 s94, s94, exec_lo
	s_or_b32 s95, s95, vcc_lo
                                        ; implicit-def: $vgpr1
                                        ; implicit-def: $vgpr2_vgpr3
                                        ; implicit-def: $vgpr20
.LBB51_6955:
	s_and_not1_saveexec_b32 vcc_hi, s0
	s_cbranch_execz .LBB51_6961
; %bb.6956:
	s_mov_b32 s31, -1
	s_mov_b32 s0, s94
	s_mov_b32 s30, exec_lo
	v_cmpx_eq_u16_e32 44, v1
	s_cbranch_execz .LBB51_6960
; %bb.6957:
	v_bfe_u32 v4, v20, 23, 8
	v_mov_b32_e32 v1, 0xff
	s_mov_b32 s31, exec_lo
	s_delay_alu instid0(VALU_DEP_2)
	v_cmpx_ne_u32_e32 0xff, v4
	s_cbranch_execz .LBB51_6959
; %bb.6958:
	v_and_b32_e32 v1, 0x400000, v20
	v_and_or_b32 v4, 0x3fffff, v20, v4
	s_delay_alu instid0(VALU_DEP_2) | instskip(NEXT) | instid1(VALU_DEP_2)
	v_cmp_ne_u32_e32 vcc_lo, 0, v1
	v_cmp_ne_u32_e64 s0, 0, v4
	v_lshrrev_b32_e32 v1, 23, v20
	s_and_b32 s0, vcc_lo, s0
	s_delay_alu instid0(SALU_CYCLE_1) | instskip(NEXT) | instid1(VALU_DEP_1)
	v_cndmask_b32_e64 v4, 0, 1, s0
	v_add_nc_u32_e32 v1, v1, v4
.LBB51_6959:
	s_or_b32 exec_lo, exec_lo, s31
	s_delay_alu instid0(SALU_CYCLE_1)
	s_xor_b32 s31, exec_lo, -1
	s_or_b32 s0, s94, exec_lo
	flat_store_b8 v[2:3], v1
.LBB51_6960:
	s_wait_xcnt 0x0
	s_or_b32 exec_lo, exec_lo, s30
	s_delay_alu instid0(SALU_CYCLE_1)
	s_and_not1_b32 s95, s95, exec_lo
	s_and_b32 vcc_lo, s31, exec_lo
	s_and_not1_b32 s94, s94, exec_lo
	s_and_b32 s0, s0, exec_lo
	s_or_b32 s95, s95, vcc_lo
	s_or_b32 s94, s94, s0
.LBB51_6961:
	s_or_b32 exec_lo, exec_lo, vcc_hi
	s_delay_alu instid0(SALU_CYCLE_1) | instskip(SKIP_1) | instid1(SALU_CYCLE_1)
	s_and_not1_b32 s0, s78, exec_lo
	s_and_b32 s95, s95, exec_lo
                                        ; implicit-def: $vgpr1
                                        ; implicit-def: $vgpr20
                                        ; implicit-def: $vgpr2_vgpr3
	s_or_b32 s95, s0, s95
	s_and_b32 s0, s94, exec_lo
.LBB51_6962:
	s_and_not1_saveexec_b32 s93, s93
	s_cbranch_execz .LBB51_6966
; %bb.6963:
	s_mov_b32 s30, -1
	s_mov_b32 vcc_hi, s0
	s_mov_b32 s94, exec_lo
	v_cmpx_eq_u16_e32 29, v1
	s_cbranch_execz .LBB51_6965
; %bb.6964:
	v_trunc_f32_e32 v1, v20
	s_xor_b32 s30, exec_lo, -1
	s_or_b32 vcc_hi, s0, exec_lo
	s_delay_alu instid0(VALU_DEP_1) | instskip(NEXT) | instid1(VALU_DEP_1)
	v_mul_f32_e32 v4, 0x2f800000, v1
	v_floor_f32_e32 v4, v4
	s_delay_alu instid0(VALU_DEP_1) | instskip(SKIP_1) | instid1(VALU_DEP_2)
	v_fmamk_f32 v1, v4, 0xcf800000, v1
	v_cvt_u32_f32_e32 v5, v4
	v_cvt_u32_f32_e32 v4, v1
	flat_store_b64 v[2:3], v[4:5]
.LBB51_6965:
	s_wait_xcnt 0x0
	s_or_b32 exec_lo, exec_lo, s94
	s_delay_alu instid0(SALU_CYCLE_1)
	s_and_not1_b32 s94, s95, exec_lo
	s_and_b32 s95, s30, exec_lo
	s_and_not1_b32 s0, s0, exec_lo
	s_and_b32 vcc_lo, vcc_hi, exec_lo
	s_or_b32 s95, s94, s95
	s_or_b32 s0, s0, vcc_lo
.LBB51_6966:
	s_or_b32 exec_lo, exec_lo, s93
	s_delay_alu instid0(SALU_CYCLE_1)
	s_and_not1_b32 s93, s78, exec_lo
	s_and_b32 s94, s95, exec_lo
	s_and_b32 s0, s0, exec_lo
	s_or_b32 s93, s93, s94
                                        ; implicit-def: $vgpr2_vgpr3
                                        ; implicit-def: $vgpr1
                                        ; implicit-def: $vgpr20
.LBB51_6967:
	s_and_not1_saveexec_b32 s91, s91
	s_cbranch_execz .LBB51_6983
; %bb.6968:
	s_mov_b32 s94, exec_lo
	v_cmpx_lt_i16_e32 26, v1
	s_xor_b32 s94, exec_lo, s94
	s_cbranch_execz .LBB51_6974
; %bb.6969:
	v_cmp_lt_i16_e32 vcc_lo, 27, v1
	v_cvt_u32_f32_e32 v1, v20
	s_and_saveexec_b32 s95, vcc_lo
	s_delay_alu instid0(SALU_CYCLE_1)
	s_xor_b32 s95, exec_lo, s95
	s_cbranch_execz .LBB51_6971
; %bb.6970:
	flat_store_b32 v[2:3], v1
                                        ; implicit-def: $vgpr2_vgpr3
                                        ; implicit-def: $vgpr1
.LBB51_6971:
	s_wait_xcnt 0x0
	s_and_not1_saveexec_b32 s95, s95
	s_cbranch_execz .LBB51_6973
; %bb.6972:
	flat_store_b16 v[2:3], v1
.LBB51_6973:
	s_wait_xcnt 0x0
	s_or_b32 exec_lo, exec_lo, s95
                                        ; implicit-def: $vgpr2_vgpr3
                                        ; implicit-def: $vgpr20
.LBB51_6974:
	s_and_not1_saveexec_b32 s94, s94
	s_cbranch_execz .LBB51_6982
; %bb.6975:
	v_and_b32_e32 v1, 0x7fffffff, v20
	v_mov_b32_e32 v4, 0x80
	s_mov_b32 s95, exec_lo
	s_delay_alu instid0(VALU_DEP_2)
	v_cmpx_gt_u32_e32 0x43800000, v1
	s_cbranch_execz .LBB51_6981
; %bb.6976:
	v_cmp_lt_u32_e32 vcc_lo, 0x3bffffff, v1
	s_mov_b32 vcc_hi, 0
                                        ; implicit-def: $vgpr1
	s_and_saveexec_b32 s30, vcc_lo
	s_delay_alu instid0(SALU_CYCLE_1)
	s_xor_b32 vcc_lo, exec_lo, s30
	s_cbranch_execnz .LBB51_7979
; %bb.6977:
	s_and_not1_saveexec_b32 s30, vcc_lo
	s_cbranch_execnz .LBB51_7980
.LBB51_6978:
	s_or_b32 exec_lo, exec_lo, s30
	v_mov_b32_e32 v4, 0
	s_and_saveexec_b32 vcc_lo, vcc_hi
.LBB51_6979:
	v_lshrrev_b32_e32 v4, 24, v20
	s_delay_alu instid0(VALU_DEP_1)
	v_and_or_b32 v4, 0x80, v4, v1
.LBB51_6980:
	s_or_b32 exec_lo, exec_lo, vcc_lo
.LBB51_6981:
	s_delay_alu instid0(SALU_CYCLE_1)
	s_or_b32 exec_lo, exec_lo, s95
	flat_store_b8 v[2:3], v4
.LBB51_6982:
	s_wait_xcnt 0x0
	s_or_b32 exec_lo, exec_lo, s94
	s_delay_alu instid0(SALU_CYCLE_1)
	s_or_b32 s0, s0, exec_lo
.LBB51_6983:
	s_or_b32 exec_lo, exec_lo, s91
	s_delay_alu instid0(SALU_CYCLE_1)
	s_and_not1_b32 s91, s78, exec_lo
	s_and_b32 s93, s93, exec_lo
	s_and_b32 s0, s0, exec_lo
	s_or_b32 s91, s91, s93
                                        ; implicit-def: $vgpr1
                                        ; implicit-def: $vgpr20
                                        ; implicit-def: $vgpr2_vgpr3
.LBB51_6984:
	s_and_not1_saveexec_b32 s92, s92
	s_cbranch_execz .LBB51_7028
; %bb.6985:
	s_mov_b32 s94, s0
	s_mov_b32 s93, exec_lo
	v_cmpx_lt_i16_e32 22, v1
	s_xor_b32 s93, exec_lo, s93
	s_cbranch_execz .LBB51_7017
; %bb.6986:
	s_mov_b32 s94, exec_lo
	v_cmpx_lt_i16_e32 23, v1
	s_xor_b32 s94, exec_lo, s94
	s_cbranch_execz .LBB51_7006
; %bb.6987:
	;; [unrolled: 5-line block ×3, first 2 shown]
	v_and_b32_e32 v1, 0x7fffffff, v20
	v_mov_b32_e32 v4, 0x80
	s_mov_b32 vcc_hi, exec_lo
	s_delay_alu instid0(VALU_DEP_2)
	v_cmpx_gt_u32_e32 0x47800000, v1
	s_cbranch_execz .LBB51_6994
; %bb.6989:
	v_cmp_lt_u32_e32 vcc_lo, 0x37ffffff, v1
	s_mov_b32 s30, 0
                                        ; implicit-def: $vgpr1
	s_and_saveexec_b32 s31, vcc_lo
	s_delay_alu instid0(SALU_CYCLE_1)
	s_xor_b32 vcc_lo, exec_lo, s31
	s_cbranch_execnz .LBB51_7981
; %bb.6990:
	s_and_not1_saveexec_b32 s31, vcc_lo
	s_cbranch_execnz .LBB51_7982
.LBB51_6991:
	s_or_b32 exec_lo, exec_lo, s31
	v_mov_b32_e32 v4, 0
	s_and_saveexec_b32 vcc_lo, s30
.LBB51_6992:
	v_lshrrev_b32_e32 v4, 24, v20
	s_delay_alu instid0(VALU_DEP_1)
	v_and_or_b32 v4, 0x80, v4, v1
.LBB51_6993:
	s_or_b32 exec_lo, exec_lo, vcc_lo
.LBB51_6994:
	s_delay_alu instid0(SALU_CYCLE_1)
	s_or_b32 exec_lo, exec_lo, vcc_hi
	flat_store_b8 v[2:3], v4
                                        ; implicit-def: $vgpr20
                                        ; implicit-def: $vgpr2_vgpr3
.LBB51_6995:
	s_wait_xcnt 0x0
	s_and_not1_saveexec_b32 s95, s95
	s_cbranch_execz .LBB51_7005
; %bb.6996:
	v_and_b32_e32 v4, 0x7fffffff, v20
	s_mov_b32 vcc_hi, exec_lo
                                        ; implicit-def: $vgpr1
	s_delay_alu instid0(VALU_DEP_1)
	v_cmpx_gt_u32_e32 0x43f00000, v4
	s_xor_b32 vcc_hi, exec_lo, vcc_hi
	s_cbranch_execz .LBB51_7002
; %bb.6997:
	s_mov_b32 s30, exec_lo
                                        ; implicit-def: $vgpr1
	v_cmpx_lt_u32_e32 0x3c7fffff, v4
	s_xor_b32 s30, exec_lo, s30
; %bb.6998:
	v_bfe_u32 v1, v20, 20, 1
	s_delay_alu instid0(VALU_DEP_1) | instskip(NEXT) | instid1(VALU_DEP_1)
	v_add3_u32 v1, v20, v1, 0x407ffff
	v_and_b32_e32 v4, 0xff00000, v1
	v_lshrrev_b32_e32 v1, 20, v1
	s_delay_alu instid0(VALU_DEP_2) | instskip(NEXT) | instid1(VALU_DEP_2)
	v_cmp_ne_u32_e32 vcc_lo, 0x7f00000, v4
	v_cndmask_b32_e32 v1, 0x7e, v1, vcc_lo
; %bb.6999:
	s_and_not1_saveexec_b32 vcc_lo, s30
; %bb.7000:
	v_add_f32_e64 v1, 0x46800000, |v20|
; %bb.7001:
	s_or_b32 exec_lo, exec_lo, vcc_lo
                                        ; implicit-def: $vgpr4
.LBB51_7002:
	s_and_not1_saveexec_b32 vcc_hi, vcc_hi
; %bb.7003:
	v_mov_b32_e32 v1, 0x7f
	v_cmp_lt_u32_e32 vcc_lo, 0x7f800000, v4
	s_delay_alu instid0(VALU_DEP_2)
	v_cndmask_b32_e32 v1, 0x7e, v1, vcc_lo
; %bb.7004:
	s_or_b32 exec_lo, exec_lo, vcc_hi
	v_lshrrev_b32_e32 v4, 24, v20
	s_delay_alu instid0(VALU_DEP_1)
	v_and_or_b32 v1, 0x80, v4, v1
	flat_store_b8 v[2:3], v1
.LBB51_7005:
	s_wait_xcnt 0x0
	s_or_b32 exec_lo, exec_lo, s95
                                        ; implicit-def: $vgpr20
                                        ; implicit-def: $vgpr2_vgpr3
.LBB51_7006:
	s_and_not1_saveexec_b32 s94, s94
	s_cbranch_execz .LBB51_7016
; %bb.7007:
	v_and_b32_e32 v4, 0x7fffffff, v20
	s_mov_b32 s95, exec_lo
                                        ; implicit-def: $vgpr1
	s_delay_alu instid0(VALU_DEP_1)
	v_cmpx_gt_u32_e32 0x47800000, v4
	s_xor_b32 s95, exec_lo, s95
	s_cbranch_execz .LBB51_7013
; %bb.7008:
	v_cmp_lt_u32_e32 vcc_lo, 0x387fffff, v4
                                        ; implicit-def: $vgpr1
	s_and_saveexec_b32 vcc_hi, vcc_lo
	s_delay_alu instid0(SALU_CYCLE_1)
	s_xor_b32 vcc_lo, exec_lo, vcc_hi
; %bb.7009:
	v_bfe_u32 v1, v20, 21, 1
	s_delay_alu instid0(VALU_DEP_1) | instskip(NEXT) | instid1(VALU_DEP_1)
	v_add3_u32 v1, v20, v1, 0x80fffff
	v_lshrrev_b32_e32 v1, 21, v1
; %bb.7010:
	s_and_not1_saveexec_b32 vcc_lo, vcc_lo
; %bb.7011:
	v_add_f32_e64 v1, 0x43000000, |v20|
; %bb.7012:
	s_or_b32 exec_lo, exec_lo, vcc_lo
                                        ; implicit-def: $vgpr4
.LBB51_7013:
	s_and_not1_saveexec_b32 s95, s95
; %bb.7014:
	v_mov_b32_e32 v1, 0x7f
	v_cmp_lt_u32_e32 vcc_lo, 0x7f800000, v4
	s_delay_alu instid0(VALU_DEP_2)
	v_cndmask_b32_e32 v1, 0x7c, v1, vcc_lo
; %bb.7015:
	s_or_b32 exec_lo, exec_lo, s95
	v_lshrrev_b32_e32 v4, 24, v20
	s_delay_alu instid0(VALU_DEP_1)
	v_and_or_b32 v1, 0x80, v4, v1
	flat_store_b8 v[2:3], v1
.LBB51_7016:
	s_wait_xcnt 0x0
	s_or_b32 exec_lo, exec_lo, s94
	s_delay_alu instid0(SALU_CYCLE_1)
	s_or_b32 s94, s0, exec_lo
                                        ; implicit-def: $vgpr1
                                        ; implicit-def: $vgpr20
                                        ; implicit-def: $vgpr2_vgpr3
.LBB51_7017:
	s_or_saveexec_b32 s93, s93
	s_mov_b32 s95, s91
	s_xor_b32 exec_lo, exec_lo, s93
	s_cbranch_execz .LBB51_7027
; %bb.7018:
	s_mov_b32 s95, s94
	s_mov_b32 vcc_hi, s91
	s_mov_b32 s30, exec_lo
	v_cmpx_lt_i16_e32 14, v1
	s_xor_b32 s30, exec_lo, s30
	s_cbranch_execz .LBB51_7022
; %bb.7019:
	s_mov_b32 s31, -1
	s_mov_b32 s95, s94
	s_mov_b32 vcc_hi, exec_lo
	v_cmpx_eq_u16_e32 15, v1
	s_cbranch_execz .LBB51_7021
; %bb.7020:
	v_bfe_u32 v1, v20, 16, 1
	v_cmp_o_f32_e32 vcc_lo, v20, v20
	s_xor_b32 s31, exec_lo, -1
	s_or_b32 s95, s94, exec_lo
	s_delay_alu instid0(VALU_DEP_2) | instskip(NEXT) | instid1(VALU_DEP_1)
	v_add3_u32 v1, v20, v1, 0x7fff
	v_lshrrev_b32_e32 v1, 16, v1
	s_delay_alu instid0(VALU_DEP_1)
	v_cndmask_b32_e32 v1, 0x7fc0, v1, vcc_lo
	flat_store_b16 v[2:3], v1
.LBB51_7021:
	s_wait_xcnt 0x0
	s_or_b32 exec_lo, exec_lo, vcc_hi
	s_delay_alu instid0(SALU_CYCLE_1)
	s_and_not1_b32 vcc_lo, s91, exec_lo
	s_and_b32 vcc_hi, s31, exec_lo
	s_and_not1_b32 s31, s94, exec_lo
	s_and_b32 s95, s95, exec_lo
	s_or_b32 vcc_hi, vcc_lo, vcc_hi
	s_or_b32 s95, s31, s95
                                        ; implicit-def: $vgpr1
                                        ; implicit-def: $vgpr20
                                        ; implicit-def: $vgpr2_vgpr3
.LBB51_7022:
	s_and_not1_saveexec_b32 s30, s30
	s_cbranch_execz .LBB51_7026
; %bb.7023:
	s_mov_b32 s34, -1
	s_mov_b32 s31, s95
	s_mov_b32 s35, exec_lo
	v_cmpx_eq_u16_e32 11, v1
	s_cbranch_execz .LBB51_7025
; %bb.7024:
	v_cmp_neq_f32_e32 vcc_lo, 0, v20
	s_xor_b32 s34, exec_lo, -1
	s_or_b32 s31, s95, exec_lo
	v_cndmask_b32_e64 v1, 0, 1, vcc_lo
	flat_store_b8 v[2:3], v1
.LBB51_7025:
	s_wait_xcnt 0x0
	s_or_b32 exec_lo, exec_lo, s35
	s_delay_alu instid0(SALU_CYCLE_1)
	s_and_not1_b32 vcc_lo, vcc_hi, exec_lo
	s_and_b32 vcc_hi, s34, exec_lo
	s_and_not1_b32 s95, s95, exec_lo
	s_and_b32 s31, s31, exec_lo
	s_or_b32 vcc_hi, vcc_lo, vcc_hi
	s_or_b32 s95, s95, s31
.LBB51_7026:
	s_or_b32 exec_lo, exec_lo, s30
	s_delay_alu instid0(SALU_CYCLE_1)
	s_and_not1_b32 vcc_lo, s91, exec_lo
	s_and_b32 vcc_hi, vcc_hi, exec_lo
	s_and_not1_b32 s94, s94, exec_lo
	s_and_b32 s30, s95, exec_lo
	s_or_b32 s95, vcc_lo, vcc_hi
	s_or_b32 s94, s94, s30
.LBB51_7027:
	s_or_b32 exec_lo, exec_lo, s93
	s_delay_alu instid0(SALU_CYCLE_1)
	s_and_not1_b32 s91, s91, exec_lo
	s_and_b32 s93, s95, exec_lo
	s_and_not1_b32 s0, s0, exec_lo
	s_and_b32 s94, s94, exec_lo
	s_or_b32 s91, s91, s93
	s_or_b32 s0, s0, s94
.LBB51_7028:
	s_or_b32 exec_lo, exec_lo, s92
	s_delay_alu instid0(SALU_CYCLE_1)
	s_and_not1_b32 s92, s78, exec_lo
	s_and_b32 s91, s91, exec_lo
	s_and_b32 s0, s0, exec_lo
	s_or_b32 s91, s92, s91
                                        ; implicit-def: $vgpr1
                                        ; implicit-def: $vgpr20
                                        ; implicit-def: $vgpr2_vgpr3
.LBB51_7029:
	s_and_not1_saveexec_b32 s88, s88
	s_cbranch_execz .LBB51_7071
; %bb.7030:
	s_mov_b32 s92, exec_lo
	v_cmpx_lt_i16_e32 4, v1
	s_xor_b32 s92, exec_lo, s92
	s_cbranch_execz .LBB51_7052
; %bb.7031:
	s_mov_b32 s93, exec_lo
	v_cmpx_lt_i16_e32 7, v1
	s_xor_b32 s93, exec_lo, s93
	;; [unrolled: 5-line block ×4, first 2 shown]
	s_cbranch_execz .LBB51_7035
; %bb.7034:
	v_cvt_f64_f32_e32 v[4:5], v20
	v_mov_b32_e32 v6, 0
                                        ; implicit-def: $vgpr20
	s_delay_alu instid0(VALU_DEP_1)
	v_mov_b32_e32 v7, v6
	flat_store_b128 v[2:3], v[4:7]
                                        ; implicit-def: $vgpr2_vgpr3
.LBB51_7035:
	s_wait_xcnt 0x0
	s_and_not1_saveexec_b32 s95, s95
	s_cbranch_execz .LBB51_7037
; %bb.7036:
	v_mov_b32_e32 v21, 0
	flat_store_b64 v[2:3], v[20:21]
.LBB51_7037:
	s_wait_xcnt 0x0
	s_or_b32 exec_lo, exec_lo, s95
                                        ; implicit-def: $vgpr20
                                        ; implicit-def: $vgpr2_vgpr3
.LBB51_7038:
	s_and_not1_saveexec_b32 s94, s94
	s_cbranch_execz .LBB51_7040
; %bb.7039:
	v_cvt_f16_f32_e32 v1, v20
	s_delay_alu instid0(VALU_DEP_1)
	v_and_b32_e32 v1, 0xffff, v1
	flat_store_b32 v[2:3], v1
.LBB51_7040:
	s_wait_xcnt 0x0
	s_or_b32 exec_lo, exec_lo, s94
                                        ; implicit-def: $vgpr20
                                        ; implicit-def: $vgpr2_vgpr3
                                        ; implicit-def: $vgpr1
.LBB51_7041:
	s_and_not1_saveexec_b32 s93, s93
	s_cbranch_execz .LBB51_7051
; %bb.7042:
	s_mov_b32 s94, exec_lo
	v_cmpx_lt_i16_e32 5, v1
	s_xor_b32 s94, exec_lo, s94
	s_cbranch_execz .LBB51_7048
; %bb.7043:
	s_mov_b32 s95, exec_lo
	v_cmpx_lt_i16_e32 6, v1
	s_xor_b32 s95, exec_lo, s95
	s_cbranch_execz .LBB51_7045
; %bb.7044:
	v_cvt_f64_f32_e32 v[4:5], v20
                                        ; implicit-def: $vgpr20
	flat_store_b64 v[2:3], v[4:5]
                                        ; implicit-def: $vgpr2_vgpr3
.LBB51_7045:
	s_wait_xcnt 0x0
	s_and_not1_saveexec_b32 s95, s95
	s_cbranch_execz .LBB51_7047
; %bb.7046:
	flat_store_b32 v[2:3], v20
.LBB51_7047:
	s_wait_xcnt 0x0
	s_or_b32 exec_lo, exec_lo, s95
                                        ; implicit-def: $vgpr20
                                        ; implicit-def: $vgpr2_vgpr3
.LBB51_7048:
	s_and_not1_saveexec_b32 s94, s94
	s_cbranch_execz .LBB51_7050
; %bb.7049:
	v_cvt_f16_f32_e32 v1, v20
	flat_store_b16 v[2:3], v1
.LBB51_7050:
	s_wait_xcnt 0x0
	s_or_b32 exec_lo, exec_lo, s94
.LBB51_7051:
	s_delay_alu instid0(SALU_CYCLE_1)
	s_or_b32 exec_lo, exec_lo, s93
                                        ; implicit-def: $vgpr1
                                        ; implicit-def: $vgpr20
                                        ; implicit-def: $vgpr2_vgpr3
.LBB51_7052:
	s_and_not1_saveexec_b32 s92, s92
	s_cbranch_execz .LBB51_7070
; %bb.7053:
	s_mov_b32 s93, exec_lo
	v_cmpx_lt_i16_e32 1, v1
	s_xor_b32 s93, exec_lo, s93
	s_cbranch_execz .LBB51_7063
; %bb.7054:
	s_mov_b32 s94, exec_lo
	v_cmpx_lt_i16_e32 2, v1
	s_xor_b32 s94, exec_lo, s94
	;; [unrolled: 5-line block ×3, first 2 shown]
	s_cbranch_execz .LBB51_7057
; %bb.7056:
	v_trunc_f32_e32 v1, v20
                                        ; implicit-def: $vgpr20
	s_delay_alu instid0(VALU_DEP_1) | instskip(NEXT) | instid1(VALU_DEP_1)
	v_mul_f32_e64 v4, 0x2f800000, |v1|
	v_floor_f32_e32 v5, v4
	v_ashrrev_i32_e32 v4, 31, v1
	s_delay_alu instid0(VALU_DEP_2) | instskip(SKIP_1) | instid1(VALU_DEP_3)
	v_fma_f32 v6, 0xcf800000, v5, |v1|
	v_cvt_u32_f32_e32 v1, v5
	v_mov_b32_e32 v5, v4
	s_delay_alu instid0(VALU_DEP_3) | instskip(NEXT) | instid1(VALU_DEP_3)
	v_cvt_u32_f32_e32 v6, v6
	v_xor_b32_e32 v7, v1, v4
	s_delay_alu instid0(VALU_DEP_2) | instskip(NEXT) | instid1(VALU_DEP_1)
	v_xor_b32_e32 v6, v6, v4
	v_sub_nc_u64_e32 v[4:5], v[6:7], v[4:5]
	flat_store_b64 v[2:3], v[4:5]
                                        ; implicit-def: $vgpr2_vgpr3
.LBB51_7057:
	s_wait_xcnt 0x0
	s_and_not1_saveexec_b32 s95, s95
	s_cbranch_execz .LBB51_7059
; %bb.7058:
	v_cvt_i32_f32_e32 v1, v20
	flat_store_b32 v[2:3], v1
.LBB51_7059:
	s_wait_xcnt 0x0
	s_or_b32 exec_lo, exec_lo, s95
                                        ; implicit-def: $vgpr20
                                        ; implicit-def: $vgpr2_vgpr3
.LBB51_7060:
	s_and_not1_saveexec_b32 s94, s94
	s_cbranch_execz .LBB51_7062
; %bb.7061:
	v_cvt_i32_f32_e32 v1, v20
	flat_store_b16 v[2:3], v1
.LBB51_7062:
	s_wait_xcnt 0x0
	s_or_b32 exec_lo, exec_lo, s94
                                        ; implicit-def: $vgpr20
                                        ; implicit-def: $vgpr2_vgpr3
                                        ; implicit-def: $vgpr1
.LBB51_7063:
	s_and_not1_saveexec_b32 s93, s93
	s_cbranch_execz .LBB51_7069
; %bb.7064:
	s_mov_b32 s94, exec_lo
	v_cmpx_lt_i16_e32 0, v1
	s_xor_b32 s94, exec_lo, s94
	s_cbranch_execz .LBB51_7066
; %bb.7065:
	v_cvt_i32_f32_e32 v1, v20
                                        ; implicit-def: $vgpr20
	flat_store_b8 v[2:3], v1
                                        ; implicit-def: $vgpr2_vgpr3
.LBB51_7066:
	s_wait_xcnt 0x0
	s_and_not1_saveexec_b32 s94, s94
	s_cbranch_execz .LBB51_7068
; %bb.7067:
	v_trunc_f32_e32 v1, v20
	s_delay_alu instid0(VALU_DEP_1) | instskip(NEXT) | instid1(VALU_DEP_1)
	v_mul_f32_e64 v4, 0x2f800000, |v1|
	v_floor_f32_e32 v4, v4
	s_delay_alu instid0(VALU_DEP_1) | instskip(SKIP_1) | instid1(VALU_DEP_2)
	v_fma_f32 v4, 0xcf800000, v4, |v1|
	v_ashrrev_i32_e32 v1, 31, v1
	v_cvt_u32_f32_e32 v4, v4
	s_delay_alu instid0(VALU_DEP_1) | instskip(NEXT) | instid1(VALU_DEP_1)
	v_xor_b32_e32 v4, v4, v1
	v_sub_nc_u32_e32 v1, v4, v1
	flat_store_b8 v[2:3], v1
.LBB51_7068:
	s_wait_xcnt 0x0
	s_or_b32 exec_lo, exec_lo, s94
.LBB51_7069:
	s_delay_alu instid0(SALU_CYCLE_1)
	s_or_b32 exec_lo, exec_lo, s93
.LBB51_7070:
	s_delay_alu instid0(SALU_CYCLE_1) | instskip(NEXT) | instid1(SALU_CYCLE_1)
	s_or_b32 exec_lo, exec_lo, s92
	s_or_b32 s0, s0, exec_lo
.LBB51_7071:
	s_or_b32 exec_lo, exec_lo, s88
	s_mov_b32 s92, 0
	s_mov_b32 s88, 0
	s_and_saveexec_b32 s93, s0
; %bb.7072:
	v_add_nc_u32_e32 v103, 0x200, v103
	s_mov_b32 s92, exec_lo
	s_delay_alu instid0(VALU_DEP_1)
	v_cmp_lt_i32_e32 vcc_lo, v103, v8
	s_and_b32 s88, vcc_lo, exec_lo
; %bb.7073:
	s_or_b32 exec_lo, exec_lo, s93
	s_delay_alu instid0(SALU_CYCLE_1)
	s_and_not1_b32 s93, s78, exec_lo
	s_and_b32 s91, s91, exec_lo
	s_and_b32 s0, s88, exec_lo
	s_or_b32 s88, s93, s91
	s_or_not1_b32 s92, s92, exec_lo
.LBB51_7074:
	s_or_b32 exec_lo, exec_lo, s89
	s_mov_b32 s91, 0
	s_mov_b32 s93, 0
                                        ; implicit-def: $vgpr4
                                        ; implicit-def: $vgpr2_vgpr3
	s_and_saveexec_b32 s89, s92
	s_cbranch_execz .LBB51_7806
; %bb.7075:
	s_mov_b32 s94, -1
	s_mov_b32 s92, 0
	s_mov_b32 s90, s88
	;; [unrolled: 1-line block ×3, first 2 shown]
	s_and_saveexec_b32 s91, s0
	s_cbranch_execz .LBB51_7203
; %bb.7076:
	v_dual_add_nc_u32 v1, s3, v103 :: v_dual_mov_b32 v3, 0
	s_mov_b32 s0, 0
	s_mov_b32 s93, s88
	s_mov_b32 s90, exec_lo
	s_delay_alu instid0(VALU_DEP_1) | instskip(SKIP_1) | instid1(VALU_DEP_2)
	v_mul_lo_u32 v2, v1, v14
	v_and_b32_e32 v1, 0xff, v13
	v_add_nc_u64_e32 v[2:3], v[114:115], v[2:3]
	s_delay_alu instid0(VALU_DEP_2)
	v_cmpx_lt_i16_e32 10, v1
	s_xor_b32 s90, exec_lo, s90
	s_cbranch_execz .LBB51_7158
; %bb.7077:
	s_mov_b32 s93, s88
	s_mov_b32 s94, exec_lo
	v_cmpx_lt_i16_e32 25, v1
	s_xor_b32 s94, exec_lo, s94
	s_cbranch_execz .LBB51_7113
; %bb.7078:
	s_mov_b32 s95, s88
	s_mov_b32 s93, exec_lo
	;; [unrolled: 6-line block ×3, first 2 shown]
	v_cmpx_lt_i16_e32 43, v1
	s_xor_b32 s95, exec_lo, s95
	s_cbranch_execz .LBB51_7091
; %bb.7080:
	s_mov_b32 vcc_hi, 0
	s_mov_b32 s30, s88
	s_mov_b32 s0, exec_lo
	v_cmpx_lt_i16_e32 45, v1
	s_xor_b32 s0, exec_lo, s0
	s_cbranch_execz .LBB51_7084
; %bb.7081:
	s_mov_b32 s31, -1
	s_mov_b32 s30, exec_lo
	v_cmpx_eq_u16_e32 46, v1
	s_cbranch_execz .LBB51_7083
; %bb.7082:
	v_bfe_u32 v1, v18, 16, 1
	v_cmp_o_f32_e32 vcc_lo, v18, v18
	s_mov_b32 vcc_hi, exec_lo
	s_xor_b32 s31, exec_lo, -1
	s_delay_alu instid0(VALU_DEP_2) | instskip(NEXT) | instid1(VALU_DEP_1)
	v_add3_u32 v1, v18, v1, 0x7fff
	v_lshrrev_b32_e32 v1, 16, v1
	s_delay_alu instid0(VALU_DEP_1)
	v_cndmask_b32_e32 v1, 0x7fc0, v1, vcc_lo
	flat_store_b32 v[2:3], v1
.LBB51_7083:
	s_wait_xcnt 0x0
	s_or_b32 exec_lo, exec_lo, s30
	s_delay_alu instid0(SALU_CYCLE_1)
	s_and_not1_b32 vcc_lo, s88, exec_lo
	s_and_b32 s30, s31, exec_lo
	s_and_b32 vcc_hi, vcc_hi, exec_lo
	s_or_b32 s30, vcc_lo, s30
                                        ; implicit-def: $vgpr1
                                        ; implicit-def: $vgpr2_vgpr3
                                        ; implicit-def: $vgpr18
.LBB51_7084:
	s_and_not1_saveexec_b32 s31, s0
	s_cbranch_execz .LBB51_7090
; %bb.7085:
	s_mov_b32 s35, -1
	s_mov_b32 s0, vcc_hi
	s_mov_b32 s34, exec_lo
	v_cmpx_eq_u16_e32 44, v1
	s_cbranch_execz .LBB51_7089
; %bb.7086:
	v_bfe_u32 v4, v18, 23, 8
	v_mov_b32_e32 v1, 0xff
	s_mov_b32 s35, exec_lo
	s_delay_alu instid0(VALU_DEP_2)
	v_cmpx_ne_u32_e32 0xff, v4
	s_cbranch_execz .LBB51_7088
; %bb.7087:
	v_and_b32_e32 v1, 0x400000, v18
	v_and_or_b32 v4, 0x3fffff, v18, v4
	s_delay_alu instid0(VALU_DEP_2) | instskip(NEXT) | instid1(VALU_DEP_2)
	v_cmp_ne_u32_e32 vcc_lo, 0, v1
	v_cmp_ne_u32_e64 s0, 0, v4
	v_lshrrev_b32_e32 v1, 23, v18
	s_and_b32 s0, vcc_lo, s0
	s_delay_alu instid0(SALU_CYCLE_1) | instskip(NEXT) | instid1(VALU_DEP_1)
	v_cndmask_b32_e64 v4, 0, 1, s0
	v_add_nc_u32_e32 v1, v1, v4
.LBB51_7088:
	s_or_b32 exec_lo, exec_lo, s35
	s_delay_alu instid0(SALU_CYCLE_1)
	s_xor_b32 s35, exec_lo, -1
	s_or_b32 s0, vcc_hi, exec_lo
	flat_store_b8 v[2:3], v1
.LBB51_7089:
	s_wait_xcnt 0x0
	s_or_b32 exec_lo, exec_lo, s34
	s_delay_alu instid0(SALU_CYCLE_1)
	s_and_not1_b32 vcc_lo, s30, exec_lo
	s_and_b32 s30, s35, exec_lo
	s_and_not1_b32 vcc_hi, vcc_hi, exec_lo
	s_and_b32 s0, s0, exec_lo
	s_or_b32 s30, vcc_lo, s30
	s_or_b32 vcc_hi, vcc_hi, s0
.LBB51_7090:
	s_or_b32 exec_lo, exec_lo, s31
	s_delay_alu instid0(SALU_CYCLE_1) | instskip(SKIP_1) | instid1(SALU_CYCLE_1)
	s_and_not1_b32 s0, s88, exec_lo
	s_and_b32 vcc_lo, s30, exec_lo
                                        ; implicit-def: $vgpr1
                                        ; implicit-def: $vgpr18
                                        ; implicit-def: $vgpr2_vgpr3
	s_or_b32 s30, s0, vcc_lo
	s_and_b32 s0, vcc_hi, exec_lo
.LBB51_7091:
	s_and_not1_saveexec_b32 s95, s95
	s_cbranch_execz .LBB51_7095
; %bb.7092:
	s_mov_b32 s34, -1
	s_mov_b32 s31, s0
	s_mov_b32 vcc_hi, exec_lo
	v_cmpx_eq_u16_e32 29, v1
	s_cbranch_execz .LBB51_7094
; %bb.7093:
	v_trunc_f32_e32 v1, v18
	s_xor_b32 s34, exec_lo, -1
	s_or_b32 s31, s0, exec_lo
	s_delay_alu instid0(VALU_DEP_1) | instskip(NEXT) | instid1(VALU_DEP_1)
	v_mul_f32_e32 v4, 0x2f800000, v1
	v_floor_f32_e32 v4, v4
	s_delay_alu instid0(VALU_DEP_1) | instskip(SKIP_1) | instid1(VALU_DEP_2)
	v_fmamk_f32 v1, v4, 0xcf800000, v1
	v_cvt_u32_f32_e32 v5, v4
	v_cvt_u32_f32_e32 v4, v1
	flat_store_b64 v[2:3], v[4:5]
.LBB51_7094:
	s_wait_xcnt 0x0
	s_or_b32 exec_lo, exec_lo, vcc_hi
	s_delay_alu instid0(SALU_CYCLE_1)
	s_and_not1_b32 vcc_lo, s30, exec_lo
	s_and_b32 vcc_hi, s34, exec_lo
	s_and_not1_b32 s0, s0, exec_lo
	s_and_b32 s31, s31, exec_lo
	s_or_b32 s30, vcc_lo, vcc_hi
	s_or_b32 s0, s0, s31
.LBB51_7095:
	s_or_b32 exec_lo, exec_lo, s95
	s_delay_alu instid0(SALU_CYCLE_1)
	s_and_not1_b32 s95, s88, exec_lo
	s_and_b32 vcc_lo, s30, exec_lo
	s_and_b32 s0, s0, exec_lo
	s_or_b32 s95, s95, vcc_lo
                                        ; implicit-def: $vgpr2_vgpr3
                                        ; implicit-def: $vgpr1
                                        ; implicit-def: $vgpr18
.LBB51_7096:
	s_and_not1_saveexec_b32 s93, s93
	s_cbranch_execz .LBB51_7112
; %bb.7097:
	s_mov_b32 vcc_hi, exec_lo
	v_cmpx_lt_i16_e32 26, v1
	s_xor_b32 vcc_hi, exec_lo, vcc_hi
	s_cbranch_execz .LBB51_7103
; %bb.7098:
	v_cmp_lt_i16_e32 vcc_lo, 27, v1
	v_cvt_u32_f32_e32 v1, v18
	s_and_saveexec_b32 s30, vcc_lo
	s_delay_alu instid0(SALU_CYCLE_1)
	s_xor_b32 vcc_lo, exec_lo, s30
	s_cbranch_execz .LBB51_7100
; %bb.7099:
	flat_store_b32 v[2:3], v1
                                        ; implicit-def: $vgpr2_vgpr3
                                        ; implicit-def: $vgpr1
.LBB51_7100:
	s_wait_xcnt 0x0
	s_and_not1_saveexec_b32 vcc_lo, vcc_lo
	s_cbranch_execz .LBB51_7102
; %bb.7101:
	flat_store_b16 v[2:3], v1
.LBB51_7102:
	s_wait_xcnt 0x0
	s_or_b32 exec_lo, exec_lo, vcc_lo
                                        ; implicit-def: $vgpr2_vgpr3
                                        ; implicit-def: $vgpr18
.LBB51_7103:
	s_and_not1_saveexec_b32 vcc_hi, vcc_hi
	s_cbranch_execz .LBB51_7111
; %bb.7104:
	v_and_b32_e32 v1, 0x7fffffff, v18
	v_mov_b32_e32 v4, 0x80
	s_mov_b32 s30, exec_lo
	s_delay_alu instid0(VALU_DEP_2)
	v_cmpx_gt_u32_e32 0x43800000, v1
	s_cbranch_execz .LBB51_7110
; %bb.7105:
	v_cmp_lt_u32_e32 vcc_lo, 0x3bffffff, v1
	s_mov_b32 s31, 0
                                        ; implicit-def: $vgpr1
	s_and_saveexec_b32 s34, vcc_lo
	s_delay_alu instid0(SALU_CYCLE_1)
	s_xor_b32 vcc_lo, exec_lo, s34
	s_cbranch_execnz .LBB51_7983
; %bb.7106:
	s_and_not1_saveexec_b32 s34, vcc_lo
	s_cbranch_execnz .LBB51_7984
.LBB51_7107:
	s_or_b32 exec_lo, exec_lo, s34
	v_mov_b32_e32 v4, 0
	s_and_saveexec_b32 vcc_lo, s31
.LBB51_7108:
	v_lshrrev_b32_e32 v4, 24, v18
	s_delay_alu instid0(VALU_DEP_1)
	v_and_or_b32 v4, 0x80, v4, v1
.LBB51_7109:
	s_or_b32 exec_lo, exec_lo, vcc_lo
.LBB51_7110:
	s_delay_alu instid0(SALU_CYCLE_1)
	s_or_b32 exec_lo, exec_lo, s30
	flat_store_b8 v[2:3], v4
.LBB51_7111:
	s_wait_xcnt 0x0
	s_or_b32 exec_lo, exec_lo, vcc_hi
	s_delay_alu instid0(SALU_CYCLE_1)
	s_or_b32 s0, s0, exec_lo
.LBB51_7112:
	s_or_b32 exec_lo, exec_lo, s93
	s_delay_alu instid0(SALU_CYCLE_1)
	s_and_not1_b32 s93, s88, exec_lo
	s_and_b32 s95, s95, exec_lo
	s_and_b32 s0, s0, exec_lo
	s_or_b32 s93, s93, s95
                                        ; implicit-def: $vgpr1
                                        ; implicit-def: $vgpr18
                                        ; implicit-def: $vgpr2_vgpr3
.LBB51_7113:
	s_and_not1_saveexec_b32 s94, s94
	s_cbranch_execz .LBB51_7157
; %bb.7114:
	s_mov_b32 vcc_hi, s0
	s_mov_b32 s95, exec_lo
	v_cmpx_lt_i16_e32 22, v1
	s_xor_b32 s95, exec_lo, s95
	s_cbranch_execz .LBB51_7146
; %bb.7115:
	s_mov_b32 vcc_hi, exec_lo
	v_cmpx_lt_i16_e32 23, v1
	s_xor_b32 vcc_hi, exec_lo, vcc_hi
	s_cbranch_execz .LBB51_7135
; %bb.7116:
	s_mov_b32 s30, exec_lo
	v_cmpx_lt_i16_e32 24, v1
	s_xor_b32 s30, exec_lo, s30
	s_cbranch_execz .LBB51_7124
; %bb.7117:
	v_and_b32_e32 v1, 0x7fffffff, v18
	v_mov_b32_e32 v4, 0x80
	s_mov_b32 s31, exec_lo
	s_delay_alu instid0(VALU_DEP_2)
	v_cmpx_gt_u32_e32 0x47800000, v1
	s_cbranch_execz .LBB51_7123
; %bb.7118:
	v_cmp_lt_u32_e32 vcc_lo, 0x37ffffff, v1
	s_mov_b32 s34, 0
                                        ; implicit-def: $vgpr1
	s_and_saveexec_b32 s35, vcc_lo
	s_delay_alu instid0(SALU_CYCLE_1)
	s_xor_b32 vcc_lo, exec_lo, s35
	s_cbranch_execnz .LBB51_7985
; %bb.7119:
	s_and_not1_saveexec_b32 s35, vcc_lo
	s_cbranch_execnz .LBB51_7986
.LBB51_7120:
	s_or_b32 exec_lo, exec_lo, s35
	v_mov_b32_e32 v4, 0
	s_and_saveexec_b32 vcc_lo, s34
.LBB51_7121:
	v_lshrrev_b32_e32 v4, 24, v18
	s_delay_alu instid0(VALU_DEP_1)
	v_and_or_b32 v4, 0x80, v4, v1
.LBB51_7122:
	s_or_b32 exec_lo, exec_lo, vcc_lo
.LBB51_7123:
	s_delay_alu instid0(SALU_CYCLE_1)
	s_or_b32 exec_lo, exec_lo, s31
	flat_store_b8 v[2:3], v4
                                        ; implicit-def: $vgpr18
                                        ; implicit-def: $vgpr2_vgpr3
.LBB51_7124:
	s_wait_xcnt 0x0
	s_and_not1_saveexec_b32 s30, s30
	s_cbranch_execz .LBB51_7134
; %bb.7125:
	v_and_b32_e32 v4, 0x7fffffff, v18
	s_mov_b32 s31, exec_lo
                                        ; implicit-def: $vgpr1
	s_delay_alu instid0(VALU_DEP_1)
	v_cmpx_gt_u32_e32 0x43f00000, v4
	s_xor_b32 s31, exec_lo, s31
	s_cbranch_execz .LBB51_7131
; %bb.7126:
	s_mov_b32 s34, exec_lo
                                        ; implicit-def: $vgpr1
	v_cmpx_lt_u32_e32 0x3c7fffff, v4
	s_xor_b32 s34, exec_lo, s34
; %bb.7127:
	v_bfe_u32 v1, v18, 20, 1
	s_delay_alu instid0(VALU_DEP_1) | instskip(NEXT) | instid1(VALU_DEP_1)
	v_add3_u32 v1, v18, v1, 0x407ffff
	v_and_b32_e32 v4, 0xff00000, v1
	v_lshrrev_b32_e32 v1, 20, v1
	s_delay_alu instid0(VALU_DEP_2) | instskip(NEXT) | instid1(VALU_DEP_2)
	v_cmp_ne_u32_e32 vcc_lo, 0x7f00000, v4
	v_cndmask_b32_e32 v1, 0x7e, v1, vcc_lo
; %bb.7128:
	s_and_not1_saveexec_b32 vcc_lo, s34
; %bb.7129:
	v_add_f32_e64 v1, 0x46800000, |v18|
; %bb.7130:
	s_or_b32 exec_lo, exec_lo, vcc_lo
                                        ; implicit-def: $vgpr4
.LBB51_7131:
	s_and_not1_saveexec_b32 s31, s31
; %bb.7132:
	v_mov_b32_e32 v1, 0x7f
	v_cmp_lt_u32_e32 vcc_lo, 0x7f800000, v4
	s_delay_alu instid0(VALU_DEP_2)
	v_cndmask_b32_e32 v1, 0x7e, v1, vcc_lo
; %bb.7133:
	s_or_b32 exec_lo, exec_lo, s31
	v_lshrrev_b32_e32 v4, 24, v18
	s_delay_alu instid0(VALU_DEP_1)
	v_and_or_b32 v1, 0x80, v4, v1
	flat_store_b8 v[2:3], v1
.LBB51_7134:
	s_wait_xcnt 0x0
	s_or_b32 exec_lo, exec_lo, s30
                                        ; implicit-def: $vgpr18
                                        ; implicit-def: $vgpr2_vgpr3
.LBB51_7135:
	s_and_not1_saveexec_b32 vcc_hi, vcc_hi
	s_cbranch_execz .LBB51_7145
; %bb.7136:
	v_and_b32_e32 v4, 0x7fffffff, v18
	s_mov_b32 s30, exec_lo
                                        ; implicit-def: $vgpr1
	s_delay_alu instid0(VALU_DEP_1)
	v_cmpx_gt_u32_e32 0x47800000, v4
	s_xor_b32 s30, exec_lo, s30
	s_cbranch_execz .LBB51_7142
; %bb.7137:
	v_cmp_lt_u32_e32 vcc_lo, 0x387fffff, v4
                                        ; implicit-def: $vgpr1
	s_and_saveexec_b32 s31, vcc_lo
	s_delay_alu instid0(SALU_CYCLE_1)
	s_xor_b32 vcc_lo, exec_lo, s31
; %bb.7138:
	v_bfe_u32 v1, v18, 21, 1
	s_delay_alu instid0(VALU_DEP_1) | instskip(NEXT) | instid1(VALU_DEP_1)
	v_add3_u32 v1, v18, v1, 0x80fffff
	v_lshrrev_b32_e32 v1, 21, v1
; %bb.7139:
	s_and_not1_saveexec_b32 vcc_lo, vcc_lo
; %bb.7140:
	v_add_f32_e64 v1, 0x43000000, |v18|
; %bb.7141:
	s_or_b32 exec_lo, exec_lo, vcc_lo
                                        ; implicit-def: $vgpr4
.LBB51_7142:
	s_and_not1_saveexec_b32 s30, s30
; %bb.7143:
	v_mov_b32_e32 v1, 0x7f
	v_cmp_lt_u32_e32 vcc_lo, 0x7f800000, v4
	s_delay_alu instid0(VALU_DEP_2)
	v_cndmask_b32_e32 v1, 0x7c, v1, vcc_lo
; %bb.7144:
	s_or_b32 exec_lo, exec_lo, s30
	v_lshrrev_b32_e32 v4, 24, v18
	s_delay_alu instid0(VALU_DEP_1)
	v_and_or_b32 v1, 0x80, v4, v1
	flat_store_b8 v[2:3], v1
.LBB51_7145:
	s_wait_xcnt 0x0
	s_or_b32 exec_lo, exec_lo, vcc_hi
	s_delay_alu instid0(SALU_CYCLE_1)
	s_or_b32 vcc_hi, s0, exec_lo
                                        ; implicit-def: $vgpr1
                                        ; implicit-def: $vgpr18
                                        ; implicit-def: $vgpr2_vgpr3
.LBB51_7146:
	s_or_saveexec_b32 s95, s95
	s_mov_b32 vcc_lo, s93
	s_xor_b32 exec_lo, exec_lo, s95
	s_cbranch_execz .LBB51_7156
; %bb.7147:
	s_mov_b32 s30, vcc_hi
	s_mov_b32 s31, s93
	s_mov_b32 s34, exec_lo
	v_cmpx_lt_i16_e32 14, v1
	s_xor_b32 s34, exec_lo, s34
	s_cbranch_execz .LBB51_7151
; %bb.7148:
	s_mov_b32 s35, -1
	s_mov_b32 s30, vcc_hi
	s_mov_b32 s31, exec_lo
	v_cmpx_eq_u16_e32 15, v1
	s_cbranch_execz .LBB51_7150
; %bb.7149:
	v_bfe_u32 v1, v18, 16, 1
	v_cmp_o_f32_e32 vcc_lo, v18, v18
	s_xor_b32 s35, exec_lo, -1
	s_or_b32 s30, vcc_hi, exec_lo
	s_delay_alu instid0(VALU_DEP_2) | instskip(NEXT) | instid1(VALU_DEP_1)
	v_add3_u32 v1, v18, v1, 0x7fff
	v_lshrrev_b32_e32 v1, 16, v1
	s_delay_alu instid0(VALU_DEP_1)
	v_cndmask_b32_e32 v1, 0x7fc0, v1, vcc_lo
	flat_store_b16 v[2:3], v1
.LBB51_7150:
	s_wait_xcnt 0x0
	s_or_b32 exec_lo, exec_lo, s31
	s_delay_alu instid0(SALU_CYCLE_1)
	s_and_not1_b32 vcc_lo, s93, exec_lo
	s_and_b32 s31, s35, exec_lo
	s_and_not1_b32 s35, vcc_hi, exec_lo
	s_and_b32 s30, s30, exec_lo
	s_or_b32 s31, vcc_lo, s31
	s_or_b32 s30, s35, s30
                                        ; implicit-def: $vgpr1
                                        ; implicit-def: $vgpr18
                                        ; implicit-def: $vgpr2_vgpr3
.LBB51_7151:
	s_and_not1_saveexec_b32 s34, s34
	s_cbranch_execz .LBB51_7155
; %bb.7152:
	s_mov_b32 s36, -1
	s_mov_b32 s35, s30
	s_mov_b32 s37, exec_lo
	v_cmpx_eq_u16_e32 11, v1
	s_cbranch_execz .LBB51_7154
; %bb.7153:
	v_cmp_neq_f32_e32 vcc_lo, 0, v18
	s_xor_b32 s36, exec_lo, -1
	s_or_b32 s35, s30, exec_lo
	v_cndmask_b32_e64 v1, 0, 1, vcc_lo
	flat_store_b8 v[2:3], v1
.LBB51_7154:
	s_wait_xcnt 0x0
	s_or_b32 exec_lo, exec_lo, s37
	s_delay_alu instid0(SALU_CYCLE_1)
	s_and_not1_b32 vcc_lo, s31, exec_lo
	s_and_b32 s31, s36, exec_lo
	s_and_not1_b32 s30, s30, exec_lo
	s_and_b32 s35, s35, exec_lo
	s_or_b32 s31, vcc_lo, s31
	s_or_b32 s30, s30, s35
.LBB51_7155:
	s_or_b32 exec_lo, exec_lo, s34
	s_delay_alu instid0(SALU_CYCLE_1)
	s_and_not1_b32 vcc_lo, s93, exec_lo
	s_and_b32 s31, s31, exec_lo
	s_and_not1_b32 vcc_hi, vcc_hi, exec_lo
	s_and_b32 s30, s30, exec_lo
	s_or_b32 vcc_lo, vcc_lo, s31
	s_or_b32 vcc_hi, vcc_hi, s30
.LBB51_7156:
	s_or_b32 exec_lo, exec_lo, s95
	s_delay_alu instid0(SALU_CYCLE_1)
	s_and_not1_b32 s93, s93, exec_lo
	s_and_b32 s95, vcc_lo, exec_lo
	s_and_not1_b32 s0, s0, exec_lo
	s_and_b32 vcc_lo, vcc_hi, exec_lo
	s_or_b32 s93, s93, s95
	s_or_b32 s0, s0, vcc_lo
.LBB51_7157:
	s_or_b32 exec_lo, exec_lo, s94
	s_delay_alu instid0(SALU_CYCLE_1)
	s_and_not1_b32 s94, s88, exec_lo
	s_and_b32 s93, s93, exec_lo
	s_and_b32 s0, s0, exec_lo
	s_or_b32 s93, s94, s93
                                        ; implicit-def: $vgpr1
                                        ; implicit-def: $vgpr18
                                        ; implicit-def: $vgpr2_vgpr3
.LBB51_7158:
	s_and_not1_saveexec_b32 s90, s90
	s_cbranch_execz .LBB51_7200
; %bb.7159:
	s_mov_b32 s94, exec_lo
	v_cmpx_lt_i16_e32 4, v1
	s_xor_b32 s94, exec_lo, s94
	s_cbranch_execz .LBB51_7181
; %bb.7160:
	s_mov_b32 s95, exec_lo
	v_cmpx_lt_i16_e32 7, v1
	s_xor_b32 s95, exec_lo, s95
	s_cbranch_execz .LBB51_7170
; %bb.7161:
	s_mov_b32 vcc_hi, exec_lo
	v_cmpx_lt_i16_e32 8, v1
	s_xor_b32 vcc_hi, exec_lo, vcc_hi
	s_cbranch_execz .LBB51_7167
; %bb.7162:
	v_cmp_lt_i16_e32 vcc_lo, 9, v1
	s_and_saveexec_b32 s30, vcc_lo
	s_delay_alu instid0(SALU_CYCLE_1)
	s_xor_b32 vcc_lo, exec_lo, s30
	s_cbranch_execz .LBB51_7164
; %bb.7163:
	v_cvt_f64_f32_e32 v[4:5], v18
	v_mov_b32_e32 v6, 0
                                        ; implicit-def: $vgpr18
	s_delay_alu instid0(VALU_DEP_1)
	v_mov_b32_e32 v7, v6
	flat_store_b128 v[2:3], v[4:7]
                                        ; implicit-def: $vgpr2_vgpr3
.LBB51_7164:
	s_wait_xcnt 0x0
	s_and_not1_saveexec_b32 vcc_lo, vcc_lo
	s_cbranch_execz .LBB51_7166
; %bb.7165:
	v_mov_b32_e32 v19, 0
	flat_store_b64 v[2:3], v[18:19]
.LBB51_7166:
	s_wait_xcnt 0x0
	s_or_b32 exec_lo, exec_lo, vcc_lo
                                        ; implicit-def: $vgpr18
                                        ; implicit-def: $vgpr2_vgpr3
.LBB51_7167:
	s_and_not1_saveexec_b32 vcc_lo, vcc_hi
	s_cbranch_execz .LBB51_7169
; %bb.7168:
	v_cvt_f16_f32_e32 v1, v18
	s_delay_alu instid0(VALU_DEP_1)
	v_and_b32_e32 v1, 0xffff, v1
	flat_store_b32 v[2:3], v1
.LBB51_7169:
	s_wait_xcnt 0x0
	s_or_b32 exec_lo, exec_lo, vcc_lo
                                        ; implicit-def: $vgpr18
                                        ; implicit-def: $vgpr2_vgpr3
                                        ; implicit-def: $vgpr1
.LBB51_7170:
	s_and_not1_saveexec_b32 s95, s95
	s_cbranch_execz .LBB51_7180
; %bb.7171:
	s_mov_b32 vcc_hi, exec_lo
	v_cmpx_lt_i16_e32 5, v1
	s_xor_b32 vcc_hi, exec_lo, vcc_hi
	s_cbranch_execz .LBB51_7177
; %bb.7172:
	v_cmp_lt_i16_e32 vcc_lo, 6, v1
	s_and_saveexec_b32 s30, vcc_lo
	s_delay_alu instid0(SALU_CYCLE_1)
	s_xor_b32 vcc_lo, exec_lo, s30
	s_cbranch_execz .LBB51_7174
; %bb.7173:
	v_cvt_f64_f32_e32 v[4:5], v18
                                        ; implicit-def: $vgpr18
	flat_store_b64 v[2:3], v[4:5]
                                        ; implicit-def: $vgpr2_vgpr3
.LBB51_7174:
	s_wait_xcnt 0x0
	s_and_not1_saveexec_b32 vcc_lo, vcc_lo
	s_cbranch_execz .LBB51_7176
; %bb.7175:
	flat_store_b32 v[2:3], v18
.LBB51_7176:
	s_wait_xcnt 0x0
	s_or_b32 exec_lo, exec_lo, vcc_lo
                                        ; implicit-def: $vgpr18
                                        ; implicit-def: $vgpr2_vgpr3
.LBB51_7177:
	s_and_not1_saveexec_b32 vcc_lo, vcc_hi
	s_cbranch_execz .LBB51_7179
; %bb.7178:
	v_cvt_f16_f32_e32 v1, v18
	flat_store_b16 v[2:3], v1
.LBB51_7179:
	s_wait_xcnt 0x0
	s_or_b32 exec_lo, exec_lo, vcc_lo
.LBB51_7180:
	s_delay_alu instid0(SALU_CYCLE_1)
	s_or_b32 exec_lo, exec_lo, s95
                                        ; implicit-def: $vgpr1
                                        ; implicit-def: $vgpr18
                                        ; implicit-def: $vgpr2_vgpr3
.LBB51_7181:
	s_and_not1_saveexec_b32 s94, s94
	s_cbranch_execz .LBB51_7199
; %bb.7182:
	s_mov_b32 s95, exec_lo
	v_cmpx_lt_i16_e32 1, v1
	s_xor_b32 s95, exec_lo, s95
	s_cbranch_execz .LBB51_7192
; %bb.7183:
	s_mov_b32 vcc_hi, exec_lo
	v_cmpx_lt_i16_e32 2, v1
	s_xor_b32 vcc_hi, exec_lo, vcc_hi
	s_cbranch_execz .LBB51_7189
; %bb.7184:
	v_cmp_lt_i16_e32 vcc_lo, 3, v1
	s_and_saveexec_b32 s30, vcc_lo
	s_delay_alu instid0(SALU_CYCLE_1)
	s_xor_b32 vcc_lo, exec_lo, s30
	s_cbranch_execz .LBB51_7186
; %bb.7185:
	v_trunc_f32_e32 v1, v18
                                        ; implicit-def: $vgpr18
	s_delay_alu instid0(VALU_DEP_1) | instskip(NEXT) | instid1(VALU_DEP_1)
	v_mul_f32_e64 v4, 0x2f800000, |v1|
	v_floor_f32_e32 v5, v4
	v_ashrrev_i32_e32 v4, 31, v1
	s_delay_alu instid0(VALU_DEP_2) | instskip(SKIP_1) | instid1(VALU_DEP_3)
	v_fma_f32 v6, 0xcf800000, v5, |v1|
	v_cvt_u32_f32_e32 v1, v5
	v_mov_b32_e32 v5, v4
	s_delay_alu instid0(VALU_DEP_3) | instskip(NEXT) | instid1(VALU_DEP_3)
	v_cvt_u32_f32_e32 v6, v6
	v_xor_b32_e32 v7, v1, v4
	s_delay_alu instid0(VALU_DEP_2) | instskip(NEXT) | instid1(VALU_DEP_1)
	v_xor_b32_e32 v6, v6, v4
	v_sub_nc_u64_e32 v[4:5], v[6:7], v[4:5]
	flat_store_b64 v[2:3], v[4:5]
                                        ; implicit-def: $vgpr2_vgpr3
.LBB51_7186:
	s_wait_xcnt 0x0
	s_and_not1_saveexec_b32 vcc_lo, vcc_lo
	s_cbranch_execz .LBB51_7188
; %bb.7187:
	v_cvt_i32_f32_e32 v1, v18
	flat_store_b32 v[2:3], v1
.LBB51_7188:
	s_wait_xcnt 0x0
	s_or_b32 exec_lo, exec_lo, vcc_lo
                                        ; implicit-def: $vgpr18
                                        ; implicit-def: $vgpr2_vgpr3
.LBB51_7189:
	s_and_not1_saveexec_b32 vcc_lo, vcc_hi
	s_cbranch_execz .LBB51_7191
; %bb.7190:
	v_cvt_i32_f32_e32 v1, v18
	flat_store_b16 v[2:3], v1
.LBB51_7191:
	s_wait_xcnt 0x0
	s_or_b32 exec_lo, exec_lo, vcc_lo
                                        ; implicit-def: $vgpr18
                                        ; implicit-def: $vgpr2_vgpr3
                                        ; implicit-def: $vgpr1
.LBB51_7192:
	s_and_not1_saveexec_b32 s95, s95
	s_cbranch_execz .LBB51_7198
; %bb.7193:
	v_cmp_lt_i16_e32 vcc_lo, 0, v1
	s_and_saveexec_b32 vcc_hi, vcc_lo
	s_delay_alu instid0(SALU_CYCLE_1)
	s_xor_b32 vcc_lo, exec_lo, vcc_hi
	s_cbranch_execz .LBB51_7195
; %bb.7194:
	v_cvt_i32_f32_e32 v1, v18
                                        ; implicit-def: $vgpr18
	flat_store_b8 v[2:3], v1
                                        ; implicit-def: $vgpr2_vgpr3
.LBB51_7195:
	s_wait_xcnt 0x0
	s_and_not1_saveexec_b32 vcc_lo, vcc_lo
	s_cbranch_execz .LBB51_7197
; %bb.7196:
	v_trunc_f32_e32 v1, v18
	s_delay_alu instid0(VALU_DEP_1) | instskip(NEXT) | instid1(VALU_DEP_1)
	v_mul_f32_e64 v4, 0x2f800000, |v1|
	v_floor_f32_e32 v4, v4
	s_delay_alu instid0(VALU_DEP_1) | instskip(SKIP_1) | instid1(VALU_DEP_2)
	v_fma_f32 v4, 0xcf800000, v4, |v1|
	v_ashrrev_i32_e32 v1, 31, v1
	v_cvt_u32_f32_e32 v4, v4
	s_delay_alu instid0(VALU_DEP_1) | instskip(NEXT) | instid1(VALU_DEP_1)
	v_xor_b32_e32 v4, v4, v1
	v_sub_nc_u32_e32 v1, v4, v1
	flat_store_b8 v[2:3], v1
.LBB51_7197:
	s_wait_xcnt 0x0
	s_or_b32 exec_lo, exec_lo, vcc_lo
.LBB51_7198:
	s_delay_alu instid0(SALU_CYCLE_1)
	s_or_b32 exec_lo, exec_lo, s95
.LBB51_7199:
	s_delay_alu instid0(SALU_CYCLE_1) | instskip(NEXT) | instid1(SALU_CYCLE_1)
	s_or_b32 exec_lo, exec_lo, s94
	s_or_b32 s0, s0, exec_lo
.LBB51_7200:
	s_or_b32 exec_lo, exec_lo, s90
	s_mov_b32 s94, 0
	s_mov_b32 s90, 0
	s_and_saveexec_b32 s95, s0
; %bb.7201:
	v_add_nc_u32_e32 v103, 0x200, v103
	s_mov_b32 s94, exec_lo
	s_delay_alu instid0(VALU_DEP_1)
	v_cmp_lt_i32_e32 vcc_lo, v103, v8
	s_and_b32 s90, vcc_lo, exec_lo
; %bb.7202:
	s_or_b32 exec_lo, exec_lo, s95
	s_delay_alu instid0(SALU_CYCLE_1)
	s_and_not1_b32 s0, s88, exec_lo
	s_and_b32 s93, s93, exec_lo
	s_and_b32 s95, s90, exec_lo
	s_or_b32 s90, s0, s93
	s_or_not1_b32 s94, s94, exec_lo
.LBB51_7203:
	s_or_b32 exec_lo, exec_lo, s91
	s_mov_b32 s0, 0
	s_mov_b32 s93, 0
                                        ; implicit-def: $vgpr4
                                        ; implicit-def: $vgpr2_vgpr3
	s_and_saveexec_b32 s91, s94
	s_cbranch_execz .LBB51_7805
; %bb.7204:
	s_mov_b32 vcc_hi, -1
	s_mov_b32 s94, 0
	s_mov_b32 s92, s90
	s_and_saveexec_b32 s93, s95
	s_cbranch_execz .LBB51_7332
; %bb.7205:
	v_dual_add_nc_u32 v1, s3, v103 :: v_dual_mov_b32 v3, 0
	s_mov_b32 s95, s90
	s_mov_b32 s92, exec_lo
	s_delay_alu instid0(VALU_DEP_1) | instskip(SKIP_1) | instid1(VALU_DEP_2)
	v_mul_lo_u32 v2, v1, v14
	v_and_b32_e32 v1, 0xff, v13
	v_add_nc_u64_e32 v[2:3], v[114:115], v[2:3]
	s_delay_alu instid0(VALU_DEP_2)
	v_cmpx_lt_i16_e32 10, v1
	s_xor_b32 s92, exec_lo, s92
	s_cbranch_execz .LBB51_7287
; %bb.7206:
	s_mov_b32 s95, s90
	s_mov_b32 vcc_hi, exec_lo
	v_cmpx_lt_i16_e32 25, v1
	s_xor_b32 vcc_hi, exec_lo, vcc_hi
	s_cbranch_execz .LBB51_7242
; %bb.7207:
	s_mov_b32 s30, s90
	s_mov_b32 s95, exec_lo
	v_cmpx_lt_i16_e32 28, v1
	s_xor_b32 s95, exec_lo, s95
	s_cbranch_execz .LBB51_7225
; %bb.7208:
	s_mov_b32 s34, s90
	s_mov_b32 s30, exec_lo
	v_cmpx_lt_i16_e32 43, v1
	s_xor_b32 s30, exec_lo, s30
	s_cbranch_execz .LBB51_7220
; %bb.7209:
	s_mov_b32 s31, 0
	s_mov_b32 s34, s90
	s_mov_b32 s0, exec_lo
	v_cmpx_lt_i16_e32 45, v1
	s_xor_b32 s0, exec_lo, s0
	s_cbranch_execz .LBB51_7213
; %bb.7210:
	s_mov_b32 s35, -1
	s_mov_b32 s34, exec_lo
	v_cmpx_eq_u16_e32 46, v1
	s_cbranch_execz .LBB51_7212
; %bb.7211:
	v_bfe_u32 v1, v16, 16, 1
	v_cmp_o_f32_e32 vcc_lo, v16, v16
	s_mov_b32 s31, exec_lo
	s_xor_b32 s35, exec_lo, -1
	s_delay_alu instid0(VALU_DEP_2) | instskip(NEXT) | instid1(VALU_DEP_1)
	v_add3_u32 v1, v16, v1, 0x7fff
	v_lshrrev_b32_e32 v1, 16, v1
	s_delay_alu instid0(VALU_DEP_1)
	v_cndmask_b32_e32 v1, 0x7fc0, v1, vcc_lo
	flat_store_b32 v[2:3], v1
.LBB51_7212:
	s_wait_xcnt 0x0
	s_or_b32 exec_lo, exec_lo, s34
	s_delay_alu instid0(SALU_CYCLE_1)
	s_and_not1_b32 vcc_lo, s90, exec_lo
	s_and_b32 s34, s35, exec_lo
	s_and_b32 s31, s31, exec_lo
	s_or_b32 s34, vcc_lo, s34
                                        ; implicit-def: $vgpr1
                                        ; implicit-def: $vgpr2_vgpr3
                                        ; implicit-def: $vgpr16
.LBB51_7213:
	s_and_not1_saveexec_b32 s35, s0
	s_cbranch_execz .LBB51_7219
; %bb.7214:
	s_mov_b32 s37, -1
	s_mov_b32 s0, s31
	s_mov_b32 s36, exec_lo
	v_cmpx_eq_u16_e32 44, v1
	s_cbranch_execz .LBB51_7218
; %bb.7215:
	v_bfe_u32 v4, v16, 23, 8
	v_mov_b32_e32 v1, 0xff
	s_mov_b32 s37, exec_lo
	s_delay_alu instid0(VALU_DEP_2)
	v_cmpx_ne_u32_e32 0xff, v4
	s_cbranch_execz .LBB51_7217
; %bb.7216:
	v_and_b32_e32 v1, 0x400000, v16
	v_and_or_b32 v4, 0x3fffff, v16, v4
	s_delay_alu instid0(VALU_DEP_2) | instskip(NEXT) | instid1(VALU_DEP_2)
	v_cmp_ne_u32_e32 vcc_lo, 0, v1
	v_cmp_ne_u32_e64 s0, 0, v4
	v_lshrrev_b32_e32 v1, 23, v16
	s_and_b32 s0, vcc_lo, s0
	s_delay_alu instid0(SALU_CYCLE_1) | instskip(NEXT) | instid1(VALU_DEP_1)
	v_cndmask_b32_e64 v4, 0, 1, s0
	v_add_nc_u32_e32 v1, v1, v4
.LBB51_7217:
	s_or_b32 exec_lo, exec_lo, s37
	s_delay_alu instid0(SALU_CYCLE_1)
	s_xor_b32 s37, exec_lo, -1
	s_or_b32 s0, s31, exec_lo
	flat_store_b8 v[2:3], v1
.LBB51_7218:
	s_wait_xcnt 0x0
	s_or_b32 exec_lo, exec_lo, s36
	s_delay_alu instid0(SALU_CYCLE_1)
	s_and_not1_b32 vcc_lo, s34, exec_lo
	s_and_b32 s34, s37, exec_lo
	s_and_not1_b32 s31, s31, exec_lo
	s_and_b32 s0, s0, exec_lo
	s_or_b32 s34, vcc_lo, s34
	s_or_b32 s31, s31, s0
.LBB51_7219:
	s_or_b32 exec_lo, exec_lo, s35
	s_delay_alu instid0(SALU_CYCLE_1) | instskip(SKIP_1) | instid1(SALU_CYCLE_1)
	s_and_not1_b32 s0, s90, exec_lo
	s_and_b32 vcc_lo, s34, exec_lo
                                        ; implicit-def: $vgpr1
                                        ; implicit-def: $vgpr16
                                        ; implicit-def: $vgpr2_vgpr3
	s_or_b32 s34, s0, vcc_lo
	s_and_b32 s0, s31, exec_lo
.LBB51_7220:
	s_and_not1_saveexec_b32 s30, s30
	s_cbranch_execz .LBB51_7224
; %bb.7221:
	s_mov_b32 s36, -1
	s_mov_b32 s35, s0
	s_mov_b32 s31, exec_lo
	v_cmpx_eq_u16_e32 29, v1
	s_cbranch_execz .LBB51_7223
; %bb.7222:
	v_trunc_f32_e32 v1, v16
	s_xor_b32 s36, exec_lo, -1
	s_or_b32 s35, s0, exec_lo
	s_delay_alu instid0(VALU_DEP_1) | instskip(NEXT) | instid1(VALU_DEP_1)
	v_mul_f32_e32 v4, 0x2f800000, v1
	v_floor_f32_e32 v4, v4
	s_delay_alu instid0(VALU_DEP_1) | instskip(SKIP_1) | instid1(VALU_DEP_2)
	v_fmamk_f32 v1, v4, 0xcf800000, v1
	v_cvt_u32_f32_e32 v5, v4
	v_cvt_u32_f32_e32 v4, v1
	flat_store_b64 v[2:3], v[4:5]
.LBB51_7223:
	s_wait_xcnt 0x0
	s_or_b32 exec_lo, exec_lo, s31
	s_delay_alu instid0(SALU_CYCLE_1)
	s_and_not1_b32 vcc_lo, s34, exec_lo
	s_and_b32 s31, s36, exec_lo
	s_and_not1_b32 s0, s0, exec_lo
	s_and_b32 s35, s35, exec_lo
	s_or_b32 s34, vcc_lo, s31
	s_or_b32 s0, s0, s35
.LBB51_7224:
	s_or_b32 exec_lo, exec_lo, s30
	s_delay_alu instid0(SALU_CYCLE_1)
	s_and_not1_b32 vcc_lo, s90, exec_lo
	s_and_b32 s30, s34, exec_lo
	s_and_b32 s0, s0, exec_lo
	s_or_b32 s30, vcc_lo, s30
                                        ; implicit-def: $vgpr2_vgpr3
                                        ; implicit-def: $vgpr1
                                        ; implicit-def: $vgpr16
.LBB51_7225:
	s_and_not1_saveexec_b32 s95, s95
	s_cbranch_execz .LBB51_7241
; %bb.7226:
	s_mov_b32 s31, exec_lo
	v_cmpx_lt_i16_e32 26, v1
	s_xor_b32 s31, exec_lo, s31
	s_cbranch_execz .LBB51_7232
; %bb.7227:
	v_cmp_lt_i16_e32 vcc_lo, 27, v1
	v_cvt_u32_f32_e32 v1, v16
	s_and_saveexec_b32 s34, vcc_lo
	s_delay_alu instid0(SALU_CYCLE_1)
	s_xor_b32 vcc_lo, exec_lo, s34
	s_cbranch_execz .LBB51_7229
; %bb.7228:
	flat_store_b32 v[2:3], v1
                                        ; implicit-def: $vgpr2_vgpr3
                                        ; implicit-def: $vgpr1
.LBB51_7229:
	s_wait_xcnt 0x0
	s_and_not1_saveexec_b32 vcc_lo, vcc_lo
	s_cbranch_execz .LBB51_7231
; %bb.7230:
	flat_store_b16 v[2:3], v1
.LBB51_7231:
	s_wait_xcnt 0x0
	s_or_b32 exec_lo, exec_lo, vcc_lo
                                        ; implicit-def: $vgpr2_vgpr3
                                        ; implicit-def: $vgpr16
.LBB51_7232:
	s_and_not1_saveexec_b32 s31, s31
	s_cbranch_execz .LBB51_7240
; %bb.7233:
	v_and_b32_e32 v1, 0x7fffffff, v16
	v_mov_b32_e32 v4, 0x80
	s_mov_b32 s34, exec_lo
	s_delay_alu instid0(VALU_DEP_2)
	v_cmpx_gt_u32_e32 0x43800000, v1
	s_cbranch_execz .LBB51_7239
; %bb.7234:
	v_cmp_lt_u32_e32 vcc_lo, 0x3bffffff, v1
	s_mov_b32 s35, 0
                                        ; implicit-def: $vgpr1
	s_and_saveexec_b32 s36, vcc_lo
	s_delay_alu instid0(SALU_CYCLE_1)
	s_xor_b32 vcc_lo, exec_lo, s36
	s_cbranch_execnz .LBB51_7987
; %bb.7235:
	s_and_not1_saveexec_b32 s36, vcc_lo
	s_cbranch_execnz .LBB51_7988
.LBB51_7236:
	s_or_b32 exec_lo, exec_lo, s36
	v_mov_b32_e32 v4, 0
	s_and_saveexec_b32 vcc_lo, s35
.LBB51_7237:
	v_lshrrev_b32_e32 v4, 24, v16
	s_delay_alu instid0(VALU_DEP_1)
	v_and_or_b32 v4, 0x80, v4, v1
.LBB51_7238:
	s_or_b32 exec_lo, exec_lo, vcc_lo
.LBB51_7239:
	s_delay_alu instid0(SALU_CYCLE_1)
	s_or_b32 exec_lo, exec_lo, s34
	flat_store_b8 v[2:3], v4
.LBB51_7240:
	s_wait_xcnt 0x0
	s_or_b32 exec_lo, exec_lo, s31
	s_delay_alu instid0(SALU_CYCLE_1)
	s_or_b32 s0, s0, exec_lo
.LBB51_7241:
	s_or_b32 exec_lo, exec_lo, s95
	s_delay_alu instid0(SALU_CYCLE_1)
	s_and_not1_b32 s95, s90, exec_lo
	s_and_b32 vcc_lo, s30, exec_lo
	s_and_b32 s0, s0, exec_lo
	s_or_b32 s95, s95, vcc_lo
                                        ; implicit-def: $vgpr1
                                        ; implicit-def: $vgpr16
                                        ; implicit-def: $vgpr2_vgpr3
.LBB51_7242:
	s_and_not1_saveexec_b32 vcc_hi, vcc_hi
	s_cbranch_execz .LBB51_7286
; %bb.7243:
	s_mov_b32 s31, s0
	s_mov_b32 s30, exec_lo
	v_cmpx_lt_i16_e32 22, v1
	s_xor_b32 s30, exec_lo, s30
	s_cbranch_execz .LBB51_7275
; %bb.7244:
	s_mov_b32 s31, exec_lo
	v_cmpx_lt_i16_e32 23, v1
	s_xor_b32 s31, exec_lo, s31
	s_cbranch_execz .LBB51_7264
; %bb.7245:
	;; [unrolled: 5-line block ×3, first 2 shown]
	v_and_b32_e32 v1, 0x7fffffff, v16
	v_mov_b32_e32 v4, 0x80
	s_mov_b32 s35, exec_lo
	s_delay_alu instid0(VALU_DEP_2)
	v_cmpx_gt_u32_e32 0x47800000, v1
	s_cbranch_execz .LBB51_7252
; %bb.7247:
	v_cmp_lt_u32_e32 vcc_lo, 0x37ffffff, v1
	s_mov_b32 s36, 0
                                        ; implicit-def: $vgpr1
	s_and_saveexec_b32 s37, vcc_lo
	s_delay_alu instid0(SALU_CYCLE_1)
	s_xor_b32 vcc_lo, exec_lo, s37
	s_cbranch_execnz .LBB51_7989
; %bb.7248:
	s_and_not1_saveexec_b32 s37, vcc_lo
	s_cbranch_execnz .LBB51_7990
.LBB51_7249:
	s_or_b32 exec_lo, exec_lo, s37
	v_mov_b32_e32 v4, 0
	s_and_saveexec_b32 vcc_lo, s36
.LBB51_7250:
	v_lshrrev_b32_e32 v4, 24, v16
	s_delay_alu instid0(VALU_DEP_1)
	v_and_or_b32 v4, 0x80, v4, v1
.LBB51_7251:
	s_or_b32 exec_lo, exec_lo, vcc_lo
.LBB51_7252:
	s_delay_alu instid0(SALU_CYCLE_1)
	s_or_b32 exec_lo, exec_lo, s35
	flat_store_b8 v[2:3], v4
                                        ; implicit-def: $vgpr16
                                        ; implicit-def: $vgpr2_vgpr3
.LBB51_7253:
	s_wait_xcnt 0x0
	s_and_not1_saveexec_b32 s34, s34
	s_cbranch_execz .LBB51_7263
; %bb.7254:
	v_and_b32_e32 v4, 0x7fffffff, v16
	s_mov_b32 s35, exec_lo
                                        ; implicit-def: $vgpr1
	s_delay_alu instid0(VALU_DEP_1)
	v_cmpx_gt_u32_e32 0x43f00000, v4
	s_xor_b32 s35, exec_lo, s35
	s_cbranch_execz .LBB51_7260
; %bb.7255:
	s_mov_b32 s36, exec_lo
                                        ; implicit-def: $vgpr1
	v_cmpx_lt_u32_e32 0x3c7fffff, v4
	s_xor_b32 s36, exec_lo, s36
; %bb.7256:
	v_bfe_u32 v1, v16, 20, 1
	s_delay_alu instid0(VALU_DEP_1) | instskip(NEXT) | instid1(VALU_DEP_1)
	v_add3_u32 v1, v16, v1, 0x407ffff
	v_and_b32_e32 v4, 0xff00000, v1
	v_lshrrev_b32_e32 v1, 20, v1
	s_delay_alu instid0(VALU_DEP_2) | instskip(NEXT) | instid1(VALU_DEP_2)
	v_cmp_ne_u32_e32 vcc_lo, 0x7f00000, v4
	v_cndmask_b32_e32 v1, 0x7e, v1, vcc_lo
; %bb.7257:
	s_and_not1_saveexec_b32 vcc_lo, s36
; %bb.7258:
	v_add_f32_e64 v1, 0x46800000, |v16|
; %bb.7259:
	s_or_b32 exec_lo, exec_lo, vcc_lo
                                        ; implicit-def: $vgpr4
.LBB51_7260:
	s_and_not1_saveexec_b32 s35, s35
; %bb.7261:
	v_mov_b32_e32 v1, 0x7f
	v_cmp_lt_u32_e32 vcc_lo, 0x7f800000, v4
	s_delay_alu instid0(VALU_DEP_2)
	v_cndmask_b32_e32 v1, 0x7e, v1, vcc_lo
; %bb.7262:
	s_or_b32 exec_lo, exec_lo, s35
	v_lshrrev_b32_e32 v4, 24, v16
	s_delay_alu instid0(VALU_DEP_1)
	v_and_or_b32 v1, 0x80, v4, v1
	flat_store_b8 v[2:3], v1
.LBB51_7263:
	s_wait_xcnt 0x0
	s_or_b32 exec_lo, exec_lo, s34
                                        ; implicit-def: $vgpr16
                                        ; implicit-def: $vgpr2_vgpr3
.LBB51_7264:
	s_and_not1_saveexec_b32 s31, s31
	s_cbranch_execz .LBB51_7274
; %bb.7265:
	v_and_b32_e32 v4, 0x7fffffff, v16
	s_mov_b32 s34, exec_lo
                                        ; implicit-def: $vgpr1
	s_delay_alu instid0(VALU_DEP_1)
	v_cmpx_gt_u32_e32 0x47800000, v4
	s_xor_b32 s34, exec_lo, s34
	s_cbranch_execz .LBB51_7271
; %bb.7266:
	v_cmp_lt_u32_e32 vcc_lo, 0x387fffff, v4
                                        ; implicit-def: $vgpr1
	s_and_saveexec_b32 s35, vcc_lo
	s_delay_alu instid0(SALU_CYCLE_1)
	s_xor_b32 vcc_lo, exec_lo, s35
; %bb.7267:
	v_bfe_u32 v1, v16, 21, 1
	s_delay_alu instid0(VALU_DEP_1) | instskip(NEXT) | instid1(VALU_DEP_1)
	v_add3_u32 v1, v16, v1, 0x80fffff
	v_lshrrev_b32_e32 v1, 21, v1
; %bb.7268:
	s_and_not1_saveexec_b32 vcc_lo, vcc_lo
; %bb.7269:
	v_add_f32_e64 v1, 0x43000000, |v16|
; %bb.7270:
	s_or_b32 exec_lo, exec_lo, vcc_lo
                                        ; implicit-def: $vgpr4
.LBB51_7271:
	s_and_not1_saveexec_b32 s34, s34
; %bb.7272:
	v_mov_b32_e32 v1, 0x7f
	v_cmp_lt_u32_e32 vcc_lo, 0x7f800000, v4
	s_delay_alu instid0(VALU_DEP_2)
	v_cndmask_b32_e32 v1, 0x7c, v1, vcc_lo
; %bb.7273:
	s_or_b32 exec_lo, exec_lo, s34
	v_lshrrev_b32_e32 v4, 24, v16
	s_delay_alu instid0(VALU_DEP_1)
	v_and_or_b32 v1, 0x80, v4, v1
	flat_store_b8 v[2:3], v1
.LBB51_7274:
	s_wait_xcnt 0x0
	s_or_b32 exec_lo, exec_lo, s31
	s_delay_alu instid0(SALU_CYCLE_1)
	s_or_b32 s31, s0, exec_lo
                                        ; implicit-def: $vgpr1
                                        ; implicit-def: $vgpr16
                                        ; implicit-def: $vgpr2_vgpr3
.LBB51_7275:
	s_or_saveexec_b32 s30, s30
	s_mov_b32 vcc_lo, s95
	s_xor_b32 exec_lo, exec_lo, s30
	s_cbranch_execz .LBB51_7285
; %bb.7276:
	s_mov_b32 s34, s31
	s_mov_b32 s35, s95
	s_mov_b32 s36, exec_lo
	v_cmpx_lt_i16_e32 14, v1
	s_xor_b32 s36, exec_lo, s36
	s_cbranch_execz .LBB51_7280
; %bb.7277:
	s_mov_b32 s37, -1
	s_mov_b32 s34, s31
	s_mov_b32 s35, exec_lo
	v_cmpx_eq_u16_e32 15, v1
	s_cbranch_execz .LBB51_7279
; %bb.7278:
	v_bfe_u32 v1, v16, 16, 1
	v_cmp_o_f32_e32 vcc_lo, v16, v16
	s_xor_b32 s37, exec_lo, -1
	s_or_b32 s34, s31, exec_lo
	s_delay_alu instid0(VALU_DEP_2) | instskip(NEXT) | instid1(VALU_DEP_1)
	v_add3_u32 v1, v16, v1, 0x7fff
	v_lshrrev_b32_e32 v1, 16, v1
	s_delay_alu instid0(VALU_DEP_1)
	v_cndmask_b32_e32 v1, 0x7fc0, v1, vcc_lo
	flat_store_b16 v[2:3], v1
.LBB51_7279:
	s_wait_xcnt 0x0
	s_or_b32 exec_lo, exec_lo, s35
	s_delay_alu instid0(SALU_CYCLE_1)
	s_and_not1_b32 vcc_lo, s95, exec_lo
	s_and_b32 s35, s37, exec_lo
	s_and_not1_b32 s37, s31, exec_lo
	s_and_b32 s34, s34, exec_lo
	s_or_b32 s35, vcc_lo, s35
	s_or_b32 s34, s37, s34
                                        ; implicit-def: $vgpr1
                                        ; implicit-def: $vgpr16
                                        ; implicit-def: $vgpr2_vgpr3
.LBB51_7280:
	s_and_not1_saveexec_b32 s36, s36
	s_cbranch_execz .LBB51_7284
; %bb.7281:
	s_mov_b32 s38, -1
	s_mov_b32 s37, s34
	s_mov_b32 s39, exec_lo
	v_cmpx_eq_u16_e32 11, v1
	s_cbranch_execz .LBB51_7283
; %bb.7282:
	v_cmp_neq_f32_e32 vcc_lo, 0, v16
	s_xor_b32 s38, exec_lo, -1
	s_or_b32 s37, s34, exec_lo
	v_cndmask_b32_e64 v1, 0, 1, vcc_lo
	flat_store_b8 v[2:3], v1
.LBB51_7283:
	s_wait_xcnt 0x0
	s_or_b32 exec_lo, exec_lo, s39
	s_delay_alu instid0(SALU_CYCLE_1)
	s_and_not1_b32 vcc_lo, s35, exec_lo
	s_and_b32 s35, s38, exec_lo
	s_and_not1_b32 s34, s34, exec_lo
	s_and_b32 s37, s37, exec_lo
	s_or_b32 s35, vcc_lo, s35
	s_or_b32 s34, s34, s37
.LBB51_7284:
	s_or_b32 exec_lo, exec_lo, s36
	s_delay_alu instid0(SALU_CYCLE_1)
	s_and_not1_b32 vcc_lo, s95, exec_lo
	s_and_b32 s35, s35, exec_lo
	s_and_not1_b32 s31, s31, exec_lo
	s_and_b32 s34, s34, exec_lo
	s_or_b32 vcc_lo, vcc_lo, s35
	s_or_b32 s31, s31, s34
.LBB51_7285:
	s_or_b32 exec_lo, exec_lo, s30
	s_delay_alu instid0(SALU_CYCLE_1)
	s_and_not1_b32 s95, s95, exec_lo
	s_and_b32 vcc_lo, vcc_lo, exec_lo
	s_and_not1_b32 s0, s0, exec_lo
	s_and_b32 s30, s31, exec_lo
	s_or_b32 s95, s95, vcc_lo
	s_or_b32 s0, s0, s30
.LBB51_7286:
	s_or_b32 exec_lo, exec_lo, vcc_hi
	s_delay_alu instid0(SALU_CYCLE_1)
	s_and_not1_b32 vcc_lo, s90, exec_lo
	s_and_b32 s95, s95, exec_lo
	s_and_b32 s0, s0, exec_lo
	s_or_b32 s95, vcc_lo, s95
                                        ; implicit-def: $vgpr1
                                        ; implicit-def: $vgpr16
                                        ; implicit-def: $vgpr2_vgpr3
.LBB51_7287:
	s_and_not1_saveexec_b32 s92, s92
	s_cbranch_execz .LBB51_7329
; %bb.7288:
	s_mov_b32 vcc_hi, exec_lo
	v_cmpx_lt_i16_e32 4, v1
	s_xor_b32 vcc_hi, exec_lo, vcc_hi
	s_cbranch_execz .LBB51_7310
; %bb.7289:
	s_mov_b32 s30, exec_lo
	v_cmpx_lt_i16_e32 7, v1
	s_xor_b32 s30, exec_lo, s30
	s_cbranch_execz .LBB51_7299
; %bb.7290:
	s_mov_b32 s31, exec_lo
	v_cmpx_lt_i16_e32 8, v1
	s_xor_b32 s31, exec_lo, s31
	s_cbranch_execz .LBB51_7296
; %bb.7291:
	v_cmp_lt_i16_e32 vcc_lo, 9, v1
	s_and_saveexec_b32 s34, vcc_lo
	s_delay_alu instid0(SALU_CYCLE_1)
	s_xor_b32 vcc_lo, exec_lo, s34
	s_cbranch_execz .LBB51_7293
; %bb.7292:
	v_cvt_f64_f32_e32 v[4:5], v16
	v_mov_b32_e32 v6, 0
                                        ; implicit-def: $vgpr16
	s_delay_alu instid0(VALU_DEP_1)
	v_mov_b32_e32 v7, v6
	flat_store_b128 v[2:3], v[4:7]
                                        ; implicit-def: $vgpr2_vgpr3
.LBB51_7293:
	s_wait_xcnt 0x0
	s_and_not1_saveexec_b32 vcc_lo, vcc_lo
	s_cbranch_execz .LBB51_7295
; %bb.7294:
	v_mov_b32_e32 v17, 0
	flat_store_b64 v[2:3], v[16:17]
.LBB51_7295:
	s_wait_xcnt 0x0
	s_or_b32 exec_lo, exec_lo, vcc_lo
                                        ; implicit-def: $vgpr16
                                        ; implicit-def: $vgpr2_vgpr3
.LBB51_7296:
	s_and_not1_saveexec_b32 vcc_lo, s31
	s_cbranch_execz .LBB51_7298
; %bb.7297:
	v_cvt_f16_f32_e32 v1, v16
	s_delay_alu instid0(VALU_DEP_1)
	v_and_b32_e32 v1, 0xffff, v1
	flat_store_b32 v[2:3], v1
.LBB51_7298:
	s_wait_xcnt 0x0
	s_or_b32 exec_lo, exec_lo, vcc_lo
                                        ; implicit-def: $vgpr16
                                        ; implicit-def: $vgpr2_vgpr3
                                        ; implicit-def: $vgpr1
.LBB51_7299:
	s_and_not1_saveexec_b32 s30, s30
	s_cbranch_execz .LBB51_7309
; %bb.7300:
	s_mov_b32 s31, exec_lo
	v_cmpx_lt_i16_e32 5, v1
	s_xor_b32 s31, exec_lo, s31
	s_cbranch_execz .LBB51_7306
; %bb.7301:
	v_cmp_lt_i16_e32 vcc_lo, 6, v1
	s_and_saveexec_b32 s34, vcc_lo
	s_delay_alu instid0(SALU_CYCLE_1)
	s_xor_b32 vcc_lo, exec_lo, s34
	s_cbranch_execz .LBB51_7303
; %bb.7302:
	v_cvt_f64_f32_e32 v[4:5], v16
                                        ; implicit-def: $vgpr16
	flat_store_b64 v[2:3], v[4:5]
                                        ; implicit-def: $vgpr2_vgpr3
.LBB51_7303:
	s_wait_xcnt 0x0
	s_and_not1_saveexec_b32 vcc_lo, vcc_lo
	s_cbranch_execz .LBB51_7305
; %bb.7304:
	flat_store_b32 v[2:3], v16
.LBB51_7305:
	s_wait_xcnt 0x0
	s_or_b32 exec_lo, exec_lo, vcc_lo
                                        ; implicit-def: $vgpr16
                                        ; implicit-def: $vgpr2_vgpr3
.LBB51_7306:
	s_and_not1_saveexec_b32 vcc_lo, s31
	s_cbranch_execz .LBB51_7308
; %bb.7307:
	v_cvt_f16_f32_e32 v1, v16
	flat_store_b16 v[2:3], v1
.LBB51_7308:
	s_wait_xcnt 0x0
	s_or_b32 exec_lo, exec_lo, vcc_lo
.LBB51_7309:
	s_delay_alu instid0(SALU_CYCLE_1)
	s_or_b32 exec_lo, exec_lo, s30
                                        ; implicit-def: $vgpr1
                                        ; implicit-def: $vgpr16
                                        ; implicit-def: $vgpr2_vgpr3
.LBB51_7310:
	s_and_not1_saveexec_b32 vcc_hi, vcc_hi
	s_cbranch_execz .LBB51_7328
; %bb.7311:
	s_mov_b32 s30, exec_lo
	v_cmpx_lt_i16_e32 1, v1
	s_xor_b32 s30, exec_lo, s30
	s_cbranch_execz .LBB51_7321
; %bb.7312:
	s_mov_b32 s31, exec_lo
	v_cmpx_lt_i16_e32 2, v1
	s_xor_b32 s31, exec_lo, s31
	s_cbranch_execz .LBB51_7318
; %bb.7313:
	v_cmp_lt_i16_e32 vcc_lo, 3, v1
	s_and_saveexec_b32 s34, vcc_lo
	s_delay_alu instid0(SALU_CYCLE_1)
	s_xor_b32 vcc_lo, exec_lo, s34
	s_cbranch_execz .LBB51_7315
; %bb.7314:
	v_trunc_f32_e32 v1, v16
                                        ; implicit-def: $vgpr16
	s_delay_alu instid0(VALU_DEP_1) | instskip(NEXT) | instid1(VALU_DEP_1)
	v_mul_f32_e64 v4, 0x2f800000, |v1|
	v_floor_f32_e32 v5, v4
	v_ashrrev_i32_e32 v4, 31, v1
	s_delay_alu instid0(VALU_DEP_2) | instskip(SKIP_1) | instid1(VALU_DEP_3)
	v_fma_f32 v6, 0xcf800000, v5, |v1|
	v_cvt_u32_f32_e32 v1, v5
	v_mov_b32_e32 v5, v4
	s_delay_alu instid0(VALU_DEP_3) | instskip(NEXT) | instid1(VALU_DEP_3)
	v_cvt_u32_f32_e32 v6, v6
	v_xor_b32_e32 v7, v1, v4
	s_delay_alu instid0(VALU_DEP_2) | instskip(NEXT) | instid1(VALU_DEP_1)
	v_xor_b32_e32 v6, v6, v4
	v_sub_nc_u64_e32 v[4:5], v[6:7], v[4:5]
	flat_store_b64 v[2:3], v[4:5]
                                        ; implicit-def: $vgpr2_vgpr3
.LBB51_7315:
	s_wait_xcnt 0x0
	s_and_not1_saveexec_b32 vcc_lo, vcc_lo
	s_cbranch_execz .LBB51_7317
; %bb.7316:
	v_cvt_i32_f32_e32 v1, v16
	flat_store_b32 v[2:3], v1
.LBB51_7317:
	s_wait_xcnt 0x0
	s_or_b32 exec_lo, exec_lo, vcc_lo
                                        ; implicit-def: $vgpr16
                                        ; implicit-def: $vgpr2_vgpr3
.LBB51_7318:
	s_and_not1_saveexec_b32 vcc_lo, s31
	s_cbranch_execz .LBB51_7320
; %bb.7319:
	v_cvt_i32_f32_e32 v1, v16
	flat_store_b16 v[2:3], v1
.LBB51_7320:
	s_wait_xcnt 0x0
	s_or_b32 exec_lo, exec_lo, vcc_lo
                                        ; implicit-def: $vgpr16
                                        ; implicit-def: $vgpr2_vgpr3
                                        ; implicit-def: $vgpr1
.LBB51_7321:
	s_and_not1_saveexec_b32 s30, s30
	s_cbranch_execz .LBB51_7327
; %bb.7322:
	v_cmp_lt_i16_e32 vcc_lo, 0, v1
	s_and_saveexec_b32 s31, vcc_lo
	s_delay_alu instid0(SALU_CYCLE_1)
	s_xor_b32 vcc_lo, exec_lo, s31
	s_cbranch_execz .LBB51_7324
; %bb.7323:
	v_cvt_i32_f32_e32 v1, v16
                                        ; implicit-def: $vgpr16
	flat_store_b8 v[2:3], v1
                                        ; implicit-def: $vgpr2_vgpr3
.LBB51_7324:
	s_wait_xcnt 0x0
	s_and_not1_saveexec_b32 vcc_lo, vcc_lo
	s_cbranch_execz .LBB51_7326
; %bb.7325:
	v_trunc_f32_e32 v1, v16
	s_delay_alu instid0(VALU_DEP_1) | instskip(NEXT) | instid1(VALU_DEP_1)
	v_mul_f32_e64 v4, 0x2f800000, |v1|
	v_floor_f32_e32 v4, v4
	s_delay_alu instid0(VALU_DEP_1) | instskip(SKIP_1) | instid1(VALU_DEP_2)
	v_fma_f32 v4, 0xcf800000, v4, |v1|
	v_ashrrev_i32_e32 v1, 31, v1
	v_cvt_u32_f32_e32 v4, v4
	s_delay_alu instid0(VALU_DEP_1) | instskip(NEXT) | instid1(VALU_DEP_1)
	v_xor_b32_e32 v4, v4, v1
	v_sub_nc_u32_e32 v1, v4, v1
	flat_store_b8 v[2:3], v1
.LBB51_7326:
	s_wait_xcnt 0x0
	s_or_b32 exec_lo, exec_lo, vcc_lo
.LBB51_7327:
	s_delay_alu instid0(SALU_CYCLE_1)
	s_or_b32 exec_lo, exec_lo, s30
.LBB51_7328:
	s_delay_alu instid0(SALU_CYCLE_1) | instskip(NEXT) | instid1(SALU_CYCLE_1)
	s_or_b32 exec_lo, exec_lo, vcc_hi
	s_or_b32 s0, s0, exec_lo
.LBB51_7329:
	s_or_b32 exec_lo, exec_lo, s92
	s_mov_b32 vcc_hi, 0
	s_mov_b32 s92, 0
	s_and_saveexec_b32 s30, s0
; %bb.7330:
	v_add_nc_u32_e32 v103, 0x200, v103
	s_mov_b32 vcc_hi, exec_lo
	s_delay_alu instid0(VALU_DEP_1)
	v_cmp_lt_i32_e32 vcc_lo, v103, v8
	s_and_b32 s92, vcc_lo, exec_lo
; %bb.7331:
	s_or_b32 exec_lo, exec_lo, s30
	s_delay_alu instid0(SALU_CYCLE_1)
	s_and_not1_b32 vcc_lo, s90, exec_lo
	s_and_b32 s95, s95, exec_lo
	s_and_b32 s0, s92, exec_lo
	s_or_b32 s92, vcc_lo, s95
	s_or_not1_b32 vcc_hi, vcc_hi, exec_lo
.LBB51_7332:
	s_or_b32 exec_lo, exec_lo, s93
	s_mov_b32 s95, 0
	s_mov_b32 vcc_lo, 0
                                        ; implicit-def: $vgpr4
                                        ; implicit-def: $vgpr2_vgpr3
	s_and_saveexec_b32 s93, vcc_hi
	s_cbranch_execz .LBB51_7804
; %bb.7333:
	s_mov_b32 s31, -1
	s_mov_b32 vcc_hi, 0
	s_mov_b32 s94, s92
	s_and_saveexec_b32 s95, s0
	s_cbranch_execz .LBB51_7461
; %bb.7334:
	v_dual_add_nc_u32 v1, s3, v103 :: v_dual_mov_b32 v3, 0
	s_mov_b32 s0, 0
	s_mov_b32 s30, s92
	s_mov_b32 s94, exec_lo
	s_delay_alu instid0(VALU_DEP_1) | instskip(SKIP_1) | instid1(VALU_DEP_2)
	v_mul_lo_u32 v2, v1, v14
	v_and_b32_e32 v1, 0xff, v13
	v_add_nc_u64_e32 v[2:3], v[114:115], v[2:3]
	s_delay_alu instid0(VALU_DEP_2)
	v_cmpx_lt_i16_e32 10, v1
	s_xor_b32 s94, exec_lo, s94
	s_cbranch_execz .LBB51_7416
; %bb.7335:
	s_mov_b32 s30, s92
	s_mov_b32 s31, exec_lo
	v_cmpx_lt_i16_e32 25, v1
	s_xor_b32 s31, exec_lo, s31
	s_cbranch_execz .LBB51_7371
; %bb.7336:
	s_mov_b32 s34, s92
	s_mov_b32 s30, exec_lo
	;; [unrolled: 6-line block ×3, first 2 shown]
	v_cmpx_lt_i16_e32 43, v1
	s_xor_b32 s34, exec_lo, s34
	s_cbranch_execz .LBB51_7349
; %bb.7338:
	s_mov_b32 s35, 0
	s_mov_b32 s36, s92
	s_mov_b32 s0, exec_lo
	v_cmpx_lt_i16_e32 45, v1
	s_xor_b32 s0, exec_lo, s0
	s_cbranch_execz .LBB51_7342
; %bb.7339:
	s_mov_b32 s37, -1
	s_mov_b32 s36, exec_lo
	v_cmpx_eq_u16_e32 46, v1
	s_cbranch_execz .LBB51_7341
; %bb.7340:
	v_bfe_u32 v1, v112, 16, 1
	v_cmp_o_f32_e32 vcc_lo, v112, v112
	s_mov_b32 s35, exec_lo
	s_xor_b32 s37, exec_lo, -1
	s_delay_alu instid0(VALU_DEP_2) | instskip(NEXT) | instid1(VALU_DEP_1)
	v_add3_u32 v1, v112, v1, 0x7fff
	v_lshrrev_b32_e32 v1, 16, v1
	s_delay_alu instid0(VALU_DEP_1)
	v_cndmask_b32_e32 v1, 0x7fc0, v1, vcc_lo
	flat_store_b32 v[2:3], v1
.LBB51_7341:
	s_wait_xcnt 0x0
	s_or_b32 exec_lo, exec_lo, s36
	s_delay_alu instid0(SALU_CYCLE_1)
	s_and_not1_b32 vcc_lo, s92, exec_lo
	s_and_b32 s36, s37, exec_lo
	s_and_b32 s35, s35, exec_lo
	s_or_b32 s36, vcc_lo, s36
                                        ; implicit-def: $vgpr1
                                        ; implicit-def: $vgpr2_vgpr3
                                        ; implicit-def: $vgpr112
.LBB51_7342:
	s_and_not1_saveexec_b32 s37, s0
	s_cbranch_execz .LBB51_7348
; %bb.7343:
	s_mov_b32 s39, -1
	s_mov_b32 s0, s35
	s_mov_b32 s38, exec_lo
	v_cmpx_eq_u16_e32 44, v1
	s_cbranch_execz .LBB51_7347
; %bb.7344:
	v_bfe_u32 v4, v112, 23, 8
	v_mov_b32_e32 v1, 0xff
	s_mov_b32 s39, exec_lo
	s_delay_alu instid0(VALU_DEP_2)
	v_cmpx_ne_u32_e32 0xff, v4
	s_cbranch_execz .LBB51_7346
; %bb.7345:
	v_and_b32_e32 v1, 0x400000, v112
	v_and_or_b32 v4, 0x3fffff, v112, v4
	s_delay_alu instid0(VALU_DEP_2) | instskip(NEXT) | instid1(VALU_DEP_2)
	v_cmp_ne_u32_e32 vcc_lo, 0, v1
	v_cmp_ne_u32_e64 s0, 0, v4
	v_lshrrev_b32_e32 v1, 23, v112
	s_and_b32 s0, vcc_lo, s0
	s_delay_alu instid0(SALU_CYCLE_1) | instskip(NEXT) | instid1(VALU_DEP_1)
	v_cndmask_b32_e64 v4, 0, 1, s0
	v_add_nc_u32_e32 v1, v1, v4
.LBB51_7346:
	s_or_b32 exec_lo, exec_lo, s39
	s_delay_alu instid0(SALU_CYCLE_1)
	s_xor_b32 s39, exec_lo, -1
	s_or_b32 s0, s35, exec_lo
	flat_store_b8 v[2:3], v1
.LBB51_7347:
	s_wait_xcnt 0x0
	s_or_b32 exec_lo, exec_lo, s38
	s_delay_alu instid0(SALU_CYCLE_1)
	s_and_not1_b32 vcc_lo, s36, exec_lo
	s_and_b32 s36, s39, exec_lo
	s_and_not1_b32 s35, s35, exec_lo
	s_and_b32 s0, s0, exec_lo
	s_or_b32 s36, vcc_lo, s36
	s_or_b32 s35, s35, s0
.LBB51_7348:
	s_or_b32 exec_lo, exec_lo, s37
	s_delay_alu instid0(SALU_CYCLE_1) | instskip(SKIP_1) | instid1(SALU_CYCLE_1)
	s_and_not1_b32 s0, s92, exec_lo
	s_and_b32 vcc_lo, s36, exec_lo
                                        ; implicit-def: $vgpr1
                                        ; implicit-def: $vgpr112
                                        ; implicit-def: $vgpr2_vgpr3
	s_or_b32 s36, s0, vcc_lo
	s_and_b32 s0, s35, exec_lo
.LBB51_7349:
	s_and_not1_saveexec_b32 s34, s34
	s_cbranch_execz .LBB51_7353
; %bb.7350:
	s_mov_b32 s38, -1
	s_mov_b32 s37, s0
	s_mov_b32 s35, exec_lo
	v_cmpx_eq_u16_e32 29, v1
	s_cbranch_execz .LBB51_7352
; %bb.7351:
	v_trunc_f32_e32 v1, v112
	s_xor_b32 s38, exec_lo, -1
	s_or_b32 s37, s0, exec_lo
	s_delay_alu instid0(VALU_DEP_1) | instskip(NEXT) | instid1(VALU_DEP_1)
	v_mul_f32_e32 v4, 0x2f800000, v1
	v_floor_f32_e32 v4, v4
	s_delay_alu instid0(VALU_DEP_1) | instskip(SKIP_1) | instid1(VALU_DEP_2)
	v_fmamk_f32 v1, v4, 0xcf800000, v1
	v_cvt_u32_f32_e32 v5, v4
	v_cvt_u32_f32_e32 v4, v1
	flat_store_b64 v[2:3], v[4:5]
.LBB51_7352:
	s_wait_xcnt 0x0
	s_or_b32 exec_lo, exec_lo, s35
	s_delay_alu instid0(SALU_CYCLE_1)
	s_and_not1_b32 vcc_lo, s36, exec_lo
	s_and_b32 s35, s38, exec_lo
	s_and_not1_b32 s0, s0, exec_lo
	s_and_b32 s37, s37, exec_lo
	s_or_b32 s36, vcc_lo, s35
	s_or_b32 s0, s0, s37
.LBB51_7353:
	s_or_b32 exec_lo, exec_lo, s34
	s_delay_alu instid0(SALU_CYCLE_1)
	s_and_not1_b32 vcc_lo, s92, exec_lo
	s_and_b32 s34, s36, exec_lo
	s_and_b32 s0, s0, exec_lo
	s_or_b32 s34, vcc_lo, s34
                                        ; implicit-def: $vgpr2_vgpr3
                                        ; implicit-def: $vgpr1
                                        ; implicit-def: $vgpr112
.LBB51_7354:
	s_and_not1_saveexec_b32 s30, s30
	s_cbranch_execz .LBB51_7370
; %bb.7355:
	s_mov_b32 s35, exec_lo
	v_cmpx_lt_i16_e32 26, v1
	s_xor_b32 s35, exec_lo, s35
	s_cbranch_execz .LBB51_7361
; %bb.7356:
	v_cmp_lt_i16_e32 vcc_lo, 27, v1
	v_cvt_u32_f32_e32 v1, v112
	s_and_saveexec_b32 s36, vcc_lo
	s_delay_alu instid0(SALU_CYCLE_1)
	s_xor_b32 vcc_lo, exec_lo, s36
	s_cbranch_execz .LBB51_7358
; %bb.7357:
	flat_store_b32 v[2:3], v1
                                        ; implicit-def: $vgpr2_vgpr3
                                        ; implicit-def: $vgpr1
.LBB51_7358:
	s_wait_xcnt 0x0
	s_and_not1_saveexec_b32 vcc_lo, vcc_lo
	s_cbranch_execz .LBB51_7360
; %bb.7359:
	flat_store_b16 v[2:3], v1
.LBB51_7360:
	s_wait_xcnt 0x0
	s_or_b32 exec_lo, exec_lo, vcc_lo
                                        ; implicit-def: $vgpr2_vgpr3
                                        ; implicit-def: $vgpr112
.LBB51_7361:
	s_and_not1_saveexec_b32 s35, s35
	s_cbranch_execz .LBB51_7369
; %bb.7362:
	v_and_b32_e32 v1, 0x7fffffff, v112
	v_mov_b32_e32 v4, 0x80
	s_mov_b32 s36, exec_lo
	s_delay_alu instid0(VALU_DEP_2)
	v_cmpx_gt_u32_e32 0x43800000, v1
	s_cbranch_execz .LBB51_7368
; %bb.7363:
	v_cmp_lt_u32_e32 vcc_lo, 0x3bffffff, v1
	s_mov_b32 s37, 0
                                        ; implicit-def: $vgpr1
	s_and_saveexec_b32 s38, vcc_lo
	s_delay_alu instid0(SALU_CYCLE_1)
	s_xor_b32 vcc_lo, exec_lo, s38
	s_cbranch_execnz .LBB51_7991
; %bb.7364:
	s_and_not1_saveexec_b32 s38, vcc_lo
	s_cbranch_execnz .LBB51_7992
.LBB51_7365:
	s_or_b32 exec_lo, exec_lo, s38
	v_mov_b32_e32 v4, 0
	s_and_saveexec_b32 vcc_lo, s37
.LBB51_7366:
	v_lshrrev_b32_e32 v4, 24, v112
	s_delay_alu instid0(VALU_DEP_1)
	v_and_or_b32 v4, 0x80, v4, v1
.LBB51_7367:
	s_or_b32 exec_lo, exec_lo, vcc_lo
.LBB51_7368:
	s_delay_alu instid0(SALU_CYCLE_1)
	s_or_b32 exec_lo, exec_lo, s36
	flat_store_b8 v[2:3], v4
.LBB51_7369:
	s_wait_xcnt 0x0
	s_or_b32 exec_lo, exec_lo, s35
	s_delay_alu instid0(SALU_CYCLE_1)
	s_or_b32 s0, s0, exec_lo
.LBB51_7370:
	s_or_b32 exec_lo, exec_lo, s30
	s_delay_alu instid0(SALU_CYCLE_1)
	s_and_not1_b32 vcc_lo, s92, exec_lo
	s_and_b32 s30, s34, exec_lo
	s_and_b32 s0, s0, exec_lo
	s_or_b32 s30, vcc_lo, s30
                                        ; implicit-def: $vgpr1
                                        ; implicit-def: $vgpr112
                                        ; implicit-def: $vgpr2_vgpr3
.LBB51_7371:
	s_and_not1_saveexec_b32 s31, s31
	s_cbranch_execz .LBB51_7415
; %bb.7372:
	s_mov_b32 s35, s0
	s_mov_b32 s34, exec_lo
	v_cmpx_lt_i16_e32 22, v1
	s_xor_b32 s34, exec_lo, s34
	s_cbranch_execz .LBB51_7404
; %bb.7373:
	s_mov_b32 s35, exec_lo
	v_cmpx_lt_i16_e32 23, v1
	s_xor_b32 s35, exec_lo, s35
	s_cbranch_execz .LBB51_7393
; %bb.7374:
	;; [unrolled: 5-line block ×3, first 2 shown]
	v_and_b32_e32 v1, 0x7fffffff, v112
	v_mov_b32_e32 v4, 0x80
	s_mov_b32 s37, exec_lo
	s_delay_alu instid0(VALU_DEP_2)
	v_cmpx_gt_u32_e32 0x47800000, v1
	s_cbranch_execz .LBB51_7381
; %bb.7376:
	v_cmp_lt_u32_e32 vcc_lo, 0x37ffffff, v1
	s_mov_b32 s38, 0
                                        ; implicit-def: $vgpr1
	s_and_saveexec_b32 s39, vcc_lo
	s_delay_alu instid0(SALU_CYCLE_1)
	s_xor_b32 vcc_lo, exec_lo, s39
	s_cbranch_execnz .LBB51_7993
; %bb.7377:
	s_and_not1_saveexec_b32 s39, vcc_lo
	s_cbranch_execnz .LBB51_7994
.LBB51_7378:
	s_or_b32 exec_lo, exec_lo, s39
	v_mov_b32_e32 v4, 0
	s_and_saveexec_b32 vcc_lo, s38
.LBB51_7379:
	v_lshrrev_b32_e32 v4, 24, v112
	s_delay_alu instid0(VALU_DEP_1)
	v_and_or_b32 v4, 0x80, v4, v1
.LBB51_7380:
	s_or_b32 exec_lo, exec_lo, vcc_lo
.LBB51_7381:
	s_delay_alu instid0(SALU_CYCLE_1)
	s_or_b32 exec_lo, exec_lo, s37
	flat_store_b8 v[2:3], v4
                                        ; implicit-def: $vgpr112
                                        ; implicit-def: $vgpr2_vgpr3
.LBB51_7382:
	s_wait_xcnt 0x0
	s_and_not1_saveexec_b32 s36, s36
	s_cbranch_execz .LBB51_7392
; %bb.7383:
	v_and_b32_e32 v4, 0x7fffffff, v112
	s_mov_b32 s37, exec_lo
                                        ; implicit-def: $vgpr1
	s_delay_alu instid0(VALU_DEP_1)
	v_cmpx_gt_u32_e32 0x43f00000, v4
	s_xor_b32 s37, exec_lo, s37
	s_cbranch_execz .LBB51_7389
; %bb.7384:
	s_mov_b32 s38, exec_lo
                                        ; implicit-def: $vgpr1
	v_cmpx_lt_u32_e32 0x3c7fffff, v4
	s_xor_b32 s38, exec_lo, s38
; %bb.7385:
	v_bfe_u32 v1, v112, 20, 1
	s_delay_alu instid0(VALU_DEP_1) | instskip(NEXT) | instid1(VALU_DEP_1)
	v_add3_u32 v1, v112, v1, 0x407ffff
	v_and_b32_e32 v4, 0xff00000, v1
	v_lshrrev_b32_e32 v1, 20, v1
	s_delay_alu instid0(VALU_DEP_2) | instskip(NEXT) | instid1(VALU_DEP_2)
	v_cmp_ne_u32_e32 vcc_lo, 0x7f00000, v4
	v_cndmask_b32_e32 v1, 0x7e, v1, vcc_lo
; %bb.7386:
	s_and_not1_saveexec_b32 vcc_lo, s38
; %bb.7387:
	v_add_f32_e64 v1, 0x46800000, |v112|
; %bb.7388:
	s_or_b32 exec_lo, exec_lo, vcc_lo
                                        ; implicit-def: $vgpr4
.LBB51_7389:
	s_and_not1_saveexec_b32 s37, s37
; %bb.7390:
	v_mov_b32_e32 v1, 0x7f
	v_cmp_lt_u32_e32 vcc_lo, 0x7f800000, v4
	s_delay_alu instid0(VALU_DEP_2)
	v_cndmask_b32_e32 v1, 0x7e, v1, vcc_lo
; %bb.7391:
	s_or_b32 exec_lo, exec_lo, s37
	v_lshrrev_b32_e32 v4, 24, v112
	s_delay_alu instid0(VALU_DEP_1)
	v_and_or_b32 v1, 0x80, v4, v1
	flat_store_b8 v[2:3], v1
.LBB51_7392:
	s_wait_xcnt 0x0
	s_or_b32 exec_lo, exec_lo, s36
                                        ; implicit-def: $vgpr112
                                        ; implicit-def: $vgpr2_vgpr3
.LBB51_7393:
	s_and_not1_saveexec_b32 s35, s35
	s_cbranch_execz .LBB51_7403
; %bb.7394:
	v_and_b32_e32 v4, 0x7fffffff, v112
	s_mov_b32 s36, exec_lo
                                        ; implicit-def: $vgpr1
	s_delay_alu instid0(VALU_DEP_1)
	v_cmpx_gt_u32_e32 0x47800000, v4
	s_xor_b32 s36, exec_lo, s36
	s_cbranch_execz .LBB51_7400
; %bb.7395:
	v_cmp_lt_u32_e32 vcc_lo, 0x387fffff, v4
                                        ; implicit-def: $vgpr1
	s_and_saveexec_b32 s37, vcc_lo
	s_delay_alu instid0(SALU_CYCLE_1)
	s_xor_b32 vcc_lo, exec_lo, s37
; %bb.7396:
	v_bfe_u32 v1, v112, 21, 1
	s_delay_alu instid0(VALU_DEP_1) | instskip(NEXT) | instid1(VALU_DEP_1)
	v_add3_u32 v1, v112, v1, 0x80fffff
	v_lshrrev_b32_e32 v1, 21, v1
; %bb.7397:
	s_and_not1_saveexec_b32 vcc_lo, vcc_lo
; %bb.7398:
	v_add_f32_e64 v1, 0x43000000, |v112|
; %bb.7399:
	s_or_b32 exec_lo, exec_lo, vcc_lo
                                        ; implicit-def: $vgpr4
.LBB51_7400:
	s_and_not1_saveexec_b32 s36, s36
; %bb.7401:
	v_mov_b32_e32 v1, 0x7f
	v_cmp_lt_u32_e32 vcc_lo, 0x7f800000, v4
	s_delay_alu instid0(VALU_DEP_2)
	v_cndmask_b32_e32 v1, 0x7c, v1, vcc_lo
; %bb.7402:
	s_or_b32 exec_lo, exec_lo, s36
	v_lshrrev_b32_e32 v4, 24, v112
	s_delay_alu instid0(VALU_DEP_1)
	v_and_or_b32 v1, 0x80, v4, v1
	flat_store_b8 v[2:3], v1
.LBB51_7403:
	s_wait_xcnt 0x0
	s_or_b32 exec_lo, exec_lo, s35
	s_delay_alu instid0(SALU_CYCLE_1)
	s_or_b32 s35, s0, exec_lo
                                        ; implicit-def: $vgpr1
                                        ; implicit-def: $vgpr112
                                        ; implicit-def: $vgpr2_vgpr3
.LBB51_7404:
	s_or_saveexec_b32 s34, s34
	s_mov_b32 vcc_lo, s30
	s_xor_b32 exec_lo, exec_lo, s34
	s_cbranch_execz .LBB51_7414
; %bb.7405:
	s_mov_b32 s36, s35
	s_mov_b32 s37, s30
	s_mov_b32 s38, exec_lo
	v_cmpx_lt_i16_e32 14, v1
	s_xor_b32 s38, exec_lo, s38
	s_cbranch_execz .LBB51_7409
; %bb.7406:
	s_mov_b32 s39, -1
	s_mov_b32 s36, s35
	s_mov_b32 s37, exec_lo
	v_cmpx_eq_u16_e32 15, v1
	s_cbranch_execz .LBB51_7408
; %bb.7407:
	v_bfe_u32 v1, v112, 16, 1
	v_cmp_o_f32_e32 vcc_lo, v112, v112
	s_xor_b32 s39, exec_lo, -1
	s_or_b32 s36, s35, exec_lo
	s_delay_alu instid0(VALU_DEP_2) | instskip(NEXT) | instid1(VALU_DEP_1)
	v_add3_u32 v1, v112, v1, 0x7fff
	v_lshrrev_b32_e32 v1, 16, v1
	s_delay_alu instid0(VALU_DEP_1)
	v_cndmask_b32_e32 v1, 0x7fc0, v1, vcc_lo
	flat_store_b16 v[2:3], v1
.LBB51_7408:
	s_wait_xcnt 0x0
	s_or_b32 exec_lo, exec_lo, s37
	s_delay_alu instid0(SALU_CYCLE_1)
	s_and_not1_b32 vcc_lo, s30, exec_lo
	s_and_b32 s37, s39, exec_lo
	s_and_not1_b32 s39, s35, exec_lo
	s_and_b32 s36, s36, exec_lo
	s_or_b32 s37, vcc_lo, s37
	s_or_b32 s36, s39, s36
                                        ; implicit-def: $vgpr1
                                        ; implicit-def: $vgpr112
                                        ; implicit-def: $vgpr2_vgpr3
.LBB51_7409:
	s_and_not1_saveexec_b32 s38, s38
	s_cbranch_execz .LBB51_7413
; %bb.7410:
	s_mov_b32 s48, -1
	s_mov_b32 s39, s36
	s_mov_b32 s49, exec_lo
	v_cmpx_eq_u16_e32 11, v1
	s_cbranch_execz .LBB51_7412
; %bb.7411:
	v_cmp_neq_f32_e32 vcc_lo, 0, v112
	s_xor_b32 s48, exec_lo, -1
	s_or_b32 s39, s36, exec_lo
	v_cndmask_b32_e64 v1, 0, 1, vcc_lo
	flat_store_b8 v[2:3], v1
.LBB51_7412:
	s_wait_xcnt 0x0
	s_or_b32 exec_lo, exec_lo, s49
	s_delay_alu instid0(SALU_CYCLE_1)
	s_and_not1_b32 vcc_lo, s37, exec_lo
	s_and_b32 s37, s48, exec_lo
	s_and_not1_b32 s36, s36, exec_lo
	s_and_b32 s39, s39, exec_lo
	s_or_b32 s37, vcc_lo, s37
	s_or_b32 s36, s36, s39
.LBB51_7413:
	s_or_b32 exec_lo, exec_lo, s38
	s_delay_alu instid0(SALU_CYCLE_1)
	s_and_not1_b32 vcc_lo, s30, exec_lo
	s_and_b32 s37, s37, exec_lo
	s_and_not1_b32 s35, s35, exec_lo
	s_and_b32 s36, s36, exec_lo
	s_or_b32 vcc_lo, vcc_lo, s37
	s_or_b32 s35, s35, s36
.LBB51_7414:
	s_or_b32 exec_lo, exec_lo, s34
	s_delay_alu instid0(SALU_CYCLE_1)
	s_and_not1_b32 s30, s30, exec_lo
	s_and_b32 vcc_lo, vcc_lo, exec_lo
	s_and_not1_b32 s0, s0, exec_lo
	s_and_b32 s34, s35, exec_lo
	s_or_b32 s30, s30, vcc_lo
	s_or_b32 s0, s0, s34
.LBB51_7415:
	s_or_b32 exec_lo, exec_lo, s31
	s_delay_alu instid0(SALU_CYCLE_1)
	s_and_not1_b32 vcc_lo, s92, exec_lo
	s_and_b32 s30, s30, exec_lo
	s_and_b32 s0, s0, exec_lo
	s_or_b32 s30, vcc_lo, s30
                                        ; implicit-def: $vgpr1
                                        ; implicit-def: $vgpr112
                                        ; implicit-def: $vgpr2_vgpr3
.LBB51_7416:
	s_and_not1_saveexec_b32 s94, s94
	s_cbranch_execz .LBB51_7458
; %bb.7417:
	s_mov_b32 s31, exec_lo
	v_cmpx_lt_i16_e32 4, v1
	s_xor_b32 s31, exec_lo, s31
	s_cbranch_execz .LBB51_7439
; %bb.7418:
	s_mov_b32 s34, exec_lo
	v_cmpx_lt_i16_e32 7, v1
	s_xor_b32 s34, exec_lo, s34
	;; [unrolled: 5-line block ×3, first 2 shown]
	s_cbranch_execz .LBB51_7425
; %bb.7420:
	v_cmp_lt_i16_e32 vcc_lo, 9, v1
	s_and_saveexec_b32 s36, vcc_lo
	s_delay_alu instid0(SALU_CYCLE_1)
	s_xor_b32 vcc_lo, exec_lo, s36
	s_cbranch_execz .LBB51_7422
; %bb.7421:
	v_cvt_f64_f32_e32 v[4:5], v112
	v_mov_b32_e32 v6, 0
                                        ; implicit-def: $vgpr112
	s_delay_alu instid0(VALU_DEP_1)
	v_mov_b32_e32 v7, v6
	flat_store_b128 v[2:3], v[4:7]
                                        ; implicit-def: $vgpr2_vgpr3
.LBB51_7422:
	s_wait_xcnt 0x0
	s_and_not1_saveexec_b32 vcc_lo, vcc_lo
	s_cbranch_execz .LBB51_7424
; %bb.7423:
	v_mov_b32_e32 v113, 0
	flat_store_b64 v[2:3], v[112:113]
.LBB51_7424:
	s_wait_xcnt 0x0
	s_or_b32 exec_lo, exec_lo, vcc_lo
                                        ; implicit-def: $vgpr112
                                        ; implicit-def: $vgpr2_vgpr3
.LBB51_7425:
	s_and_not1_saveexec_b32 vcc_lo, s35
	s_cbranch_execz .LBB51_7427
; %bb.7426:
	v_cvt_f16_f32_e32 v1, v112
	s_delay_alu instid0(VALU_DEP_1)
	v_and_b32_e32 v1, 0xffff, v1
	flat_store_b32 v[2:3], v1
.LBB51_7427:
	s_wait_xcnt 0x0
	s_or_b32 exec_lo, exec_lo, vcc_lo
                                        ; implicit-def: $vgpr112
                                        ; implicit-def: $vgpr2_vgpr3
                                        ; implicit-def: $vgpr1
.LBB51_7428:
	s_and_not1_saveexec_b32 s34, s34
	s_cbranch_execz .LBB51_7438
; %bb.7429:
	s_mov_b32 s35, exec_lo
	v_cmpx_lt_i16_e32 5, v1
	s_xor_b32 s35, exec_lo, s35
	s_cbranch_execz .LBB51_7435
; %bb.7430:
	v_cmp_lt_i16_e32 vcc_lo, 6, v1
	s_and_saveexec_b32 s36, vcc_lo
	s_delay_alu instid0(SALU_CYCLE_1)
	s_xor_b32 vcc_lo, exec_lo, s36
	s_cbranch_execz .LBB51_7432
; %bb.7431:
	v_cvt_f64_f32_e32 v[4:5], v112
                                        ; implicit-def: $vgpr112
	flat_store_b64 v[2:3], v[4:5]
                                        ; implicit-def: $vgpr2_vgpr3
.LBB51_7432:
	s_wait_xcnt 0x0
	s_and_not1_saveexec_b32 vcc_lo, vcc_lo
	s_cbranch_execz .LBB51_7434
; %bb.7433:
	flat_store_b32 v[2:3], v112
.LBB51_7434:
	s_wait_xcnt 0x0
	s_or_b32 exec_lo, exec_lo, vcc_lo
                                        ; implicit-def: $vgpr112
                                        ; implicit-def: $vgpr2_vgpr3
.LBB51_7435:
	s_and_not1_saveexec_b32 vcc_lo, s35
	s_cbranch_execz .LBB51_7437
; %bb.7436:
	v_cvt_f16_f32_e32 v1, v112
	flat_store_b16 v[2:3], v1
.LBB51_7437:
	s_wait_xcnt 0x0
	s_or_b32 exec_lo, exec_lo, vcc_lo
.LBB51_7438:
	s_delay_alu instid0(SALU_CYCLE_1)
	s_or_b32 exec_lo, exec_lo, s34
                                        ; implicit-def: $vgpr1
                                        ; implicit-def: $vgpr112
                                        ; implicit-def: $vgpr2_vgpr3
.LBB51_7439:
	s_and_not1_saveexec_b32 s31, s31
	s_cbranch_execz .LBB51_7457
; %bb.7440:
	s_mov_b32 s34, exec_lo
	v_cmpx_lt_i16_e32 1, v1
	s_xor_b32 s34, exec_lo, s34
	s_cbranch_execz .LBB51_7450
; %bb.7441:
	s_mov_b32 s35, exec_lo
	v_cmpx_lt_i16_e32 2, v1
	s_xor_b32 s35, exec_lo, s35
	s_cbranch_execz .LBB51_7447
; %bb.7442:
	v_cmp_lt_i16_e32 vcc_lo, 3, v1
	s_and_saveexec_b32 s36, vcc_lo
	s_delay_alu instid0(SALU_CYCLE_1)
	s_xor_b32 vcc_lo, exec_lo, s36
	s_cbranch_execz .LBB51_7444
; %bb.7443:
	v_trunc_f32_e32 v1, v112
                                        ; implicit-def: $vgpr112
	s_delay_alu instid0(VALU_DEP_1) | instskip(NEXT) | instid1(VALU_DEP_1)
	v_mul_f32_e64 v4, 0x2f800000, |v1|
	v_floor_f32_e32 v5, v4
	v_ashrrev_i32_e32 v4, 31, v1
	s_delay_alu instid0(VALU_DEP_2) | instskip(SKIP_1) | instid1(VALU_DEP_3)
	v_fma_f32 v6, 0xcf800000, v5, |v1|
	v_cvt_u32_f32_e32 v1, v5
	v_mov_b32_e32 v5, v4
	s_delay_alu instid0(VALU_DEP_3) | instskip(NEXT) | instid1(VALU_DEP_3)
	v_cvt_u32_f32_e32 v6, v6
	v_xor_b32_e32 v7, v1, v4
	s_delay_alu instid0(VALU_DEP_2) | instskip(NEXT) | instid1(VALU_DEP_1)
	v_xor_b32_e32 v6, v6, v4
	v_sub_nc_u64_e32 v[4:5], v[6:7], v[4:5]
	flat_store_b64 v[2:3], v[4:5]
                                        ; implicit-def: $vgpr2_vgpr3
.LBB51_7444:
	s_wait_xcnt 0x0
	s_and_not1_saveexec_b32 vcc_lo, vcc_lo
	s_cbranch_execz .LBB51_7446
; %bb.7445:
	v_cvt_i32_f32_e32 v1, v112
	flat_store_b32 v[2:3], v1
.LBB51_7446:
	s_wait_xcnt 0x0
	s_or_b32 exec_lo, exec_lo, vcc_lo
                                        ; implicit-def: $vgpr112
                                        ; implicit-def: $vgpr2_vgpr3
.LBB51_7447:
	s_and_not1_saveexec_b32 vcc_lo, s35
	s_cbranch_execz .LBB51_7449
; %bb.7448:
	v_cvt_i32_f32_e32 v1, v112
	flat_store_b16 v[2:3], v1
.LBB51_7449:
	s_wait_xcnt 0x0
	s_or_b32 exec_lo, exec_lo, vcc_lo
                                        ; implicit-def: $vgpr112
                                        ; implicit-def: $vgpr2_vgpr3
                                        ; implicit-def: $vgpr1
.LBB51_7450:
	s_and_not1_saveexec_b32 s34, s34
	s_cbranch_execz .LBB51_7456
; %bb.7451:
	v_cmp_lt_i16_e32 vcc_lo, 0, v1
	s_and_saveexec_b32 s35, vcc_lo
	s_delay_alu instid0(SALU_CYCLE_1)
	s_xor_b32 vcc_lo, exec_lo, s35
	s_cbranch_execz .LBB51_7453
; %bb.7452:
	v_cvt_i32_f32_e32 v1, v112
                                        ; implicit-def: $vgpr112
	flat_store_b8 v[2:3], v1
                                        ; implicit-def: $vgpr2_vgpr3
.LBB51_7453:
	s_wait_xcnt 0x0
	s_and_not1_saveexec_b32 vcc_lo, vcc_lo
	s_cbranch_execz .LBB51_7455
; %bb.7454:
	v_trunc_f32_e32 v1, v112
	s_delay_alu instid0(VALU_DEP_1) | instskip(NEXT) | instid1(VALU_DEP_1)
	v_mul_f32_e64 v4, 0x2f800000, |v1|
	v_floor_f32_e32 v4, v4
	s_delay_alu instid0(VALU_DEP_1) | instskip(SKIP_1) | instid1(VALU_DEP_2)
	v_fma_f32 v4, 0xcf800000, v4, |v1|
	v_ashrrev_i32_e32 v1, 31, v1
	v_cvt_u32_f32_e32 v4, v4
	s_delay_alu instid0(VALU_DEP_1) | instskip(NEXT) | instid1(VALU_DEP_1)
	v_xor_b32_e32 v4, v4, v1
	v_sub_nc_u32_e32 v1, v4, v1
	flat_store_b8 v[2:3], v1
.LBB51_7455:
	s_wait_xcnt 0x0
	s_or_b32 exec_lo, exec_lo, vcc_lo
.LBB51_7456:
	s_delay_alu instid0(SALU_CYCLE_1)
	s_or_b32 exec_lo, exec_lo, s34
.LBB51_7457:
	s_delay_alu instid0(SALU_CYCLE_1) | instskip(NEXT) | instid1(SALU_CYCLE_1)
	s_or_b32 exec_lo, exec_lo, s31
	s_or_b32 s0, s0, exec_lo
.LBB51_7458:
	s_or_b32 exec_lo, exec_lo, s94
	s_mov_b32 s31, 0
	s_mov_b32 s94, 0
	s_and_saveexec_b32 s34, s0
; %bb.7459:
	v_add_nc_u32_e32 v103, 0x200, v103
	s_mov_b32 s31, exec_lo
	s_delay_alu instid0(VALU_DEP_1)
	v_cmp_lt_i32_e32 vcc_lo, v103, v8
	s_and_b32 s94, vcc_lo, exec_lo
; %bb.7460:
	s_or_b32 exec_lo, exec_lo, s34
	s_delay_alu instid0(SALU_CYCLE_1)
	s_and_not1_b32 s0, s92, exec_lo
	s_and_b32 s30, s30, exec_lo
	s_and_b32 vcc_lo, s94, exec_lo
	s_or_b32 s94, s0, s30
	s_or_not1_b32 s31, s31, exec_lo
.LBB51_7461:
	s_or_b32 exec_lo, exec_lo, s95
	s_mov_b32 s0, 0
	s_mov_b32 s30, 0
                                        ; implicit-def: $vgpr4
                                        ; implicit-def: $vgpr2_vgpr3
	s_and_saveexec_b32 s95, s31
	s_cbranch_execz .LBB51_7803
; %bb.7462:
	s_mov_b32 s36, -1
	s_mov_b32 s31, 0
	s_mov_b32 vcc_hi, s94
	s_and_saveexec_b32 s30, vcc_lo
	s_cbranch_execz .LBB51_7590
; %bb.7463:
	v_dual_add_nc_u32 v1, s3, v103 :: v_dual_mov_b32 v3, 0
	s_mov_b32 s34, s94
	s_mov_b32 vcc_hi, exec_lo
	s_delay_alu instid0(VALU_DEP_1) | instskip(SKIP_1) | instid1(VALU_DEP_2)
	v_mul_lo_u32 v2, v1, v14
	v_and_b32_e32 v1, 0xff, v13
	v_add_nc_u64_e32 v[2:3], v[114:115], v[2:3]
	s_delay_alu instid0(VALU_DEP_2)
	v_cmpx_lt_i16_e32 10, v1
	s_xor_b32 vcc_hi, exec_lo, vcc_hi
	s_cbranch_execz .LBB51_7545
; %bb.7464:
	s_mov_b32 s34, s94
	s_mov_b32 s35, exec_lo
	v_cmpx_lt_i16_e32 25, v1
	s_xor_b32 s35, exec_lo, s35
	s_cbranch_execz .LBB51_7500
; %bb.7465:
	s_mov_b32 s36, s94
	s_mov_b32 s34, exec_lo
	v_cmpx_lt_i16_e32 28, v1
	s_xor_b32 s34, exec_lo, s34
	;; [unrolled: 6-line block ×3, first 2 shown]
	s_cbranch_execz .LBB51_7478
; %bb.7467:
	s_mov_b32 s37, 0
	s_mov_b32 s38, s94
	s_mov_b32 s0, exec_lo
	v_cmpx_lt_i16_e32 45, v1
	s_xor_b32 s0, exec_lo, s0
	s_cbranch_execz .LBB51_7471
; %bb.7468:
	s_mov_b32 s39, -1
	s_mov_b32 s38, exec_lo
	v_cmpx_eq_u16_e32 46, v1
	s_cbranch_execz .LBB51_7470
; %bb.7469:
	v_bfe_u32 v1, v116, 16, 1
	v_cmp_o_f32_e32 vcc_lo, v116, v116
	s_mov_b32 s37, exec_lo
	s_xor_b32 s39, exec_lo, -1
	s_delay_alu instid0(VALU_DEP_2) | instskip(NEXT) | instid1(VALU_DEP_1)
	v_add3_u32 v1, v116, v1, 0x7fff
	v_lshrrev_b32_e32 v1, 16, v1
	s_delay_alu instid0(VALU_DEP_1)
	v_cndmask_b32_e32 v1, 0x7fc0, v1, vcc_lo
	flat_store_b32 v[2:3], v1
.LBB51_7470:
	s_wait_xcnt 0x0
	s_or_b32 exec_lo, exec_lo, s38
	s_delay_alu instid0(SALU_CYCLE_1)
	s_and_not1_b32 vcc_lo, s94, exec_lo
	s_and_b32 s38, s39, exec_lo
	s_and_b32 s37, s37, exec_lo
	s_or_b32 s38, vcc_lo, s38
                                        ; implicit-def: $vgpr1
                                        ; implicit-def: $vgpr2_vgpr3
                                        ; implicit-def: $vgpr116
.LBB51_7471:
	s_and_not1_saveexec_b32 s39, s0
	s_cbranch_execz .LBB51_7477
; %bb.7472:
	s_mov_b32 s49, -1
	s_mov_b32 s0, s37
	s_mov_b32 s48, exec_lo
	v_cmpx_eq_u16_e32 44, v1
	s_cbranch_execz .LBB51_7476
; %bb.7473:
	v_bfe_u32 v4, v116, 23, 8
	v_mov_b32_e32 v1, 0xff
	s_mov_b32 s49, exec_lo
	s_delay_alu instid0(VALU_DEP_2)
	v_cmpx_ne_u32_e32 0xff, v4
	s_cbranch_execz .LBB51_7475
; %bb.7474:
	v_and_b32_e32 v1, 0x400000, v116
	v_and_or_b32 v4, 0x3fffff, v116, v4
	s_delay_alu instid0(VALU_DEP_2) | instskip(NEXT) | instid1(VALU_DEP_2)
	v_cmp_ne_u32_e32 vcc_lo, 0, v1
	v_cmp_ne_u32_e64 s0, 0, v4
	v_lshrrev_b32_e32 v1, 23, v116
	s_and_b32 s0, vcc_lo, s0
	s_delay_alu instid0(SALU_CYCLE_1) | instskip(NEXT) | instid1(VALU_DEP_1)
	v_cndmask_b32_e64 v4, 0, 1, s0
	v_add_nc_u32_e32 v1, v1, v4
.LBB51_7475:
	s_or_b32 exec_lo, exec_lo, s49
	s_delay_alu instid0(SALU_CYCLE_1)
	s_xor_b32 s49, exec_lo, -1
	s_or_b32 s0, s37, exec_lo
	flat_store_b8 v[2:3], v1
.LBB51_7476:
	s_wait_xcnt 0x0
	s_or_b32 exec_lo, exec_lo, s48
	s_delay_alu instid0(SALU_CYCLE_1)
	s_and_not1_b32 vcc_lo, s38, exec_lo
	s_and_b32 s38, s49, exec_lo
	s_and_not1_b32 s37, s37, exec_lo
	s_and_b32 s0, s0, exec_lo
	s_or_b32 s38, vcc_lo, s38
	s_or_b32 s37, s37, s0
.LBB51_7477:
	s_or_b32 exec_lo, exec_lo, s39
	s_delay_alu instid0(SALU_CYCLE_1) | instskip(SKIP_1) | instid1(SALU_CYCLE_1)
	s_and_not1_b32 s0, s94, exec_lo
	s_and_b32 vcc_lo, s38, exec_lo
                                        ; implicit-def: $vgpr1
                                        ; implicit-def: $vgpr116
                                        ; implicit-def: $vgpr2_vgpr3
	s_or_b32 s38, s0, vcc_lo
	s_and_b32 s0, s37, exec_lo
.LBB51_7478:
	s_and_not1_saveexec_b32 s36, s36
	s_cbranch_execz .LBB51_7482
; %bb.7479:
	s_mov_b32 s48, -1
	s_mov_b32 s39, s0
	s_mov_b32 s37, exec_lo
	v_cmpx_eq_u16_e32 29, v1
	s_cbranch_execz .LBB51_7481
; %bb.7480:
	v_trunc_f32_e32 v1, v116
	s_xor_b32 s48, exec_lo, -1
	s_or_b32 s39, s0, exec_lo
	s_delay_alu instid0(VALU_DEP_1) | instskip(NEXT) | instid1(VALU_DEP_1)
	v_mul_f32_e32 v4, 0x2f800000, v1
	v_floor_f32_e32 v4, v4
	s_delay_alu instid0(VALU_DEP_1) | instskip(SKIP_1) | instid1(VALU_DEP_2)
	v_fmamk_f32 v1, v4, 0xcf800000, v1
	v_cvt_u32_f32_e32 v5, v4
	v_cvt_u32_f32_e32 v4, v1
	flat_store_b64 v[2:3], v[4:5]
.LBB51_7481:
	s_wait_xcnt 0x0
	s_or_b32 exec_lo, exec_lo, s37
	s_delay_alu instid0(SALU_CYCLE_1)
	s_and_not1_b32 vcc_lo, s38, exec_lo
	s_and_b32 s37, s48, exec_lo
	s_and_not1_b32 s0, s0, exec_lo
	s_and_b32 s39, s39, exec_lo
	s_or_b32 s38, vcc_lo, s37
	s_or_b32 s0, s0, s39
.LBB51_7482:
	s_or_b32 exec_lo, exec_lo, s36
	s_delay_alu instid0(SALU_CYCLE_1)
	s_and_not1_b32 vcc_lo, s94, exec_lo
	s_and_b32 s36, s38, exec_lo
	s_and_b32 s0, s0, exec_lo
	s_or_b32 s36, vcc_lo, s36
                                        ; implicit-def: $vgpr2_vgpr3
                                        ; implicit-def: $vgpr1
                                        ; implicit-def: $vgpr116
.LBB51_7483:
	s_and_not1_saveexec_b32 s34, s34
	s_cbranch_execz .LBB51_7499
; %bb.7484:
	s_mov_b32 s37, exec_lo
	v_cmpx_lt_i16_e32 26, v1
	s_xor_b32 s37, exec_lo, s37
	s_cbranch_execz .LBB51_7490
; %bb.7485:
	v_cmp_lt_i16_e32 vcc_lo, 27, v1
	v_cvt_u32_f32_e32 v1, v116
	s_and_saveexec_b32 s38, vcc_lo
	s_delay_alu instid0(SALU_CYCLE_1)
	s_xor_b32 vcc_lo, exec_lo, s38
	s_cbranch_execz .LBB51_7487
; %bb.7486:
	flat_store_b32 v[2:3], v1
                                        ; implicit-def: $vgpr2_vgpr3
                                        ; implicit-def: $vgpr1
.LBB51_7487:
	s_wait_xcnt 0x0
	s_and_not1_saveexec_b32 vcc_lo, vcc_lo
	s_cbranch_execz .LBB51_7489
; %bb.7488:
	flat_store_b16 v[2:3], v1
.LBB51_7489:
	s_wait_xcnt 0x0
	s_or_b32 exec_lo, exec_lo, vcc_lo
                                        ; implicit-def: $vgpr2_vgpr3
                                        ; implicit-def: $vgpr116
.LBB51_7490:
	s_and_not1_saveexec_b32 s37, s37
	s_cbranch_execz .LBB51_7498
; %bb.7491:
	v_and_b32_e32 v1, 0x7fffffff, v116
	v_mov_b32_e32 v4, 0x80
	s_mov_b32 s38, exec_lo
	s_delay_alu instid0(VALU_DEP_2)
	v_cmpx_gt_u32_e32 0x43800000, v1
	s_cbranch_execz .LBB51_7497
; %bb.7492:
	v_cmp_lt_u32_e32 vcc_lo, 0x3bffffff, v1
	s_mov_b32 s39, 0
                                        ; implicit-def: $vgpr1
	s_and_saveexec_b32 s48, vcc_lo
	s_delay_alu instid0(SALU_CYCLE_1)
	s_xor_b32 vcc_lo, exec_lo, s48
	s_cbranch_execnz .LBB51_7995
; %bb.7493:
	s_and_not1_saveexec_b32 s48, vcc_lo
	s_cbranch_execnz .LBB51_7996
.LBB51_7494:
	s_or_b32 exec_lo, exec_lo, s48
	v_mov_b32_e32 v4, 0
	s_and_saveexec_b32 vcc_lo, s39
.LBB51_7495:
	v_lshrrev_b32_e32 v4, 24, v116
	s_delay_alu instid0(VALU_DEP_1)
	v_and_or_b32 v4, 0x80, v4, v1
.LBB51_7496:
	s_or_b32 exec_lo, exec_lo, vcc_lo
.LBB51_7497:
	s_delay_alu instid0(SALU_CYCLE_1)
	s_or_b32 exec_lo, exec_lo, s38
	flat_store_b8 v[2:3], v4
.LBB51_7498:
	s_wait_xcnt 0x0
	s_or_b32 exec_lo, exec_lo, s37
	s_delay_alu instid0(SALU_CYCLE_1)
	s_or_b32 s0, s0, exec_lo
.LBB51_7499:
	s_or_b32 exec_lo, exec_lo, s34
	s_delay_alu instid0(SALU_CYCLE_1)
	s_and_not1_b32 vcc_lo, s94, exec_lo
	s_and_b32 s34, s36, exec_lo
	s_and_b32 s0, s0, exec_lo
	s_or_b32 s34, vcc_lo, s34
                                        ; implicit-def: $vgpr1
                                        ; implicit-def: $vgpr116
                                        ; implicit-def: $vgpr2_vgpr3
.LBB51_7500:
	s_and_not1_saveexec_b32 s35, s35
	s_cbranch_execz .LBB51_7544
; %bb.7501:
	s_mov_b32 s37, s0
	s_mov_b32 s36, exec_lo
	v_cmpx_lt_i16_e32 22, v1
	s_xor_b32 s36, exec_lo, s36
	s_cbranch_execz .LBB51_7533
; %bb.7502:
	s_mov_b32 s37, exec_lo
	v_cmpx_lt_i16_e32 23, v1
	s_xor_b32 s37, exec_lo, s37
	s_cbranch_execz .LBB51_7522
; %bb.7503:
	;; [unrolled: 5-line block ×3, first 2 shown]
	v_and_b32_e32 v1, 0x7fffffff, v116
	v_mov_b32_e32 v4, 0x80
	s_mov_b32 s39, exec_lo
	s_delay_alu instid0(VALU_DEP_2)
	v_cmpx_gt_u32_e32 0x47800000, v1
	s_cbranch_execz .LBB51_7510
; %bb.7505:
	v_cmp_lt_u32_e32 vcc_lo, 0x37ffffff, v1
	s_mov_b32 s48, 0
                                        ; implicit-def: $vgpr1
	s_and_saveexec_b32 s49, vcc_lo
	s_delay_alu instid0(SALU_CYCLE_1)
	s_xor_b32 vcc_lo, exec_lo, s49
	s_cbranch_execnz .LBB51_7997
; %bb.7506:
	s_and_not1_saveexec_b32 s49, vcc_lo
	s_cbranch_execnz .LBB51_7998
.LBB51_7507:
	s_or_b32 exec_lo, exec_lo, s49
	v_mov_b32_e32 v4, 0
	s_and_saveexec_b32 vcc_lo, s48
.LBB51_7508:
	v_lshrrev_b32_e32 v4, 24, v116
	s_delay_alu instid0(VALU_DEP_1)
	v_and_or_b32 v4, 0x80, v4, v1
.LBB51_7509:
	s_or_b32 exec_lo, exec_lo, vcc_lo
.LBB51_7510:
	s_delay_alu instid0(SALU_CYCLE_1)
	s_or_b32 exec_lo, exec_lo, s39
	flat_store_b8 v[2:3], v4
                                        ; implicit-def: $vgpr116
                                        ; implicit-def: $vgpr2_vgpr3
.LBB51_7511:
	s_wait_xcnt 0x0
	s_and_not1_saveexec_b32 s38, s38
	s_cbranch_execz .LBB51_7521
; %bb.7512:
	v_and_b32_e32 v4, 0x7fffffff, v116
	s_mov_b32 s39, exec_lo
                                        ; implicit-def: $vgpr1
	s_delay_alu instid0(VALU_DEP_1)
	v_cmpx_gt_u32_e32 0x43f00000, v4
	s_xor_b32 s39, exec_lo, s39
	s_cbranch_execz .LBB51_7518
; %bb.7513:
	s_mov_b32 s48, exec_lo
                                        ; implicit-def: $vgpr1
	v_cmpx_lt_u32_e32 0x3c7fffff, v4
	s_xor_b32 s48, exec_lo, s48
; %bb.7514:
	v_bfe_u32 v1, v116, 20, 1
	s_delay_alu instid0(VALU_DEP_1) | instskip(NEXT) | instid1(VALU_DEP_1)
	v_add3_u32 v1, v116, v1, 0x407ffff
	v_and_b32_e32 v4, 0xff00000, v1
	v_lshrrev_b32_e32 v1, 20, v1
	s_delay_alu instid0(VALU_DEP_2) | instskip(NEXT) | instid1(VALU_DEP_2)
	v_cmp_ne_u32_e32 vcc_lo, 0x7f00000, v4
	v_cndmask_b32_e32 v1, 0x7e, v1, vcc_lo
; %bb.7515:
	s_and_not1_saveexec_b32 vcc_lo, s48
; %bb.7516:
	v_add_f32_e64 v1, 0x46800000, |v116|
; %bb.7517:
	s_or_b32 exec_lo, exec_lo, vcc_lo
                                        ; implicit-def: $vgpr4
.LBB51_7518:
	s_and_not1_saveexec_b32 s39, s39
; %bb.7519:
	v_mov_b32_e32 v1, 0x7f
	v_cmp_lt_u32_e32 vcc_lo, 0x7f800000, v4
	s_delay_alu instid0(VALU_DEP_2)
	v_cndmask_b32_e32 v1, 0x7e, v1, vcc_lo
; %bb.7520:
	s_or_b32 exec_lo, exec_lo, s39
	v_lshrrev_b32_e32 v4, 24, v116
	s_delay_alu instid0(VALU_DEP_1)
	v_and_or_b32 v1, 0x80, v4, v1
	flat_store_b8 v[2:3], v1
.LBB51_7521:
	s_wait_xcnt 0x0
	s_or_b32 exec_lo, exec_lo, s38
                                        ; implicit-def: $vgpr116
                                        ; implicit-def: $vgpr2_vgpr3
.LBB51_7522:
	s_and_not1_saveexec_b32 s37, s37
	s_cbranch_execz .LBB51_7532
; %bb.7523:
	v_and_b32_e32 v4, 0x7fffffff, v116
	s_mov_b32 s38, exec_lo
                                        ; implicit-def: $vgpr1
	s_delay_alu instid0(VALU_DEP_1)
	v_cmpx_gt_u32_e32 0x47800000, v4
	s_xor_b32 s38, exec_lo, s38
	s_cbranch_execz .LBB51_7529
; %bb.7524:
	v_cmp_lt_u32_e32 vcc_lo, 0x387fffff, v4
                                        ; implicit-def: $vgpr1
	s_and_saveexec_b32 s39, vcc_lo
	s_delay_alu instid0(SALU_CYCLE_1)
	s_xor_b32 vcc_lo, exec_lo, s39
; %bb.7525:
	v_bfe_u32 v1, v116, 21, 1
	s_delay_alu instid0(VALU_DEP_1) | instskip(NEXT) | instid1(VALU_DEP_1)
	v_add3_u32 v1, v116, v1, 0x80fffff
	v_lshrrev_b32_e32 v1, 21, v1
; %bb.7526:
	s_and_not1_saveexec_b32 vcc_lo, vcc_lo
; %bb.7527:
	v_add_f32_e64 v1, 0x43000000, |v116|
; %bb.7528:
	s_or_b32 exec_lo, exec_lo, vcc_lo
                                        ; implicit-def: $vgpr4
.LBB51_7529:
	s_and_not1_saveexec_b32 s38, s38
; %bb.7530:
	v_mov_b32_e32 v1, 0x7f
	v_cmp_lt_u32_e32 vcc_lo, 0x7f800000, v4
	s_delay_alu instid0(VALU_DEP_2)
	v_cndmask_b32_e32 v1, 0x7c, v1, vcc_lo
; %bb.7531:
	s_or_b32 exec_lo, exec_lo, s38
	v_lshrrev_b32_e32 v4, 24, v116
	s_delay_alu instid0(VALU_DEP_1)
	v_and_or_b32 v1, 0x80, v4, v1
	flat_store_b8 v[2:3], v1
.LBB51_7532:
	s_wait_xcnt 0x0
	s_or_b32 exec_lo, exec_lo, s37
	s_delay_alu instid0(SALU_CYCLE_1)
	s_or_b32 s37, s0, exec_lo
                                        ; implicit-def: $vgpr1
                                        ; implicit-def: $vgpr116
                                        ; implicit-def: $vgpr2_vgpr3
.LBB51_7533:
	s_or_saveexec_b32 s36, s36
	s_mov_b32 vcc_lo, s34
	s_xor_b32 exec_lo, exec_lo, s36
	s_cbranch_execz .LBB51_7543
; %bb.7534:
	s_mov_b32 s38, s37
	s_mov_b32 s39, s34
	s_mov_b32 s48, exec_lo
	v_cmpx_lt_i16_e32 14, v1
	s_xor_b32 s48, exec_lo, s48
	s_cbranch_execz .LBB51_7538
; %bb.7535:
	s_mov_b32 s49, -1
	s_mov_b32 s38, s37
	s_mov_b32 s39, exec_lo
	v_cmpx_eq_u16_e32 15, v1
	s_cbranch_execz .LBB51_7537
; %bb.7536:
	v_bfe_u32 v1, v116, 16, 1
	v_cmp_o_f32_e32 vcc_lo, v116, v116
	s_xor_b32 s49, exec_lo, -1
	s_or_b32 s38, s37, exec_lo
	s_delay_alu instid0(VALU_DEP_2) | instskip(NEXT) | instid1(VALU_DEP_1)
	v_add3_u32 v1, v116, v1, 0x7fff
	v_lshrrev_b32_e32 v1, 16, v1
	s_delay_alu instid0(VALU_DEP_1)
	v_cndmask_b32_e32 v1, 0x7fc0, v1, vcc_lo
	flat_store_b16 v[2:3], v1
.LBB51_7537:
	s_wait_xcnt 0x0
	s_or_b32 exec_lo, exec_lo, s39
	s_delay_alu instid0(SALU_CYCLE_1)
	s_and_not1_b32 vcc_lo, s34, exec_lo
	s_and_b32 s39, s49, exec_lo
	s_and_not1_b32 s49, s37, exec_lo
	s_and_b32 s38, s38, exec_lo
	s_or_b32 s39, vcc_lo, s39
	s_or_b32 s38, s49, s38
                                        ; implicit-def: $vgpr1
                                        ; implicit-def: $vgpr116
                                        ; implicit-def: $vgpr2_vgpr3
.LBB51_7538:
	s_and_not1_saveexec_b32 s48, s48
	s_cbranch_execz .LBB51_7542
; %bb.7539:
	s_mov_b32 s50, -1
	s_mov_b32 s49, s38
	s_mov_b32 s51, exec_lo
	v_cmpx_eq_u16_e32 11, v1
	s_cbranch_execz .LBB51_7541
; %bb.7540:
	v_cmp_neq_f32_e32 vcc_lo, 0, v116
	s_xor_b32 s50, exec_lo, -1
	s_or_b32 s49, s38, exec_lo
	v_cndmask_b32_e64 v1, 0, 1, vcc_lo
	flat_store_b8 v[2:3], v1
.LBB51_7541:
	s_wait_xcnt 0x0
	s_or_b32 exec_lo, exec_lo, s51
	s_delay_alu instid0(SALU_CYCLE_1)
	s_and_not1_b32 vcc_lo, s39, exec_lo
	s_and_b32 s39, s50, exec_lo
	s_and_not1_b32 s38, s38, exec_lo
	s_and_b32 s49, s49, exec_lo
	s_or_b32 s39, vcc_lo, s39
	s_or_b32 s38, s38, s49
.LBB51_7542:
	s_or_b32 exec_lo, exec_lo, s48
	s_delay_alu instid0(SALU_CYCLE_1)
	s_and_not1_b32 vcc_lo, s34, exec_lo
	s_and_b32 s39, s39, exec_lo
	s_and_not1_b32 s37, s37, exec_lo
	s_and_b32 s38, s38, exec_lo
	s_or_b32 vcc_lo, vcc_lo, s39
	s_or_b32 s37, s37, s38
.LBB51_7543:
	s_or_b32 exec_lo, exec_lo, s36
	s_delay_alu instid0(SALU_CYCLE_1)
	s_and_not1_b32 s34, s34, exec_lo
	s_and_b32 vcc_lo, vcc_lo, exec_lo
	s_and_not1_b32 s0, s0, exec_lo
	s_and_b32 s36, s37, exec_lo
	s_or_b32 s34, s34, vcc_lo
	s_or_b32 s0, s0, s36
.LBB51_7544:
	s_or_b32 exec_lo, exec_lo, s35
	s_delay_alu instid0(SALU_CYCLE_1)
	s_and_not1_b32 vcc_lo, s94, exec_lo
	s_and_b32 s34, s34, exec_lo
	s_and_b32 s0, s0, exec_lo
	s_or_b32 s34, vcc_lo, s34
                                        ; implicit-def: $vgpr1
                                        ; implicit-def: $vgpr116
                                        ; implicit-def: $vgpr2_vgpr3
.LBB51_7545:
	s_and_not1_saveexec_b32 vcc_hi, vcc_hi
	s_cbranch_execz .LBB51_7587
; %bb.7546:
	s_mov_b32 s35, exec_lo
	v_cmpx_lt_i16_e32 4, v1
	s_xor_b32 s35, exec_lo, s35
	s_cbranch_execz .LBB51_7568
; %bb.7547:
	s_mov_b32 s36, exec_lo
	v_cmpx_lt_i16_e32 7, v1
	s_xor_b32 s36, exec_lo, s36
	s_cbranch_execz .LBB51_7557
; %bb.7548:
	s_mov_b32 s37, exec_lo
	v_cmpx_lt_i16_e32 8, v1
	s_xor_b32 s37, exec_lo, s37
	s_cbranch_execz .LBB51_7554
; %bb.7549:
	v_cmp_lt_i16_e32 vcc_lo, 9, v1
	s_and_saveexec_b32 s38, vcc_lo
	s_delay_alu instid0(SALU_CYCLE_1)
	s_xor_b32 vcc_lo, exec_lo, s38
	s_cbranch_execz .LBB51_7551
; %bb.7550:
	v_cvt_f64_f32_e32 v[4:5], v116
	v_mov_b32_e32 v6, 0
                                        ; implicit-def: $vgpr116
	s_delay_alu instid0(VALU_DEP_1)
	v_mov_b32_e32 v7, v6
	flat_store_b128 v[2:3], v[4:7]
                                        ; implicit-def: $vgpr2_vgpr3
.LBB51_7551:
	s_wait_xcnt 0x0
	s_and_not1_saveexec_b32 vcc_lo, vcc_lo
	s_cbranch_execz .LBB51_7553
; %bb.7552:
	v_mov_b32_e32 v117, 0
	flat_store_b64 v[2:3], v[116:117]
.LBB51_7553:
	s_wait_xcnt 0x0
	s_or_b32 exec_lo, exec_lo, vcc_lo
                                        ; implicit-def: $vgpr116
                                        ; implicit-def: $vgpr2_vgpr3
.LBB51_7554:
	s_and_not1_saveexec_b32 vcc_lo, s37
	s_cbranch_execz .LBB51_7556
; %bb.7555:
	v_cvt_f16_f32_e32 v1, v116
	s_delay_alu instid0(VALU_DEP_1)
	v_and_b32_e32 v1, 0xffff, v1
	flat_store_b32 v[2:3], v1
.LBB51_7556:
	s_wait_xcnt 0x0
	s_or_b32 exec_lo, exec_lo, vcc_lo
                                        ; implicit-def: $vgpr116
                                        ; implicit-def: $vgpr2_vgpr3
                                        ; implicit-def: $vgpr1
.LBB51_7557:
	s_and_not1_saveexec_b32 s36, s36
	s_cbranch_execz .LBB51_7567
; %bb.7558:
	s_mov_b32 s37, exec_lo
	v_cmpx_lt_i16_e32 5, v1
	s_xor_b32 s37, exec_lo, s37
	s_cbranch_execz .LBB51_7564
; %bb.7559:
	v_cmp_lt_i16_e32 vcc_lo, 6, v1
	s_and_saveexec_b32 s38, vcc_lo
	s_delay_alu instid0(SALU_CYCLE_1)
	s_xor_b32 vcc_lo, exec_lo, s38
	s_cbranch_execz .LBB51_7561
; %bb.7560:
	v_cvt_f64_f32_e32 v[4:5], v116
                                        ; implicit-def: $vgpr116
	flat_store_b64 v[2:3], v[4:5]
                                        ; implicit-def: $vgpr2_vgpr3
.LBB51_7561:
	s_wait_xcnt 0x0
	s_and_not1_saveexec_b32 vcc_lo, vcc_lo
	s_cbranch_execz .LBB51_7563
; %bb.7562:
	flat_store_b32 v[2:3], v116
.LBB51_7563:
	s_wait_xcnt 0x0
	s_or_b32 exec_lo, exec_lo, vcc_lo
                                        ; implicit-def: $vgpr116
                                        ; implicit-def: $vgpr2_vgpr3
.LBB51_7564:
	s_and_not1_saveexec_b32 vcc_lo, s37
	s_cbranch_execz .LBB51_7566
; %bb.7565:
	v_cvt_f16_f32_e32 v1, v116
	flat_store_b16 v[2:3], v1
.LBB51_7566:
	s_wait_xcnt 0x0
	s_or_b32 exec_lo, exec_lo, vcc_lo
.LBB51_7567:
	s_delay_alu instid0(SALU_CYCLE_1)
	s_or_b32 exec_lo, exec_lo, s36
                                        ; implicit-def: $vgpr1
                                        ; implicit-def: $vgpr116
                                        ; implicit-def: $vgpr2_vgpr3
.LBB51_7568:
	s_and_not1_saveexec_b32 s35, s35
	s_cbranch_execz .LBB51_7586
; %bb.7569:
	s_mov_b32 s36, exec_lo
	v_cmpx_lt_i16_e32 1, v1
	s_xor_b32 s36, exec_lo, s36
	s_cbranch_execz .LBB51_7579
; %bb.7570:
	s_mov_b32 s37, exec_lo
	v_cmpx_lt_i16_e32 2, v1
	s_xor_b32 s37, exec_lo, s37
	s_cbranch_execz .LBB51_7576
; %bb.7571:
	v_cmp_lt_i16_e32 vcc_lo, 3, v1
	s_and_saveexec_b32 s38, vcc_lo
	s_delay_alu instid0(SALU_CYCLE_1)
	s_xor_b32 vcc_lo, exec_lo, s38
	s_cbranch_execz .LBB51_7573
; %bb.7572:
	v_trunc_f32_e32 v1, v116
                                        ; implicit-def: $vgpr116
	s_delay_alu instid0(VALU_DEP_1) | instskip(NEXT) | instid1(VALU_DEP_1)
	v_mul_f32_e64 v4, 0x2f800000, |v1|
	v_floor_f32_e32 v5, v4
	v_ashrrev_i32_e32 v4, 31, v1
	s_delay_alu instid0(VALU_DEP_2) | instskip(SKIP_1) | instid1(VALU_DEP_3)
	v_fma_f32 v6, 0xcf800000, v5, |v1|
	v_cvt_u32_f32_e32 v1, v5
	v_mov_b32_e32 v5, v4
	s_delay_alu instid0(VALU_DEP_3) | instskip(NEXT) | instid1(VALU_DEP_3)
	v_cvt_u32_f32_e32 v6, v6
	v_xor_b32_e32 v7, v1, v4
	s_delay_alu instid0(VALU_DEP_2) | instskip(NEXT) | instid1(VALU_DEP_1)
	v_xor_b32_e32 v6, v6, v4
	v_sub_nc_u64_e32 v[4:5], v[6:7], v[4:5]
	flat_store_b64 v[2:3], v[4:5]
                                        ; implicit-def: $vgpr2_vgpr3
.LBB51_7573:
	s_wait_xcnt 0x0
	s_and_not1_saveexec_b32 vcc_lo, vcc_lo
	s_cbranch_execz .LBB51_7575
; %bb.7574:
	v_cvt_i32_f32_e32 v1, v116
	flat_store_b32 v[2:3], v1
.LBB51_7575:
	s_wait_xcnt 0x0
	s_or_b32 exec_lo, exec_lo, vcc_lo
                                        ; implicit-def: $vgpr116
                                        ; implicit-def: $vgpr2_vgpr3
.LBB51_7576:
	s_and_not1_saveexec_b32 vcc_lo, s37
	s_cbranch_execz .LBB51_7578
; %bb.7577:
	v_cvt_i32_f32_e32 v1, v116
	flat_store_b16 v[2:3], v1
.LBB51_7578:
	s_wait_xcnt 0x0
	s_or_b32 exec_lo, exec_lo, vcc_lo
                                        ; implicit-def: $vgpr116
                                        ; implicit-def: $vgpr2_vgpr3
                                        ; implicit-def: $vgpr1
.LBB51_7579:
	s_and_not1_saveexec_b32 s36, s36
	s_cbranch_execz .LBB51_7585
; %bb.7580:
	v_cmp_lt_i16_e32 vcc_lo, 0, v1
	s_and_saveexec_b32 s37, vcc_lo
	s_delay_alu instid0(SALU_CYCLE_1)
	s_xor_b32 vcc_lo, exec_lo, s37
	s_cbranch_execz .LBB51_7582
; %bb.7581:
	v_cvt_i32_f32_e32 v1, v116
                                        ; implicit-def: $vgpr116
	flat_store_b8 v[2:3], v1
                                        ; implicit-def: $vgpr2_vgpr3
.LBB51_7582:
	s_wait_xcnt 0x0
	s_and_not1_saveexec_b32 vcc_lo, vcc_lo
	s_cbranch_execz .LBB51_7584
; %bb.7583:
	v_trunc_f32_e32 v1, v116
	s_delay_alu instid0(VALU_DEP_1) | instskip(NEXT) | instid1(VALU_DEP_1)
	v_mul_f32_e64 v4, 0x2f800000, |v1|
	v_floor_f32_e32 v4, v4
	s_delay_alu instid0(VALU_DEP_1) | instskip(SKIP_1) | instid1(VALU_DEP_2)
	v_fma_f32 v4, 0xcf800000, v4, |v1|
	v_ashrrev_i32_e32 v1, 31, v1
	v_cvt_u32_f32_e32 v4, v4
	s_delay_alu instid0(VALU_DEP_1) | instskip(NEXT) | instid1(VALU_DEP_1)
	v_xor_b32_e32 v4, v4, v1
	v_sub_nc_u32_e32 v1, v4, v1
	flat_store_b8 v[2:3], v1
.LBB51_7584:
	s_wait_xcnt 0x0
	s_or_b32 exec_lo, exec_lo, vcc_lo
.LBB51_7585:
	s_delay_alu instid0(SALU_CYCLE_1)
	s_or_b32 exec_lo, exec_lo, s36
.LBB51_7586:
	s_delay_alu instid0(SALU_CYCLE_1) | instskip(NEXT) | instid1(SALU_CYCLE_1)
	s_or_b32 exec_lo, exec_lo, s35
	s_or_b32 s0, s0, exec_lo
.LBB51_7587:
	s_or_b32 exec_lo, exec_lo, vcc_hi
	s_mov_b32 s35, 0
	s_mov_b32 vcc_lo, 0
	s_and_saveexec_b32 vcc_hi, s0
; %bb.7588:
	v_add_nc_u32_e32 v103, 0x200, v103
	s_mov_b32 s35, exec_lo
	s_delay_alu instid0(VALU_DEP_1)
	v_cmp_lt_i32_e32 vcc_lo, v103, v8
	s_and_b32 vcc_lo, vcc_lo, exec_lo
; %bb.7589:
	s_or_b32 exec_lo, exec_lo, vcc_hi
	s_delay_alu instid0(SALU_CYCLE_1)
	s_and_not1_b32 vcc_hi, s94, exec_lo
	s_and_b32 s34, s34, exec_lo
	s_and_b32 s0, vcc_lo, exec_lo
	s_or_b32 vcc_hi, vcc_hi, s34
	s_or_not1_b32 s36, s35, exec_lo
.LBB51_7590:
	s_or_b32 exec_lo, exec_lo, s30
	s_mov_b32 s34, 0
	s_mov_b32 s35, 0
                                        ; implicit-def: $vgpr4
                                        ; implicit-def: $vgpr2_vgpr3
	s_and_saveexec_b32 s30, s36
	s_cbranch_execz .LBB51_7802
; %bb.7591:
	s_mov_b32 vcc_lo, 0
	s_mov_b32 s35, -1
	s_mov_b32 s36, vcc_hi
	s_mov_b32 s37, 0
                                        ; implicit-def: $vgpr4
                                        ; implicit-def: $vgpr2_vgpr3
	s_and_saveexec_b32 s31, s0
	s_cbranch_execz .LBB51_7801
; %bb.7592:
	v_dual_add_nc_u32 v1, s3, v103 :: v_dual_mov_b32 v3, 0
	v_and_b32_e32 v4, 0xff, v13
	s_mov_b32 s0, 0
	s_mov_b32 s34, vcc_hi
	s_delay_alu instid0(VALU_DEP_2) | instskip(SKIP_1) | instid1(VALU_DEP_1)
	v_mul_lo_u32 v2, v1, v14
	s_mov_b32 s35, exec_lo
	v_add_nc_u64_e32 v[2:3], v[114:115], v[2:3]
	v_cmpx_lt_i16_e32 10, v4
	s_xor_b32 s35, exec_lo, s35
	s_cbranch_execz .LBB51_7674
; %bb.7593:
	s_mov_b32 s34, vcc_hi
	s_mov_b32 s36, exec_lo
	v_cmpx_lt_i16_e32 25, v4
	s_xor_b32 s36, exec_lo, s36
	s_cbranch_execz .LBB51_7629
; %bb.7594:
	s_mov_b32 s37, vcc_hi
	s_mov_b32 s34, exec_lo
	;; [unrolled: 6-line block ×3, first 2 shown]
	v_cmpx_lt_i16_e32 43, v4
	s_xor_b32 s37, exec_lo, s37
	s_cbranch_execz .LBB51_7607
; %bb.7596:
	s_mov_b32 s38, 0
	s_mov_b32 s39, vcc_hi
	s_mov_b32 s0, exec_lo
	v_cmpx_lt_i16_e32 45, v4
	s_xor_b32 s0, exec_lo, s0
	s_cbranch_execz .LBB51_7600
; %bb.7597:
	s_mov_b32 s48, -1
	s_mov_b32 s39, exec_lo
	v_cmpx_eq_u16_e32 46, v4
	s_cbranch_execz .LBB51_7599
; %bb.7598:
	v_bfe_u32 v1, v10, 16, 1
	v_cmp_o_f32_e32 vcc_lo, v10, v10
	s_mov_b32 s38, exec_lo
	s_xor_b32 s48, exec_lo, -1
	s_delay_alu instid0(VALU_DEP_2) | instskip(NEXT) | instid1(VALU_DEP_1)
	v_add3_u32 v1, v10, v1, 0x7fff
	v_lshrrev_b32_e32 v1, 16, v1
	s_delay_alu instid0(VALU_DEP_1)
	v_cndmask_b32_e32 v1, 0x7fc0, v1, vcc_lo
	flat_store_b32 v[2:3], v1
.LBB51_7599:
	s_wait_xcnt 0x0
	s_or_b32 exec_lo, exec_lo, s39
	s_delay_alu instid0(SALU_CYCLE_1)
	s_and_not1_b32 vcc_lo, vcc_hi, exec_lo
	s_and_b32 s39, s48, exec_lo
	s_and_b32 s38, s38, exec_lo
	s_or_b32 s39, vcc_lo, s39
                                        ; implicit-def: $vgpr2_vgpr3
                                        ; implicit-def: $vgpr10
.LBB51_7600:
	s_and_not1_saveexec_b32 s48, s0
	s_cbranch_execz .LBB51_7606
; %bb.7601:
	s_mov_b32 s50, -1
	s_mov_b32 s0, s38
	s_mov_b32 s49, exec_lo
	v_cmpx_eq_u16_e32 44, v4
	s_cbranch_execz .LBB51_7605
; %bb.7602:
	v_bfe_u32 v5, v10, 23, 8
	v_mov_b32_e32 v1, 0xff
	s_mov_b32 s50, exec_lo
	s_delay_alu instid0(VALU_DEP_2)
	v_cmpx_ne_u32_e32 0xff, v5
	s_cbranch_execz .LBB51_7604
; %bb.7603:
	v_and_b32_e32 v1, 0x400000, v10
	v_and_or_b32 v5, 0x3fffff, v10, v5
	s_delay_alu instid0(VALU_DEP_2) | instskip(NEXT) | instid1(VALU_DEP_2)
	v_cmp_ne_u32_e32 vcc_lo, 0, v1
	v_cmp_ne_u32_e64 s0, 0, v5
	v_lshrrev_b32_e32 v1, 23, v10
	s_and_b32 s0, vcc_lo, s0
	s_delay_alu instid0(SALU_CYCLE_1) | instskip(NEXT) | instid1(VALU_DEP_1)
	v_cndmask_b32_e64 v5, 0, 1, s0
	v_add_nc_u32_e32 v1, v1, v5
.LBB51_7604:
	s_or_b32 exec_lo, exec_lo, s50
	s_delay_alu instid0(SALU_CYCLE_1)
	s_xor_b32 s50, exec_lo, -1
	s_or_b32 s0, s38, exec_lo
	flat_store_b8 v[2:3], v1
.LBB51_7605:
	s_wait_xcnt 0x0
	s_or_b32 exec_lo, exec_lo, s49
	s_delay_alu instid0(SALU_CYCLE_1)
	s_and_not1_b32 vcc_lo, s39, exec_lo
	s_and_b32 s39, s50, exec_lo
	s_and_not1_b32 s38, s38, exec_lo
	s_and_b32 s0, s0, exec_lo
	s_or_b32 s39, vcc_lo, s39
	s_or_b32 s38, s38, s0
.LBB51_7606:
	s_or_b32 exec_lo, exec_lo, s48
	s_delay_alu instid0(SALU_CYCLE_1) | instskip(SKIP_1) | instid1(SALU_CYCLE_1)
	s_and_not1_b32 s0, vcc_hi, exec_lo
	s_and_b32 vcc_lo, s39, exec_lo
                                        ; implicit-def: $vgpr10
                                        ; implicit-def: $vgpr2_vgpr3
	s_or_b32 s39, s0, vcc_lo
	s_and_b32 s0, s38, exec_lo
.LBB51_7607:
	s_and_not1_saveexec_b32 s37, s37
	s_cbranch_execz .LBB51_7611
; %bb.7608:
	s_mov_b32 s49, -1
	s_mov_b32 s48, s0
	s_mov_b32 s38, exec_lo
	v_cmpx_eq_u16_e32 29, v4
	s_cbranch_execz .LBB51_7610
; %bb.7609:
	v_trunc_f32_e32 v1, v10
	s_xor_b32 s49, exec_lo, -1
	s_or_b32 s48, s0, exec_lo
	s_delay_alu instid0(VALU_DEP_1) | instskip(NEXT) | instid1(VALU_DEP_1)
	v_mul_f32_e32 v5, 0x2f800000, v1
	v_floor_f32_e32 v5, v5
	s_delay_alu instid0(VALU_DEP_1) | instskip(SKIP_1) | instid1(VALU_DEP_2)
	v_fmamk_f32 v1, v5, 0xcf800000, v1
	v_cvt_u32_f32_e32 v7, v5
	v_cvt_u32_f32_e32 v6, v1
	flat_store_b64 v[2:3], v[6:7]
.LBB51_7610:
	s_wait_xcnt 0x0
	s_or_b32 exec_lo, exec_lo, s38
	s_delay_alu instid0(SALU_CYCLE_1)
	s_and_not1_b32 vcc_lo, s39, exec_lo
	s_and_b32 s38, s49, exec_lo
	s_and_not1_b32 s0, s0, exec_lo
	s_and_b32 s48, s48, exec_lo
	s_or_b32 s39, vcc_lo, s38
	s_or_b32 s0, s0, s48
.LBB51_7611:
	s_or_b32 exec_lo, exec_lo, s37
	s_delay_alu instid0(SALU_CYCLE_1)
	s_and_not1_b32 vcc_lo, vcc_hi, exec_lo
	s_and_b32 s37, s39, exec_lo
	s_and_b32 s0, s0, exec_lo
	s_or_b32 s37, vcc_lo, s37
                                        ; implicit-def: $vgpr2_vgpr3
                                        ; implicit-def: $vgpr10
.LBB51_7612:
	s_and_not1_saveexec_b32 s34, s34
	s_cbranch_execz .LBB51_7628
; %bb.7613:
	s_mov_b32 s38, exec_lo
	v_cmpx_lt_i16_e32 26, v4
	s_xor_b32 s38, exec_lo, s38
	s_cbranch_execz .LBB51_7619
; %bb.7614:
	v_cmp_lt_i16_e32 vcc_lo, 27, v4
	v_cvt_u32_f32_e32 v1, v10
	s_and_saveexec_b32 s39, vcc_lo
	s_delay_alu instid0(SALU_CYCLE_1)
	s_xor_b32 vcc_lo, exec_lo, s39
	s_cbranch_execz .LBB51_7616
; %bb.7615:
	flat_store_b32 v[2:3], v1
                                        ; implicit-def: $vgpr2_vgpr3
                                        ; implicit-def: $vgpr1
.LBB51_7616:
	s_wait_xcnt 0x0
	s_and_not1_saveexec_b32 vcc_lo, vcc_lo
	s_cbranch_execz .LBB51_7618
; %bb.7617:
	flat_store_b16 v[2:3], v1
.LBB51_7618:
	s_wait_xcnt 0x0
	s_or_b32 exec_lo, exec_lo, vcc_lo
                                        ; implicit-def: $vgpr2_vgpr3
                                        ; implicit-def: $vgpr10
.LBB51_7619:
	s_and_not1_saveexec_b32 s38, s38
	s_cbranch_execz .LBB51_7627
; %bb.7620:
	v_and_b32_e32 v1, 0x7fffffff, v10
	v_mov_b32_e32 v5, 0x80
	s_mov_b32 s39, exec_lo
	s_delay_alu instid0(VALU_DEP_2)
	v_cmpx_gt_u32_e32 0x43800000, v1
	s_cbranch_execz .LBB51_7626
; %bb.7621:
	v_cmp_lt_u32_e32 vcc_lo, 0x3bffffff, v1
	s_mov_b32 s48, 0
                                        ; implicit-def: $vgpr1
	s_and_saveexec_b32 s49, vcc_lo
	s_delay_alu instid0(SALU_CYCLE_1)
	s_xor_b32 vcc_lo, exec_lo, s49
	s_cbranch_execnz .LBB51_7999
; %bb.7622:
	s_and_not1_saveexec_b32 s49, vcc_lo
	s_cbranch_execnz .LBB51_8000
.LBB51_7623:
	s_or_b32 exec_lo, exec_lo, s49
	v_mov_b32_e32 v5, 0
	s_and_saveexec_b32 vcc_lo, s48
.LBB51_7624:
	v_lshrrev_b32_e32 v5, 24, v10
	s_delay_alu instid0(VALU_DEP_1)
	v_and_or_b32 v5, 0x80, v5, v1
.LBB51_7625:
	s_or_b32 exec_lo, exec_lo, vcc_lo
.LBB51_7626:
	s_delay_alu instid0(SALU_CYCLE_1)
	s_or_b32 exec_lo, exec_lo, s39
	flat_store_b8 v[2:3], v5
.LBB51_7627:
	s_wait_xcnt 0x0
	s_or_b32 exec_lo, exec_lo, s38
	s_delay_alu instid0(SALU_CYCLE_1)
	s_or_b32 s0, s0, exec_lo
.LBB51_7628:
	s_or_b32 exec_lo, exec_lo, s34
	s_delay_alu instid0(SALU_CYCLE_1)
	s_and_not1_b32 vcc_lo, vcc_hi, exec_lo
	s_and_b32 s34, s37, exec_lo
	s_and_b32 s0, s0, exec_lo
	s_or_b32 s34, vcc_lo, s34
                                        ; implicit-def: $vgpr10
                                        ; implicit-def: $vgpr2_vgpr3
.LBB51_7629:
	s_and_not1_saveexec_b32 s36, s36
	s_cbranch_execz .LBB51_7673
; %bb.7630:
	s_mov_b32 s38, s0
	s_mov_b32 s37, exec_lo
	v_cmpx_lt_i16_e32 22, v4
	s_xor_b32 s37, exec_lo, s37
	s_cbranch_execz .LBB51_7662
; %bb.7631:
	s_mov_b32 s38, exec_lo
	v_cmpx_lt_i16_e32 23, v4
	s_xor_b32 s38, exec_lo, s38
	s_cbranch_execz .LBB51_7651
; %bb.7632:
	;; [unrolled: 5-line block ×3, first 2 shown]
	v_and_b32_e32 v1, 0x7fffffff, v10
	v_mov_b32_e32 v5, 0x80
	s_mov_b32 s48, exec_lo
	s_delay_alu instid0(VALU_DEP_2)
	v_cmpx_gt_u32_e32 0x47800000, v1
	s_cbranch_execz .LBB51_7639
; %bb.7634:
	v_cmp_lt_u32_e32 vcc_lo, 0x37ffffff, v1
	s_mov_b32 s49, 0
                                        ; implicit-def: $vgpr1
	s_and_saveexec_b32 s50, vcc_lo
	s_delay_alu instid0(SALU_CYCLE_1)
	s_xor_b32 vcc_lo, exec_lo, s50
	s_cbranch_execnz .LBB51_8001
; %bb.7635:
	s_and_not1_saveexec_b32 s50, vcc_lo
	s_cbranch_execnz .LBB51_8002
.LBB51_7636:
	s_or_b32 exec_lo, exec_lo, s50
	v_mov_b32_e32 v5, 0
	s_and_saveexec_b32 vcc_lo, s49
.LBB51_7637:
	v_lshrrev_b32_e32 v5, 24, v10
	s_delay_alu instid0(VALU_DEP_1)
	v_and_or_b32 v5, 0x80, v5, v1
.LBB51_7638:
	s_or_b32 exec_lo, exec_lo, vcc_lo
.LBB51_7639:
	s_delay_alu instid0(SALU_CYCLE_1)
	s_or_b32 exec_lo, exec_lo, s48
	flat_store_b8 v[2:3], v5
                                        ; implicit-def: $vgpr10
                                        ; implicit-def: $vgpr2_vgpr3
.LBB51_7640:
	s_wait_xcnt 0x0
	s_and_not1_saveexec_b32 s39, s39
	s_cbranch_execz .LBB51_7650
; %bb.7641:
	v_and_b32_e32 v5, 0x7fffffff, v10
	s_mov_b32 s48, exec_lo
                                        ; implicit-def: $vgpr1
	s_delay_alu instid0(VALU_DEP_1)
	v_cmpx_gt_u32_e32 0x43f00000, v5
	s_xor_b32 s48, exec_lo, s48
	s_cbranch_execz .LBB51_7647
; %bb.7642:
	s_mov_b32 s49, exec_lo
                                        ; implicit-def: $vgpr1
	v_cmpx_lt_u32_e32 0x3c7fffff, v5
	s_xor_b32 s49, exec_lo, s49
; %bb.7643:
	v_bfe_u32 v1, v10, 20, 1
	s_delay_alu instid0(VALU_DEP_1) | instskip(NEXT) | instid1(VALU_DEP_1)
	v_add3_u32 v1, v10, v1, 0x407ffff
	v_and_b32_e32 v5, 0xff00000, v1
	v_lshrrev_b32_e32 v1, 20, v1
	s_delay_alu instid0(VALU_DEP_2) | instskip(NEXT) | instid1(VALU_DEP_2)
	v_cmp_ne_u32_e32 vcc_lo, 0x7f00000, v5
	v_cndmask_b32_e32 v1, 0x7e, v1, vcc_lo
; %bb.7644:
	s_and_not1_saveexec_b32 vcc_lo, s49
; %bb.7645:
	v_add_f32_e64 v1, 0x46800000, |v10|
; %bb.7646:
	s_or_b32 exec_lo, exec_lo, vcc_lo
                                        ; implicit-def: $vgpr5
.LBB51_7647:
	s_and_not1_saveexec_b32 s48, s48
; %bb.7648:
	v_mov_b32_e32 v1, 0x7f
	v_cmp_lt_u32_e32 vcc_lo, 0x7f800000, v5
	s_delay_alu instid0(VALU_DEP_2)
	v_cndmask_b32_e32 v1, 0x7e, v1, vcc_lo
; %bb.7649:
	s_or_b32 exec_lo, exec_lo, s48
	v_lshrrev_b32_e32 v5, 24, v10
	s_delay_alu instid0(VALU_DEP_1)
	v_and_or_b32 v1, 0x80, v5, v1
	flat_store_b8 v[2:3], v1
.LBB51_7650:
	s_wait_xcnt 0x0
	s_or_b32 exec_lo, exec_lo, s39
                                        ; implicit-def: $vgpr10
                                        ; implicit-def: $vgpr2_vgpr3
.LBB51_7651:
	s_and_not1_saveexec_b32 s38, s38
	s_cbranch_execz .LBB51_7661
; %bb.7652:
	v_and_b32_e32 v5, 0x7fffffff, v10
	s_mov_b32 s39, exec_lo
                                        ; implicit-def: $vgpr1
	s_delay_alu instid0(VALU_DEP_1)
	v_cmpx_gt_u32_e32 0x47800000, v5
	s_xor_b32 s39, exec_lo, s39
	s_cbranch_execz .LBB51_7658
; %bb.7653:
	v_cmp_lt_u32_e32 vcc_lo, 0x387fffff, v5
                                        ; implicit-def: $vgpr1
	s_and_saveexec_b32 s48, vcc_lo
	s_delay_alu instid0(SALU_CYCLE_1)
	s_xor_b32 vcc_lo, exec_lo, s48
; %bb.7654:
	v_bfe_u32 v1, v10, 21, 1
	s_delay_alu instid0(VALU_DEP_1) | instskip(NEXT) | instid1(VALU_DEP_1)
	v_add3_u32 v1, v10, v1, 0x80fffff
	v_lshrrev_b32_e32 v1, 21, v1
; %bb.7655:
	s_and_not1_saveexec_b32 vcc_lo, vcc_lo
; %bb.7656:
	v_add_f32_e64 v1, 0x43000000, |v10|
; %bb.7657:
	s_or_b32 exec_lo, exec_lo, vcc_lo
                                        ; implicit-def: $vgpr5
.LBB51_7658:
	s_and_not1_saveexec_b32 s39, s39
; %bb.7659:
	v_mov_b32_e32 v1, 0x7f
	v_cmp_lt_u32_e32 vcc_lo, 0x7f800000, v5
	s_delay_alu instid0(VALU_DEP_2)
	v_cndmask_b32_e32 v1, 0x7c, v1, vcc_lo
; %bb.7660:
	s_or_b32 exec_lo, exec_lo, s39
	v_lshrrev_b32_e32 v5, 24, v10
	s_delay_alu instid0(VALU_DEP_1)
	v_and_or_b32 v1, 0x80, v5, v1
	flat_store_b8 v[2:3], v1
.LBB51_7661:
	s_wait_xcnt 0x0
	s_or_b32 exec_lo, exec_lo, s38
	s_delay_alu instid0(SALU_CYCLE_1)
	s_or_b32 s38, s0, exec_lo
                                        ; implicit-def: $vgpr10
                                        ; implicit-def: $vgpr2_vgpr3
.LBB51_7662:
	s_or_saveexec_b32 s37, s37
	s_mov_b32 vcc_lo, s34
	s_xor_b32 exec_lo, exec_lo, s37
	s_cbranch_execz .LBB51_7672
; %bb.7663:
	s_mov_b32 s39, s38
	s_mov_b32 s48, s34
	s_mov_b32 s49, exec_lo
	v_cmpx_lt_i16_e32 14, v4
	s_xor_b32 s49, exec_lo, s49
	s_cbranch_execz .LBB51_7667
; %bb.7664:
	s_mov_b32 s50, -1
	s_mov_b32 s39, s38
	s_mov_b32 s48, exec_lo
	v_cmpx_eq_u16_e32 15, v4
	s_cbranch_execz .LBB51_7666
; %bb.7665:
	v_bfe_u32 v1, v10, 16, 1
	v_cmp_o_f32_e32 vcc_lo, v10, v10
	s_xor_b32 s50, exec_lo, -1
	s_or_b32 s39, s38, exec_lo
	s_delay_alu instid0(VALU_DEP_2) | instskip(NEXT) | instid1(VALU_DEP_1)
	v_add3_u32 v1, v10, v1, 0x7fff
	v_lshrrev_b32_e32 v1, 16, v1
	s_delay_alu instid0(VALU_DEP_1)
	v_cndmask_b32_e32 v1, 0x7fc0, v1, vcc_lo
	flat_store_b16 v[2:3], v1
.LBB51_7666:
	s_wait_xcnt 0x0
	s_or_b32 exec_lo, exec_lo, s48
	s_delay_alu instid0(SALU_CYCLE_1)
	s_and_not1_b32 vcc_lo, s34, exec_lo
	s_and_b32 s48, s50, exec_lo
	s_and_not1_b32 s50, s38, exec_lo
	s_and_b32 s39, s39, exec_lo
	s_or_b32 s48, vcc_lo, s48
	s_or_b32 s39, s50, s39
                                        ; implicit-def: $vgpr10
                                        ; implicit-def: $vgpr2_vgpr3
.LBB51_7667:
	s_and_not1_saveexec_b32 s49, s49
	s_cbranch_execz .LBB51_7671
; %bb.7668:
	s_mov_b32 s51, -1
	s_mov_b32 s50, s39
	s_mov_b32 s52, exec_lo
	v_cmpx_eq_u16_e32 11, v4
	s_cbranch_execz .LBB51_7670
; %bb.7669:
	v_cmp_neq_f32_e32 vcc_lo, 0, v10
	s_xor_b32 s51, exec_lo, -1
	s_or_b32 s50, s39, exec_lo
	v_cndmask_b32_e64 v1, 0, 1, vcc_lo
	flat_store_b8 v[2:3], v1
.LBB51_7670:
	s_wait_xcnt 0x0
	s_or_b32 exec_lo, exec_lo, s52
	s_delay_alu instid0(SALU_CYCLE_1)
	s_and_not1_b32 vcc_lo, s48, exec_lo
	s_and_b32 s48, s51, exec_lo
	s_and_not1_b32 s39, s39, exec_lo
	s_and_b32 s50, s50, exec_lo
	s_or_b32 s48, vcc_lo, s48
	s_or_b32 s39, s39, s50
.LBB51_7671:
	s_or_b32 exec_lo, exec_lo, s49
	s_delay_alu instid0(SALU_CYCLE_1)
	s_and_not1_b32 vcc_lo, s34, exec_lo
	s_and_b32 s48, s48, exec_lo
	s_and_not1_b32 s38, s38, exec_lo
	s_and_b32 s39, s39, exec_lo
	s_or_b32 vcc_lo, vcc_lo, s48
	s_or_b32 s38, s38, s39
.LBB51_7672:
	s_or_b32 exec_lo, exec_lo, s37
	s_delay_alu instid0(SALU_CYCLE_1)
	s_and_not1_b32 s34, s34, exec_lo
	s_and_b32 vcc_lo, vcc_lo, exec_lo
	s_and_not1_b32 s0, s0, exec_lo
	s_and_b32 s37, s38, exec_lo
	s_or_b32 s34, s34, vcc_lo
	s_or_b32 s0, s0, s37
.LBB51_7673:
	s_or_b32 exec_lo, exec_lo, s36
	s_delay_alu instid0(SALU_CYCLE_1)
	s_and_not1_b32 vcc_lo, vcc_hi, exec_lo
	s_and_b32 s34, s34, exec_lo
	s_and_b32 s0, s0, exec_lo
	s_or_b32 s34, vcc_lo, s34
                                        ; implicit-def: $vgpr10
                                        ; implicit-def: $vgpr2_vgpr3
.LBB51_7674:
	s_and_not1_saveexec_b32 s35, s35
	s_cbranch_execz .LBB51_7716
; %bb.7675:
	s_mov_b32 s36, exec_lo
	v_cmpx_lt_i16_e32 4, v4
	s_xor_b32 s36, exec_lo, s36
	s_cbranch_execz .LBB51_7697
; %bb.7676:
	s_mov_b32 s37, exec_lo
	v_cmpx_lt_i16_e32 7, v4
	s_xor_b32 s37, exec_lo, s37
	;; [unrolled: 5-line block ×3, first 2 shown]
	s_cbranch_execz .LBB51_7683
; %bb.7678:
	v_cmp_lt_i16_e32 vcc_lo, 9, v4
	s_and_saveexec_b32 s39, vcc_lo
	s_delay_alu instid0(SALU_CYCLE_1)
	s_xor_b32 vcc_lo, exec_lo, s39
	s_cbranch_execz .LBB51_7680
; %bb.7679:
	v_cvt_f64_f32_e32 v[10:11], v10
	v_mov_b32_e32 v12, 0
	s_delay_alu instid0(VALU_DEP_1)
	v_mov_b32_e32 v13, v12
	flat_store_b128 v[2:3], v[10:13]
                                        ; implicit-def: $vgpr10
                                        ; implicit-def: $vgpr2_vgpr3
.LBB51_7680:
	s_wait_xcnt 0x0
	s_and_not1_saveexec_b32 vcc_lo, vcc_lo
	s_cbranch_execz .LBB51_7682
; %bb.7681:
	v_mov_b32_e32 v11, 0
	flat_store_b64 v[2:3], v[10:11]
.LBB51_7682:
	s_wait_xcnt 0x0
	s_or_b32 exec_lo, exec_lo, vcc_lo
                                        ; implicit-def: $vgpr10
                                        ; implicit-def: $vgpr2_vgpr3
.LBB51_7683:
	s_and_not1_saveexec_b32 vcc_lo, s38
	s_cbranch_execz .LBB51_7685
; %bb.7684:
	v_cvt_f16_f32_e32 v1, v10
	s_delay_alu instid0(VALU_DEP_1)
	v_and_b32_e32 v1, 0xffff, v1
	flat_store_b32 v[2:3], v1
.LBB51_7685:
	s_wait_xcnt 0x0
	s_or_b32 exec_lo, exec_lo, vcc_lo
                                        ; implicit-def: $vgpr10
                                        ; implicit-def: $vgpr2_vgpr3
.LBB51_7686:
	s_and_not1_saveexec_b32 s37, s37
	s_cbranch_execz .LBB51_7696
; %bb.7687:
	s_mov_b32 s38, exec_lo
	v_cmpx_lt_i16_e32 5, v4
	s_xor_b32 s38, exec_lo, s38
	s_cbranch_execz .LBB51_7693
; %bb.7688:
	v_cmp_lt_i16_e32 vcc_lo, 6, v4
	s_and_saveexec_b32 s39, vcc_lo
	s_delay_alu instid0(SALU_CYCLE_1)
	s_xor_b32 vcc_lo, exec_lo, s39
	s_cbranch_execz .LBB51_7690
; %bb.7689:
	v_cvt_f64_f32_e32 v[6:7], v10
                                        ; implicit-def: $vgpr10
	flat_store_b64 v[2:3], v[6:7]
                                        ; implicit-def: $vgpr2_vgpr3
.LBB51_7690:
	s_wait_xcnt 0x0
	s_and_not1_saveexec_b32 vcc_lo, vcc_lo
	s_cbranch_execz .LBB51_7692
; %bb.7691:
	flat_store_b32 v[2:3], v10
.LBB51_7692:
	s_wait_xcnt 0x0
	s_or_b32 exec_lo, exec_lo, vcc_lo
                                        ; implicit-def: $vgpr10
                                        ; implicit-def: $vgpr2_vgpr3
.LBB51_7693:
	s_and_not1_saveexec_b32 vcc_lo, s38
	s_cbranch_execz .LBB51_7695
; %bb.7694:
	v_cvt_f16_f32_e32 v1, v10
	flat_store_b16 v[2:3], v1
.LBB51_7695:
	s_wait_xcnt 0x0
	s_or_b32 exec_lo, exec_lo, vcc_lo
.LBB51_7696:
	s_delay_alu instid0(SALU_CYCLE_1)
	s_or_b32 exec_lo, exec_lo, s37
                                        ; implicit-def: $vgpr10
                                        ; implicit-def: $vgpr2_vgpr3
.LBB51_7697:
	s_and_not1_saveexec_b32 s36, s36
	s_cbranch_execz .LBB51_7715
; %bb.7698:
	s_mov_b32 s37, exec_lo
	v_cmpx_lt_i16_e32 1, v4
	s_xor_b32 s37, exec_lo, s37
	s_cbranch_execz .LBB51_7708
; %bb.7699:
	s_mov_b32 s38, exec_lo
	v_cmpx_lt_i16_e32 2, v4
	s_xor_b32 s38, exec_lo, s38
	s_cbranch_execz .LBB51_7705
; %bb.7700:
	v_cmp_lt_i16_e32 vcc_lo, 3, v4
	s_and_saveexec_b32 s39, vcc_lo
	s_delay_alu instid0(SALU_CYCLE_1)
	s_xor_b32 vcc_lo, exec_lo, s39
	s_cbranch_execz .LBB51_7702
; %bb.7701:
	v_trunc_f32_e32 v1, v10
	s_delay_alu instid0(VALU_DEP_1) | instskip(SKIP_1) | instid1(VALU_DEP_2)
	v_mul_f32_e64 v5, 0x2f800000, |v1|
	v_ashrrev_i32_e32 v6, 31, v1
	v_floor_f32_e32 v5, v5
	s_delay_alu instid0(VALU_DEP_1) | instskip(SKIP_1) | instid1(VALU_DEP_2)
	v_fma_f32 v7, 0xcf800000, v5, |v1|
	v_cvt_u32_f32_e32 v1, v5
	v_cvt_u32_f32_e32 v5, v7
	s_delay_alu instid0(VALU_DEP_2) | instskip(NEXT) | instid1(VALU_DEP_2)
	v_dual_mov_b32 v7, v6 :: v_dual_bitop2_b32 v11, v1, v6 bitop3:0x14
	v_xor_b32_e32 v10, v5, v6
	s_delay_alu instid0(VALU_DEP_1)
	v_sub_nc_u64_e32 v[6:7], v[10:11], v[6:7]
                                        ; implicit-def: $vgpr10
	flat_store_b64 v[2:3], v[6:7]
                                        ; implicit-def: $vgpr2_vgpr3
.LBB51_7702:
	s_wait_xcnt 0x0
	s_and_not1_saveexec_b32 vcc_lo, vcc_lo
	s_cbranch_execz .LBB51_7704
; %bb.7703:
	v_cvt_i32_f32_e32 v1, v10
	flat_store_b32 v[2:3], v1
.LBB51_7704:
	s_wait_xcnt 0x0
	s_or_b32 exec_lo, exec_lo, vcc_lo
                                        ; implicit-def: $vgpr10
                                        ; implicit-def: $vgpr2_vgpr3
.LBB51_7705:
	s_and_not1_saveexec_b32 vcc_lo, s38
	s_cbranch_execz .LBB51_7707
; %bb.7706:
	v_cvt_i32_f32_e32 v1, v10
	flat_store_b16 v[2:3], v1
.LBB51_7707:
	s_wait_xcnt 0x0
	s_or_b32 exec_lo, exec_lo, vcc_lo
                                        ; implicit-def: $vgpr10
                                        ; implicit-def: $vgpr2_vgpr3
.LBB51_7708:
	s_and_not1_saveexec_b32 s37, s37
	s_cbranch_execz .LBB51_7714
; %bb.7709:
	v_cmp_lt_i16_e32 vcc_lo, 0, v4
	s_and_saveexec_b32 s38, vcc_lo
	s_delay_alu instid0(SALU_CYCLE_1)
	s_xor_b32 vcc_lo, exec_lo, s38
	s_cbranch_execz .LBB51_7711
; %bb.7710:
	v_cvt_i32_f32_e32 v1, v10
                                        ; implicit-def: $vgpr10
	flat_store_b8 v[2:3], v1
                                        ; implicit-def: $vgpr2_vgpr3
.LBB51_7711:
	s_wait_xcnt 0x0
	s_and_not1_saveexec_b32 vcc_lo, vcc_lo
	s_cbranch_execz .LBB51_7713
; %bb.7712:
	v_trunc_f32_e32 v1, v10
	s_delay_alu instid0(VALU_DEP_1) | instskip(NEXT) | instid1(VALU_DEP_1)
	v_mul_f32_e64 v5, 0x2f800000, |v1|
	v_floor_f32_e32 v5, v5
	s_delay_alu instid0(VALU_DEP_1) | instskip(SKIP_1) | instid1(VALU_DEP_2)
	v_fma_f32 v5, 0xcf800000, v5, |v1|
	v_ashrrev_i32_e32 v1, 31, v1
	v_cvt_u32_f32_e32 v5, v5
	s_delay_alu instid0(VALU_DEP_1) | instskip(NEXT) | instid1(VALU_DEP_1)
	v_xor_b32_e32 v5, v5, v1
	v_sub_nc_u32_e32 v1, v5, v1
	flat_store_b8 v[2:3], v1
.LBB51_7713:
	s_wait_xcnt 0x0
	s_or_b32 exec_lo, exec_lo, vcc_lo
.LBB51_7714:
	s_delay_alu instid0(SALU_CYCLE_1)
	s_or_b32 exec_lo, exec_lo, s37
.LBB51_7715:
	s_delay_alu instid0(SALU_CYCLE_1) | instskip(NEXT) | instid1(SALU_CYCLE_1)
	s_or_b32 exec_lo, exec_lo, s36
	s_or_b32 s0, s0, exec_lo
.LBB51_7716:
	s_or_b32 exec_lo, exec_lo, s35
	s_mov_b32 vcc_lo, 0
	s_mov_b32 s36, 0
	s_mov_b32 s37, 0
                                        ; implicit-def: $vgpr2_vgpr3
	s_and_saveexec_b32 s35, s0
	s_cbranch_execz .LBB51_7800
; %bb.7717:
	v_add_nc_u32_e32 v1, 0x200, v103
	s_mov_b32 s0, 0
	s_mov_b32 s37, -1
	s_mov_b32 s38, s34
	s_mov_b32 s39, 0
	s_mov_b32 s36, exec_lo
                                        ; implicit-def: $vgpr2_vgpr3
	v_cmpx_lt_i32_e64 v1, v8
	s_cbranch_execz .LBB51_7799
; %bb.7718:
	v_dual_add_nc_u32 v1, s3, v1 :: v_dual_mov_b32 v3, 0
	s_mov_b32 s39, -1
	s_mov_b32 s38, s34
	s_mov_b32 s37, 0
	s_delay_alu instid0(VALU_DEP_1) | instskip(SKIP_1) | instid1(VALU_DEP_1)
	v_mul_lo_u32 v2, v1, v14
	s_mov_b32 s3, exec_lo
	v_add_nc_u64_e32 v[2:3], v[114:115], v[2:3]
	v_cmpx_lt_i16_e32 10, v4
	s_cbranch_execz .LBB51_7798
; %bb.7719:
	s_mov_b32 s38, 0
	s_mov_b32 s0, s34
	s_mov_b32 s39, exec_lo
	v_cmpx_lt_i16_e32 25, v4
	s_xor_b32 s39, exec_lo, s39
	s_cbranch_execz .LBB51_7755
; %bb.7720:
	s_mov_b32 s0, 0
	s_mov_b32 s48, s34
	s_mov_b32 s37, exec_lo
	v_cmpx_lt_i16_e32 28, v4
	s_xor_b32 s37, exec_lo, s37
	s_cbranch_execz .LBB51_7738
; %bb.7721:
	s_mov_b32 s49, s34
	s_mov_b32 s48, exec_lo
	v_cmpx_lt_i16_e32 43, v4
	s_xor_b32 s48, exec_lo, s48
	s_cbranch_execz .LBB51_7733
; %bb.7722:
	s_mov_b32 s49, 0
	s_mov_b32 s50, s34
	s_mov_b32 s0, exec_lo
	v_cmpx_lt_i16_e32 45, v4
	s_xor_b32 s0, exec_lo, s0
	s_cbranch_execz .LBB51_7726
; %bb.7723:
	s_mov_b32 s50, -1
	s_mov_b32 s51, exec_lo
	v_cmpx_eq_u16_e32 46, v4
	s_cbranch_execz .LBB51_7725
; %bb.7724:
	v_bfe_u32 v1, v0, 16, 1
	v_cmp_o_f32_e32 vcc_lo, v0, v0
	s_mov_b32 s49, exec_lo
	s_xor_b32 s50, exec_lo, -1
	s_delay_alu instid0(VALU_DEP_2) | instskip(NEXT) | instid1(VALU_DEP_1)
	v_add3_u32 v1, v0, v1, 0x7fff
	v_lshrrev_b32_e32 v1, 16, v1
	s_delay_alu instid0(VALU_DEP_1)
	v_cndmask_b32_e32 v1, 0x7fc0, v1, vcc_lo
	flat_store_b32 v[2:3], v1
.LBB51_7725:
	s_wait_xcnt 0x0
	s_or_b32 exec_lo, exec_lo, s51
	s_delay_alu instid0(SALU_CYCLE_1)
	s_and_not1_b32 vcc_lo, s34, exec_lo
	s_and_b32 s50, s50, exec_lo
	s_and_b32 s49, s49, exec_lo
	s_or_b32 s50, vcc_lo, s50
.LBB51_7726:
	s_and_not1_saveexec_b32 s51, s0
	s_cbranch_execz .LBB51_7732
; %bb.7727:
	s_mov_b32 s0, -1
	s_mov_b32 s53, s49
	s_mov_b32 s52, exec_lo
	v_cmpx_eq_u16_e32 44, v4
	s_cbranch_execz .LBB51_7731
; %bb.7728:
	v_bfe_u32 v5, v0, 23, 8
	v_mov_b32_e32 v1, 0xff
	s_mov_b32 s53, exec_lo
	s_delay_alu instid0(VALU_DEP_2)
	v_cmpx_ne_u32_e32 0xff, v5
	s_cbranch_execz .LBB51_7730
; %bb.7729:
	v_and_b32_e32 v1, 0x400000, v0
	v_and_or_b32 v5, 0x3fffff, v0, v5
	s_delay_alu instid0(VALU_DEP_2) | instskip(NEXT) | instid1(VALU_DEP_2)
	v_cmp_ne_u32_e32 vcc_lo, 0, v1
	v_cmp_ne_u32_e64 s0, 0, v5
	v_lshrrev_b32_e32 v1, 23, v0
	s_and_b32 s0, vcc_lo, s0
	s_delay_alu instid0(SALU_CYCLE_1) | instskip(NEXT) | instid1(VALU_DEP_1)
	v_cndmask_b32_e64 v5, 0, 1, s0
	v_add_nc_u32_e32 v1, v1, v5
.LBB51_7730:
	s_or_b32 exec_lo, exec_lo, s53
	s_delay_alu instid0(SALU_CYCLE_1)
	s_or_b32 s53, s49, exec_lo
	s_xor_b32 s0, exec_lo, -1
	flat_store_b8 v[2:3], v1
.LBB51_7731:
	s_wait_xcnt 0x0
	s_or_b32 exec_lo, exec_lo, s52
	s_delay_alu instid0(SALU_CYCLE_1)
	s_and_not1_b32 vcc_lo, s49, exec_lo
	s_and_b32 s49, s53, exec_lo
	s_and_not1_b32 s50, s50, exec_lo
	s_and_b32 s0, s0, exec_lo
	s_or_b32 s49, vcc_lo, s49
	s_or_b32 s50, s50, s0
.LBB51_7732:
	s_or_b32 exec_lo, exec_lo, s51
	s_delay_alu instid0(SALU_CYCLE_1)
	s_and_not1_b32 vcc_lo, s34, exec_lo
	s_and_b32 s50, s50, exec_lo
	s_and_b32 s0, s49, exec_lo
	s_or_b32 s49, vcc_lo, s50
.LBB51_7733:
	s_and_not1_saveexec_b32 s48, s48
	s_cbranch_execz .LBB51_7737
; %bb.7734:
	s_mov_b32 s51, -1
	s_mov_b32 s52, s0
	s_mov_b32 s50, exec_lo
	v_cmpx_eq_u16_e32 29, v4
	s_cbranch_execz .LBB51_7736
; %bb.7735:
	v_trunc_f32_e32 v1, v0
	s_or_b32 s52, s0, exec_lo
	s_xor_b32 s51, exec_lo, -1
	s_delay_alu instid0(VALU_DEP_1) | instskip(NEXT) | instid1(VALU_DEP_1)
	v_mul_f32_e32 v5, 0x2f800000, v1
	v_floor_f32_e32 v5, v5
	s_delay_alu instid0(VALU_DEP_1) | instskip(SKIP_1) | instid1(VALU_DEP_2)
	v_fmamk_f32 v1, v5, 0xcf800000, v1
	v_cvt_u32_f32_e32 v7, v5
	v_cvt_u32_f32_e32 v6, v1
	flat_store_b64 v[2:3], v[6:7]
.LBB51_7736:
	s_wait_xcnt 0x0
	s_or_b32 exec_lo, exec_lo, s50
	s_delay_alu instid0(SALU_CYCLE_1)
	s_and_not1_b32 s0, s0, exec_lo
	s_and_b32 vcc_lo, s52, exec_lo
	s_and_not1_b32 s49, s49, exec_lo
	s_and_b32 s50, s51, exec_lo
	s_or_b32 s0, s0, vcc_lo
	s_or_b32 s49, s49, s50
.LBB51_7737:
	s_or_b32 exec_lo, exec_lo, s48
	s_delay_alu instid0(SALU_CYCLE_1)
	s_and_not1_b32 vcc_lo, s34, exec_lo
	s_and_b32 s48, s49, exec_lo
	s_and_b32 s0, s0, exec_lo
	s_or_b32 s48, vcc_lo, s48
.LBB51_7738:
	s_and_not1_saveexec_b32 s37, s37
	s_cbranch_execz .LBB51_7754
; %bb.7739:
	s_mov_b32 s49, exec_lo
	v_cmpx_lt_i16_e32 26, v4
	s_xor_b32 s49, exec_lo, s49
	s_cbranch_execz .LBB51_7745
; %bb.7740:
	v_cmp_lt_i16_e32 vcc_lo, 27, v4
	v_cvt_u32_f32_e32 v1, v0
	s_and_saveexec_b32 s50, vcc_lo
	s_delay_alu instid0(SALU_CYCLE_1)
	s_xor_b32 vcc_lo, exec_lo, s50
	s_cbranch_execz .LBB51_7742
; %bb.7741:
	flat_store_b32 v[2:3], v1
                                        ; implicit-def: $vgpr1
.LBB51_7742:
	s_wait_xcnt 0x0
	s_and_not1_saveexec_b32 vcc_lo, vcc_lo
	s_cbranch_execz .LBB51_7744
; %bb.7743:
	flat_store_b16 v[2:3], v1
.LBB51_7744:
	s_wait_xcnt 0x0
	s_or_b32 exec_lo, exec_lo, vcc_lo
.LBB51_7745:
	s_and_not1_saveexec_b32 s49, s49
	s_cbranch_execz .LBB51_7753
; %bb.7746:
	v_and_b32_e32 v1, 0x7fffffff, v0
	v_mov_b32_e32 v5, 0x80
	s_mov_b32 s50, exec_lo
	s_delay_alu instid0(VALU_DEP_2)
	v_cmpx_gt_u32_e32 0x43800000, v1
	s_cbranch_execz .LBB51_7752
; %bb.7747:
	v_cmp_lt_u32_e32 vcc_lo, 0x3bffffff, v1
	s_mov_b32 s51, 0
                                        ; implicit-def: $vgpr1
	s_and_saveexec_b32 s52, vcc_lo
	s_delay_alu instid0(SALU_CYCLE_1)
	s_xor_b32 vcc_lo, exec_lo, s52
	s_cbranch_execnz .LBB51_8003
; %bb.7748:
	s_and_not1_saveexec_b32 s52, vcc_lo
	s_cbranch_execnz .LBB51_8004
.LBB51_7749:
	s_or_b32 exec_lo, exec_lo, s52
	v_mov_b32_e32 v5, 0
	s_and_saveexec_b32 vcc_lo, s51
.LBB51_7750:
	v_lshrrev_b32_e32 v5, 24, v0
	s_delay_alu instid0(VALU_DEP_1)
	v_and_or_b32 v5, 0x80, v5, v1
.LBB51_7751:
	s_or_b32 exec_lo, exec_lo, vcc_lo
.LBB51_7752:
	s_delay_alu instid0(SALU_CYCLE_1)
	s_or_b32 exec_lo, exec_lo, s50
	flat_store_b8 v[2:3], v5
.LBB51_7753:
	s_wait_xcnt 0x0
	s_or_b32 exec_lo, exec_lo, s49
	s_delay_alu instid0(SALU_CYCLE_1)
	s_or_b32 s0, s0, exec_lo
.LBB51_7754:
	s_or_b32 exec_lo, exec_lo, s37
	s_delay_alu instid0(SALU_CYCLE_1)
	s_and_not1_b32 vcc_lo, s34, exec_lo
	s_and_b32 s48, s48, exec_lo
	s_and_b32 s37, s0, exec_lo
	s_or_b32 s0, vcc_lo, s48
.LBB51_7755:
	s_and_not1_saveexec_b32 s39, s39
	s_cbranch_execz .LBB51_7797
; %bb.7756:
	s_mov_b32 s48, s37
	s_mov_b32 s38, exec_lo
	v_cmpx_lt_i16_e32 22, v4
	s_xor_b32 s38, exec_lo, s38
	s_cbranch_execz .LBB51_7788
; %bb.7757:
	s_mov_b32 s48, exec_lo
	v_cmpx_lt_i16_e32 23, v4
	s_xor_b32 s48, exec_lo, s48
	s_cbranch_execz .LBB51_7777
; %bb.7758:
	;; [unrolled: 5-line block ×3, first 2 shown]
	v_and_b32_e32 v1, 0x7fffffff, v0
	v_mov_b32_e32 v5, 0x80
	s_mov_b32 s50, exec_lo
	s_delay_alu instid0(VALU_DEP_2)
	v_cmpx_gt_u32_e32 0x47800000, v1
	s_cbranch_execz .LBB51_7765
; %bb.7760:
	v_cmp_lt_u32_e32 vcc_lo, 0x37ffffff, v1
	s_mov_b32 s51, 0
                                        ; implicit-def: $vgpr1
	s_and_saveexec_b32 s52, vcc_lo
	s_delay_alu instid0(SALU_CYCLE_1)
	s_xor_b32 vcc_lo, exec_lo, s52
	s_cbranch_execnz .LBB51_8005
; %bb.7761:
	s_and_not1_saveexec_b32 s52, vcc_lo
	s_cbranch_execnz .LBB51_8006
.LBB51_7762:
	s_or_b32 exec_lo, exec_lo, s52
	v_mov_b32_e32 v5, 0
	s_and_saveexec_b32 vcc_lo, s51
.LBB51_7763:
	v_lshrrev_b32_e32 v5, 24, v0
	s_delay_alu instid0(VALU_DEP_1)
	v_and_or_b32 v5, 0x80, v5, v1
.LBB51_7764:
	s_or_b32 exec_lo, exec_lo, vcc_lo
.LBB51_7765:
	s_delay_alu instid0(SALU_CYCLE_1)
	s_or_b32 exec_lo, exec_lo, s50
	flat_store_b8 v[2:3], v5
.LBB51_7766:
	s_wait_xcnt 0x0
	s_and_not1_saveexec_b32 s49, s49
	s_cbranch_execz .LBB51_7776
; %bb.7767:
	v_and_b32_e32 v5, 0x7fffffff, v0
	s_mov_b32 s50, exec_lo
                                        ; implicit-def: $vgpr1
	s_delay_alu instid0(VALU_DEP_1)
	v_cmpx_gt_u32_e32 0x43f00000, v5
	s_xor_b32 s50, exec_lo, s50
	s_cbranch_execz .LBB51_7773
; %bb.7768:
	s_mov_b32 s51, exec_lo
                                        ; implicit-def: $vgpr1
	v_cmpx_lt_u32_e32 0x3c7fffff, v5
	s_xor_b32 s51, exec_lo, s51
; %bb.7769:
	v_bfe_u32 v1, v0, 20, 1
	s_delay_alu instid0(VALU_DEP_1) | instskip(NEXT) | instid1(VALU_DEP_1)
	v_add3_u32 v1, v0, v1, 0x407ffff
	v_and_b32_e32 v5, 0xff00000, v1
	v_lshrrev_b32_e32 v1, 20, v1
	s_delay_alu instid0(VALU_DEP_2) | instskip(NEXT) | instid1(VALU_DEP_2)
	v_cmp_ne_u32_e32 vcc_lo, 0x7f00000, v5
	v_cndmask_b32_e32 v1, 0x7e, v1, vcc_lo
; %bb.7770:
	s_and_not1_saveexec_b32 vcc_lo, s51
; %bb.7771:
	v_add_f32_e64 v1, 0x46800000, |v0|
; %bb.7772:
	s_or_b32 exec_lo, exec_lo, vcc_lo
                                        ; implicit-def: $vgpr5
.LBB51_7773:
	s_and_not1_saveexec_b32 s50, s50
; %bb.7774:
	v_mov_b32_e32 v1, 0x7f
	v_cmp_lt_u32_e32 vcc_lo, 0x7f800000, v5
	s_delay_alu instid0(VALU_DEP_2)
	v_cndmask_b32_e32 v1, 0x7e, v1, vcc_lo
; %bb.7775:
	s_or_b32 exec_lo, exec_lo, s50
	v_lshrrev_b32_e32 v5, 24, v0
	s_delay_alu instid0(VALU_DEP_1)
	v_and_or_b32 v1, 0x80, v5, v1
	flat_store_b8 v[2:3], v1
.LBB51_7776:
	s_wait_xcnt 0x0
	s_or_b32 exec_lo, exec_lo, s49
.LBB51_7777:
	s_and_not1_saveexec_b32 s48, s48
	s_cbranch_execz .LBB51_7787
; %bb.7778:
	v_and_b32_e32 v5, 0x7fffffff, v0
	s_mov_b32 s49, exec_lo
                                        ; implicit-def: $vgpr1
	s_delay_alu instid0(VALU_DEP_1)
	v_cmpx_gt_u32_e32 0x47800000, v5
	s_xor_b32 s49, exec_lo, s49
	s_cbranch_execz .LBB51_7784
; %bb.7779:
	v_cmp_lt_u32_e32 vcc_lo, 0x387fffff, v5
                                        ; implicit-def: $vgpr1
	s_and_saveexec_b32 s50, vcc_lo
	s_delay_alu instid0(SALU_CYCLE_1)
	s_xor_b32 vcc_lo, exec_lo, s50
; %bb.7780:
	v_bfe_u32 v1, v0, 21, 1
	s_delay_alu instid0(VALU_DEP_1) | instskip(NEXT) | instid1(VALU_DEP_1)
	v_add3_u32 v1, v0, v1, 0x80fffff
	v_lshrrev_b32_e32 v1, 21, v1
; %bb.7781:
	s_and_not1_saveexec_b32 vcc_lo, vcc_lo
; %bb.7782:
	v_add_f32_e64 v1, 0x43000000, |v0|
; %bb.7783:
	s_or_b32 exec_lo, exec_lo, vcc_lo
                                        ; implicit-def: $vgpr5
.LBB51_7784:
	s_and_not1_saveexec_b32 s49, s49
; %bb.7785:
	v_mov_b32_e32 v1, 0x7f
	v_cmp_lt_u32_e32 vcc_lo, 0x7f800000, v5
	s_delay_alu instid0(VALU_DEP_2)
	v_cndmask_b32_e32 v1, 0x7c, v1, vcc_lo
; %bb.7786:
	s_or_b32 exec_lo, exec_lo, s49
	v_lshrrev_b32_e32 v5, 24, v0
	s_delay_alu instid0(VALU_DEP_1)
	v_and_or_b32 v1, 0x80, v5, v1
	flat_store_b8 v[2:3], v1
.LBB51_7787:
	s_wait_xcnt 0x0
	s_or_b32 exec_lo, exec_lo, s48
	s_delay_alu instid0(SALU_CYCLE_1)
	s_or_b32 s48, s37, exec_lo
.LBB51_7788:
	s_or_saveexec_b32 s38, s38
	s_mov_b32 vcc_lo, 0
	s_mov_b32 s49, s0
	s_xor_b32 exec_lo, exec_lo, s38
	s_cbranch_execz .LBB51_7796
; %bb.7789:
	s_mov_b32 s50, s0
	s_mov_b32 s51, s48
	s_mov_b32 s49, exec_lo
	v_cmpx_lt_i16_e32 14, v4
	s_xor_b32 s49, exec_lo, s49
	s_cbranch_execz .LBB51_7793
; %bb.7790:
	s_mov_b32 s50, -1
	s_mov_b32 s52, s48
	s_mov_b32 s51, exec_lo
	v_cmpx_eq_u16_e32 15, v4
	s_cbranch_execz .LBB51_7792
; %bb.7791:
	v_bfe_u32 v1, v0, 16, 1
	v_cmp_o_f32_e32 vcc_lo, v0, v0
	s_or_b32 s52, s48, exec_lo
	s_xor_b32 s50, exec_lo, -1
	s_delay_alu instid0(VALU_DEP_2) | instskip(NEXT) | instid1(VALU_DEP_1)
	v_add3_u32 v1, v0, v1, 0x7fff
	v_lshrrev_b32_e32 v1, 16, v1
	s_delay_alu instid0(VALU_DEP_1)
	v_cndmask_b32_e32 v1, 0x7fc0, v1, vcc_lo
	flat_store_b16 v[2:3], v1
.LBB51_7792:
	s_wait_xcnt 0x0
	s_or_b32 exec_lo, exec_lo, s51
	s_delay_alu instid0(SALU_CYCLE_1)
	s_and_not1_b32 vcc_lo, s48, exec_lo
	s_and_b32 s51, s52, exec_lo
	s_and_not1_b32 s52, s0, exec_lo
	s_and_b32 s50, s50, exec_lo
	s_or_b32 s51, vcc_lo, s51
	s_or_b32 s50, s52, s50
.LBB51_7793:
	s_or_saveexec_b32 s52, s49
	s_mov_b32 s49, 0
	s_xor_b32 exec_lo, exec_lo, s52
; %bb.7794:
	v_cmp_ne_u16_e32 vcc_lo, 11, v4
	s_and_not1_b32 s50, s50, exec_lo
	s_mov_b32 s49, exec_lo
	s_and_b32 vcc_lo, vcc_lo, exec_lo
	s_delay_alu instid0(SALU_CYCLE_1)
	s_or_b32 s50, s50, vcc_lo
; %bb.7795:
	s_or_b32 exec_lo, exec_lo, s52
	s_delay_alu instid0(SALU_CYCLE_1)
	s_and_not1_b32 vcc_lo, s48, exec_lo
	s_and_b32 s48, s51, exec_lo
	s_and_not1_b32 s51, s0, exec_lo
	s_and_b32 s50, s50, exec_lo
	s_or_b32 s48, vcc_lo, s48
	s_and_b32 vcc_lo, s49, exec_lo
	s_or_b32 s49, s51, s50
.LBB51_7796:
	s_or_b32 exec_lo, exec_lo, s38
	s_delay_alu instid0(SALU_CYCLE_1)
	s_and_not1_b32 s37, s37, exec_lo
	s_and_b32 s38, s48, exec_lo
	s_and_not1_b32 s0, s0, exec_lo
	s_and_b32 s48, s49, exec_lo
	s_or_b32 s37, s37, s38
	s_and_b32 s38, vcc_lo, exec_lo
	s_or_b32 s0, s0, s48
.LBB51_7797:
	s_or_b32 exec_lo, exec_lo, s39
	s_delay_alu instid0(SALU_CYCLE_1)
	s_and_not1_b32 vcc_lo, s34, exec_lo
	s_and_b32 s48, s0, exec_lo
	s_and_b32 s37, s37, exec_lo
	s_xor_b32 s39, exec_lo, -1
	s_and_b32 s0, s38, exec_lo
	s_or_b32 s38, vcc_lo, s48
.LBB51_7798:
	s_or_b32 exec_lo, exec_lo, s3
	s_delay_alu instid0(SALU_CYCLE_1)
	s_and_not1_b32 s3, s34, exec_lo
	s_and_b32 vcc_lo, s38, exec_lo
	s_or_not1_b32 s37, s37, exec_lo
	s_and_b32 s39, s39, exec_lo
	s_and_b32 s0, s0, exec_lo
	s_or_b32 s38, s3, vcc_lo
.LBB51_7799:
	s_or_b32 exec_lo, exec_lo, s36
	s_delay_alu instid0(SALU_CYCLE_1)
	s_and_not1_b32 s3, s34, exec_lo
	s_and_b32 s34, s38, exec_lo
	s_and_b32 s37, s37, exec_lo
	;; [unrolled: 1-line block ×3, first 2 shown]
	s_and_b32 vcc_lo, s0, exec_lo
	s_or_b32 s34, s3, s34
.LBB51_7800:
	s_or_b32 exec_lo, exec_lo, s35
	s_delay_alu instid0(SALU_CYCLE_1)
	s_and_not1_b32 s0, vcc_hi, exec_lo
	s_and_b32 s3, s34, exec_lo
	s_or_not1_b32 s35, s37, exec_lo
	s_and_b32 s37, s36, exec_lo
	s_and_b32 vcc_lo, vcc_lo, exec_lo
	s_or_b32 s36, s0, s3
.LBB51_7801:
	s_or_b32 exec_lo, exec_lo, s31
	s_delay_alu instid0(SALU_CYCLE_1)
	s_and_not1_b32 s0, vcc_hi, exec_lo
	s_and_b32 s3, s36, exec_lo
	s_and_b32 s35, s35, exec_lo
	;; [unrolled: 1-line block ×3, first 2 shown]
	s_and_b32 s31, vcc_lo, exec_lo
	s_or_b32 vcc_hi, s0, s3
.LBB51_7802:
	s_or_b32 exec_lo, exec_lo, s30
	s_delay_alu instid0(SALU_CYCLE_1)
	s_and_not1_b32 s3, s94, exec_lo
	s_and_b32 s94, vcc_hi, exec_lo
	s_and_b32 s30, s35, exec_lo
	s_and_b32 s0, s34, exec_lo
	s_and_b32 vcc_hi, s31, exec_lo
	s_or_b32 s94, s3, s94
.LBB51_7803:
	s_or_b32 exec_lo, exec_lo, s95
	s_delay_alu instid0(SALU_CYCLE_1)
	s_and_b32 s95, s0, exec_lo
	s_and_not1_b32 s0, s92, exec_lo
	s_and_b32 s3, s94, exec_lo
	s_and_b32 vcc_lo, s30, exec_lo
	s_and_b32 s94, vcc_hi, exec_lo
	s_or_b32 s92, s0, s3
.LBB51_7804:
	s_or_b32 exec_lo, exec_lo, s93
	s_delay_alu instid0(SALU_CYCLE_1)
	s_and_not1_b32 s3, s90, exec_lo
	s_and_b32 s90, s92, exec_lo
	s_and_b32 s93, vcc_lo, exec_lo
	s_and_b32 s0, s95, exec_lo
	s_and_b32 s92, s94, exec_lo
	s_or_b32 s90, s3, s90
.LBB51_7805:
	s_or_b32 exec_lo, exec_lo, s91
	s_delay_alu instid0(SALU_CYCLE_1)
	s_and_b32 s91, s0, exec_lo
	s_and_not1_b32 s0, s88, exec_lo
	s_and_b32 s3, s90, exec_lo
	s_and_b32 s93, s93, exec_lo
	s_and_b32 s90, s92, exec_lo
	s_or_b32 s88, s0, s3
.LBB51_7806:
	s_or_b32 exec_lo, exec_lo, s89
	s_delay_alu instid0(SALU_CYCLE_1)
	s_and_not1_b32 s3, s78, exec_lo
	s_and_b32 s78, s88, exec_lo
	s_and_b32 s89, s93, exec_lo
	;; [unrolled: 1-line block ×4, first 2 shown]
	s_or_b32 s78, s3, s78
.LBB51_7807:
	s_or_b32 exec_lo, exec_lo, s79
	s_delay_alu instid0(SALU_CYCLE_1)
	s_and_b32 s79, s0, exec_lo
	s_and_not1_b32 s0, s76, exec_lo
	s_and_b32 s3, s78, exec_lo
	s_and_b32 s89, s89, exec_lo
	;; [unrolled: 1-line block ×3, first 2 shown]
	s_or_b32 s76, s0, s3
.LBB51_7808:
	s_or_b32 exec_lo, exec_lo, s77
	s_delay_alu instid0(SALU_CYCLE_1)
	s_and_not1_b32 s3, s74, exec_lo
	s_and_b32 s74, s76, exec_lo
	s_and_b32 s77, s89, exec_lo
	s_and_b32 s0, s79, exec_lo
	s_and_b32 s76, s78, exec_lo
	s_or_b32 s74, s3, s74
.LBB51_7809:
	s_or_b32 exec_lo, exec_lo, s75
	s_delay_alu instid0(SALU_CYCLE_1)
	s_and_b32 s75, s0, exec_lo
	s_and_not1_b32 s0, s72, exec_lo
	s_and_b32 s3, s74, exec_lo
	s_and_b32 s77, s77, exec_lo
	;; [unrolled: 1-line block ×3, first 2 shown]
	s_or_b32 s72, s0, s3
.LBB51_7810:
	s_or_b32 exec_lo, exec_lo, s73
	s_delay_alu instid0(SALU_CYCLE_1)
	s_and_not1_b32 s3, s62, exec_lo
	s_and_b32 s62, s72, exec_lo
	s_and_b32 s73, s77, exec_lo
	;; [unrolled: 1-line block ×4, first 2 shown]
	s_or_b32 s62, s3, s62
.LBB51_7811:
	s_or_b32 exec_lo, exec_lo, s63
	s_delay_alu instid0(SALU_CYCLE_1)
	s_and_b32 s63, s0, exec_lo
	s_and_not1_b32 s0, s60, exec_lo
	s_and_b32 s3, s62, exec_lo
	s_and_b32 s73, s73, exec_lo
	;; [unrolled: 1-line block ×3, first 2 shown]
	s_or_b32 s60, s0, s3
.LBB51_7812:
	s_or_b32 exec_lo, exec_lo, s61
	s_delay_alu instid0(SALU_CYCLE_1)
	s_and_not1_b32 s3, s58, exec_lo
	s_and_b32 s58, s60, exec_lo
	s_and_b32 s61, s73, exec_lo
	;; [unrolled: 1-line block ×4, first 2 shown]
	s_or_b32 s58, s3, s58
.LBB51_7813:
	s_or_b32 exec_lo, exec_lo, s59
	s_delay_alu instid0(SALU_CYCLE_1)
	s_and_b32 s59, s0, exec_lo
	s_and_not1_b32 s0, s56, exec_lo
	s_and_b32 s3, s58, exec_lo
	s_and_b32 s61, s61, exec_lo
	;; [unrolled: 1-line block ×3, first 2 shown]
	s_or_b32 s56, s0, s3
.LBB51_7814:
	s_or_b32 exec_lo, exec_lo, s57
	s_delay_alu instid0(SALU_CYCLE_1)
	s_and_not1_b32 s3, s46, exec_lo
	s_and_b32 s46, s56, exec_lo
	s_and_b32 s57, s61, exec_lo
	;; [unrolled: 1-line block ×4, first 2 shown]
	s_or_b32 s46, s3, s46
.LBB51_7815:
	s_or_b32 exec_lo, exec_lo, s47
	s_delay_alu instid0(SALU_CYCLE_1)
	s_and_b32 s47, s0, exec_lo
	s_and_not1_b32 s0, s44, exec_lo
	s_and_b32 s3, s46, exec_lo
	s_and_b32 s57, s57, exec_lo
	;; [unrolled: 1-line block ×3, first 2 shown]
	s_or_b32 s44, s0, s3
.LBB51_7816:
	s_or_b32 exec_lo, exec_lo, s45
	s_delay_alu instid0(SALU_CYCLE_1)
	s_and_not1_b32 s3, s42, exec_lo
	s_and_b32 s42, s44, exec_lo
	s_and_b32 s45, s57, exec_lo
	;; [unrolled: 1-line block ×4, first 2 shown]
	s_or_b32 s42, s3, s42
.LBB51_7817:
	s_or_b32 exec_lo, exec_lo, s43
	s_delay_alu instid0(SALU_CYCLE_1)
	s_and_b32 s43, s0, exec_lo
	s_and_not1_b32 s0, s40, exec_lo
	s_and_b32 s3, s42, exec_lo
	s_and_b32 s45, s45, exec_lo
	;; [unrolled: 1-line block ×3, first 2 shown]
	s_or_b32 s40, s0, s3
.LBB51_7818:
	s_or_b32 exec_lo, exec_lo, s41
	s_delay_alu instid0(SALU_CYCLE_1)
	s_and_not1_b32 s3, s28, exec_lo
	s_and_b32 s28, s40, exec_lo
	s_and_b32 s41, s45, exec_lo
	;; [unrolled: 1-line block ×4, first 2 shown]
	s_or_b32 s28, s3, s28
.LBB51_7819:
	s_or_b32 exec_lo, exec_lo, s29
	s_delay_alu instid0(SALU_CYCLE_1)
	s_and_b32 s29, s0, exec_lo
	s_and_not1_b32 s0, s26, exec_lo
	s_and_b32 s3, s28, exec_lo
	s_and_b32 s41, s41, exec_lo
	;; [unrolled: 1-line block ×3, first 2 shown]
	s_or_b32 s26, s0, s3
.LBB51_7820:
	s_or_b32 exec_lo, exec_lo, s27
	s_delay_alu instid0(SALU_CYCLE_1)
	s_and_not1_b32 s3, s24, exec_lo
	s_and_b32 s24, s26, exec_lo
	s_and_b32 s27, s41, exec_lo
	;; [unrolled: 1-line block ×4, first 2 shown]
	s_or_b32 s24, s3, s24
.LBB51_7821:
	s_or_b32 exec_lo, exec_lo, s25
	s_delay_alu instid0(SALU_CYCLE_1)
	s_and_b32 s25, s0, exec_lo
	s_and_not1_b32 s0, s22, exec_lo
	s_and_b32 s3, s24, exec_lo
	s_and_b32 s27, s27, exec_lo
	;; [unrolled: 1-line block ×3, first 2 shown]
	s_or_b32 s22, s0, s3
.LBB51_7822:
	s_or_b32 exec_lo, exec_lo, s23
	s_delay_alu instid0(SALU_CYCLE_1)
	s_and_not1_b32 s3, s20, exec_lo
	s_and_b32 s20, s22, exec_lo
	s_and_b32 s23, s27, exec_lo
	;; [unrolled: 1-line block ×4, first 2 shown]
	s_or_b32 s20, s3, s20
.LBB51_7823:
	s_or_b32 exec_lo, exec_lo, s21
	s_delay_alu instid0(SALU_CYCLE_1)
	s_and_b32 s21, s0, exec_lo
	s_and_not1_b32 s0, s18, exec_lo
	s_and_b32 s3, s20, exec_lo
	s_and_b32 s23, s23, exec_lo
	;; [unrolled: 1-line block ×3, first 2 shown]
	s_or_b32 s18, s0, s3
.LBB51_7824:
	s_or_b32 exec_lo, exec_lo, s19
	s_delay_alu instid0(SALU_CYCLE_1)
	s_and_not1_b32 s3, s16, exec_lo
	s_and_b32 s16, s18, exec_lo
	s_and_b32 s19, s23, exec_lo
	s_and_b32 s0, s21, exec_lo
	s_and_b32 s18, s20, exec_lo
	s_or_b32 s16, s3, s16
.LBB51_7825:
	s_or_b32 exec_lo, exec_lo, s17
	s_delay_alu instid0(SALU_CYCLE_1)
	s_and_b32 s17, s0, exec_lo
	s_and_not1_b32 s0, s14, exec_lo
	s_and_b32 s3, s16, exec_lo
	s_and_b32 s19, s19, exec_lo
	;; [unrolled: 1-line block ×3, first 2 shown]
	s_or_b32 s14, s0, s3
.LBB51_7826:
	s_or_b32 exec_lo, exec_lo, s15
	s_delay_alu instid0(SALU_CYCLE_1)
	s_and_not1_b32 s3, s12, exec_lo
	s_and_b32 s12, s14, exec_lo
	s_and_b32 s15, s19, exec_lo
	;; [unrolled: 1-line block ×4, first 2 shown]
	s_or_b32 s12, s3, s12
.LBB51_7827:
	s_or_b32 exec_lo, exec_lo, s13
	s_delay_alu instid0(SALU_CYCLE_1)
	s_and_b32 s13, s0, exec_lo
	s_and_not1_b32 s0, s10, exec_lo
	s_and_b32 s3, s12, exec_lo
	s_and_b32 s15, s15, exec_lo
	;; [unrolled: 1-line block ×3, first 2 shown]
	s_or_b32 s10, s0, s3
.LBB51_7828:
	s_or_b32 exec_lo, exec_lo, s11
	s_delay_alu instid0(SALU_CYCLE_1)
	s_and_not1_b32 s3, s8, exec_lo
	s_and_b32 s8, s10, exec_lo
	s_and_b32 s11, s15, exec_lo
	;; [unrolled: 1-line block ×4, first 2 shown]
	s_or_b32 s8, s3, s8
.LBB51_7829:
	s_or_b32 exec_lo, exec_lo, s9
	s_delay_alu instid0(SALU_CYCLE_1)
	s_and_b32 s9, s0, exec_lo
	s_and_not1_b32 s0, s2, exec_lo
	s_and_b32 s2, s8, exec_lo
	s_and_b32 s11, s11, exec_lo
	;; [unrolled: 1-line block ×3, first 2 shown]
	s_or_b32 s2, s0, s2
.LBB51_7830:
	s_or_b32 exec_lo, exec_lo, s5
	s_delay_alu instid0(SALU_CYCLE_1)
	s_and_not1_b32 s3, s4, exec_lo
	s_and_b32 s2, s2, exec_lo
	s_and_b32 s0, s11, exec_lo
	;; [unrolled: 1-line block ×4, first 2 shown]
	s_or_b32 s4, s3, s2
	s_or_b32 exec_lo, exec_lo, s1
	s_mov_b32 s1, 0
	s_and_saveexec_b32 s2, s4
	s_cbranch_execz .LBB51_3848
.LBB51_7831:
	s_mov_b32 s1, exec_lo
	s_and_not1_b32 s5, s5, exec_lo
	s_trap 2
	s_or_b32 exec_lo, exec_lo, s2
	s_and_saveexec_b32 s2, s5
	s_delay_alu instid0(SALU_CYCLE_1)
	s_xor_b32 s2, exec_lo, s2
	s_cbranch_execz .LBB51_3849
.LBB51_7832:
	v_cmp_neq_f32_e32 vcc_lo, 0, v0
	s_or_b32 s0, s0, exec_lo
	v_cndmask_b32_e64 v1, 0, 1, vcc_lo
	flat_store_b8 v[2:3], v1
	s_wait_xcnt 0x0
	s_or_b32 exec_lo, exec_lo, s2
	s_and_saveexec_b32 s2, s9
	s_cbranch_execz .LBB51_7874
.LBB51_7833:
	s_mov_b32 s3, exec_lo
	v_cmpx_lt_i16_e32 4, v4
	s_xor_b32 s3, exec_lo, s3
	s_cbranch_execz .LBB51_7855
; %bb.7834:
	s_mov_b32 s4, exec_lo
	v_cmpx_lt_i16_e32 7, v4
	s_xor_b32 s4, exec_lo, s4
	s_cbranch_execz .LBB51_7844
; %bb.7835:
	;; [unrolled: 5-line block ×4, first 2 shown]
	v_cvt_f64_f32_e32 v[6:7], v0
	v_mov_b32_e32 v8, 0
                                        ; implicit-def: $vgpr0
	s_delay_alu instid0(VALU_DEP_1)
	v_mov_b32_e32 v9, v8
	flat_store_b128 v[2:3], v[6:9]
.LBB51_7838:
	s_wait_xcnt 0x0
	s_and_not1_saveexec_b32 s8, s8
	s_cbranch_execz .LBB51_7840
; %bb.7839:
	v_mov_b32_e32 v1, 0
	flat_store_b64 v[2:3], v[0:1]
.LBB51_7840:
	s_wait_xcnt 0x0
	s_or_b32 exec_lo, exec_lo, s8
                                        ; implicit-def: $vgpr0
.LBB51_7841:
	s_and_not1_saveexec_b32 s5, s5
	s_cbranch_execz .LBB51_7843
; %bb.7842:
	v_cvt_f16_f32_e32 v0, v0
	s_delay_alu instid0(VALU_DEP_1)
	v_and_b32_e32 v0, 0xffff, v0
	flat_store_b32 v[2:3], v0
.LBB51_7843:
	s_wait_xcnt 0x0
	s_or_b32 exec_lo, exec_lo, s5
                                        ; implicit-def: $vgpr0
.LBB51_7844:
	s_and_not1_saveexec_b32 s4, s4
	s_cbranch_execz .LBB51_7854
; %bb.7845:
	s_mov_b32 s5, exec_lo
	v_cmpx_lt_i16_e32 5, v4
	s_xor_b32 s5, exec_lo, s5
	s_cbranch_execz .LBB51_7851
; %bb.7846:
	s_mov_b32 s8, exec_lo
	v_cmpx_lt_i16_e32 6, v4
	s_xor_b32 s8, exec_lo, s8
	s_cbranch_execz .LBB51_7848
; %bb.7847:
	v_cvt_f64_f32_e32 v[0:1], v0
	flat_store_b64 v[2:3], v[0:1]
                                        ; implicit-def: $vgpr0
.LBB51_7848:
	s_wait_xcnt 0x0
	s_and_not1_saveexec_b32 s8, s8
	s_cbranch_execz .LBB51_7850
; %bb.7849:
	flat_store_b32 v[2:3], v0
.LBB51_7850:
	s_wait_xcnt 0x0
	s_or_b32 exec_lo, exec_lo, s8
                                        ; implicit-def: $vgpr0
.LBB51_7851:
	s_and_not1_saveexec_b32 s5, s5
	s_cbranch_execz .LBB51_7853
; %bb.7852:
	v_cvt_f16_f32_e32 v0, v0
	flat_store_b16 v[2:3], v0
.LBB51_7853:
	s_wait_xcnt 0x0
	s_or_b32 exec_lo, exec_lo, s5
.LBB51_7854:
	s_delay_alu instid0(SALU_CYCLE_1)
	s_or_b32 exec_lo, exec_lo, s4
                                        ; implicit-def: $vgpr0
.LBB51_7855:
	s_and_not1_saveexec_b32 s3, s3
	s_cbranch_execz .LBB51_7873
; %bb.7856:
	s_mov_b32 s4, exec_lo
	v_cmpx_lt_i16_e32 1, v4
	s_xor_b32 s4, exec_lo, s4
	s_cbranch_execz .LBB51_7866
; %bb.7857:
	s_mov_b32 s5, exec_lo
	v_cmpx_lt_i16_e32 2, v4
	s_xor_b32 s5, exec_lo, s5
	;; [unrolled: 5-line block ×3, first 2 shown]
	s_cbranch_execz .LBB51_7860
; %bb.7859:
	v_trunc_f32_e32 v0, v0
	s_delay_alu instid0(VALU_DEP_1) | instskip(NEXT) | instid1(VALU_DEP_1)
	v_mul_f32_e64 v1, 0x2f800000, |v0|
	v_floor_f32_e32 v1, v1
	s_delay_alu instid0(VALU_DEP_1) | instskip(SKIP_2) | instid1(VALU_DEP_3)
	v_fma_f32 v5, 0xcf800000, v1, |v0|
	v_ashrrev_i32_e32 v0, 31, v0
	v_cvt_u32_f32_e32 v6, v1
	v_cvt_u32_f32_e32 v5, v5
	s_delay_alu instid0(VALU_DEP_2) | instskip(NEXT) | instid1(VALU_DEP_2)
	v_dual_mov_b32 v1, v0 :: v_dual_bitop2_b32 v7, v6, v0 bitop3:0x14
	v_xor_b32_e32 v6, v5, v0
	s_delay_alu instid0(VALU_DEP_1)
	v_sub_nc_u64_e32 v[0:1], v[6:7], v[0:1]
	flat_store_b64 v[2:3], v[0:1]
                                        ; implicit-def: $vgpr0
                                        ; implicit-def: $vgpr2_vgpr3
.LBB51_7860:
	s_wait_xcnt 0x0
	s_and_not1_saveexec_b32 s8, s8
	s_cbranch_execz .LBB51_7862
; %bb.7861:
	v_cvt_i32_f32_e32 v0, v0
	flat_store_b32 v[2:3], v0
.LBB51_7862:
	s_wait_xcnt 0x0
	s_or_b32 exec_lo, exec_lo, s8
                                        ; implicit-def: $vgpr0
                                        ; implicit-def: $vgpr2_vgpr3
.LBB51_7863:
	s_and_not1_saveexec_b32 s5, s5
	s_cbranch_execz .LBB51_7865
; %bb.7864:
	v_cvt_i32_f32_e32 v0, v0
	flat_store_b16 v[2:3], v0
.LBB51_7865:
	s_wait_xcnt 0x0
	s_or_b32 exec_lo, exec_lo, s5
                                        ; implicit-def: $vgpr0
                                        ; implicit-def: $vgpr2_vgpr3
.LBB51_7866:
	s_and_not1_saveexec_b32 s4, s4
	s_cbranch_execz .LBB51_7872
; %bb.7867:
	s_mov_b32 s5, exec_lo
	v_cmpx_lt_i16_e32 0, v4
	s_xor_b32 s5, exec_lo, s5
	s_cbranch_execz .LBB51_7869
; %bb.7868:
	v_cvt_i32_f32_e32 v0, v0
	flat_store_b8 v[2:3], v0
                                        ; implicit-def: $vgpr0
                                        ; implicit-def: $vgpr2_vgpr3
.LBB51_7869:
	s_wait_xcnt 0x0
	s_and_not1_saveexec_b32 s5, s5
	s_cbranch_execz .LBB51_7871
; %bb.7870:
	v_trunc_f32_e32 v0, v0
	s_delay_alu instid0(VALU_DEP_1) | instskip(NEXT) | instid1(VALU_DEP_1)
	v_mul_f32_e64 v1, 0x2f800000, |v0|
	v_floor_f32_e32 v1, v1
	s_delay_alu instid0(VALU_DEP_1) | instskip(SKIP_1) | instid1(VALU_DEP_2)
	v_fma_f32 v1, 0xcf800000, v1, |v0|
	v_ashrrev_i32_e32 v0, 31, v0
	v_cvt_u32_f32_e32 v1, v1
	s_delay_alu instid0(VALU_DEP_1) | instskip(NEXT) | instid1(VALU_DEP_1)
	v_xor_b32_e32 v1, v1, v0
	v_sub_nc_u32_e32 v0, v1, v0
	flat_store_b8 v[2:3], v0
.LBB51_7871:
	s_wait_xcnt 0x0
	s_or_b32 exec_lo, exec_lo, s5
.LBB51_7872:
	s_delay_alu instid0(SALU_CYCLE_1)
	s_or_b32 exec_lo, exec_lo, s4
.LBB51_7873:
	s_delay_alu instid0(SALU_CYCLE_1) | instskip(NEXT) | instid1(SALU_CYCLE_1)
	s_or_b32 exec_lo, exec_lo, s3
	s_or_b32 s0, s0, exec_lo
.LBB51_7874:
	s_or_b32 exec_lo, exec_lo, s2
	s_and_saveexec_b32 s2, s0
	s_delay_alu instid0(SALU_CYCLE_1) | instskip(NEXT) | instid1(SALU_CYCLE_1)
	s_xor_b32 s0, exec_lo, s2
	s_or_b32 exec_lo, exec_lo, s0
	s_delay_alu instid0(SALU_CYCLE_1)
	s_and_b32 s0, s1, exec_lo
.LBB51_7875:
	s_and_not1_saveexec_b32 s1, s7
	s_cbranch_execnz .LBB51_7878
.LBB51_7876:
	s_or_b32 exec_lo, exec_lo, s1
	s_delay_alu instid0(SALU_CYCLE_1)
	s_and_b32 s0, s0, exec_lo
	s_and_not1_saveexec_b32 s1, s6
	s_cbranch_execz .LBB51_3652
.LBB51_7877:
	s_or_b32 s0, s0, exec_lo
	s_trap 2
	s_or_b32 exec_lo, exec_lo, s1
	s_and_saveexec_b32 s1, s0
	s_cbranch_execnz .LBB51_3653
	s_branch .LBB51_3654
.LBB51_7878:
	s_or_b32 s0, s0, exec_lo
	s_trap 2
	s_branch .LBB51_7876
.LBB51_7879:
	v_bfe_u32 v1, v102, 20, 1
	s_mov_b32 s14, exec_lo
	s_delay_alu instid0(VALU_DEP_1) | instskip(NEXT) | instid1(VALU_DEP_1)
	v_add3_u32 v1, v102, v1, 0x487ffff
	v_lshrrev_b32_e32 v1, 20, v1
	s_and_not1_saveexec_b32 s15, s15
	s_cbranch_execz .LBB51_3752
.LBB51_7880:
	v_add_f32_e64 v1, 0x46000000, |v102|
	s_and_not1_b32 s14, s14, exec_lo
	s_delay_alu instid0(VALU_DEP_1) | instskip(NEXT) | instid1(VALU_DEP_1)
	v_and_b32_e32 v1, 0xff, v1
	v_cmp_ne_u32_e32 vcc_lo, 0, v1
	s_and_b32 s16, vcc_lo, exec_lo
	s_delay_alu instid0(SALU_CYCLE_1)
	s_or_b32 s14, s14, s16
	s_or_b32 exec_lo, exec_lo, s15
	v_mov_b32_e32 v4, 0
	s_and_saveexec_b32 s15, s14
	s_cbranch_execnz .LBB51_3753
	s_branch .LBB51_3754
.LBB51_7881:
	v_bfe_u32 v1, v102, 21, 1
	s_mov_b32 s15, exec_lo
	s_delay_alu instid0(VALU_DEP_1) | instskip(NEXT) | instid1(VALU_DEP_1)
	v_add3_u32 v1, v102, v1, 0x88fffff
	v_lshrrev_b32_e32 v1, 21, v1
	s_and_not1_saveexec_b32 s16, s16
	s_cbranch_execz .LBB51_3765
.LBB51_7882:
	v_add_f32_e64 v1, 0x42800000, |v102|
	s_and_not1_b32 s15, s15, exec_lo
	s_delay_alu instid0(VALU_DEP_1) | instskip(NEXT) | instid1(VALU_DEP_1)
	v_and_b32_e32 v1, 0xff, v1
	v_cmp_ne_u32_e32 vcc_lo, 0, v1
	s_and_b32 s17, vcc_lo, exec_lo
	s_delay_alu instid0(SALU_CYCLE_1)
	s_or_b32 s15, s15, s17
	s_or_b32 exec_lo, exec_lo, s16
	v_mov_b32_e32 v4, 0
	s_and_saveexec_b32 s16, s15
	s_cbranch_execnz .LBB51_3766
	s_branch .LBB51_3767
.LBB51_7883:
	v_bfe_u32 v1, v100, 20, 1
	s_mov_b32 s14, exec_lo
	s_delay_alu instid0(VALU_DEP_1) | instskip(NEXT) | instid1(VALU_DEP_1)
	v_add3_u32 v1, v100, v1, 0x487ffff
	v_lshrrev_b32_e32 v1, 20, v1
	s_and_not1_saveexec_b32 s15, s15
	s_cbranch_execz .LBB51_3882
.LBB51_7884:
	v_add_f32_e64 v1, 0x46000000, |v100|
	s_and_not1_b32 s14, s14, exec_lo
	s_delay_alu instid0(VALU_DEP_1) | instskip(NEXT) | instid1(VALU_DEP_1)
	v_and_b32_e32 v1, 0xff, v1
	v_cmp_ne_u32_e32 vcc_lo, 0, v1
	s_and_b32 s16, vcc_lo, exec_lo
	s_delay_alu instid0(SALU_CYCLE_1)
	s_or_b32 s14, s14, s16
	s_or_b32 exec_lo, exec_lo, s15
	v_mov_b32_e32 v4, 0
	s_and_saveexec_b32 s15, s14
	s_cbranch_execnz .LBB51_3883
	s_branch .LBB51_3884
.LBB51_7885:
	v_bfe_u32 v1, v100, 21, 1
	s_mov_b32 s15, exec_lo
	s_delay_alu instid0(VALU_DEP_1) | instskip(NEXT) | instid1(VALU_DEP_1)
	v_add3_u32 v1, v100, v1, 0x88fffff
	v_lshrrev_b32_e32 v1, 21, v1
	s_and_not1_saveexec_b32 s16, s16
	s_cbranch_execz .LBB51_3895
.LBB51_7886:
	v_add_f32_e64 v1, 0x42800000, |v100|
	s_and_not1_b32 s15, s15, exec_lo
	s_delay_alu instid0(VALU_DEP_1) | instskip(NEXT) | instid1(VALU_DEP_1)
	v_and_b32_e32 v1, 0xff, v1
	v_cmp_ne_u32_e32 vcc_lo, 0, v1
	s_and_b32 s17, vcc_lo, exec_lo
	s_delay_alu instid0(SALU_CYCLE_1)
	s_or_b32 s15, s15, s17
	s_or_b32 exec_lo, exec_lo, s16
	v_mov_b32_e32 v4, 0
	s_and_saveexec_b32 s16, s15
	s_cbranch_execnz .LBB51_3896
	s_branch .LBB51_3897
.LBB51_7887:
	v_bfe_u32 v1, v98, 20, 1
	s_mov_b32 s16, exec_lo
	s_delay_alu instid0(VALU_DEP_1) | instskip(NEXT) | instid1(VALU_DEP_1)
	v_add3_u32 v1, v98, v1, 0x487ffff
	v_lshrrev_b32_e32 v1, 20, v1
	s_and_not1_saveexec_b32 s17, s17
	s_cbranch_execz .LBB51_4011
.LBB51_7888:
	v_add_f32_e64 v1, 0x46000000, |v98|
	s_and_not1_b32 s16, s16, exec_lo
	s_delay_alu instid0(VALU_DEP_1) | instskip(NEXT) | instid1(VALU_DEP_1)
	v_and_b32_e32 v1, 0xff, v1
	v_cmp_ne_u32_e32 vcc_lo, 0, v1
	s_and_b32 s18, vcc_lo, exec_lo
	s_delay_alu instid0(SALU_CYCLE_1)
	s_or_b32 s16, s16, s18
	s_or_b32 exec_lo, exec_lo, s17
	v_mov_b32_e32 v4, 0
	s_and_saveexec_b32 s17, s16
	s_cbranch_execnz .LBB51_4012
	s_branch .LBB51_4013
.LBB51_7889:
	v_bfe_u32 v1, v98, 21, 1
	s_mov_b32 s17, exec_lo
	s_delay_alu instid0(VALU_DEP_1) | instskip(NEXT) | instid1(VALU_DEP_1)
	v_add3_u32 v1, v98, v1, 0x88fffff
	v_lshrrev_b32_e32 v1, 21, v1
	s_and_not1_saveexec_b32 s18, s18
	s_cbranch_execz .LBB51_4024
.LBB51_7890:
	v_add_f32_e64 v1, 0x42800000, |v98|
	s_and_not1_b32 s17, s17, exec_lo
	s_delay_alu instid0(VALU_DEP_1) | instskip(NEXT) | instid1(VALU_DEP_1)
	v_and_b32_e32 v1, 0xff, v1
	v_cmp_ne_u32_e32 vcc_lo, 0, v1
	s_and_b32 s19, vcc_lo, exec_lo
	s_delay_alu instid0(SALU_CYCLE_1)
	s_or_b32 s17, s17, s19
	s_or_b32 exec_lo, exec_lo, s18
	v_mov_b32_e32 v4, 0
	s_and_saveexec_b32 s18, s17
	s_cbranch_execnz .LBB51_4025
	s_branch .LBB51_4026
.LBB51_7891:
	v_bfe_u32 v1, v96, 20, 1
	s_mov_b32 s18, exec_lo
	s_delay_alu instid0(VALU_DEP_1) | instskip(NEXT) | instid1(VALU_DEP_1)
	v_add3_u32 v1, v96, v1, 0x487ffff
	v_lshrrev_b32_e32 v1, 20, v1
	s_and_not1_saveexec_b32 s19, s19
	s_cbranch_execz .LBB51_4140
.LBB51_7892:
	v_add_f32_e64 v1, 0x46000000, |v96|
	s_and_not1_b32 s18, s18, exec_lo
	s_delay_alu instid0(VALU_DEP_1) | instskip(NEXT) | instid1(VALU_DEP_1)
	v_and_b32_e32 v1, 0xff, v1
	v_cmp_ne_u32_e32 vcc_lo, 0, v1
	s_and_b32 s20, vcc_lo, exec_lo
	s_delay_alu instid0(SALU_CYCLE_1)
	s_or_b32 s18, s18, s20
	s_or_b32 exec_lo, exec_lo, s19
	v_mov_b32_e32 v4, 0
	s_and_saveexec_b32 s19, s18
	s_cbranch_execnz .LBB51_4141
	s_branch .LBB51_4142
.LBB51_7893:
	v_bfe_u32 v1, v96, 21, 1
	s_mov_b32 s19, exec_lo
	s_delay_alu instid0(VALU_DEP_1) | instskip(NEXT) | instid1(VALU_DEP_1)
	v_add3_u32 v1, v96, v1, 0x88fffff
	v_lshrrev_b32_e32 v1, 21, v1
	s_and_not1_saveexec_b32 s20, s20
	s_cbranch_execz .LBB51_4153
.LBB51_7894:
	v_add_f32_e64 v1, 0x42800000, |v96|
	s_and_not1_b32 s19, s19, exec_lo
	s_delay_alu instid0(VALU_DEP_1) | instskip(NEXT) | instid1(VALU_DEP_1)
	v_and_b32_e32 v1, 0xff, v1
	v_cmp_ne_u32_e32 vcc_lo, 0, v1
	s_and_b32 s21, vcc_lo, exec_lo
	s_delay_alu instid0(SALU_CYCLE_1)
	s_or_b32 s19, s19, s21
	s_or_b32 exec_lo, exec_lo, s20
	v_mov_b32_e32 v4, 0
	s_and_saveexec_b32 s20, s19
	s_cbranch_execnz .LBB51_4154
	s_branch .LBB51_4155
.LBB51_7895:
	v_bfe_u32 v1, v86, 20, 1
	s_mov_b32 s20, exec_lo
	s_delay_alu instid0(VALU_DEP_1) | instskip(NEXT) | instid1(VALU_DEP_1)
	v_add3_u32 v1, v86, v1, 0x487ffff
	v_lshrrev_b32_e32 v1, 20, v1
	s_and_not1_saveexec_b32 s21, s21
	s_cbranch_execz .LBB51_4269
.LBB51_7896:
	v_add_f32_e64 v1, 0x46000000, |v86|
	s_and_not1_b32 s20, s20, exec_lo
	s_delay_alu instid0(VALU_DEP_1) | instskip(NEXT) | instid1(VALU_DEP_1)
	v_and_b32_e32 v1, 0xff, v1
	v_cmp_ne_u32_e32 vcc_lo, 0, v1
	s_and_b32 s22, vcc_lo, exec_lo
	s_delay_alu instid0(SALU_CYCLE_1)
	s_or_b32 s20, s20, s22
	s_or_b32 exec_lo, exec_lo, s21
	v_mov_b32_e32 v4, 0
	s_and_saveexec_b32 s21, s20
	s_cbranch_execnz .LBB51_4270
	s_branch .LBB51_4271
.LBB51_7897:
	v_bfe_u32 v1, v86, 21, 1
	s_mov_b32 s21, exec_lo
	s_delay_alu instid0(VALU_DEP_1) | instskip(NEXT) | instid1(VALU_DEP_1)
	v_add3_u32 v1, v86, v1, 0x88fffff
	v_lshrrev_b32_e32 v1, 21, v1
	s_and_not1_saveexec_b32 s22, s22
	s_cbranch_execz .LBB51_4282
.LBB51_7898:
	v_add_f32_e64 v1, 0x42800000, |v86|
	s_and_not1_b32 s21, s21, exec_lo
	s_delay_alu instid0(VALU_DEP_1) | instskip(NEXT) | instid1(VALU_DEP_1)
	v_and_b32_e32 v1, 0xff, v1
	v_cmp_ne_u32_e32 vcc_lo, 0, v1
	s_and_b32 s23, vcc_lo, exec_lo
	s_delay_alu instid0(SALU_CYCLE_1)
	s_or_b32 s21, s21, s23
	s_or_b32 exec_lo, exec_lo, s22
	v_mov_b32_e32 v4, 0
	s_and_saveexec_b32 s22, s21
	s_cbranch_execnz .LBB51_4283
	s_branch .LBB51_4284
.LBB51_7899:
	v_bfe_u32 v1, v84, 20, 1
	s_mov_b32 s22, exec_lo
	s_delay_alu instid0(VALU_DEP_1) | instskip(NEXT) | instid1(VALU_DEP_1)
	v_add3_u32 v1, v84, v1, 0x487ffff
	v_lshrrev_b32_e32 v1, 20, v1
	s_and_not1_saveexec_b32 s23, s23
	s_cbranch_execz .LBB51_4398
.LBB51_7900:
	v_add_f32_e64 v1, 0x46000000, |v84|
	s_and_not1_b32 s22, s22, exec_lo
	s_delay_alu instid0(VALU_DEP_1) | instskip(NEXT) | instid1(VALU_DEP_1)
	v_and_b32_e32 v1, 0xff, v1
	v_cmp_ne_u32_e32 vcc_lo, 0, v1
	s_and_b32 s24, vcc_lo, exec_lo
	s_delay_alu instid0(SALU_CYCLE_1)
	s_or_b32 s22, s22, s24
	s_or_b32 exec_lo, exec_lo, s23
	v_mov_b32_e32 v4, 0
	s_and_saveexec_b32 s23, s22
	s_cbranch_execnz .LBB51_4399
	s_branch .LBB51_4400
.LBB51_7901:
	v_bfe_u32 v1, v84, 21, 1
	s_mov_b32 s23, exec_lo
	s_delay_alu instid0(VALU_DEP_1) | instskip(NEXT) | instid1(VALU_DEP_1)
	v_add3_u32 v1, v84, v1, 0x88fffff
	v_lshrrev_b32_e32 v1, 21, v1
	s_and_not1_saveexec_b32 s24, s24
	s_cbranch_execz .LBB51_4411
.LBB51_7902:
	v_add_f32_e64 v1, 0x42800000, |v84|
	s_and_not1_b32 s23, s23, exec_lo
	s_delay_alu instid0(VALU_DEP_1) | instskip(NEXT) | instid1(VALU_DEP_1)
	v_and_b32_e32 v1, 0xff, v1
	v_cmp_ne_u32_e32 vcc_lo, 0, v1
	s_and_b32 s25, vcc_lo, exec_lo
	s_delay_alu instid0(SALU_CYCLE_1)
	s_or_b32 s23, s23, s25
	s_or_b32 exec_lo, exec_lo, s24
	v_mov_b32_e32 v4, 0
	s_and_saveexec_b32 s24, s23
	s_cbranch_execnz .LBB51_4412
	s_branch .LBB51_4413
.LBB51_7903:
	v_bfe_u32 v1, v82, 20, 1
	s_mov_b32 s24, exec_lo
	s_delay_alu instid0(VALU_DEP_1) | instskip(NEXT) | instid1(VALU_DEP_1)
	v_add3_u32 v1, v82, v1, 0x487ffff
	v_lshrrev_b32_e32 v1, 20, v1
	s_and_not1_saveexec_b32 s25, s25
	s_cbranch_execz .LBB51_4527
.LBB51_7904:
	v_add_f32_e64 v1, 0x46000000, |v82|
	s_and_not1_b32 s24, s24, exec_lo
	s_delay_alu instid0(VALU_DEP_1) | instskip(NEXT) | instid1(VALU_DEP_1)
	v_and_b32_e32 v1, 0xff, v1
	v_cmp_ne_u32_e32 vcc_lo, 0, v1
	s_and_b32 s26, vcc_lo, exec_lo
	s_delay_alu instid0(SALU_CYCLE_1)
	s_or_b32 s24, s24, s26
	s_or_b32 exec_lo, exec_lo, s25
	v_mov_b32_e32 v4, 0
	s_and_saveexec_b32 s25, s24
	s_cbranch_execnz .LBB51_4528
	s_branch .LBB51_4529
.LBB51_7905:
	v_bfe_u32 v1, v82, 21, 1
	s_mov_b32 s25, exec_lo
	s_delay_alu instid0(VALU_DEP_1) | instskip(NEXT) | instid1(VALU_DEP_1)
	v_add3_u32 v1, v82, v1, 0x88fffff
	v_lshrrev_b32_e32 v1, 21, v1
	s_and_not1_saveexec_b32 s26, s26
	s_cbranch_execz .LBB51_4540
.LBB51_7906:
	v_add_f32_e64 v1, 0x42800000, |v82|
	s_and_not1_b32 s25, s25, exec_lo
	s_delay_alu instid0(VALU_DEP_1) | instskip(NEXT) | instid1(VALU_DEP_1)
	v_and_b32_e32 v1, 0xff, v1
	v_cmp_ne_u32_e32 vcc_lo, 0, v1
	s_and_b32 s27, vcc_lo, exec_lo
	s_delay_alu instid0(SALU_CYCLE_1)
	s_or_b32 s25, s25, s27
	s_or_b32 exec_lo, exec_lo, s26
	v_mov_b32_e32 v4, 0
	s_and_saveexec_b32 s26, s25
	s_cbranch_execnz .LBB51_4541
	s_branch .LBB51_4542
.LBB51_7907:
	v_bfe_u32 v1, v80, 20, 1
	s_mov_b32 s26, exec_lo
	s_delay_alu instid0(VALU_DEP_1) | instskip(NEXT) | instid1(VALU_DEP_1)
	v_add3_u32 v1, v80, v1, 0x487ffff
	v_lshrrev_b32_e32 v1, 20, v1
	s_and_not1_saveexec_b32 s27, s27
	s_cbranch_execz .LBB51_4656
.LBB51_7908:
	v_add_f32_e64 v1, 0x46000000, |v80|
	s_and_not1_b32 s26, s26, exec_lo
	s_delay_alu instid0(VALU_DEP_1) | instskip(NEXT) | instid1(VALU_DEP_1)
	v_and_b32_e32 v1, 0xff, v1
	v_cmp_ne_u32_e32 vcc_lo, 0, v1
	s_and_b32 s28, vcc_lo, exec_lo
	s_delay_alu instid0(SALU_CYCLE_1)
	s_or_b32 s26, s26, s28
	s_or_b32 exec_lo, exec_lo, s27
	v_mov_b32_e32 v4, 0
	s_and_saveexec_b32 s27, s26
	s_cbranch_execnz .LBB51_4657
	s_branch .LBB51_4658
.LBB51_7909:
	v_bfe_u32 v1, v80, 21, 1
	s_mov_b32 s27, exec_lo
	s_delay_alu instid0(VALU_DEP_1) | instskip(NEXT) | instid1(VALU_DEP_1)
	v_add3_u32 v1, v80, v1, 0x88fffff
	v_lshrrev_b32_e32 v1, 21, v1
	s_and_not1_saveexec_b32 s28, s28
	s_cbranch_execz .LBB51_4669
.LBB51_7910:
	v_add_f32_e64 v1, 0x42800000, |v80|
	s_and_not1_b32 s27, s27, exec_lo
	s_delay_alu instid0(VALU_DEP_1) | instskip(NEXT) | instid1(VALU_DEP_1)
	v_and_b32_e32 v1, 0xff, v1
	v_cmp_ne_u32_e32 vcc_lo, 0, v1
	s_and_b32 s29, vcc_lo, exec_lo
	s_delay_alu instid0(SALU_CYCLE_1)
	s_or_b32 s27, s27, s29
	s_or_b32 exec_lo, exec_lo, s28
	v_mov_b32_e32 v4, 0
	s_and_saveexec_b32 s28, s27
	s_cbranch_execnz .LBB51_4670
	s_branch .LBB51_4671
.LBB51_7911:
	v_bfe_u32 v1, v70, 20, 1
	s_mov_b32 s28, exec_lo
	s_delay_alu instid0(VALU_DEP_1) | instskip(NEXT) | instid1(VALU_DEP_1)
	v_add3_u32 v1, v70, v1, 0x487ffff
	v_lshrrev_b32_e32 v1, 20, v1
	s_and_not1_saveexec_b32 s29, s29
	s_cbranch_execz .LBB51_4785
.LBB51_7912:
	v_add_f32_e64 v1, 0x46000000, |v70|
	s_and_not1_b32 s28, s28, exec_lo
	s_delay_alu instid0(VALU_DEP_1) | instskip(NEXT) | instid1(VALU_DEP_1)
	v_and_b32_e32 v1, 0xff, v1
	v_cmp_ne_u32_e32 vcc_lo, 0, v1
	s_and_b32 s40, vcc_lo, exec_lo
	s_delay_alu instid0(SALU_CYCLE_1)
	s_or_b32 s28, s28, s40
	s_or_b32 exec_lo, exec_lo, s29
	v_mov_b32_e32 v4, 0
	s_and_saveexec_b32 s29, s28
	s_cbranch_execnz .LBB51_4786
	s_branch .LBB51_4787
.LBB51_7913:
	v_bfe_u32 v1, v70, 21, 1
	s_mov_b32 s29, exec_lo
	s_delay_alu instid0(VALU_DEP_1) | instskip(NEXT) | instid1(VALU_DEP_1)
	v_add3_u32 v1, v70, v1, 0x88fffff
	v_lshrrev_b32_e32 v1, 21, v1
	s_and_not1_saveexec_b32 s40, s40
	s_cbranch_execz .LBB51_4798
.LBB51_7914:
	v_add_f32_e64 v1, 0x42800000, |v70|
	s_and_not1_b32 s29, s29, exec_lo
	s_delay_alu instid0(VALU_DEP_1) | instskip(NEXT) | instid1(VALU_DEP_1)
	v_and_b32_e32 v1, 0xff, v1
	v_cmp_ne_u32_e32 vcc_lo, 0, v1
	s_and_b32 s41, vcc_lo, exec_lo
	s_delay_alu instid0(SALU_CYCLE_1)
	s_or_b32 s29, s29, s41
	s_or_b32 exec_lo, exec_lo, s40
	v_mov_b32_e32 v4, 0
	s_and_saveexec_b32 s40, s29
	s_cbranch_execnz .LBB51_4799
	s_branch .LBB51_4800
.LBB51_7915:
	v_bfe_u32 v1, v68, 20, 1
	s_mov_b32 s40, exec_lo
	s_delay_alu instid0(VALU_DEP_1) | instskip(NEXT) | instid1(VALU_DEP_1)
	v_add3_u32 v1, v68, v1, 0x487ffff
	v_lshrrev_b32_e32 v1, 20, v1
	s_and_not1_saveexec_b32 s41, s41
	s_cbranch_execz .LBB51_4914
.LBB51_7916:
	v_add_f32_e64 v1, 0x46000000, |v68|
	s_and_not1_b32 s40, s40, exec_lo
	s_delay_alu instid0(VALU_DEP_1) | instskip(NEXT) | instid1(VALU_DEP_1)
	v_and_b32_e32 v1, 0xff, v1
	v_cmp_ne_u32_e32 vcc_lo, 0, v1
	s_and_b32 s42, vcc_lo, exec_lo
	s_delay_alu instid0(SALU_CYCLE_1)
	s_or_b32 s40, s40, s42
	s_or_b32 exec_lo, exec_lo, s41
	v_mov_b32_e32 v4, 0
	s_and_saveexec_b32 s41, s40
	s_cbranch_execnz .LBB51_4915
	s_branch .LBB51_4916
.LBB51_7917:
	v_bfe_u32 v1, v68, 21, 1
	s_mov_b32 s41, exec_lo
	s_delay_alu instid0(VALU_DEP_1) | instskip(NEXT) | instid1(VALU_DEP_1)
	v_add3_u32 v1, v68, v1, 0x88fffff
	v_lshrrev_b32_e32 v1, 21, v1
	s_and_not1_saveexec_b32 s42, s42
	s_cbranch_execz .LBB51_4927
.LBB51_7918:
	v_add_f32_e64 v1, 0x42800000, |v68|
	s_and_not1_b32 s41, s41, exec_lo
	s_delay_alu instid0(VALU_DEP_1) | instskip(NEXT) | instid1(VALU_DEP_1)
	v_and_b32_e32 v1, 0xff, v1
	v_cmp_ne_u32_e32 vcc_lo, 0, v1
	s_and_b32 s43, vcc_lo, exec_lo
	s_delay_alu instid0(SALU_CYCLE_1)
	s_or_b32 s41, s41, s43
	s_or_b32 exec_lo, exec_lo, s42
	v_mov_b32_e32 v4, 0
	s_and_saveexec_b32 s42, s41
	s_cbranch_execnz .LBB51_4928
	s_branch .LBB51_4929
.LBB51_7919:
	v_bfe_u32 v1, v66, 20, 1
	s_mov_b32 s42, exec_lo
	s_delay_alu instid0(VALU_DEP_1) | instskip(NEXT) | instid1(VALU_DEP_1)
	v_add3_u32 v1, v66, v1, 0x487ffff
	v_lshrrev_b32_e32 v1, 20, v1
	s_and_not1_saveexec_b32 s43, s43
	s_cbranch_execz .LBB51_5043
.LBB51_7920:
	v_add_f32_e64 v1, 0x46000000, |v66|
	s_and_not1_b32 s42, s42, exec_lo
	s_delay_alu instid0(VALU_DEP_1) | instskip(NEXT) | instid1(VALU_DEP_1)
	v_and_b32_e32 v1, 0xff, v1
	v_cmp_ne_u32_e32 vcc_lo, 0, v1
	s_and_b32 s44, vcc_lo, exec_lo
	s_delay_alu instid0(SALU_CYCLE_1)
	s_or_b32 s42, s42, s44
	s_or_b32 exec_lo, exec_lo, s43
	v_mov_b32_e32 v4, 0
	s_and_saveexec_b32 s43, s42
	s_cbranch_execnz .LBB51_5044
	s_branch .LBB51_5045
.LBB51_7921:
	v_bfe_u32 v1, v66, 21, 1
	s_mov_b32 s43, exec_lo
	s_delay_alu instid0(VALU_DEP_1) | instskip(NEXT) | instid1(VALU_DEP_1)
	v_add3_u32 v1, v66, v1, 0x88fffff
	v_lshrrev_b32_e32 v1, 21, v1
	s_and_not1_saveexec_b32 s44, s44
	s_cbranch_execz .LBB51_5056
.LBB51_7922:
	v_add_f32_e64 v1, 0x42800000, |v66|
	s_and_not1_b32 s43, s43, exec_lo
	s_delay_alu instid0(VALU_DEP_1) | instskip(NEXT) | instid1(VALU_DEP_1)
	v_and_b32_e32 v1, 0xff, v1
	v_cmp_ne_u32_e32 vcc_lo, 0, v1
	s_and_b32 s45, vcc_lo, exec_lo
	s_delay_alu instid0(SALU_CYCLE_1)
	s_or_b32 s43, s43, s45
	s_or_b32 exec_lo, exec_lo, s44
	v_mov_b32_e32 v4, 0
	s_and_saveexec_b32 s44, s43
	s_cbranch_execnz .LBB51_5057
	s_branch .LBB51_5058
.LBB51_7923:
	v_bfe_u32 v1, v64, 20, 1
	s_mov_b32 s44, exec_lo
	s_delay_alu instid0(VALU_DEP_1) | instskip(NEXT) | instid1(VALU_DEP_1)
	v_add3_u32 v1, v64, v1, 0x487ffff
	v_lshrrev_b32_e32 v1, 20, v1
	s_and_not1_saveexec_b32 s45, s45
	s_cbranch_execz .LBB51_5172
.LBB51_7924:
	v_add_f32_e64 v1, 0x46000000, |v64|
	s_and_not1_b32 s44, s44, exec_lo
	s_delay_alu instid0(VALU_DEP_1) | instskip(NEXT) | instid1(VALU_DEP_1)
	v_and_b32_e32 v1, 0xff, v1
	v_cmp_ne_u32_e32 vcc_lo, 0, v1
	s_and_b32 s46, vcc_lo, exec_lo
	s_delay_alu instid0(SALU_CYCLE_1)
	s_or_b32 s44, s44, s46
	s_or_b32 exec_lo, exec_lo, s45
	v_mov_b32_e32 v4, 0
	s_and_saveexec_b32 s45, s44
	s_cbranch_execnz .LBB51_5173
	s_branch .LBB51_5174
.LBB51_7925:
	v_bfe_u32 v1, v64, 21, 1
	s_mov_b32 s45, exec_lo
	s_delay_alu instid0(VALU_DEP_1) | instskip(NEXT) | instid1(VALU_DEP_1)
	v_add3_u32 v1, v64, v1, 0x88fffff
	v_lshrrev_b32_e32 v1, 21, v1
	s_and_not1_saveexec_b32 s46, s46
	s_cbranch_execz .LBB51_5185
.LBB51_7926:
	v_add_f32_e64 v1, 0x42800000, |v64|
	s_and_not1_b32 s45, s45, exec_lo
	s_delay_alu instid0(VALU_DEP_1) | instskip(NEXT) | instid1(VALU_DEP_1)
	v_and_b32_e32 v1, 0xff, v1
	v_cmp_ne_u32_e32 vcc_lo, 0, v1
	s_and_b32 s47, vcc_lo, exec_lo
	s_delay_alu instid0(SALU_CYCLE_1)
	s_or_b32 s45, s45, s47
	s_or_b32 exec_lo, exec_lo, s46
	v_mov_b32_e32 v4, 0
	s_and_saveexec_b32 s46, s45
	s_cbranch_execnz .LBB51_5186
	s_branch .LBB51_5187
.LBB51_7927:
	v_bfe_u32 v1, v54, 20, 1
	s_mov_b32 s46, exec_lo
	s_delay_alu instid0(VALU_DEP_1) | instskip(NEXT) | instid1(VALU_DEP_1)
	v_add3_u32 v1, v54, v1, 0x487ffff
	v_lshrrev_b32_e32 v1, 20, v1
	s_and_not1_saveexec_b32 s47, s47
	s_cbranch_execz .LBB51_5301
.LBB51_7928:
	v_add_f32_e64 v1, 0x46000000, |v54|
	s_and_not1_b32 s46, s46, exec_lo
	s_delay_alu instid0(VALU_DEP_1) | instskip(NEXT) | instid1(VALU_DEP_1)
	v_and_b32_e32 v1, 0xff, v1
	v_cmp_ne_u32_e32 vcc_lo, 0, v1
	s_and_b32 s56, vcc_lo, exec_lo
	s_delay_alu instid0(SALU_CYCLE_1)
	s_or_b32 s46, s46, s56
	s_or_b32 exec_lo, exec_lo, s47
	v_mov_b32_e32 v4, 0
	s_and_saveexec_b32 s47, s46
	s_cbranch_execnz .LBB51_5302
	s_branch .LBB51_5303
.LBB51_7929:
	v_bfe_u32 v1, v54, 21, 1
	s_mov_b32 s47, exec_lo
	s_delay_alu instid0(VALU_DEP_1) | instskip(NEXT) | instid1(VALU_DEP_1)
	v_add3_u32 v1, v54, v1, 0x88fffff
	v_lshrrev_b32_e32 v1, 21, v1
	s_and_not1_saveexec_b32 s56, s56
	s_cbranch_execz .LBB51_5314
.LBB51_7930:
	v_add_f32_e64 v1, 0x42800000, |v54|
	s_and_not1_b32 s47, s47, exec_lo
	s_delay_alu instid0(VALU_DEP_1) | instskip(NEXT) | instid1(VALU_DEP_1)
	v_and_b32_e32 v1, 0xff, v1
	v_cmp_ne_u32_e32 vcc_lo, 0, v1
	s_and_b32 s57, vcc_lo, exec_lo
	s_delay_alu instid0(SALU_CYCLE_1)
	s_or_b32 s47, s47, s57
	s_or_b32 exec_lo, exec_lo, s56
	v_mov_b32_e32 v4, 0
	s_and_saveexec_b32 s56, s47
	s_cbranch_execnz .LBB51_5315
	s_branch .LBB51_5316
.LBB51_7931:
	v_bfe_u32 v1, v52, 20, 1
	s_mov_b32 s56, exec_lo
	s_delay_alu instid0(VALU_DEP_1) | instskip(NEXT) | instid1(VALU_DEP_1)
	v_add3_u32 v1, v52, v1, 0x487ffff
	v_lshrrev_b32_e32 v1, 20, v1
	s_and_not1_saveexec_b32 s57, s57
	s_cbranch_execz .LBB51_5430
.LBB51_7932:
	v_add_f32_e64 v1, 0x46000000, |v52|
	s_and_not1_b32 s56, s56, exec_lo
	s_delay_alu instid0(VALU_DEP_1) | instskip(NEXT) | instid1(VALU_DEP_1)
	v_and_b32_e32 v1, 0xff, v1
	v_cmp_ne_u32_e32 vcc_lo, 0, v1
	s_and_b32 s58, vcc_lo, exec_lo
	s_delay_alu instid0(SALU_CYCLE_1)
	s_or_b32 s56, s56, s58
	s_or_b32 exec_lo, exec_lo, s57
	v_mov_b32_e32 v4, 0
	s_and_saveexec_b32 s57, s56
	s_cbranch_execnz .LBB51_5431
	s_branch .LBB51_5432
.LBB51_7933:
	v_bfe_u32 v1, v52, 21, 1
	s_mov_b32 s57, exec_lo
	s_delay_alu instid0(VALU_DEP_1) | instskip(NEXT) | instid1(VALU_DEP_1)
	v_add3_u32 v1, v52, v1, 0x88fffff
	v_lshrrev_b32_e32 v1, 21, v1
	s_and_not1_saveexec_b32 s58, s58
	s_cbranch_execz .LBB51_5443
.LBB51_7934:
	v_add_f32_e64 v1, 0x42800000, |v52|
	s_and_not1_b32 s57, s57, exec_lo
	s_delay_alu instid0(VALU_DEP_1) | instskip(NEXT) | instid1(VALU_DEP_1)
	v_and_b32_e32 v1, 0xff, v1
	v_cmp_ne_u32_e32 vcc_lo, 0, v1
	s_and_b32 s59, vcc_lo, exec_lo
	s_delay_alu instid0(SALU_CYCLE_1)
	s_or_b32 s57, s57, s59
	s_or_b32 exec_lo, exec_lo, s58
	v_mov_b32_e32 v4, 0
	s_and_saveexec_b32 s58, s57
	s_cbranch_execnz .LBB51_5444
	s_branch .LBB51_5445
.LBB51_7935:
	v_bfe_u32 v1, v50, 20, 1
	s_mov_b32 s58, exec_lo
	s_delay_alu instid0(VALU_DEP_1) | instskip(NEXT) | instid1(VALU_DEP_1)
	v_add3_u32 v1, v50, v1, 0x487ffff
	v_lshrrev_b32_e32 v1, 20, v1
	s_and_not1_saveexec_b32 s59, s59
	s_cbranch_execz .LBB51_5559
.LBB51_7936:
	v_add_f32_e64 v1, 0x46000000, |v50|
	s_and_not1_b32 s58, s58, exec_lo
	s_delay_alu instid0(VALU_DEP_1) | instskip(NEXT) | instid1(VALU_DEP_1)
	v_and_b32_e32 v1, 0xff, v1
	v_cmp_ne_u32_e32 vcc_lo, 0, v1
	s_and_b32 s60, vcc_lo, exec_lo
	s_delay_alu instid0(SALU_CYCLE_1)
	s_or_b32 s58, s58, s60
	s_or_b32 exec_lo, exec_lo, s59
	v_mov_b32_e32 v4, 0
	s_and_saveexec_b32 s59, s58
	s_cbranch_execnz .LBB51_5560
	s_branch .LBB51_5561
.LBB51_7937:
	v_bfe_u32 v1, v50, 21, 1
	s_mov_b32 s59, exec_lo
	s_delay_alu instid0(VALU_DEP_1) | instskip(NEXT) | instid1(VALU_DEP_1)
	v_add3_u32 v1, v50, v1, 0x88fffff
	v_lshrrev_b32_e32 v1, 21, v1
	s_and_not1_saveexec_b32 s60, s60
	s_cbranch_execz .LBB51_5572
.LBB51_7938:
	v_add_f32_e64 v1, 0x42800000, |v50|
	s_and_not1_b32 s59, s59, exec_lo
	s_delay_alu instid0(VALU_DEP_1) | instskip(NEXT) | instid1(VALU_DEP_1)
	v_and_b32_e32 v1, 0xff, v1
	v_cmp_ne_u32_e32 vcc_lo, 0, v1
	s_and_b32 s61, vcc_lo, exec_lo
	s_delay_alu instid0(SALU_CYCLE_1)
	s_or_b32 s59, s59, s61
	s_or_b32 exec_lo, exec_lo, s60
	v_mov_b32_e32 v4, 0
	s_and_saveexec_b32 s60, s59
	s_cbranch_execnz .LBB51_5573
	s_branch .LBB51_5574
.LBB51_7939:
	v_bfe_u32 v1, v48, 20, 1
	s_mov_b32 s60, exec_lo
	s_delay_alu instid0(VALU_DEP_1) | instskip(NEXT) | instid1(VALU_DEP_1)
	v_add3_u32 v1, v48, v1, 0x487ffff
	v_lshrrev_b32_e32 v1, 20, v1
	s_and_not1_saveexec_b32 s61, s61
	s_cbranch_execz .LBB51_5688
.LBB51_7940:
	v_add_f32_e64 v1, 0x46000000, |v48|
	s_and_not1_b32 s60, s60, exec_lo
	s_delay_alu instid0(VALU_DEP_1) | instskip(NEXT) | instid1(VALU_DEP_1)
	v_and_b32_e32 v1, 0xff, v1
	v_cmp_ne_u32_e32 vcc_lo, 0, v1
	s_and_b32 s62, vcc_lo, exec_lo
	s_delay_alu instid0(SALU_CYCLE_1)
	s_or_b32 s60, s60, s62
	s_or_b32 exec_lo, exec_lo, s61
	v_mov_b32_e32 v4, 0
	s_and_saveexec_b32 s61, s60
	s_cbranch_execnz .LBB51_5689
	s_branch .LBB51_5690
.LBB51_7941:
	v_bfe_u32 v1, v48, 21, 1
	s_mov_b32 s61, exec_lo
	s_delay_alu instid0(VALU_DEP_1) | instskip(NEXT) | instid1(VALU_DEP_1)
	v_add3_u32 v1, v48, v1, 0x88fffff
	v_lshrrev_b32_e32 v1, 21, v1
	s_and_not1_saveexec_b32 s62, s62
	s_cbranch_execz .LBB51_5701
.LBB51_7942:
	v_add_f32_e64 v1, 0x42800000, |v48|
	s_and_not1_b32 s61, s61, exec_lo
	s_delay_alu instid0(VALU_DEP_1) | instskip(NEXT) | instid1(VALU_DEP_1)
	v_and_b32_e32 v1, 0xff, v1
	v_cmp_ne_u32_e32 vcc_lo, 0, v1
	s_and_b32 s63, vcc_lo, exec_lo
	s_delay_alu instid0(SALU_CYCLE_1)
	s_or_b32 s61, s61, s63
	s_or_b32 exec_lo, exec_lo, s62
	v_mov_b32_e32 v4, 0
	s_and_saveexec_b32 s62, s61
	s_cbranch_execnz .LBB51_5702
	s_branch .LBB51_5703
.LBB51_7943:
	v_bfe_u32 v1, v38, 20, 1
	s_mov_b32 s62, exec_lo
	s_delay_alu instid0(VALU_DEP_1) | instskip(NEXT) | instid1(VALU_DEP_1)
	v_add3_u32 v1, v38, v1, 0x487ffff
	v_lshrrev_b32_e32 v1, 20, v1
	s_and_not1_saveexec_b32 s63, s63
	s_cbranch_execz .LBB51_5817
.LBB51_7944:
	v_add_f32_e64 v1, 0x46000000, |v38|
	s_and_not1_b32 s62, s62, exec_lo
	s_delay_alu instid0(VALU_DEP_1) | instskip(NEXT) | instid1(VALU_DEP_1)
	v_and_b32_e32 v1, 0xff, v1
	v_cmp_ne_u32_e32 vcc_lo, 0, v1
	s_and_b32 s72, vcc_lo, exec_lo
	s_delay_alu instid0(SALU_CYCLE_1)
	s_or_b32 s62, s62, s72
	s_or_b32 exec_lo, exec_lo, s63
	v_mov_b32_e32 v4, 0
	s_and_saveexec_b32 s63, s62
	s_cbranch_execnz .LBB51_5818
	s_branch .LBB51_5819
.LBB51_7945:
	v_bfe_u32 v1, v38, 21, 1
	s_mov_b32 s63, exec_lo
	s_delay_alu instid0(VALU_DEP_1) | instskip(NEXT) | instid1(VALU_DEP_1)
	v_add3_u32 v1, v38, v1, 0x88fffff
	v_lshrrev_b32_e32 v1, 21, v1
	s_and_not1_saveexec_b32 s72, s72
	s_cbranch_execz .LBB51_5830
.LBB51_7946:
	v_add_f32_e64 v1, 0x42800000, |v38|
	s_and_not1_b32 s63, s63, exec_lo
	s_delay_alu instid0(VALU_DEP_1) | instskip(NEXT) | instid1(VALU_DEP_1)
	v_and_b32_e32 v1, 0xff, v1
	v_cmp_ne_u32_e32 vcc_lo, 0, v1
	s_and_b32 s73, vcc_lo, exec_lo
	s_delay_alu instid0(SALU_CYCLE_1)
	s_or_b32 s63, s63, s73
	s_or_b32 exec_lo, exec_lo, s72
	v_mov_b32_e32 v4, 0
	s_and_saveexec_b32 s72, s63
	s_cbranch_execnz .LBB51_5831
	s_branch .LBB51_5832
.LBB51_7947:
	v_bfe_u32 v1, v36, 20, 1
	s_mov_b32 s72, exec_lo
	s_delay_alu instid0(VALU_DEP_1) | instskip(NEXT) | instid1(VALU_DEP_1)
	v_add3_u32 v1, v36, v1, 0x487ffff
	v_lshrrev_b32_e32 v1, 20, v1
	s_and_not1_saveexec_b32 s73, s73
	s_cbranch_execz .LBB51_5946
.LBB51_7948:
	v_add_f32_e64 v1, 0x46000000, |v36|
	s_and_not1_b32 s72, s72, exec_lo
	s_delay_alu instid0(VALU_DEP_1) | instskip(NEXT) | instid1(VALU_DEP_1)
	v_and_b32_e32 v1, 0xff, v1
	v_cmp_ne_u32_e32 vcc_lo, 0, v1
	s_and_b32 s74, vcc_lo, exec_lo
	s_delay_alu instid0(SALU_CYCLE_1)
	s_or_b32 s72, s72, s74
	s_or_b32 exec_lo, exec_lo, s73
	v_mov_b32_e32 v4, 0
	s_and_saveexec_b32 s73, s72
	s_cbranch_execnz .LBB51_5947
	s_branch .LBB51_5948
.LBB51_7949:
	v_bfe_u32 v1, v36, 21, 1
	s_mov_b32 s73, exec_lo
	s_delay_alu instid0(VALU_DEP_1) | instskip(NEXT) | instid1(VALU_DEP_1)
	v_add3_u32 v1, v36, v1, 0x88fffff
	v_lshrrev_b32_e32 v1, 21, v1
	s_and_not1_saveexec_b32 s74, s74
	s_cbranch_execz .LBB51_5959
.LBB51_7950:
	v_add_f32_e64 v1, 0x42800000, |v36|
	s_and_not1_b32 s73, s73, exec_lo
	s_delay_alu instid0(VALU_DEP_1) | instskip(NEXT) | instid1(VALU_DEP_1)
	v_and_b32_e32 v1, 0xff, v1
	v_cmp_ne_u32_e32 vcc_lo, 0, v1
	s_and_b32 s75, vcc_lo, exec_lo
	s_delay_alu instid0(SALU_CYCLE_1)
	s_or_b32 s73, s73, s75
	s_or_b32 exec_lo, exec_lo, s74
	v_mov_b32_e32 v4, 0
	s_and_saveexec_b32 s74, s73
	s_cbranch_execnz .LBB51_5960
	s_branch .LBB51_5961
.LBB51_7951:
	v_bfe_u32 v1, v34, 20, 1
	s_mov_b32 s74, exec_lo
	s_delay_alu instid0(VALU_DEP_1) | instskip(NEXT) | instid1(VALU_DEP_1)
	v_add3_u32 v1, v34, v1, 0x487ffff
	v_lshrrev_b32_e32 v1, 20, v1
	s_and_not1_saveexec_b32 s75, s75
	s_cbranch_execz .LBB51_6075
.LBB51_7952:
	v_add_f32_e64 v1, 0x46000000, |v34|
	s_and_not1_b32 s74, s74, exec_lo
	s_delay_alu instid0(VALU_DEP_1) | instskip(NEXT) | instid1(VALU_DEP_1)
	v_and_b32_e32 v1, 0xff, v1
	v_cmp_ne_u32_e32 vcc_lo, 0, v1
	s_and_b32 s76, vcc_lo, exec_lo
	s_delay_alu instid0(SALU_CYCLE_1)
	s_or_b32 s74, s74, s76
	s_or_b32 exec_lo, exec_lo, s75
	v_mov_b32_e32 v4, 0
	s_and_saveexec_b32 s75, s74
	s_cbranch_execnz .LBB51_6076
	s_branch .LBB51_6077
.LBB51_7953:
	v_bfe_u32 v1, v34, 21, 1
	s_mov_b32 s75, exec_lo
	s_delay_alu instid0(VALU_DEP_1) | instskip(NEXT) | instid1(VALU_DEP_1)
	v_add3_u32 v1, v34, v1, 0x88fffff
	v_lshrrev_b32_e32 v1, 21, v1
	s_and_not1_saveexec_b32 s76, s76
	s_cbranch_execz .LBB51_6088
.LBB51_7954:
	v_add_f32_e64 v1, 0x42800000, |v34|
	s_and_not1_b32 s75, s75, exec_lo
	s_delay_alu instid0(VALU_DEP_1) | instskip(NEXT) | instid1(VALU_DEP_1)
	v_and_b32_e32 v1, 0xff, v1
	v_cmp_ne_u32_e32 vcc_lo, 0, v1
	s_and_b32 s77, vcc_lo, exec_lo
	s_delay_alu instid0(SALU_CYCLE_1)
	s_or_b32 s75, s75, s77
	s_or_b32 exec_lo, exec_lo, s76
	v_mov_b32_e32 v4, 0
	s_and_saveexec_b32 s76, s75
	s_cbranch_execnz .LBB51_6089
	s_branch .LBB51_6090
.LBB51_7955:
	v_bfe_u32 v1, v32, 20, 1
	s_mov_b32 s76, exec_lo
	s_delay_alu instid0(VALU_DEP_1) | instskip(NEXT) | instid1(VALU_DEP_1)
	v_add3_u32 v1, v32, v1, 0x487ffff
	v_lshrrev_b32_e32 v1, 20, v1
	s_and_not1_saveexec_b32 s77, s77
	s_cbranch_execz .LBB51_6204
.LBB51_7956:
	v_add_f32_e64 v1, 0x46000000, |v32|
	s_and_not1_b32 s76, s76, exec_lo
	s_delay_alu instid0(VALU_DEP_1) | instskip(NEXT) | instid1(VALU_DEP_1)
	v_and_b32_e32 v1, 0xff, v1
	v_cmp_ne_u32_e32 vcc_lo, 0, v1
	s_and_b32 s78, vcc_lo, exec_lo
	s_delay_alu instid0(SALU_CYCLE_1)
	s_or_b32 s76, s76, s78
	s_or_b32 exec_lo, exec_lo, s77
	v_mov_b32_e32 v4, 0
	s_and_saveexec_b32 s77, s76
	s_cbranch_execnz .LBB51_6205
	s_branch .LBB51_6206
.LBB51_7957:
	v_bfe_u32 v1, v32, 21, 1
	s_mov_b32 s77, exec_lo
	s_delay_alu instid0(VALU_DEP_1) | instskip(NEXT) | instid1(VALU_DEP_1)
	v_add3_u32 v1, v32, v1, 0x88fffff
	v_lshrrev_b32_e32 v1, 21, v1
	s_and_not1_saveexec_b32 s78, s78
	s_cbranch_execz .LBB51_6217
.LBB51_7958:
	v_add_f32_e64 v1, 0x42800000, |v32|
	s_and_not1_b32 s77, s77, exec_lo
	s_delay_alu instid0(VALU_DEP_1) | instskip(NEXT) | instid1(VALU_DEP_1)
	v_and_b32_e32 v1, 0xff, v1
	v_cmp_ne_u32_e32 vcc_lo, 0, v1
	s_and_b32 s79, vcc_lo, exec_lo
	s_delay_alu instid0(SALU_CYCLE_1)
	s_or_b32 s77, s77, s79
	s_or_b32 exec_lo, exec_lo, s78
	v_mov_b32_e32 v4, 0
	s_and_saveexec_b32 s78, s77
	s_cbranch_execnz .LBB51_6218
	s_branch .LBB51_6219
.LBB51_7959:
	v_bfe_u32 v1, v30, 20, 1
	s_mov_b32 s78, exec_lo
	s_delay_alu instid0(VALU_DEP_1) | instskip(NEXT) | instid1(VALU_DEP_1)
	v_add3_u32 v1, v30, v1, 0x487ffff
	v_lshrrev_b32_e32 v1, 20, v1
	s_and_not1_saveexec_b32 s79, s79
	s_cbranch_execz .LBB51_6333
.LBB51_7960:
	v_add_f32_e64 v1, 0x46000000, |v30|
	s_and_not1_b32 s78, s78, exec_lo
	s_delay_alu instid0(VALU_DEP_1) | instskip(NEXT) | instid1(VALU_DEP_1)
	v_and_b32_e32 v1, 0xff, v1
	v_cmp_ne_u32_e32 vcc_lo, 0, v1
	s_and_b32 s88, vcc_lo, exec_lo
	s_delay_alu instid0(SALU_CYCLE_1)
	s_or_b32 s78, s78, s88
	s_or_b32 exec_lo, exec_lo, s79
	v_mov_b32_e32 v4, 0
	s_and_saveexec_b32 s79, s78
	s_cbranch_execnz .LBB51_6334
	s_branch .LBB51_6335
.LBB51_7961:
	v_bfe_u32 v1, v30, 21, 1
	s_mov_b32 s79, exec_lo
	s_delay_alu instid0(VALU_DEP_1) | instskip(NEXT) | instid1(VALU_DEP_1)
	v_add3_u32 v1, v30, v1, 0x88fffff
	v_lshrrev_b32_e32 v1, 21, v1
	s_and_not1_saveexec_b32 s88, s88
	s_cbranch_execz .LBB51_6346
.LBB51_7962:
	v_add_f32_e64 v1, 0x42800000, |v30|
	s_and_not1_b32 s79, s79, exec_lo
	s_delay_alu instid0(VALU_DEP_1) | instskip(NEXT) | instid1(VALU_DEP_1)
	v_and_b32_e32 v1, 0xff, v1
	v_cmp_ne_u32_e32 vcc_lo, 0, v1
	s_and_b32 s89, vcc_lo, exec_lo
	s_delay_alu instid0(SALU_CYCLE_1)
	s_or_b32 s79, s79, s89
	s_or_b32 exec_lo, exec_lo, s88
	v_mov_b32_e32 v4, 0
	s_and_saveexec_b32 s88, s79
	s_cbranch_execnz .LBB51_6347
	s_branch .LBB51_6348
.LBB51_7963:
	v_bfe_u32 v1, v28, 20, 1
	s_mov_b32 s88, exec_lo
	s_delay_alu instid0(VALU_DEP_1) | instskip(NEXT) | instid1(VALU_DEP_1)
	v_add3_u32 v1, v28, v1, 0x487ffff
	v_lshrrev_b32_e32 v1, 20, v1
	s_and_not1_saveexec_b32 s89, s89
	s_cbranch_execz .LBB51_6462
.LBB51_7964:
	v_add_f32_e64 v1, 0x46000000, |v28|
	s_and_not1_b32 s88, s88, exec_lo
	s_delay_alu instid0(VALU_DEP_1) | instskip(NEXT) | instid1(VALU_DEP_1)
	v_and_b32_e32 v1, 0xff, v1
	v_cmp_ne_u32_e32 vcc_lo, 0, v1
	s_and_b32 s90, vcc_lo, exec_lo
	s_delay_alu instid0(SALU_CYCLE_1)
	s_or_b32 s88, s88, s90
	s_or_b32 exec_lo, exec_lo, s89
	v_mov_b32_e32 v4, 0
	s_and_saveexec_b32 s89, s88
	s_cbranch_execnz .LBB51_6463
	s_branch .LBB51_6464
.LBB51_7965:
	v_bfe_u32 v1, v28, 21, 1
	s_mov_b32 s89, exec_lo
	s_delay_alu instid0(VALU_DEP_1) | instskip(NEXT) | instid1(VALU_DEP_1)
	v_add3_u32 v1, v28, v1, 0x88fffff
	v_lshrrev_b32_e32 v1, 21, v1
	s_and_not1_saveexec_b32 s90, s90
	s_cbranch_execz .LBB51_6475
.LBB51_7966:
	v_add_f32_e64 v1, 0x42800000, |v28|
	s_and_not1_b32 s89, s89, exec_lo
	s_delay_alu instid0(VALU_DEP_1) | instskip(NEXT) | instid1(VALU_DEP_1)
	v_and_b32_e32 v1, 0xff, v1
	v_cmp_ne_u32_e32 vcc_lo, 0, v1
	s_and_b32 s91, vcc_lo, exec_lo
	s_delay_alu instid0(SALU_CYCLE_1)
	s_or_b32 s89, s89, s91
	s_or_b32 exec_lo, exec_lo, s90
	v_mov_b32_e32 v4, 0
	s_and_saveexec_b32 s90, s89
	s_cbranch_execnz .LBB51_6476
	s_branch .LBB51_6477
.LBB51_7967:
	v_bfe_u32 v1, v26, 20, 1
	s_mov_b32 s90, exec_lo
	s_delay_alu instid0(VALU_DEP_1) | instskip(NEXT) | instid1(VALU_DEP_1)
	v_add3_u32 v1, v26, v1, 0x487ffff
	v_lshrrev_b32_e32 v1, 20, v1
	s_and_not1_saveexec_b32 s91, s91
	s_cbranch_execz .LBB51_6591
.LBB51_7968:
	v_add_f32_e64 v1, 0x46000000, |v26|
	s_and_not1_b32 s90, s90, exec_lo
	s_delay_alu instid0(VALU_DEP_1) | instskip(NEXT) | instid1(VALU_DEP_1)
	v_and_b32_e32 v1, 0xff, v1
	v_cmp_ne_u32_e32 vcc_lo, 0, v1
	s_and_b32 s92, vcc_lo, exec_lo
	s_delay_alu instid0(SALU_CYCLE_1)
	s_or_b32 s90, s90, s92
	s_or_b32 exec_lo, exec_lo, s91
	v_mov_b32_e32 v4, 0
	s_and_saveexec_b32 s91, s90
	s_cbranch_execnz .LBB51_6592
	s_branch .LBB51_6593
.LBB51_7969:
	v_bfe_u32 v1, v26, 21, 1
	s_mov_b32 s91, exec_lo
	s_delay_alu instid0(VALU_DEP_1) | instskip(NEXT) | instid1(VALU_DEP_1)
	v_add3_u32 v1, v26, v1, 0x88fffff
	v_lshrrev_b32_e32 v1, 21, v1
	s_and_not1_saveexec_b32 s92, s92
	s_cbranch_execz .LBB51_6604
.LBB51_7970:
	v_add_f32_e64 v1, 0x42800000, |v26|
	s_and_not1_b32 s91, s91, exec_lo
	s_delay_alu instid0(VALU_DEP_1) | instskip(NEXT) | instid1(VALU_DEP_1)
	v_and_b32_e32 v1, 0xff, v1
	v_cmp_ne_u32_e32 vcc_lo, 0, v1
	s_and_b32 s93, vcc_lo, exec_lo
	s_delay_alu instid0(SALU_CYCLE_1)
	s_or_b32 s91, s91, s93
	s_or_b32 exec_lo, exec_lo, s92
	v_mov_b32_e32 v4, 0
	s_and_saveexec_b32 s92, s91
	s_cbranch_execnz .LBB51_6605
	s_branch .LBB51_6606
.LBB51_7971:
	v_bfe_u32 v1, v24, 20, 1
	s_mov_b32 s92, exec_lo
	s_delay_alu instid0(VALU_DEP_1) | instskip(NEXT) | instid1(VALU_DEP_1)
	v_add3_u32 v1, v24, v1, 0x487ffff
	v_lshrrev_b32_e32 v1, 20, v1
	s_and_not1_saveexec_b32 s93, s93
	s_cbranch_execz .LBB51_6720
.LBB51_7972:
	v_add_f32_e64 v1, 0x46000000, |v24|
	s_and_not1_b32 s92, s92, exec_lo
	s_delay_alu instid0(VALU_DEP_1) | instskip(NEXT) | instid1(VALU_DEP_1)
	v_and_b32_e32 v1, 0xff, v1
	v_cmp_ne_u32_e32 vcc_lo, 0, v1
	s_and_b32 s94, vcc_lo, exec_lo
	s_delay_alu instid0(SALU_CYCLE_1)
	s_or_b32 s92, s92, s94
	s_or_b32 exec_lo, exec_lo, s93
	v_mov_b32_e32 v4, 0
	s_and_saveexec_b32 s93, s92
	s_cbranch_execnz .LBB51_6721
	s_branch .LBB51_6722
.LBB51_7973:
	v_bfe_u32 v1, v24, 21, 1
	s_mov_b32 s93, exec_lo
	s_delay_alu instid0(VALU_DEP_1) | instskip(NEXT) | instid1(VALU_DEP_1)
	v_add3_u32 v1, v24, v1, 0x88fffff
	v_lshrrev_b32_e32 v1, 21, v1
	s_and_not1_saveexec_b32 s94, s94
	s_cbranch_execz .LBB51_6733
.LBB51_7974:
	v_add_f32_e64 v1, 0x42800000, |v24|
	s_and_not1_b32 s93, s93, exec_lo
	s_delay_alu instid0(VALU_DEP_1) | instskip(NEXT) | instid1(VALU_DEP_1)
	v_and_b32_e32 v1, 0xff, v1
	v_cmp_ne_u32_e32 vcc_lo, 0, v1
	s_and_b32 s95, vcc_lo, exec_lo
	s_delay_alu instid0(SALU_CYCLE_1)
	s_or_b32 s93, s93, s95
	s_or_b32 exec_lo, exec_lo, s94
	v_mov_b32_e32 v4, 0
	s_and_saveexec_b32 s94, s93
	s_cbranch_execnz .LBB51_6734
	s_branch .LBB51_6735
.LBB51_7975:
	v_bfe_u32 v1, v22, 20, 1
	s_mov_b32 s94, exec_lo
	s_delay_alu instid0(VALU_DEP_1) | instskip(NEXT) | instid1(VALU_DEP_1)
	v_add3_u32 v1, v22, v1, 0x487ffff
	v_lshrrev_b32_e32 v1, 20, v1
	s_and_not1_saveexec_b32 s95, s95
	s_cbranch_execz .LBB51_6849
.LBB51_7976:
	v_add_f32_e64 v1, 0x46000000, |v22|
	s_and_not1_b32 s94, s94, exec_lo
	s_delay_alu instid0(VALU_DEP_1) | instskip(NEXT) | instid1(VALU_DEP_1)
	v_and_b32_e32 v1, 0xff, v1
	v_cmp_ne_u32_e32 vcc_lo, 0, v1
	s_and_b32 vcc_lo, vcc_lo, exec_lo
	s_delay_alu instid0(SALU_CYCLE_1)
	s_or_b32 s94, s94, vcc_lo
	s_or_b32 exec_lo, exec_lo, s95
	v_mov_b32_e32 v4, 0
	s_and_saveexec_b32 s95, s94
	s_cbranch_execnz .LBB51_6850
	s_branch .LBB51_6851
.LBB51_7977:
	v_bfe_u32 v1, v22, 21, 1
	s_mov_b32 s95, exec_lo
	s_delay_alu instid0(VALU_DEP_1) | instskip(NEXT) | instid1(VALU_DEP_1)
	v_add3_u32 v1, v22, v1, 0x88fffff
	v_lshrrev_b32_e32 v1, 21, v1
	s_and_not1_saveexec_b32 vcc_hi, vcc_lo
	s_cbranch_execz .LBB51_6862
.LBB51_7978:
	v_add_f32_e64 v1, 0x42800000, |v22|
	s_and_not1_b32 s95, s95, exec_lo
	s_delay_alu instid0(VALU_DEP_1) | instskip(NEXT) | instid1(VALU_DEP_1)
	v_and_b32_e32 v1, 0xff, v1
	v_cmp_ne_u32_e32 vcc_lo, 0, v1
	s_and_b32 vcc_lo, vcc_lo, exec_lo
	s_delay_alu instid0(SALU_CYCLE_1)
	s_or_b32 s95, s95, vcc_lo
	s_or_b32 exec_lo, exec_lo, vcc_hi
	v_mov_b32_e32 v4, 0
	s_and_saveexec_b32 vcc_lo, s95
	s_cbranch_execnz .LBB51_6863
	s_branch .LBB51_6864
.LBB51_7979:
	v_bfe_u32 v1, v20, 20, 1
	s_mov_b32 vcc_hi, exec_lo
	s_delay_alu instid0(VALU_DEP_1) | instskip(NEXT) | instid1(VALU_DEP_1)
	v_add3_u32 v1, v20, v1, 0x487ffff
	v_lshrrev_b32_e32 v1, 20, v1
	s_and_not1_saveexec_b32 s30, vcc_lo
	s_cbranch_execz .LBB51_6978
.LBB51_7980:
	v_add_f32_e64 v1, 0x46000000, |v20|
	s_and_not1_b32 vcc_hi, vcc_hi, exec_lo
	s_delay_alu instid0(VALU_DEP_1) | instskip(NEXT) | instid1(VALU_DEP_1)
	v_and_b32_e32 v1, 0xff, v1
	v_cmp_ne_u32_e32 vcc_lo, 0, v1
	s_and_b32 vcc_lo, vcc_lo, exec_lo
	s_delay_alu instid0(SALU_CYCLE_1)
	s_or_b32 vcc_hi, vcc_hi, vcc_lo
	s_or_b32 exec_lo, exec_lo, s30
	v_mov_b32_e32 v4, 0
	s_and_saveexec_b32 vcc_lo, vcc_hi
	s_cbranch_execnz .LBB51_6979
	s_branch .LBB51_6980
.LBB51_7981:
	v_bfe_u32 v1, v20, 21, 1
	s_mov_b32 s30, exec_lo
	s_delay_alu instid0(VALU_DEP_1) | instskip(NEXT) | instid1(VALU_DEP_1)
	v_add3_u32 v1, v20, v1, 0x88fffff
	v_lshrrev_b32_e32 v1, 21, v1
	s_and_not1_saveexec_b32 s31, vcc_lo
	s_cbranch_execz .LBB51_6991
.LBB51_7982:
	v_add_f32_e64 v1, 0x42800000, |v20|
	s_and_not1_b32 s30, s30, exec_lo
	s_delay_alu instid0(VALU_DEP_1) | instskip(NEXT) | instid1(VALU_DEP_1)
	v_and_b32_e32 v1, 0xff, v1
	v_cmp_ne_u32_e32 vcc_lo, 0, v1
	s_and_b32 vcc_lo, vcc_lo, exec_lo
	s_delay_alu instid0(SALU_CYCLE_1)
	s_or_b32 s30, s30, vcc_lo
	s_or_b32 exec_lo, exec_lo, s31
	v_mov_b32_e32 v4, 0
	s_and_saveexec_b32 vcc_lo, s30
	s_cbranch_execnz .LBB51_6992
	s_branch .LBB51_6993
.LBB51_7983:
	v_bfe_u32 v1, v18, 20, 1
	s_mov_b32 s31, exec_lo
	s_delay_alu instid0(VALU_DEP_1) | instskip(NEXT) | instid1(VALU_DEP_1)
	v_add3_u32 v1, v18, v1, 0x487ffff
	v_lshrrev_b32_e32 v1, 20, v1
	s_and_not1_saveexec_b32 s34, vcc_lo
	s_cbranch_execz .LBB51_7107
.LBB51_7984:
	v_add_f32_e64 v1, 0x46000000, |v18|
	s_and_not1_b32 s31, s31, exec_lo
	s_delay_alu instid0(VALU_DEP_1) | instskip(NEXT) | instid1(VALU_DEP_1)
	v_and_b32_e32 v1, 0xff, v1
	v_cmp_ne_u32_e32 vcc_lo, 0, v1
	s_and_b32 vcc_lo, vcc_lo, exec_lo
	s_delay_alu instid0(SALU_CYCLE_1)
	s_or_b32 s31, s31, vcc_lo
	s_or_b32 exec_lo, exec_lo, s34
	v_mov_b32_e32 v4, 0
	s_and_saveexec_b32 vcc_lo, s31
	s_cbranch_execnz .LBB51_7108
	s_branch .LBB51_7109
.LBB51_7985:
	v_bfe_u32 v1, v18, 21, 1
	s_mov_b32 s34, exec_lo
	s_delay_alu instid0(VALU_DEP_1) | instskip(NEXT) | instid1(VALU_DEP_1)
	v_add3_u32 v1, v18, v1, 0x88fffff
	v_lshrrev_b32_e32 v1, 21, v1
	s_and_not1_saveexec_b32 s35, vcc_lo
	s_cbranch_execz .LBB51_7120
.LBB51_7986:
	v_add_f32_e64 v1, 0x42800000, |v18|
	s_and_not1_b32 s34, s34, exec_lo
	s_delay_alu instid0(VALU_DEP_1) | instskip(NEXT) | instid1(VALU_DEP_1)
	v_and_b32_e32 v1, 0xff, v1
	v_cmp_ne_u32_e32 vcc_lo, 0, v1
	s_and_b32 vcc_lo, vcc_lo, exec_lo
	s_delay_alu instid0(SALU_CYCLE_1)
	s_or_b32 s34, s34, vcc_lo
	s_or_b32 exec_lo, exec_lo, s35
	v_mov_b32_e32 v4, 0
	s_and_saveexec_b32 vcc_lo, s34
	s_cbranch_execnz .LBB51_7121
	s_branch .LBB51_7122
.LBB51_7987:
	v_bfe_u32 v1, v16, 20, 1
	s_mov_b32 s35, exec_lo
	s_delay_alu instid0(VALU_DEP_1) | instskip(NEXT) | instid1(VALU_DEP_1)
	v_add3_u32 v1, v16, v1, 0x487ffff
	v_lshrrev_b32_e32 v1, 20, v1
	s_and_not1_saveexec_b32 s36, vcc_lo
	s_cbranch_execz .LBB51_7236
.LBB51_7988:
	v_add_f32_e64 v1, 0x46000000, |v16|
	s_and_not1_b32 s35, s35, exec_lo
	s_delay_alu instid0(VALU_DEP_1) | instskip(NEXT) | instid1(VALU_DEP_1)
	v_and_b32_e32 v1, 0xff, v1
	v_cmp_ne_u32_e32 vcc_lo, 0, v1
	s_and_b32 vcc_lo, vcc_lo, exec_lo
	s_delay_alu instid0(SALU_CYCLE_1)
	s_or_b32 s35, s35, vcc_lo
	s_or_b32 exec_lo, exec_lo, s36
	v_mov_b32_e32 v4, 0
	s_and_saveexec_b32 vcc_lo, s35
	s_cbranch_execnz .LBB51_7237
	s_branch .LBB51_7238
.LBB51_7989:
	v_bfe_u32 v1, v16, 21, 1
	s_mov_b32 s36, exec_lo
	s_delay_alu instid0(VALU_DEP_1) | instskip(NEXT) | instid1(VALU_DEP_1)
	v_add3_u32 v1, v16, v1, 0x88fffff
	v_lshrrev_b32_e32 v1, 21, v1
	s_and_not1_saveexec_b32 s37, vcc_lo
	s_cbranch_execz .LBB51_7249
.LBB51_7990:
	v_add_f32_e64 v1, 0x42800000, |v16|
	s_and_not1_b32 s36, s36, exec_lo
	s_delay_alu instid0(VALU_DEP_1) | instskip(NEXT) | instid1(VALU_DEP_1)
	v_and_b32_e32 v1, 0xff, v1
	v_cmp_ne_u32_e32 vcc_lo, 0, v1
	s_and_b32 vcc_lo, vcc_lo, exec_lo
	s_delay_alu instid0(SALU_CYCLE_1)
	s_or_b32 s36, s36, vcc_lo
	s_or_b32 exec_lo, exec_lo, s37
	v_mov_b32_e32 v4, 0
	s_and_saveexec_b32 vcc_lo, s36
	s_cbranch_execnz .LBB51_7250
	s_branch .LBB51_7251
.LBB51_7991:
	v_bfe_u32 v1, v112, 20, 1
	s_mov_b32 s37, exec_lo
	s_delay_alu instid0(VALU_DEP_1) | instskip(NEXT) | instid1(VALU_DEP_1)
	v_add3_u32 v1, v112, v1, 0x487ffff
	v_lshrrev_b32_e32 v1, 20, v1
	s_and_not1_saveexec_b32 s38, vcc_lo
	s_cbranch_execz .LBB51_7365
.LBB51_7992:
	v_add_f32_e64 v1, 0x46000000, |v112|
	s_and_not1_b32 s37, s37, exec_lo
	s_delay_alu instid0(VALU_DEP_1) | instskip(NEXT) | instid1(VALU_DEP_1)
	v_and_b32_e32 v1, 0xff, v1
	v_cmp_ne_u32_e32 vcc_lo, 0, v1
	s_and_b32 vcc_lo, vcc_lo, exec_lo
	s_delay_alu instid0(SALU_CYCLE_1)
	s_or_b32 s37, s37, vcc_lo
	s_or_b32 exec_lo, exec_lo, s38
	v_mov_b32_e32 v4, 0
	s_and_saveexec_b32 vcc_lo, s37
	s_cbranch_execnz .LBB51_7366
	s_branch .LBB51_7367
.LBB51_7993:
	v_bfe_u32 v1, v112, 21, 1
	s_mov_b32 s38, exec_lo
	s_delay_alu instid0(VALU_DEP_1) | instskip(NEXT) | instid1(VALU_DEP_1)
	v_add3_u32 v1, v112, v1, 0x88fffff
	v_lshrrev_b32_e32 v1, 21, v1
	s_and_not1_saveexec_b32 s39, vcc_lo
	s_cbranch_execz .LBB51_7378
.LBB51_7994:
	v_add_f32_e64 v1, 0x42800000, |v112|
	s_and_not1_b32 s38, s38, exec_lo
	s_delay_alu instid0(VALU_DEP_1) | instskip(NEXT) | instid1(VALU_DEP_1)
	v_and_b32_e32 v1, 0xff, v1
	v_cmp_ne_u32_e32 vcc_lo, 0, v1
	s_and_b32 vcc_lo, vcc_lo, exec_lo
	s_delay_alu instid0(SALU_CYCLE_1)
	s_or_b32 s38, s38, vcc_lo
	s_or_b32 exec_lo, exec_lo, s39
	v_mov_b32_e32 v4, 0
	s_and_saveexec_b32 vcc_lo, s38
	s_cbranch_execnz .LBB51_7379
	s_branch .LBB51_7380
.LBB51_7995:
	v_bfe_u32 v1, v116, 20, 1
	s_mov_b32 s39, exec_lo
	s_delay_alu instid0(VALU_DEP_1) | instskip(NEXT) | instid1(VALU_DEP_1)
	v_add3_u32 v1, v116, v1, 0x487ffff
	v_lshrrev_b32_e32 v1, 20, v1
	s_and_not1_saveexec_b32 s48, vcc_lo
	s_cbranch_execz .LBB51_7494
.LBB51_7996:
	v_add_f32_e64 v1, 0x46000000, |v116|
	s_and_not1_b32 s39, s39, exec_lo
	s_delay_alu instid0(VALU_DEP_1) | instskip(NEXT) | instid1(VALU_DEP_1)
	v_and_b32_e32 v1, 0xff, v1
	v_cmp_ne_u32_e32 vcc_lo, 0, v1
	s_and_b32 vcc_lo, vcc_lo, exec_lo
	s_delay_alu instid0(SALU_CYCLE_1)
	s_or_b32 s39, s39, vcc_lo
	s_or_b32 exec_lo, exec_lo, s48
	v_mov_b32_e32 v4, 0
	s_and_saveexec_b32 vcc_lo, s39
	s_cbranch_execnz .LBB51_7495
	s_branch .LBB51_7496
.LBB51_7997:
	v_bfe_u32 v1, v116, 21, 1
	s_mov_b32 s48, exec_lo
	s_delay_alu instid0(VALU_DEP_1) | instskip(NEXT) | instid1(VALU_DEP_1)
	v_add3_u32 v1, v116, v1, 0x88fffff
	v_lshrrev_b32_e32 v1, 21, v1
	s_and_not1_saveexec_b32 s49, vcc_lo
	s_cbranch_execz .LBB51_7507
.LBB51_7998:
	v_add_f32_e64 v1, 0x42800000, |v116|
	s_and_not1_b32 s48, s48, exec_lo
	s_delay_alu instid0(VALU_DEP_1) | instskip(NEXT) | instid1(VALU_DEP_1)
	v_and_b32_e32 v1, 0xff, v1
	v_cmp_ne_u32_e32 vcc_lo, 0, v1
	s_and_b32 vcc_lo, vcc_lo, exec_lo
	s_delay_alu instid0(SALU_CYCLE_1)
	s_or_b32 s48, s48, vcc_lo
	s_or_b32 exec_lo, exec_lo, s49
	v_mov_b32_e32 v4, 0
	s_and_saveexec_b32 vcc_lo, s48
	s_cbranch_execnz .LBB51_7508
	s_branch .LBB51_7509
.LBB51_7999:
	v_bfe_u32 v1, v10, 20, 1
	s_mov_b32 s48, exec_lo
	s_delay_alu instid0(VALU_DEP_1) | instskip(NEXT) | instid1(VALU_DEP_1)
	v_add3_u32 v1, v10, v1, 0x487ffff
	v_lshrrev_b32_e32 v1, 20, v1
	s_and_not1_saveexec_b32 s49, vcc_lo
	s_cbranch_execz .LBB51_7623
.LBB51_8000:
	v_add_f32_e64 v1, 0x46000000, |v10|
	s_and_not1_b32 s48, s48, exec_lo
	s_delay_alu instid0(VALU_DEP_1) | instskip(NEXT) | instid1(VALU_DEP_1)
	v_and_b32_e32 v1, 0xff, v1
	v_cmp_ne_u32_e32 vcc_lo, 0, v1
	s_and_b32 vcc_lo, vcc_lo, exec_lo
	s_delay_alu instid0(SALU_CYCLE_1)
	s_or_b32 s48, s48, vcc_lo
	s_or_b32 exec_lo, exec_lo, s49
	v_mov_b32_e32 v5, 0
	s_and_saveexec_b32 vcc_lo, s48
	s_cbranch_execnz .LBB51_7624
	s_branch .LBB51_7625
.LBB51_8001:
	v_bfe_u32 v1, v10, 21, 1
	s_mov_b32 s49, exec_lo
	s_delay_alu instid0(VALU_DEP_1) | instskip(NEXT) | instid1(VALU_DEP_1)
	v_add3_u32 v1, v10, v1, 0x88fffff
	v_lshrrev_b32_e32 v1, 21, v1
	s_and_not1_saveexec_b32 s50, vcc_lo
	s_cbranch_execz .LBB51_7636
.LBB51_8002:
	v_add_f32_e64 v1, 0x42800000, |v10|
	s_and_not1_b32 s49, s49, exec_lo
	s_delay_alu instid0(VALU_DEP_1) | instskip(NEXT) | instid1(VALU_DEP_1)
	v_and_b32_e32 v1, 0xff, v1
	v_cmp_ne_u32_e32 vcc_lo, 0, v1
	s_and_b32 vcc_lo, vcc_lo, exec_lo
	s_delay_alu instid0(SALU_CYCLE_1)
	s_or_b32 s49, s49, vcc_lo
	s_or_b32 exec_lo, exec_lo, s50
	v_mov_b32_e32 v5, 0
	s_and_saveexec_b32 vcc_lo, s49
	s_cbranch_execnz .LBB51_7637
	s_branch .LBB51_7638
.LBB51_8003:
	v_bfe_u32 v1, v0, 20, 1
	s_mov_b32 s51, exec_lo
	s_delay_alu instid0(VALU_DEP_1) | instskip(NEXT) | instid1(VALU_DEP_1)
	v_add3_u32 v1, v0, v1, 0x487ffff
	v_lshrrev_b32_e32 v1, 20, v1
	s_and_not1_saveexec_b32 s52, vcc_lo
	s_cbranch_execz .LBB51_7749
.LBB51_8004:
	v_add_f32_e64 v1, 0x46000000, |v0|
	s_and_not1_b32 s51, s51, exec_lo
	s_delay_alu instid0(VALU_DEP_1) | instskip(NEXT) | instid1(VALU_DEP_1)
	v_and_b32_e32 v1, 0xff, v1
	v_cmp_ne_u32_e32 vcc_lo, 0, v1
	s_and_b32 vcc_lo, vcc_lo, exec_lo
	s_delay_alu instid0(SALU_CYCLE_1)
	s_or_b32 s51, s51, vcc_lo
	s_or_b32 exec_lo, exec_lo, s52
	v_mov_b32_e32 v5, 0
	s_and_saveexec_b32 vcc_lo, s51
	s_cbranch_execnz .LBB51_7750
	s_branch .LBB51_7751
.LBB51_8005:
	v_bfe_u32 v1, v0, 21, 1
	s_mov_b32 s51, exec_lo
	s_delay_alu instid0(VALU_DEP_1) | instskip(NEXT) | instid1(VALU_DEP_1)
	v_add3_u32 v1, v0, v1, 0x88fffff
	v_lshrrev_b32_e32 v1, 21, v1
	s_and_not1_saveexec_b32 s52, vcc_lo
	s_cbranch_execz .LBB51_7762
.LBB51_8006:
	v_add_f32_e64 v1, 0x42800000, |v0|
	s_and_not1_b32 s51, s51, exec_lo
	s_delay_alu instid0(VALU_DEP_1) | instskip(NEXT) | instid1(VALU_DEP_1)
	v_and_b32_e32 v1, 0xff, v1
	v_cmp_ne_u32_e32 vcc_lo, 0, v1
	s_and_b32 vcc_lo, vcc_lo, exec_lo
	s_delay_alu instid0(SALU_CYCLE_1)
	s_or_b32 s51, s51, vcc_lo
	s_or_b32 exec_lo, exec_lo, s52
	v_mov_b32_e32 v5, 0
	s_and_saveexec_b32 vcc_lo, s51
	s_cbranch_execnz .LBB51_7763
	s_branch .LBB51_7764
.Lfunc_end51:
	.size	_ZN2at6native25elementwise_kernel_helperILb1EZZZNS0_12_GLOBAL__N_124softplus_backward_kernelERNS_18TensorIteratorBaseERKN3c106ScalarES8_ENKUlvE_clEvENKUlvE0_clEvEUlffE_NS0_6memory8policies11unroll_baseILi512ESt5arrayIPcLm3EE23TrivialOffsetCalculatorILi2EjESI_ILi1EjENSC_12LoadWithCastILi2EEENSC_13StoreWithCastILi1EEELi32ELi1EEEEEvT0_T1_, .Lfunc_end51-_ZN2at6native25elementwise_kernel_helperILb1EZZZNS0_12_GLOBAL__N_124softplus_backward_kernelERNS_18TensorIteratorBaseERKN3c106ScalarES8_ENKUlvE_clEvENKUlvE0_clEvEUlffE_NS0_6memory8policies11unroll_baseILi512ESt5arrayIPcLm3EE23TrivialOffsetCalculatorILi2EjESI_ILi1EjENSC_12LoadWithCastILi2EEENSC_13StoreWithCastILi1EEELi32ELi1EEEEEvT0_T1_
                                        ; -- End function
	.set .L_ZN2at6native25elementwise_kernel_helperILb1EZZZNS0_12_GLOBAL__N_124softplus_backward_kernelERNS_18TensorIteratorBaseERKN3c106ScalarES8_ENKUlvE_clEvENKUlvE0_clEvEUlffE_NS0_6memory8policies11unroll_baseILi512ESt5arrayIPcLm3EE23TrivialOffsetCalculatorILi2EjESI_ILi1EjENSC_12LoadWithCastILi2EEENSC_13StoreWithCastILi1EEELi32ELi1EEEEEvT0_T1_.num_vgpr, max(132, .L_ZN3c104guts5applyIRZZZN2at6native12_GLOBAL__N_124softplus_backward_kernelERNS2_18TensorIteratorBaseERKNS_6ScalarES9_ENKUlvE_clEvENKUlvE0_clEvEUlffE_RSt5tupleIJffEEEEDaOT_OT0_.num_vgpr)
	.set .L_ZN2at6native25elementwise_kernel_helperILb1EZZZNS0_12_GLOBAL__N_124softplus_backward_kernelERNS_18TensorIteratorBaseERKN3c106ScalarES8_ENKUlvE_clEvENKUlvE0_clEvEUlffE_NS0_6memory8policies11unroll_baseILi512ESt5arrayIPcLm3EE23TrivialOffsetCalculatorILi2EjESI_ILi1EjENSC_12LoadWithCastILi2EEENSC_13StoreWithCastILi1EEELi32ELi1EEEEEvT0_T1_.num_agpr, max(0, .L_ZN3c104guts5applyIRZZZN2at6native12_GLOBAL__N_124softplus_backward_kernelERNS2_18TensorIteratorBaseERKNS_6ScalarES9_ENKUlvE_clEvENKUlvE0_clEvEUlffE_RSt5tupleIJffEEEEDaOT_OT0_.num_agpr)
	.set .L_ZN2at6native25elementwise_kernel_helperILb1EZZZNS0_12_GLOBAL__N_124softplus_backward_kernelERNS_18TensorIteratorBaseERKN3c106ScalarES8_ENKUlvE_clEvENKUlvE0_clEvEUlffE_NS0_6memory8policies11unroll_baseILi512ESt5arrayIPcLm3EE23TrivialOffsetCalculatorILi2EjESI_ILi1EjENSC_12LoadWithCastILi2EEENSC_13StoreWithCastILi1EEELi32ELi1EEEEEvT0_T1_.numbered_sgpr, max(96, .L_ZN3c104guts5applyIRZZZN2at6native12_GLOBAL__N_124softplus_backward_kernelERNS2_18TensorIteratorBaseERKNS_6ScalarES9_ENKUlvE_clEvENKUlvE0_clEvEUlffE_RSt5tupleIJffEEEEDaOT_OT0_.numbered_sgpr)
	.set .L_ZN2at6native25elementwise_kernel_helperILb1EZZZNS0_12_GLOBAL__N_124softplus_backward_kernelERNS_18TensorIteratorBaseERKN3c106ScalarES8_ENKUlvE_clEvENKUlvE0_clEvEUlffE_NS0_6memory8policies11unroll_baseILi512ESt5arrayIPcLm3EE23TrivialOffsetCalculatorILi2EjESI_ILi1EjENSC_12LoadWithCastILi2EEENSC_13StoreWithCastILi1EEELi32ELi1EEEEEvT0_T1_.num_named_barrier, max(0, .L_ZN3c104guts5applyIRZZZN2at6native12_GLOBAL__N_124softplus_backward_kernelERNS2_18TensorIteratorBaseERKNS_6ScalarES9_ENKUlvE_clEvENKUlvE0_clEvEUlffE_RSt5tupleIJffEEEEDaOT_OT0_.num_named_barrier)
	.set .L_ZN2at6native25elementwise_kernel_helperILb1EZZZNS0_12_GLOBAL__N_124softplus_backward_kernelERNS_18TensorIteratorBaseERKN3c106ScalarES8_ENKUlvE_clEvENKUlvE0_clEvEUlffE_NS0_6memory8policies11unroll_baseILi512ESt5arrayIPcLm3EE23TrivialOffsetCalculatorILi2EjESI_ILi1EjENSC_12LoadWithCastILi2EEENSC_13StoreWithCastILi1EEELi32ELi1EEEEEvT0_T1_.private_seg_size, 272+max(.L_ZN3c104guts5applyIRZZZN2at6native12_GLOBAL__N_124softplus_backward_kernelERNS2_18TensorIteratorBaseERKNS_6ScalarES9_ENKUlvE_clEvENKUlvE0_clEvEUlffE_RSt5tupleIJffEEEEDaOT_OT0_.private_seg_size)
	.set .L_ZN2at6native25elementwise_kernel_helperILb1EZZZNS0_12_GLOBAL__N_124softplus_backward_kernelERNS_18TensorIteratorBaseERKN3c106ScalarES8_ENKUlvE_clEvENKUlvE0_clEvEUlffE_NS0_6memory8policies11unroll_baseILi512ESt5arrayIPcLm3EE23TrivialOffsetCalculatorILi2EjESI_ILi1EjENSC_12LoadWithCastILi2EEENSC_13StoreWithCastILi1EEELi32ELi1EEEEEvT0_T1_.uses_vcc, or(1, .L_ZN3c104guts5applyIRZZZN2at6native12_GLOBAL__N_124softplus_backward_kernelERNS2_18TensorIteratorBaseERKNS_6ScalarES9_ENKUlvE_clEvENKUlvE0_clEvEUlffE_RSt5tupleIJffEEEEDaOT_OT0_.uses_vcc)
	.set .L_ZN2at6native25elementwise_kernel_helperILb1EZZZNS0_12_GLOBAL__N_124softplus_backward_kernelERNS_18TensorIteratorBaseERKN3c106ScalarES8_ENKUlvE_clEvENKUlvE0_clEvEUlffE_NS0_6memory8policies11unroll_baseILi512ESt5arrayIPcLm3EE23TrivialOffsetCalculatorILi2EjESI_ILi1EjENSC_12LoadWithCastILi2EEENSC_13StoreWithCastILi1EEELi32ELi1EEEEEvT0_T1_.uses_flat_scratch, or(1, .L_ZN3c104guts5applyIRZZZN2at6native12_GLOBAL__N_124softplus_backward_kernelERNS2_18TensorIteratorBaseERKNS_6ScalarES9_ENKUlvE_clEvENKUlvE0_clEvEUlffE_RSt5tupleIJffEEEEDaOT_OT0_.uses_flat_scratch)
	.set .L_ZN2at6native25elementwise_kernel_helperILb1EZZZNS0_12_GLOBAL__N_124softplus_backward_kernelERNS_18TensorIteratorBaseERKN3c106ScalarES8_ENKUlvE_clEvENKUlvE0_clEvEUlffE_NS0_6memory8policies11unroll_baseILi512ESt5arrayIPcLm3EE23TrivialOffsetCalculatorILi2EjESI_ILi1EjENSC_12LoadWithCastILi2EEENSC_13StoreWithCastILi1EEELi32ELi1EEEEEvT0_T1_.has_dyn_sized_stack, or(0, .L_ZN3c104guts5applyIRZZZN2at6native12_GLOBAL__N_124softplus_backward_kernelERNS2_18TensorIteratorBaseERKNS_6ScalarES9_ENKUlvE_clEvENKUlvE0_clEvEUlffE_RSt5tupleIJffEEEEDaOT_OT0_.has_dyn_sized_stack)
	.set .L_ZN2at6native25elementwise_kernel_helperILb1EZZZNS0_12_GLOBAL__N_124softplus_backward_kernelERNS_18TensorIteratorBaseERKN3c106ScalarES8_ENKUlvE_clEvENKUlvE0_clEvEUlffE_NS0_6memory8policies11unroll_baseILi512ESt5arrayIPcLm3EE23TrivialOffsetCalculatorILi2EjESI_ILi1EjENSC_12LoadWithCastILi2EEENSC_13StoreWithCastILi1EEELi32ELi1EEEEEvT0_T1_.has_recursion, or(0, .L_ZN3c104guts5applyIRZZZN2at6native12_GLOBAL__N_124softplus_backward_kernelERNS2_18TensorIteratorBaseERKNS_6ScalarES9_ENKUlvE_clEvENKUlvE0_clEvEUlffE_RSt5tupleIJffEEEEDaOT_OT0_.has_recursion)
	.set .L_ZN2at6native25elementwise_kernel_helperILb1EZZZNS0_12_GLOBAL__N_124softplus_backward_kernelERNS_18TensorIteratorBaseERKN3c106ScalarES8_ENKUlvE_clEvENKUlvE0_clEvEUlffE_NS0_6memory8policies11unroll_baseILi512ESt5arrayIPcLm3EE23TrivialOffsetCalculatorILi2EjESI_ILi1EjENSC_12LoadWithCastILi2EEENSC_13StoreWithCastILi1EEELi32ELi1EEEEEvT0_T1_.has_indirect_call, or(0, .L_ZN3c104guts5applyIRZZZN2at6native12_GLOBAL__N_124softplus_backward_kernelERNS2_18TensorIteratorBaseERKNS_6ScalarES9_ENKUlvE_clEvENKUlvE0_clEvEUlffE_RSt5tupleIJffEEEEDaOT_OT0_.has_indirect_call)
	.section	.AMDGPU.csdata,"",@progbits
; Function info:
; codeLenInByte = 172684
; TotalNumSgprs: 98
; NumVgprs: 132
; ScratchSize: 272
; MemoryBound: 1
	.section	.text._ZN2at6native39vectorized_templated_elementwise_kernelILi8EZZZNS0_12_GLOBAL__N_124softplus_backward_kernelERNS_18TensorIteratorBaseERKN3c106ScalarES8_ENKUlvE_clEvENKUlvE0_clEvEUlffE_St5arrayIPcLm3EE23TrivialOffsetCalculatorILi2EjESF_ILi1EjENS0_6memory12LoadWithCastILi2EEENSI_13StoreWithCastILi1EEEfJfNS5_8BFloat16EEEEviT0_T1_T2_T3_T4_T5_,"axG",@progbits,_ZN2at6native39vectorized_templated_elementwise_kernelILi8EZZZNS0_12_GLOBAL__N_124softplus_backward_kernelERNS_18TensorIteratorBaseERKN3c106ScalarES8_ENKUlvE_clEvENKUlvE0_clEvEUlffE_St5arrayIPcLm3EE23TrivialOffsetCalculatorILi2EjESF_ILi1EjENS0_6memory12LoadWithCastILi2EEENSI_13StoreWithCastILi1EEEfJfNS5_8BFloat16EEEEviT0_T1_T2_T3_T4_T5_,comdat
	.globl	_ZN2at6native39vectorized_templated_elementwise_kernelILi8EZZZNS0_12_GLOBAL__N_124softplus_backward_kernelERNS_18TensorIteratorBaseERKN3c106ScalarES8_ENKUlvE_clEvENKUlvE0_clEvEUlffE_St5arrayIPcLm3EE23TrivialOffsetCalculatorILi2EjESF_ILi1EjENS0_6memory12LoadWithCastILi2EEENSI_13StoreWithCastILi1EEEfJfNS5_8BFloat16EEEEviT0_T1_T2_T3_T4_T5_ ; -- Begin function _ZN2at6native39vectorized_templated_elementwise_kernelILi8EZZZNS0_12_GLOBAL__N_124softplus_backward_kernelERNS_18TensorIteratorBaseERKN3c106ScalarES8_ENKUlvE_clEvENKUlvE0_clEvEUlffE_St5arrayIPcLm3EE23TrivialOffsetCalculatorILi2EjESF_ILi1EjENS0_6memory12LoadWithCastILi2EEENSI_13StoreWithCastILi1EEEfJfNS5_8BFloat16EEEEviT0_T1_T2_T3_T4_T5_
	.p2align	8
	.type	_ZN2at6native39vectorized_templated_elementwise_kernelILi8EZZZNS0_12_GLOBAL__N_124softplus_backward_kernelERNS_18TensorIteratorBaseERKN3c106ScalarES8_ENKUlvE_clEvENKUlvE0_clEvEUlffE_St5arrayIPcLm3EE23TrivialOffsetCalculatorILi2EjESF_ILi1EjENS0_6memory12LoadWithCastILi2EEENSI_13StoreWithCastILi1EEEfJfNS5_8BFloat16EEEEviT0_T1_T2_T3_T4_T5_,@function
_ZN2at6native39vectorized_templated_elementwise_kernelILi8EZZZNS0_12_GLOBAL__N_124softplus_backward_kernelERNS_18TensorIteratorBaseERKN3c106ScalarES8_ENKUlvE_clEvENKUlvE0_clEvEUlffE_St5arrayIPcLm3EE23TrivialOffsetCalculatorILi2EjESF_ILi1EjENS0_6memory12LoadWithCastILi2EEENSI_13StoreWithCastILi1EEEfJfNS5_8BFloat16EEEEviT0_T1_T2_T3_T4_T5_: ; @_ZN2at6native39vectorized_templated_elementwise_kernelILi8EZZZNS0_12_GLOBAL__N_124softplus_backward_kernelERNS_18TensorIteratorBaseERKN3c106ScalarES8_ENKUlvE_clEvENKUlvE0_clEvEUlffE_St5arrayIPcLm3EE23TrivialOffsetCalculatorILi2EjESF_ILi1EjENS0_6memory12LoadWithCastILi2EEENSI_13StoreWithCastILi1EEEfJfNS5_8BFloat16EEEEviT0_T1_T2_T3_T4_T5_
; %bb.0:
	s_clause 0x2
	s_load_b32 s8, s[0:1], 0x40
	s_load_b96 s[12:14], s[0:1], 0x0
	s_load_b64 s[2:3], s[0:1], 0x20
	s_bfe_u32 s9, ttmp6, 0x4000c
	s_load_b128 s[4:7], s[0:1], 0x10
	s_add_co_i32 s9, s9, 1
	s_and_b32 s10, ttmp6, 15
	s_mul_i32 s9, ttmp9, s9
	s_getreg_b32 s11, hwreg(HW_REG_IB_STS2, 6, 4)
	s_add_co_i32 s10, s10, s9
	s_cmp_eq_u32 s11, 0
	s_mov_b32 s32, 0
	s_cselect_b32 s9, ttmp9, s10
	s_delay_alu instid0(SALU_CYCLE_1) | instskip(SKIP_4) | instid1(SALU_CYCLE_1)
	s_not_b32 s9, s9
	s_wait_kmcnt 0x0
	s_add_co_i32 s8, s8, s9
	s_mov_b32 s9, -1
	s_lshl_b32 s8, s8, 14
	s_sub_co_i32 s10, s12, s8
	s_delay_alu instid0(SALU_CYCLE_1)
	s_cmp_gt_i32 s10, 0x3fff
	s_cbranch_scc1 .LBB52_3
; %bb.1:
	s_and_b32 vcc_lo, exec_lo, s9
	s_cbranch_vccnz .LBB52_68
.LBB52_2:
	s_sendmsg sendmsg(MSG_DEALLOC_VGPRS)
	s_endpgm
.LBB52_3:
	s_ashr_i32 s9, s8, 31
	s_mov_b32 s11, exec_lo
	s_lshl_b64 s[16:17], s[8:9], 1
	s_lshl_b64 s[8:9], s[8:9], 2
	s_add_nc_u64 s[16:17], s[2:3], s[16:17]
	s_add_nc_u64 s[18:19], s[6:7], s[8:9]
	global_load_b128 v[46:49], v0, s[16:17] scale_offset
	s_wait_loadcnt 0x0
	v_dual_lshlrev_b32 v1, 5, v0 :: v_dual_lshlrev_b32 v50, 16, v46
	s_clause 0x7
	global_load_b128 v[26:29], v1, s[18:19] offset:16
	global_load_b128 v[30:33], v1, s[18:19]
	global_load_b128 v[18:21], v1, s[18:19] offset:16400
	global_load_b128 v[22:25], v1, s[18:19] offset:16384
	;; [unrolled: 1-line block ×6, first 2 shown]
	s_clause 0x2
	global_load_b128 v[42:45], v0, s[16:17] offset:8192 scale_offset
	global_load_b128 v[38:41], v0, s[16:17] offset:16384 scale_offset
	;; [unrolled: 1-line block ×3, first 2 shown]
	v_mul_f32_e32 v50, s13, v50
	s_wait_xcnt 0x0
	s_delay_alu instid0(VALU_DEP_1)
	v_cmpx_nlt_f32_e32 s14, v50
	s_cbranch_execz .LBB52_5
; %bb.4:
	v_mul_f32_e32 v51, 0x3fb8aa3b, v50
	v_cmp_ngt_f32_e32 vcc_lo, 0xc2ce8ed0, v50
	s_delay_alu instid0(VALU_DEP_2) | instskip(SKIP_1) | instid1(VALU_DEP_2)
	v_rndne_f32_e32 v52, v51
	v_fma_f32 v53, 0x3fb8aa3b, v50, -v51
	v_sub_f32_e32 v51, v51, v52
	s_delay_alu instid0(VALU_DEP_2) | instskip(SKIP_1) | instid1(VALU_DEP_2)
	v_fmamk_f32 v53, v50, 0x32a5705f, v53
	v_cvt_i32_f32_e32 v52, v52
	v_add_f32_e32 v51, v51, v53
	s_delay_alu instid0(VALU_DEP_1) | instskip(SKIP_1) | instid1(TRANS32_DEP_1)
	v_exp_f32_e32 v51, v51
	v_nop
	v_ldexp_f32 v51, v51, v52
	s_delay_alu instid0(VALU_DEP_1) | instskip(SKIP_1) | instid1(VALU_DEP_2)
	v_cndmask_b32_e32 v51, 0, v51, vcc_lo
	v_cmp_nlt_f32_e32 vcc_lo, 0x42b17218, v50
	v_cndmask_b32_e32 v50, 0x7f800000, v51, vcc_lo
	s_wait_loadcnt 0x9
	s_delay_alu instid0(VALU_DEP_1) | instskip(NEXT) | instid1(VALU_DEP_1)
	v_dual_mul_f32 v30, v30, v50 :: v_dual_add_f32 v50, 1.0, v50
	v_div_scale_f32 v51, null, v50, v50, v30
	s_delay_alu instid0(VALU_DEP_1) | instskip(SKIP_1) | instid1(TRANS32_DEP_1)
	v_rcp_f32_e32 v52, v51
	v_nop
	v_fma_f32 v53, -v51, v52, 1.0
	s_delay_alu instid0(VALU_DEP_1) | instskip(SKIP_1) | instid1(VALU_DEP_1)
	v_fmac_f32_e32 v52, v53, v52
	v_div_scale_f32 v53, vcc_lo, v30, v50, v30
	v_mul_f32_e32 v54, v53, v52
	s_delay_alu instid0(VALU_DEP_1) | instskip(NEXT) | instid1(VALU_DEP_1)
	v_fma_f32 v55, -v51, v54, v53
	v_fmac_f32_e32 v54, v55, v52
	s_delay_alu instid0(VALU_DEP_1) | instskip(NEXT) | instid1(VALU_DEP_1)
	v_fma_f32 v51, -v51, v54, v53
	v_div_fmas_f32 v51, v51, v52, v54
	s_delay_alu instid0(VALU_DEP_1)
	v_div_fixup_f32 v30, v51, v50, v30
.LBB52_5:
	s_or_b32 exec_lo, exec_lo, s11
	v_and_b32_e32 v46, 0xffff0000, v46
	s_mov_b32 s11, exec_lo
	s_delay_alu instid0(VALU_DEP_1) | instskip(NEXT) | instid1(VALU_DEP_1)
	v_mul_f32_e32 v46, s13, v46
	v_cmpx_nlt_f32_e32 s14, v46
	s_cbranch_execz .LBB52_7
; %bb.6:
	v_mul_f32_e32 v50, 0x3fb8aa3b, v46
	v_cmp_ngt_f32_e32 vcc_lo, 0xc2ce8ed0, v46
	s_delay_alu instid0(VALU_DEP_2) | instskip(SKIP_1) | instid1(VALU_DEP_2)
	v_rndne_f32_e32 v51, v50
	v_fma_f32 v52, 0x3fb8aa3b, v46, -v50
	v_sub_f32_e32 v50, v50, v51
	s_delay_alu instid0(VALU_DEP_2) | instskip(SKIP_1) | instid1(VALU_DEP_2)
	v_fmamk_f32 v52, v46, 0x32a5705f, v52
	v_cvt_i32_f32_e32 v51, v51
	v_add_f32_e32 v50, v50, v52
	s_delay_alu instid0(VALU_DEP_1) | instskip(SKIP_1) | instid1(TRANS32_DEP_1)
	v_exp_f32_e32 v50, v50
	v_nop
	v_ldexp_f32 v50, v50, v51
	s_delay_alu instid0(VALU_DEP_1) | instskip(SKIP_1) | instid1(VALU_DEP_2)
	v_cndmask_b32_e32 v50, 0, v50, vcc_lo
	v_cmp_nlt_f32_e32 vcc_lo, 0x42b17218, v46
	v_cndmask_b32_e32 v46, 0x7f800000, v50, vcc_lo
	s_wait_loadcnt 0x9
	s_delay_alu instid0(VALU_DEP_1) | instskip(NEXT) | instid1(VALU_DEP_1)
	v_dual_mul_f32 v31, v31, v46 :: v_dual_add_f32 v46, 1.0, v46
	v_div_scale_f32 v50, null, v46, v46, v31
	s_delay_alu instid0(VALU_DEP_1) | instskip(SKIP_1) | instid1(TRANS32_DEP_1)
	v_rcp_f32_e32 v51, v50
	v_nop
	v_fma_f32 v52, -v50, v51, 1.0
	s_delay_alu instid0(VALU_DEP_1) | instskip(SKIP_1) | instid1(VALU_DEP_1)
	v_fmac_f32_e32 v51, v52, v51
	v_div_scale_f32 v52, vcc_lo, v31, v46, v31
	v_mul_f32_e32 v53, v52, v51
	s_delay_alu instid0(VALU_DEP_1) | instskip(NEXT) | instid1(VALU_DEP_1)
	v_fma_f32 v54, -v50, v53, v52
	v_fmac_f32_e32 v53, v54, v51
	s_delay_alu instid0(VALU_DEP_1) | instskip(NEXT) | instid1(VALU_DEP_1)
	v_fma_f32 v50, -v50, v53, v52
	v_div_fmas_f32 v50, v50, v51, v53
	s_delay_alu instid0(VALU_DEP_1)
	v_div_fixup_f32 v31, v50, v46, v31
.LBB52_7:
	s_or_b32 exec_lo, exec_lo, s11
	v_lshlrev_b32_e32 v46, 16, v47
	s_mov_b32 s11, exec_lo
	s_delay_alu instid0(VALU_DEP_1) | instskip(NEXT) | instid1(VALU_DEP_1)
	v_mul_f32_e32 v46, s13, v46
	v_cmpx_nlt_f32_e32 s14, v46
	s_cbranch_execz .LBB52_9
; %bb.8:
	v_mul_f32_e32 v50, 0x3fb8aa3b, v46
	v_cmp_ngt_f32_e32 vcc_lo, 0xc2ce8ed0, v46
	s_delay_alu instid0(VALU_DEP_2) | instskip(SKIP_1) | instid1(VALU_DEP_2)
	v_rndne_f32_e32 v51, v50
	v_fma_f32 v52, 0x3fb8aa3b, v46, -v50
	v_sub_f32_e32 v50, v50, v51
	s_delay_alu instid0(VALU_DEP_2) | instskip(SKIP_1) | instid1(VALU_DEP_2)
	v_fmamk_f32 v52, v46, 0x32a5705f, v52
	v_cvt_i32_f32_e32 v51, v51
	v_add_f32_e32 v50, v50, v52
	s_delay_alu instid0(VALU_DEP_1) | instskip(SKIP_1) | instid1(TRANS32_DEP_1)
	v_exp_f32_e32 v50, v50
	v_nop
	v_ldexp_f32 v50, v50, v51
	s_delay_alu instid0(VALU_DEP_1) | instskip(SKIP_1) | instid1(VALU_DEP_2)
	v_cndmask_b32_e32 v50, 0, v50, vcc_lo
	v_cmp_nlt_f32_e32 vcc_lo, 0x42b17218, v46
	v_cndmask_b32_e32 v46, 0x7f800000, v50, vcc_lo
	s_wait_loadcnt 0x9
	s_delay_alu instid0(VALU_DEP_1) | instskip(NEXT) | instid1(VALU_DEP_1)
	v_dual_mul_f32 v32, v32, v46 :: v_dual_add_f32 v46, 1.0, v46
	v_div_scale_f32 v50, null, v46, v46, v32
	s_delay_alu instid0(VALU_DEP_1) | instskip(SKIP_1) | instid1(TRANS32_DEP_1)
	v_rcp_f32_e32 v51, v50
	v_nop
	v_fma_f32 v52, -v50, v51, 1.0
	s_delay_alu instid0(VALU_DEP_1) | instskip(SKIP_1) | instid1(VALU_DEP_1)
	v_fmac_f32_e32 v51, v52, v51
	v_div_scale_f32 v52, vcc_lo, v32, v46, v32
	v_mul_f32_e32 v53, v52, v51
	s_delay_alu instid0(VALU_DEP_1) | instskip(NEXT) | instid1(VALU_DEP_1)
	v_fma_f32 v54, -v50, v53, v52
	v_fmac_f32_e32 v53, v54, v51
	s_delay_alu instid0(VALU_DEP_1) | instskip(NEXT) | instid1(VALU_DEP_1)
	v_fma_f32 v50, -v50, v53, v52
	v_div_fmas_f32 v50, v50, v51, v53
	s_delay_alu instid0(VALU_DEP_1)
	v_div_fixup_f32 v32, v50, v46, v32
.LBB52_9:
	s_or_b32 exec_lo, exec_lo, s11
	v_and_b32_e32 v46, 0xffff0000, v47
	s_mov_b32 s11, exec_lo
	s_delay_alu instid0(VALU_DEP_1) | instskip(NEXT) | instid1(VALU_DEP_1)
	v_mul_f32_e32 v46, s13, v46
	v_cmpx_nlt_f32_e32 s14, v46
	s_cbranch_execz .LBB52_11
; %bb.10:
	v_mul_f32_e32 v47, 0x3fb8aa3b, v46
	v_cmp_ngt_f32_e32 vcc_lo, 0xc2ce8ed0, v46
	s_delay_alu instid0(VALU_DEP_2) | instskip(SKIP_1) | instid1(VALU_DEP_2)
	v_rndne_f32_e32 v50, v47
	v_fma_f32 v51, 0x3fb8aa3b, v46, -v47
	v_sub_f32_e32 v47, v47, v50
	s_delay_alu instid0(VALU_DEP_2) | instskip(SKIP_1) | instid1(VALU_DEP_2)
	v_fmamk_f32 v51, v46, 0x32a5705f, v51
	v_cvt_i32_f32_e32 v50, v50
	v_add_f32_e32 v47, v47, v51
	s_delay_alu instid0(VALU_DEP_1) | instskip(SKIP_1) | instid1(TRANS32_DEP_1)
	v_exp_f32_e32 v47, v47
	v_nop
	v_ldexp_f32 v47, v47, v50
	s_delay_alu instid0(VALU_DEP_1) | instskip(SKIP_1) | instid1(VALU_DEP_2)
	v_cndmask_b32_e32 v47, 0, v47, vcc_lo
	v_cmp_nlt_f32_e32 vcc_lo, 0x42b17218, v46
	v_cndmask_b32_e32 v46, 0x7f800000, v47, vcc_lo
	s_wait_loadcnt 0x9
	s_delay_alu instid0(VALU_DEP_1) | instskip(NEXT) | instid1(VALU_DEP_1)
	v_dual_mul_f32 v33, v33, v46 :: v_dual_add_f32 v46, 1.0, v46
	v_div_scale_f32 v47, null, v46, v46, v33
	s_delay_alu instid0(VALU_DEP_1) | instskip(SKIP_1) | instid1(TRANS32_DEP_1)
	v_rcp_f32_e32 v50, v47
	v_nop
	v_fma_f32 v51, -v47, v50, 1.0
	s_delay_alu instid0(VALU_DEP_1) | instskip(SKIP_1) | instid1(VALU_DEP_1)
	v_fmac_f32_e32 v50, v51, v50
	v_div_scale_f32 v51, vcc_lo, v33, v46, v33
	v_mul_f32_e32 v52, v51, v50
	s_delay_alu instid0(VALU_DEP_1) | instskip(NEXT) | instid1(VALU_DEP_1)
	v_fma_f32 v53, -v47, v52, v51
	v_fmac_f32_e32 v52, v53, v50
	s_delay_alu instid0(VALU_DEP_1) | instskip(NEXT) | instid1(VALU_DEP_1)
	v_fma_f32 v47, -v47, v52, v51
	v_div_fmas_f32 v47, v47, v50, v52
	s_delay_alu instid0(VALU_DEP_1)
	v_div_fixup_f32 v33, v47, v46, v33
.LBB52_11:
	s_or_b32 exec_lo, exec_lo, s11
	v_lshlrev_b32_e32 v46, 16, v48
	s_mov_b32 s11, exec_lo
	s_delay_alu instid0(VALU_DEP_1) | instskip(NEXT) | instid1(VALU_DEP_1)
	v_mul_f32_e32 v46, s13, v46
	v_cmpx_nlt_f32_e32 s14, v46
	s_cbranch_execz .LBB52_13
; %bb.12:
	v_mul_f32_e32 v47, 0x3fb8aa3b, v46
	v_cmp_ngt_f32_e32 vcc_lo, 0xc2ce8ed0, v46
	s_delay_alu instid0(VALU_DEP_2) | instskip(SKIP_1) | instid1(VALU_DEP_2)
	v_rndne_f32_e32 v50, v47
	v_fma_f32 v51, 0x3fb8aa3b, v46, -v47
	v_sub_f32_e32 v47, v47, v50
	s_delay_alu instid0(VALU_DEP_2) | instskip(SKIP_1) | instid1(VALU_DEP_2)
	v_fmamk_f32 v51, v46, 0x32a5705f, v51
	v_cvt_i32_f32_e32 v50, v50
	v_add_f32_e32 v47, v47, v51
	s_delay_alu instid0(VALU_DEP_1) | instskip(SKIP_1) | instid1(TRANS32_DEP_1)
	v_exp_f32_e32 v47, v47
	v_nop
	v_ldexp_f32 v47, v47, v50
	s_delay_alu instid0(VALU_DEP_1) | instskip(SKIP_1) | instid1(VALU_DEP_2)
	v_cndmask_b32_e32 v47, 0, v47, vcc_lo
	v_cmp_nlt_f32_e32 vcc_lo, 0x42b17218, v46
	v_cndmask_b32_e32 v46, 0x7f800000, v47, vcc_lo
	s_wait_loadcnt 0xa
	s_delay_alu instid0(VALU_DEP_1) | instskip(NEXT) | instid1(VALU_DEP_1)
	v_dual_mul_f32 v26, v26, v46 :: v_dual_add_f32 v46, 1.0, v46
	v_div_scale_f32 v47, null, v46, v46, v26
	s_delay_alu instid0(VALU_DEP_1) | instskip(SKIP_1) | instid1(TRANS32_DEP_1)
	v_rcp_f32_e32 v50, v47
	v_nop
	v_fma_f32 v51, -v47, v50, 1.0
	s_delay_alu instid0(VALU_DEP_1) | instskip(SKIP_1) | instid1(VALU_DEP_1)
	v_fmac_f32_e32 v50, v51, v50
	v_div_scale_f32 v51, vcc_lo, v26, v46, v26
	v_mul_f32_e32 v52, v51, v50
	s_delay_alu instid0(VALU_DEP_1) | instskip(NEXT) | instid1(VALU_DEP_1)
	v_fma_f32 v53, -v47, v52, v51
	v_fmac_f32_e32 v52, v53, v50
	s_delay_alu instid0(VALU_DEP_1) | instskip(NEXT) | instid1(VALU_DEP_1)
	v_fma_f32 v47, -v47, v52, v51
	v_div_fmas_f32 v47, v47, v50, v52
	s_delay_alu instid0(VALU_DEP_1)
	v_div_fixup_f32 v26, v47, v46, v26
.LBB52_13:
	s_or_b32 exec_lo, exec_lo, s11
	v_and_b32_e32 v46, 0xffff0000, v48
	s_mov_b32 s11, exec_lo
	s_delay_alu instid0(VALU_DEP_1) | instskip(NEXT) | instid1(VALU_DEP_1)
	v_mul_f32_e32 v46, s13, v46
	v_cmpx_nlt_f32_e32 s14, v46
	s_cbranch_execz .LBB52_15
; %bb.14:
	v_mul_f32_e32 v47, 0x3fb8aa3b, v46
	v_cmp_ngt_f32_e32 vcc_lo, 0xc2ce8ed0, v46
	s_delay_alu instid0(VALU_DEP_2) | instskip(SKIP_1) | instid1(VALU_DEP_1)
	v_rndne_f32_e32 v48, v47
	v_fma_f32 v50, 0x3fb8aa3b, v46, -v47
	v_dual_sub_f32 v47, v47, v48 :: v_dual_fmamk_f32 v50, v46, 0x32a5705f, v50
	v_cvt_i32_f32_e32 v48, v48
	s_delay_alu instid0(VALU_DEP_2) | instskip(NEXT) | instid1(VALU_DEP_1)
	v_add_f32_e32 v47, v47, v50
	v_exp_f32_e32 v47, v47
	v_nop
	s_delay_alu instid0(TRANS32_DEP_1) | instskip(NEXT) | instid1(VALU_DEP_1)
	v_ldexp_f32 v47, v47, v48
	v_cndmask_b32_e32 v47, 0, v47, vcc_lo
	v_cmp_nlt_f32_e32 vcc_lo, 0x42b17218, v46
	s_delay_alu instid0(VALU_DEP_2) | instskip(SKIP_1) | instid1(VALU_DEP_1)
	v_cndmask_b32_e32 v46, 0x7f800000, v47, vcc_lo
	s_wait_loadcnt 0xa
	v_dual_mul_f32 v27, v27, v46 :: v_dual_add_f32 v46, 1.0, v46
	s_delay_alu instid0(VALU_DEP_1) | instskip(NEXT) | instid1(VALU_DEP_1)
	v_div_scale_f32 v47, null, v46, v46, v27
	v_rcp_f32_e32 v48, v47
	v_nop
	s_delay_alu instid0(TRANS32_DEP_1) | instskip(NEXT) | instid1(VALU_DEP_1)
	v_fma_f32 v50, -v47, v48, 1.0
	v_fmac_f32_e32 v48, v50, v48
	v_div_scale_f32 v50, vcc_lo, v27, v46, v27
	s_delay_alu instid0(VALU_DEP_1) | instskip(NEXT) | instid1(VALU_DEP_1)
	v_mul_f32_e32 v51, v50, v48
	v_fma_f32 v52, -v47, v51, v50
	s_delay_alu instid0(VALU_DEP_1) | instskip(NEXT) | instid1(VALU_DEP_1)
	v_fmac_f32_e32 v51, v52, v48
	v_fma_f32 v47, -v47, v51, v50
	s_delay_alu instid0(VALU_DEP_1) | instskip(NEXT) | instid1(VALU_DEP_1)
	v_div_fmas_f32 v47, v47, v48, v51
	v_div_fixup_f32 v27, v47, v46, v27
.LBB52_15:
	s_or_b32 exec_lo, exec_lo, s11
	v_lshlrev_b32_e32 v46, 16, v49
	s_mov_b32 s11, exec_lo
	s_delay_alu instid0(VALU_DEP_1) | instskip(NEXT) | instid1(VALU_DEP_1)
	v_mul_f32_e32 v46, s13, v46
	v_cmpx_nlt_f32_e32 s14, v46
	s_cbranch_execz .LBB52_17
; %bb.16:
	v_mul_f32_e32 v47, 0x3fb8aa3b, v46
	v_cmp_ngt_f32_e32 vcc_lo, 0xc2ce8ed0, v46
	s_delay_alu instid0(VALU_DEP_2) | instskip(SKIP_1) | instid1(VALU_DEP_1)
	v_rndne_f32_e32 v48, v47
	v_fma_f32 v50, 0x3fb8aa3b, v46, -v47
	v_dual_sub_f32 v47, v47, v48 :: v_dual_fmamk_f32 v50, v46, 0x32a5705f, v50
	v_cvt_i32_f32_e32 v48, v48
	s_delay_alu instid0(VALU_DEP_2) | instskip(NEXT) | instid1(VALU_DEP_1)
	v_add_f32_e32 v47, v47, v50
	v_exp_f32_e32 v47, v47
	v_nop
	s_delay_alu instid0(TRANS32_DEP_1) | instskip(NEXT) | instid1(VALU_DEP_1)
	v_ldexp_f32 v47, v47, v48
	v_cndmask_b32_e32 v47, 0, v47, vcc_lo
	v_cmp_nlt_f32_e32 vcc_lo, 0x42b17218, v46
	s_delay_alu instid0(VALU_DEP_2) | instskip(SKIP_1) | instid1(VALU_DEP_1)
	v_cndmask_b32_e32 v46, 0x7f800000, v47, vcc_lo
	s_wait_loadcnt 0xa
	v_dual_mul_f32 v28, v28, v46 :: v_dual_add_f32 v46, 1.0, v46
	s_delay_alu instid0(VALU_DEP_1) | instskip(NEXT) | instid1(VALU_DEP_1)
	v_div_scale_f32 v47, null, v46, v46, v28
	v_rcp_f32_e32 v48, v47
	v_nop
	s_delay_alu instid0(TRANS32_DEP_1) | instskip(NEXT) | instid1(VALU_DEP_1)
	v_fma_f32 v50, -v47, v48, 1.0
	v_fmac_f32_e32 v48, v50, v48
	v_div_scale_f32 v50, vcc_lo, v28, v46, v28
	s_delay_alu instid0(VALU_DEP_1) | instskip(NEXT) | instid1(VALU_DEP_1)
	v_mul_f32_e32 v51, v50, v48
	v_fma_f32 v52, -v47, v51, v50
	s_delay_alu instid0(VALU_DEP_1) | instskip(NEXT) | instid1(VALU_DEP_1)
	v_fmac_f32_e32 v51, v52, v48
	v_fma_f32 v47, -v47, v51, v50
	s_delay_alu instid0(VALU_DEP_1) | instskip(NEXT) | instid1(VALU_DEP_1)
	v_div_fmas_f32 v47, v47, v48, v51
	v_div_fixup_f32 v28, v47, v46, v28
.LBB52_17:
	s_or_b32 exec_lo, exec_lo, s11
	v_and_b32_e32 v46, 0xffff0000, v49
	s_mov_b32 s11, exec_lo
	s_delay_alu instid0(VALU_DEP_1) | instskip(NEXT) | instid1(VALU_DEP_1)
	v_mul_f32_e32 v46, s13, v46
	v_cmpx_nlt_f32_e32 s14, v46
	s_cbranch_execz .LBB52_19
; %bb.18:
	v_mul_f32_e32 v47, 0x3fb8aa3b, v46
	v_cmp_ngt_f32_e32 vcc_lo, 0xc2ce8ed0, v46
	s_delay_alu instid0(VALU_DEP_2) | instskip(SKIP_1) | instid1(VALU_DEP_2)
	v_rndne_f32_e32 v48, v47
	v_fma_f32 v49, 0x3fb8aa3b, v46, -v47
	v_sub_f32_e32 v47, v47, v48
	s_delay_alu instid0(VALU_DEP_2) | instskip(SKIP_1) | instid1(VALU_DEP_2)
	v_fmamk_f32 v49, v46, 0x32a5705f, v49
	v_cvt_i32_f32_e32 v48, v48
	v_add_f32_e32 v47, v47, v49
	s_delay_alu instid0(VALU_DEP_1) | instskip(SKIP_1) | instid1(TRANS32_DEP_1)
	v_exp_f32_e32 v47, v47
	v_nop
	v_ldexp_f32 v47, v47, v48
	s_delay_alu instid0(VALU_DEP_1) | instskip(SKIP_1) | instid1(VALU_DEP_2)
	v_cndmask_b32_e32 v47, 0, v47, vcc_lo
	v_cmp_nlt_f32_e32 vcc_lo, 0x42b17218, v46
	v_cndmask_b32_e32 v46, 0x7f800000, v47, vcc_lo
	s_wait_loadcnt 0xa
	s_delay_alu instid0(VALU_DEP_1) | instskip(NEXT) | instid1(VALU_DEP_1)
	v_dual_mul_f32 v29, v29, v46 :: v_dual_add_f32 v46, 1.0, v46
	v_div_scale_f32 v47, null, v46, v46, v29
	s_delay_alu instid0(VALU_DEP_1) | instskip(SKIP_1) | instid1(TRANS32_DEP_1)
	v_rcp_f32_e32 v48, v47
	v_nop
	v_fma_f32 v49, -v47, v48, 1.0
	s_delay_alu instid0(VALU_DEP_1) | instskip(SKIP_1) | instid1(VALU_DEP_1)
	v_fmac_f32_e32 v48, v49, v48
	v_div_scale_f32 v49, vcc_lo, v29, v46, v29
	v_mul_f32_e32 v50, v49, v48
	s_delay_alu instid0(VALU_DEP_1) | instskip(NEXT) | instid1(VALU_DEP_1)
	v_fma_f32 v51, -v47, v50, v49
	v_fmac_f32_e32 v50, v51, v48
	s_delay_alu instid0(VALU_DEP_1) | instskip(NEXT) | instid1(VALU_DEP_1)
	v_fma_f32 v47, -v47, v50, v49
	v_div_fmas_f32 v47, v47, v48, v50
	s_delay_alu instid0(VALU_DEP_1)
	v_div_fixup_f32 v29, v47, v46, v29
.LBB52_19:
	s_or_b32 exec_lo, exec_lo, s11
	s_wait_loadcnt 0x2
	v_lshlrev_b32_e32 v46, 16, v42
	s_mov_b32 s11, exec_lo
	s_delay_alu instid0(VALU_DEP_1) | instskip(NEXT) | instid1(VALU_DEP_1)
	v_mul_f32_e32 v46, s13, v46
	v_cmpx_nlt_f32_e32 s14, v46
	s_cbranch_execz .LBB52_21
; %bb.20:
	v_mul_f32_e32 v47, 0x3fb8aa3b, v46
	v_cmp_ngt_f32_e32 vcc_lo, 0xc2ce8ed0, v46
	s_delay_alu instid0(VALU_DEP_2) | instskip(SKIP_1) | instid1(VALU_DEP_2)
	v_rndne_f32_e32 v48, v47
	v_fma_f32 v49, 0x3fb8aa3b, v46, -v47
	v_sub_f32_e32 v47, v47, v48
	s_delay_alu instid0(VALU_DEP_2) | instskip(SKIP_1) | instid1(VALU_DEP_2)
	v_fmamk_f32 v49, v46, 0x32a5705f, v49
	v_cvt_i32_f32_e32 v48, v48
	v_add_f32_e32 v47, v47, v49
	s_delay_alu instid0(VALU_DEP_1) | instskip(SKIP_1) | instid1(TRANS32_DEP_1)
	v_exp_f32_e32 v47, v47
	v_nop
	v_ldexp_f32 v47, v47, v48
	s_delay_alu instid0(VALU_DEP_1) | instskip(SKIP_1) | instid1(VALU_DEP_2)
	v_cndmask_b32_e32 v47, 0, v47, vcc_lo
	v_cmp_nlt_f32_e32 vcc_lo, 0x42b17218, v46
	v_cndmask_b32_e32 v46, 0x7f800000, v47, vcc_lo
	s_delay_alu instid0(VALU_DEP_1) | instskip(NEXT) | instid1(VALU_DEP_1)
	v_dual_mul_f32 v22, v22, v46 :: v_dual_add_f32 v46, 1.0, v46
	v_div_scale_f32 v47, null, v46, v46, v22
	s_delay_alu instid0(VALU_DEP_1) | instskip(SKIP_1) | instid1(TRANS32_DEP_1)
	v_rcp_f32_e32 v48, v47
	v_nop
	v_fma_f32 v49, -v47, v48, 1.0
	s_delay_alu instid0(VALU_DEP_1) | instskip(SKIP_1) | instid1(VALU_DEP_1)
	v_fmac_f32_e32 v48, v49, v48
	v_div_scale_f32 v49, vcc_lo, v22, v46, v22
	v_mul_f32_e32 v50, v49, v48
	s_delay_alu instid0(VALU_DEP_1) | instskip(NEXT) | instid1(VALU_DEP_1)
	v_fma_f32 v51, -v47, v50, v49
	v_fmac_f32_e32 v50, v51, v48
	s_delay_alu instid0(VALU_DEP_1) | instskip(NEXT) | instid1(VALU_DEP_1)
	v_fma_f32 v47, -v47, v50, v49
	v_div_fmas_f32 v47, v47, v48, v50
	s_delay_alu instid0(VALU_DEP_1)
	v_div_fixup_f32 v22, v47, v46, v22
.LBB52_21:
	s_or_b32 exec_lo, exec_lo, s11
	v_and_b32_e32 v42, 0xffff0000, v42
	s_mov_b32 s11, exec_lo
	s_delay_alu instid0(VALU_DEP_1) | instskip(NEXT) | instid1(VALU_DEP_1)
	v_mul_f32_e32 v42, s13, v42
	v_cmpx_nlt_f32_e32 s14, v42
	s_cbranch_execz .LBB52_23
; %bb.22:
	v_mul_f32_e32 v46, 0x3fb8aa3b, v42
	v_cmp_ngt_f32_e32 vcc_lo, 0xc2ce8ed0, v42
	s_delay_alu instid0(VALU_DEP_2) | instskip(SKIP_1) | instid1(VALU_DEP_2)
	v_rndne_f32_e32 v47, v46
	v_fma_f32 v48, 0x3fb8aa3b, v42, -v46
	v_sub_f32_e32 v46, v46, v47
	s_delay_alu instid0(VALU_DEP_2) | instskip(SKIP_1) | instid1(VALU_DEP_2)
	v_fmamk_f32 v48, v42, 0x32a5705f, v48
	v_cvt_i32_f32_e32 v47, v47
	v_add_f32_e32 v46, v46, v48
	s_delay_alu instid0(VALU_DEP_1) | instskip(SKIP_1) | instid1(TRANS32_DEP_1)
	v_exp_f32_e32 v46, v46
	v_nop
	v_ldexp_f32 v46, v46, v47
	s_delay_alu instid0(VALU_DEP_1) | instskip(SKIP_1) | instid1(VALU_DEP_2)
	v_cndmask_b32_e32 v46, 0, v46, vcc_lo
	v_cmp_nlt_f32_e32 vcc_lo, 0x42b17218, v42
	v_cndmask_b32_e32 v42, 0x7f800000, v46, vcc_lo
	s_delay_alu instid0(VALU_DEP_1) | instskip(NEXT) | instid1(VALU_DEP_1)
	v_dual_mul_f32 v23, v23, v42 :: v_dual_add_f32 v42, 1.0, v42
	v_div_scale_f32 v46, null, v42, v42, v23
	s_delay_alu instid0(VALU_DEP_1) | instskip(SKIP_1) | instid1(TRANS32_DEP_1)
	v_rcp_f32_e32 v47, v46
	v_nop
	v_fma_f32 v48, -v46, v47, 1.0
	s_delay_alu instid0(VALU_DEP_1) | instskip(SKIP_1) | instid1(VALU_DEP_1)
	v_fmac_f32_e32 v47, v48, v47
	v_div_scale_f32 v48, vcc_lo, v23, v42, v23
	v_mul_f32_e32 v49, v48, v47
	s_delay_alu instid0(VALU_DEP_1) | instskip(NEXT) | instid1(VALU_DEP_1)
	v_fma_f32 v50, -v46, v49, v48
	v_fmac_f32_e32 v49, v50, v47
	s_delay_alu instid0(VALU_DEP_1) | instskip(NEXT) | instid1(VALU_DEP_1)
	v_fma_f32 v46, -v46, v49, v48
	v_div_fmas_f32 v46, v46, v47, v49
	s_delay_alu instid0(VALU_DEP_1)
	v_div_fixup_f32 v23, v46, v42, v23
.LBB52_23:
	s_or_b32 exec_lo, exec_lo, s11
	v_lshlrev_b32_e32 v42, 16, v43
	s_mov_b32 s11, exec_lo
	s_delay_alu instid0(VALU_DEP_1) | instskip(NEXT) | instid1(VALU_DEP_1)
	v_mul_f32_e32 v42, s13, v42
	v_cmpx_nlt_f32_e32 s14, v42
	s_cbranch_execz .LBB52_25
; %bb.24:
	v_mul_f32_e32 v46, 0x3fb8aa3b, v42
	v_cmp_ngt_f32_e32 vcc_lo, 0xc2ce8ed0, v42
	s_delay_alu instid0(VALU_DEP_2) | instskip(SKIP_1) | instid1(VALU_DEP_2)
	v_rndne_f32_e32 v47, v46
	v_fma_f32 v48, 0x3fb8aa3b, v42, -v46
	v_sub_f32_e32 v46, v46, v47
	s_delay_alu instid0(VALU_DEP_2) | instskip(SKIP_1) | instid1(VALU_DEP_2)
	v_fmamk_f32 v48, v42, 0x32a5705f, v48
	v_cvt_i32_f32_e32 v47, v47
	v_add_f32_e32 v46, v46, v48
	s_delay_alu instid0(VALU_DEP_1) | instskip(SKIP_1) | instid1(TRANS32_DEP_1)
	v_exp_f32_e32 v46, v46
	v_nop
	v_ldexp_f32 v46, v46, v47
	s_delay_alu instid0(VALU_DEP_1) | instskip(SKIP_1) | instid1(VALU_DEP_2)
	v_cndmask_b32_e32 v46, 0, v46, vcc_lo
	v_cmp_nlt_f32_e32 vcc_lo, 0x42b17218, v42
	v_cndmask_b32_e32 v42, 0x7f800000, v46, vcc_lo
	s_delay_alu instid0(VALU_DEP_1) | instskip(NEXT) | instid1(VALU_DEP_1)
	v_dual_mul_f32 v24, v24, v42 :: v_dual_add_f32 v42, 1.0, v42
	v_div_scale_f32 v46, null, v42, v42, v24
	s_delay_alu instid0(VALU_DEP_1) | instskip(SKIP_1) | instid1(TRANS32_DEP_1)
	v_rcp_f32_e32 v47, v46
	v_nop
	v_fma_f32 v48, -v46, v47, 1.0
	s_delay_alu instid0(VALU_DEP_1) | instskip(SKIP_1) | instid1(VALU_DEP_1)
	v_fmac_f32_e32 v47, v48, v47
	v_div_scale_f32 v48, vcc_lo, v24, v42, v24
	v_mul_f32_e32 v49, v48, v47
	s_delay_alu instid0(VALU_DEP_1) | instskip(NEXT) | instid1(VALU_DEP_1)
	v_fma_f32 v50, -v46, v49, v48
	v_fmac_f32_e32 v49, v50, v47
	s_delay_alu instid0(VALU_DEP_1) | instskip(NEXT) | instid1(VALU_DEP_1)
	v_fma_f32 v46, -v46, v49, v48
	v_div_fmas_f32 v46, v46, v47, v49
	s_delay_alu instid0(VALU_DEP_1)
	v_div_fixup_f32 v24, v46, v42, v24
.LBB52_25:
	s_or_b32 exec_lo, exec_lo, s11
	v_and_b32_e32 v42, 0xffff0000, v43
	s_mov_b32 s11, exec_lo
	s_delay_alu instid0(VALU_DEP_1) | instskip(NEXT) | instid1(VALU_DEP_1)
	v_mul_f32_e32 v42, s13, v42
	v_cmpx_nlt_f32_e32 s14, v42
	s_cbranch_execz .LBB52_27
; %bb.26:
	v_mul_f32_e32 v43, 0x3fb8aa3b, v42
	v_cmp_ngt_f32_e32 vcc_lo, 0xc2ce8ed0, v42
	s_delay_alu instid0(VALU_DEP_2) | instskip(SKIP_1) | instid1(VALU_DEP_2)
	v_rndne_f32_e32 v46, v43
	v_fma_f32 v47, 0x3fb8aa3b, v42, -v43
	v_sub_f32_e32 v43, v43, v46
	s_delay_alu instid0(VALU_DEP_2) | instskip(SKIP_1) | instid1(VALU_DEP_2)
	v_fmamk_f32 v47, v42, 0x32a5705f, v47
	v_cvt_i32_f32_e32 v46, v46
	v_add_f32_e32 v43, v43, v47
	s_delay_alu instid0(VALU_DEP_1) | instskip(SKIP_1) | instid1(TRANS32_DEP_1)
	v_exp_f32_e32 v43, v43
	v_nop
	v_ldexp_f32 v43, v43, v46
	s_delay_alu instid0(VALU_DEP_1) | instskip(SKIP_1) | instid1(VALU_DEP_2)
	v_cndmask_b32_e32 v43, 0, v43, vcc_lo
	v_cmp_nlt_f32_e32 vcc_lo, 0x42b17218, v42
	v_cndmask_b32_e32 v42, 0x7f800000, v43, vcc_lo
	s_delay_alu instid0(VALU_DEP_1) | instskip(NEXT) | instid1(VALU_DEP_1)
	v_dual_mul_f32 v25, v25, v42 :: v_dual_add_f32 v42, 1.0, v42
	v_div_scale_f32 v43, null, v42, v42, v25
	s_delay_alu instid0(VALU_DEP_1) | instskip(SKIP_1) | instid1(TRANS32_DEP_1)
	v_rcp_f32_e32 v46, v43
	v_nop
	v_fma_f32 v47, -v43, v46, 1.0
	s_delay_alu instid0(VALU_DEP_1) | instskip(SKIP_1) | instid1(VALU_DEP_1)
	v_fmac_f32_e32 v46, v47, v46
	v_div_scale_f32 v47, vcc_lo, v25, v42, v25
	v_mul_f32_e32 v48, v47, v46
	s_delay_alu instid0(VALU_DEP_1) | instskip(NEXT) | instid1(VALU_DEP_1)
	v_fma_f32 v49, -v43, v48, v47
	v_fmac_f32_e32 v48, v49, v46
	s_delay_alu instid0(VALU_DEP_1) | instskip(NEXT) | instid1(VALU_DEP_1)
	v_fma_f32 v43, -v43, v48, v47
	v_div_fmas_f32 v43, v43, v46, v48
	s_delay_alu instid0(VALU_DEP_1)
	v_div_fixup_f32 v25, v43, v42, v25
.LBB52_27:
	s_or_b32 exec_lo, exec_lo, s11
	v_lshlrev_b32_e32 v42, 16, v44
	s_mov_b32 s11, exec_lo
	s_delay_alu instid0(VALU_DEP_1) | instskip(NEXT) | instid1(VALU_DEP_1)
	v_mul_f32_e32 v42, s13, v42
	v_cmpx_nlt_f32_e32 s14, v42
	s_cbranch_execz .LBB52_29
; %bb.28:
	v_mul_f32_e32 v43, 0x3fb8aa3b, v42
	v_cmp_ngt_f32_e32 vcc_lo, 0xc2ce8ed0, v42
	s_delay_alu instid0(VALU_DEP_2) | instskip(SKIP_1) | instid1(VALU_DEP_2)
	v_rndne_f32_e32 v46, v43
	v_fma_f32 v47, 0x3fb8aa3b, v42, -v43
	v_sub_f32_e32 v43, v43, v46
	s_delay_alu instid0(VALU_DEP_2) | instskip(SKIP_1) | instid1(VALU_DEP_2)
	v_fmamk_f32 v47, v42, 0x32a5705f, v47
	v_cvt_i32_f32_e32 v46, v46
	v_add_f32_e32 v43, v43, v47
	s_delay_alu instid0(VALU_DEP_1) | instskip(SKIP_1) | instid1(TRANS32_DEP_1)
	v_exp_f32_e32 v43, v43
	v_nop
	v_ldexp_f32 v43, v43, v46
	s_delay_alu instid0(VALU_DEP_1) | instskip(SKIP_1) | instid1(VALU_DEP_2)
	v_cndmask_b32_e32 v43, 0, v43, vcc_lo
	v_cmp_nlt_f32_e32 vcc_lo, 0x42b17218, v42
	v_cndmask_b32_e32 v42, 0x7f800000, v43, vcc_lo
	s_delay_alu instid0(VALU_DEP_1) | instskip(NEXT) | instid1(VALU_DEP_1)
	v_dual_mul_f32 v18, v18, v42 :: v_dual_add_f32 v42, 1.0, v42
	v_div_scale_f32 v43, null, v42, v42, v18
	s_delay_alu instid0(VALU_DEP_1) | instskip(SKIP_1) | instid1(TRANS32_DEP_1)
	v_rcp_f32_e32 v46, v43
	v_nop
	v_fma_f32 v47, -v43, v46, 1.0
	s_delay_alu instid0(VALU_DEP_1) | instskip(SKIP_1) | instid1(VALU_DEP_1)
	v_fmac_f32_e32 v46, v47, v46
	v_div_scale_f32 v47, vcc_lo, v18, v42, v18
	v_mul_f32_e32 v48, v47, v46
	s_delay_alu instid0(VALU_DEP_1) | instskip(NEXT) | instid1(VALU_DEP_1)
	v_fma_f32 v49, -v43, v48, v47
	v_fmac_f32_e32 v48, v49, v46
	s_delay_alu instid0(VALU_DEP_1) | instskip(NEXT) | instid1(VALU_DEP_1)
	v_fma_f32 v43, -v43, v48, v47
	v_div_fmas_f32 v43, v43, v46, v48
	s_delay_alu instid0(VALU_DEP_1)
	v_div_fixup_f32 v18, v43, v42, v18
.LBB52_29:
	s_or_b32 exec_lo, exec_lo, s11
	v_and_b32_e32 v42, 0xffff0000, v44
	s_mov_b32 s11, exec_lo
	s_delay_alu instid0(VALU_DEP_1) | instskip(NEXT) | instid1(VALU_DEP_1)
	v_mul_f32_e32 v42, s13, v42
	v_cmpx_nlt_f32_e32 s14, v42
	s_cbranch_execz .LBB52_31
; %bb.30:
	v_mul_f32_e32 v43, 0x3fb8aa3b, v42
	v_cmp_ngt_f32_e32 vcc_lo, 0xc2ce8ed0, v42
	s_delay_alu instid0(VALU_DEP_2) | instskip(SKIP_1) | instid1(VALU_DEP_1)
	v_rndne_f32_e32 v44, v43
	v_fma_f32 v46, 0x3fb8aa3b, v42, -v43
	v_dual_sub_f32 v43, v43, v44 :: v_dual_fmamk_f32 v46, v42, 0x32a5705f, v46
	v_cvt_i32_f32_e32 v44, v44
	s_delay_alu instid0(VALU_DEP_2) | instskip(NEXT) | instid1(VALU_DEP_1)
	v_add_f32_e32 v43, v43, v46
	v_exp_f32_e32 v43, v43
	v_nop
	s_delay_alu instid0(TRANS32_DEP_1) | instskip(NEXT) | instid1(VALU_DEP_1)
	v_ldexp_f32 v43, v43, v44
	v_cndmask_b32_e32 v43, 0, v43, vcc_lo
	v_cmp_nlt_f32_e32 vcc_lo, 0x42b17218, v42
	s_delay_alu instid0(VALU_DEP_2) | instskip(NEXT) | instid1(VALU_DEP_1)
	v_cndmask_b32_e32 v42, 0x7f800000, v43, vcc_lo
	v_dual_mul_f32 v19, v19, v42 :: v_dual_add_f32 v42, 1.0, v42
	s_delay_alu instid0(VALU_DEP_1) | instskip(NEXT) | instid1(VALU_DEP_1)
	v_div_scale_f32 v43, null, v42, v42, v19
	v_rcp_f32_e32 v44, v43
	v_nop
	s_delay_alu instid0(TRANS32_DEP_1) | instskip(NEXT) | instid1(VALU_DEP_1)
	v_fma_f32 v46, -v43, v44, 1.0
	v_fmac_f32_e32 v44, v46, v44
	v_div_scale_f32 v46, vcc_lo, v19, v42, v19
	s_delay_alu instid0(VALU_DEP_1) | instskip(NEXT) | instid1(VALU_DEP_1)
	v_mul_f32_e32 v47, v46, v44
	v_fma_f32 v48, -v43, v47, v46
	s_delay_alu instid0(VALU_DEP_1) | instskip(NEXT) | instid1(VALU_DEP_1)
	v_fmac_f32_e32 v47, v48, v44
	v_fma_f32 v43, -v43, v47, v46
	s_delay_alu instid0(VALU_DEP_1) | instskip(NEXT) | instid1(VALU_DEP_1)
	v_div_fmas_f32 v43, v43, v44, v47
	v_div_fixup_f32 v19, v43, v42, v19
.LBB52_31:
	s_or_b32 exec_lo, exec_lo, s11
	v_lshlrev_b32_e32 v42, 16, v45
	s_mov_b32 s11, exec_lo
	s_delay_alu instid0(VALU_DEP_1) | instskip(NEXT) | instid1(VALU_DEP_1)
	v_mul_f32_e32 v42, s13, v42
	v_cmpx_nlt_f32_e32 s14, v42
	s_cbranch_execz .LBB52_33
; %bb.32:
	v_mul_f32_e32 v43, 0x3fb8aa3b, v42
	v_cmp_ngt_f32_e32 vcc_lo, 0xc2ce8ed0, v42
	s_delay_alu instid0(VALU_DEP_2) | instskip(SKIP_1) | instid1(VALU_DEP_1)
	v_rndne_f32_e32 v44, v43
	v_fma_f32 v46, 0x3fb8aa3b, v42, -v43
	v_dual_sub_f32 v43, v43, v44 :: v_dual_fmamk_f32 v46, v42, 0x32a5705f, v46
	v_cvt_i32_f32_e32 v44, v44
	s_delay_alu instid0(VALU_DEP_2) | instskip(NEXT) | instid1(VALU_DEP_1)
	v_add_f32_e32 v43, v43, v46
	v_exp_f32_e32 v43, v43
	v_nop
	s_delay_alu instid0(TRANS32_DEP_1) | instskip(NEXT) | instid1(VALU_DEP_1)
	v_ldexp_f32 v43, v43, v44
	v_cndmask_b32_e32 v43, 0, v43, vcc_lo
	v_cmp_nlt_f32_e32 vcc_lo, 0x42b17218, v42
	s_delay_alu instid0(VALU_DEP_2) | instskip(NEXT) | instid1(VALU_DEP_1)
	v_cndmask_b32_e32 v42, 0x7f800000, v43, vcc_lo
	v_dual_mul_f32 v20, v20, v42 :: v_dual_add_f32 v42, 1.0, v42
	s_delay_alu instid0(VALU_DEP_1) | instskip(NEXT) | instid1(VALU_DEP_1)
	v_div_scale_f32 v43, null, v42, v42, v20
	v_rcp_f32_e32 v44, v43
	v_nop
	s_delay_alu instid0(TRANS32_DEP_1) | instskip(NEXT) | instid1(VALU_DEP_1)
	v_fma_f32 v46, -v43, v44, 1.0
	v_fmac_f32_e32 v44, v46, v44
	v_div_scale_f32 v46, vcc_lo, v20, v42, v20
	s_delay_alu instid0(VALU_DEP_1) | instskip(NEXT) | instid1(VALU_DEP_1)
	v_mul_f32_e32 v47, v46, v44
	v_fma_f32 v48, -v43, v47, v46
	s_delay_alu instid0(VALU_DEP_1) | instskip(NEXT) | instid1(VALU_DEP_1)
	v_fmac_f32_e32 v47, v48, v44
	v_fma_f32 v43, -v43, v47, v46
	s_delay_alu instid0(VALU_DEP_1) | instskip(NEXT) | instid1(VALU_DEP_1)
	v_div_fmas_f32 v43, v43, v44, v47
	v_div_fixup_f32 v20, v43, v42, v20
.LBB52_33:
	s_or_b32 exec_lo, exec_lo, s11
	v_and_b32_e32 v42, 0xffff0000, v45
	s_mov_b32 s11, exec_lo
	s_delay_alu instid0(VALU_DEP_1) | instskip(NEXT) | instid1(VALU_DEP_1)
	v_mul_f32_e32 v42, s13, v42
	v_cmpx_nlt_f32_e32 s14, v42
	s_cbranch_execz .LBB52_35
; %bb.34:
	v_mul_f32_e32 v43, 0x3fb8aa3b, v42
	v_cmp_ngt_f32_e32 vcc_lo, 0xc2ce8ed0, v42
	s_delay_alu instid0(VALU_DEP_2) | instskip(SKIP_1) | instid1(VALU_DEP_2)
	v_rndne_f32_e32 v44, v43
	v_fma_f32 v45, 0x3fb8aa3b, v42, -v43
	v_sub_f32_e32 v43, v43, v44
	s_delay_alu instid0(VALU_DEP_2) | instskip(SKIP_1) | instid1(VALU_DEP_2)
	v_fmamk_f32 v45, v42, 0x32a5705f, v45
	v_cvt_i32_f32_e32 v44, v44
	v_add_f32_e32 v43, v43, v45
	s_delay_alu instid0(VALU_DEP_1) | instskip(SKIP_1) | instid1(TRANS32_DEP_1)
	v_exp_f32_e32 v43, v43
	v_nop
	v_ldexp_f32 v43, v43, v44
	s_delay_alu instid0(VALU_DEP_1) | instskip(SKIP_1) | instid1(VALU_DEP_2)
	v_cndmask_b32_e32 v43, 0, v43, vcc_lo
	v_cmp_nlt_f32_e32 vcc_lo, 0x42b17218, v42
	v_cndmask_b32_e32 v42, 0x7f800000, v43, vcc_lo
	s_delay_alu instid0(VALU_DEP_1) | instskip(NEXT) | instid1(VALU_DEP_1)
	v_dual_mul_f32 v21, v21, v42 :: v_dual_add_f32 v42, 1.0, v42
	v_div_scale_f32 v43, null, v42, v42, v21
	s_delay_alu instid0(VALU_DEP_1) | instskip(SKIP_1) | instid1(TRANS32_DEP_1)
	v_rcp_f32_e32 v44, v43
	v_nop
	v_fma_f32 v45, -v43, v44, 1.0
	s_delay_alu instid0(VALU_DEP_1) | instskip(SKIP_1) | instid1(VALU_DEP_1)
	v_fmac_f32_e32 v44, v45, v44
	v_div_scale_f32 v45, vcc_lo, v21, v42, v21
	v_mul_f32_e32 v46, v45, v44
	s_delay_alu instid0(VALU_DEP_1) | instskip(NEXT) | instid1(VALU_DEP_1)
	v_fma_f32 v47, -v43, v46, v45
	v_fmac_f32_e32 v46, v47, v44
	s_delay_alu instid0(VALU_DEP_1) | instskip(NEXT) | instid1(VALU_DEP_1)
	v_fma_f32 v43, -v43, v46, v45
	v_div_fmas_f32 v43, v43, v44, v46
	s_delay_alu instid0(VALU_DEP_1)
	v_div_fixup_f32 v21, v43, v42, v21
.LBB52_35:
	s_or_b32 exec_lo, exec_lo, s11
	s_wait_loadcnt 0x1
	v_lshlrev_b32_e32 v42, 16, v38
	s_mov_b32 s11, exec_lo
	s_delay_alu instid0(VALU_DEP_1) | instskip(NEXT) | instid1(VALU_DEP_1)
	v_mul_f32_e32 v42, s13, v42
	v_cmpx_nlt_f32_e32 s14, v42
	s_cbranch_execz .LBB52_37
; %bb.36:
	v_mul_f32_e32 v43, 0x3fb8aa3b, v42
	v_cmp_ngt_f32_e32 vcc_lo, 0xc2ce8ed0, v42
	s_delay_alu instid0(VALU_DEP_2) | instskip(SKIP_1) | instid1(VALU_DEP_2)
	v_rndne_f32_e32 v44, v43
	v_fma_f32 v45, 0x3fb8aa3b, v42, -v43
	v_sub_f32_e32 v43, v43, v44
	s_delay_alu instid0(VALU_DEP_2) | instskip(SKIP_1) | instid1(VALU_DEP_2)
	v_fmamk_f32 v45, v42, 0x32a5705f, v45
	v_cvt_i32_f32_e32 v44, v44
	v_add_f32_e32 v43, v43, v45
	s_delay_alu instid0(VALU_DEP_1) | instskip(SKIP_1) | instid1(TRANS32_DEP_1)
	v_exp_f32_e32 v43, v43
	v_nop
	v_ldexp_f32 v43, v43, v44
	s_delay_alu instid0(VALU_DEP_1) | instskip(SKIP_1) | instid1(VALU_DEP_2)
	v_cndmask_b32_e32 v43, 0, v43, vcc_lo
	v_cmp_nlt_f32_e32 vcc_lo, 0x42b17218, v42
	v_cndmask_b32_e32 v42, 0x7f800000, v43, vcc_lo
	s_delay_alu instid0(VALU_DEP_1) | instskip(NEXT) | instid1(VALU_DEP_1)
	v_dual_mul_f32 v14, v14, v42 :: v_dual_add_f32 v42, 1.0, v42
	v_div_scale_f32 v43, null, v42, v42, v14
	s_delay_alu instid0(VALU_DEP_1) | instskip(SKIP_1) | instid1(TRANS32_DEP_1)
	v_rcp_f32_e32 v44, v43
	v_nop
	v_fma_f32 v45, -v43, v44, 1.0
	s_delay_alu instid0(VALU_DEP_1) | instskip(SKIP_1) | instid1(VALU_DEP_1)
	v_fmac_f32_e32 v44, v45, v44
	v_div_scale_f32 v45, vcc_lo, v14, v42, v14
	v_mul_f32_e32 v46, v45, v44
	s_delay_alu instid0(VALU_DEP_1) | instskip(NEXT) | instid1(VALU_DEP_1)
	v_fma_f32 v47, -v43, v46, v45
	v_fmac_f32_e32 v46, v47, v44
	s_delay_alu instid0(VALU_DEP_1) | instskip(NEXT) | instid1(VALU_DEP_1)
	v_fma_f32 v43, -v43, v46, v45
	v_div_fmas_f32 v43, v43, v44, v46
	s_delay_alu instid0(VALU_DEP_1)
	v_div_fixup_f32 v14, v43, v42, v14
.LBB52_37:
	s_or_b32 exec_lo, exec_lo, s11
	v_and_b32_e32 v38, 0xffff0000, v38
	s_mov_b32 s11, exec_lo
	s_delay_alu instid0(VALU_DEP_1) | instskip(NEXT) | instid1(VALU_DEP_1)
	v_mul_f32_e32 v38, s13, v38
	v_cmpx_nlt_f32_e32 s14, v38
	s_cbranch_execz .LBB52_39
; %bb.38:
	v_mul_f32_e32 v42, 0x3fb8aa3b, v38
	v_cmp_ngt_f32_e32 vcc_lo, 0xc2ce8ed0, v38
	s_delay_alu instid0(VALU_DEP_2) | instskip(SKIP_1) | instid1(VALU_DEP_2)
	v_rndne_f32_e32 v43, v42
	v_fma_f32 v44, 0x3fb8aa3b, v38, -v42
	v_sub_f32_e32 v42, v42, v43
	s_delay_alu instid0(VALU_DEP_2) | instskip(SKIP_1) | instid1(VALU_DEP_2)
	v_fmamk_f32 v44, v38, 0x32a5705f, v44
	v_cvt_i32_f32_e32 v43, v43
	v_add_f32_e32 v42, v42, v44
	s_delay_alu instid0(VALU_DEP_1) | instskip(SKIP_1) | instid1(TRANS32_DEP_1)
	v_exp_f32_e32 v42, v42
	v_nop
	v_ldexp_f32 v42, v42, v43
	s_delay_alu instid0(VALU_DEP_1) | instskip(SKIP_1) | instid1(VALU_DEP_2)
	v_cndmask_b32_e32 v42, 0, v42, vcc_lo
	v_cmp_nlt_f32_e32 vcc_lo, 0x42b17218, v38
	v_cndmask_b32_e32 v38, 0x7f800000, v42, vcc_lo
	s_delay_alu instid0(VALU_DEP_1) | instskip(NEXT) | instid1(VALU_DEP_1)
	v_dual_mul_f32 v15, v15, v38 :: v_dual_add_f32 v38, 1.0, v38
	v_div_scale_f32 v42, null, v38, v38, v15
	s_delay_alu instid0(VALU_DEP_1) | instskip(SKIP_1) | instid1(TRANS32_DEP_1)
	v_rcp_f32_e32 v43, v42
	v_nop
	v_fma_f32 v44, -v42, v43, 1.0
	s_delay_alu instid0(VALU_DEP_1) | instskip(SKIP_1) | instid1(VALU_DEP_1)
	v_fmac_f32_e32 v43, v44, v43
	v_div_scale_f32 v44, vcc_lo, v15, v38, v15
	v_mul_f32_e32 v45, v44, v43
	s_delay_alu instid0(VALU_DEP_1) | instskip(NEXT) | instid1(VALU_DEP_1)
	v_fma_f32 v46, -v42, v45, v44
	v_fmac_f32_e32 v45, v46, v43
	s_delay_alu instid0(VALU_DEP_1) | instskip(NEXT) | instid1(VALU_DEP_1)
	v_fma_f32 v42, -v42, v45, v44
	v_div_fmas_f32 v42, v42, v43, v45
	s_delay_alu instid0(VALU_DEP_1)
	v_div_fixup_f32 v15, v42, v38, v15
.LBB52_39:
	s_or_b32 exec_lo, exec_lo, s11
	v_lshlrev_b32_e32 v38, 16, v39
	s_mov_b32 s11, exec_lo
	s_delay_alu instid0(VALU_DEP_1) | instskip(NEXT) | instid1(VALU_DEP_1)
	v_mul_f32_e32 v38, s13, v38
	v_cmpx_nlt_f32_e32 s14, v38
	s_cbranch_execz .LBB52_41
; %bb.40:
	v_mul_f32_e32 v42, 0x3fb8aa3b, v38
	v_cmp_ngt_f32_e32 vcc_lo, 0xc2ce8ed0, v38
	s_delay_alu instid0(VALU_DEP_2) | instskip(SKIP_1) | instid1(VALU_DEP_2)
	v_rndne_f32_e32 v43, v42
	v_fma_f32 v44, 0x3fb8aa3b, v38, -v42
	v_sub_f32_e32 v42, v42, v43
	s_delay_alu instid0(VALU_DEP_2) | instskip(SKIP_1) | instid1(VALU_DEP_2)
	v_fmamk_f32 v44, v38, 0x32a5705f, v44
	v_cvt_i32_f32_e32 v43, v43
	v_add_f32_e32 v42, v42, v44
	s_delay_alu instid0(VALU_DEP_1) | instskip(SKIP_1) | instid1(TRANS32_DEP_1)
	v_exp_f32_e32 v42, v42
	v_nop
	v_ldexp_f32 v42, v42, v43
	s_delay_alu instid0(VALU_DEP_1) | instskip(SKIP_1) | instid1(VALU_DEP_2)
	v_cndmask_b32_e32 v42, 0, v42, vcc_lo
	v_cmp_nlt_f32_e32 vcc_lo, 0x42b17218, v38
	v_cndmask_b32_e32 v38, 0x7f800000, v42, vcc_lo
	s_delay_alu instid0(VALU_DEP_1) | instskip(NEXT) | instid1(VALU_DEP_1)
	v_dual_mul_f32 v16, v16, v38 :: v_dual_add_f32 v38, 1.0, v38
	v_div_scale_f32 v42, null, v38, v38, v16
	s_delay_alu instid0(VALU_DEP_1) | instskip(SKIP_1) | instid1(TRANS32_DEP_1)
	v_rcp_f32_e32 v43, v42
	v_nop
	v_fma_f32 v44, -v42, v43, 1.0
	s_delay_alu instid0(VALU_DEP_1) | instskip(SKIP_1) | instid1(VALU_DEP_1)
	v_fmac_f32_e32 v43, v44, v43
	v_div_scale_f32 v44, vcc_lo, v16, v38, v16
	v_mul_f32_e32 v45, v44, v43
	s_delay_alu instid0(VALU_DEP_1) | instskip(NEXT) | instid1(VALU_DEP_1)
	v_fma_f32 v46, -v42, v45, v44
	v_fmac_f32_e32 v45, v46, v43
	s_delay_alu instid0(VALU_DEP_1) | instskip(NEXT) | instid1(VALU_DEP_1)
	v_fma_f32 v42, -v42, v45, v44
	v_div_fmas_f32 v42, v42, v43, v45
	s_delay_alu instid0(VALU_DEP_1)
	v_div_fixup_f32 v16, v42, v38, v16
.LBB52_41:
	s_or_b32 exec_lo, exec_lo, s11
	v_and_b32_e32 v38, 0xffff0000, v39
	s_mov_b32 s11, exec_lo
	s_delay_alu instid0(VALU_DEP_1) | instskip(NEXT) | instid1(VALU_DEP_1)
	v_mul_f32_e32 v38, s13, v38
	v_cmpx_nlt_f32_e32 s14, v38
	s_cbranch_execz .LBB52_43
; %bb.42:
	v_mul_f32_e32 v39, 0x3fb8aa3b, v38
	v_cmp_ngt_f32_e32 vcc_lo, 0xc2ce8ed0, v38
	s_delay_alu instid0(VALU_DEP_2) | instskip(SKIP_1) | instid1(VALU_DEP_2)
	v_rndne_f32_e32 v42, v39
	v_fma_f32 v43, 0x3fb8aa3b, v38, -v39
	v_sub_f32_e32 v39, v39, v42
	s_delay_alu instid0(VALU_DEP_2) | instskip(SKIP_1) | instid1(VALU_DEP_2)
	v_fmamk_f32 v43, v38, 0x32a5705f, v43
	v_cvt_i32_f32_e32 v42, v42
	v_add_f32_e32 v39, v39, v43
	s_delay_alu instid0(VALU_DEP_1) | instskip(SKIP_1) | instid1(TRANS32_DEP_1)
	v_exp_f32_e32 v39, v39
	v_nop
	v_ldexp_f32 v39, v39, v42
	s_delay_alu instid0(VALU_DEP_1) | instskip(SKIP_1) | instid1(VALU_DEP_2)
	v_cndmask_b32_e32 v39, 0, v39, vcc_lo
	v_cmp_nlt_f32_e32 vcc_lo, 0x42b17218, v38
	v_cndmask_b32_e32 v38, 0x7f800000, v39, vcc_lo
	s_delay_alu instid0(VALU_DEP_1) | instskip(NEXT) | instid1(VALU_DEP_1)
	v_dual_mul_f32 v17, v17, v38 :: v_dual_add_f32 v38, 1.0, v38
	v_div_scale_f32 v39, null, v38, v38, v17
	s_delay_alu instid0(VALU_DEP_1) | instskip(SKIP_1) | instid1(TRANS32_DEP_1)
	v_rcp_f32_e32 v42, v39
	v_nop
	v_fma_f32 v43, -v39, v42, 1.0
	s_delay_alu instid0(VALU_DEP_1) | instskip(SKIP_1) | instid1(VALU_DEP_1)
	v_fmac_f32_e32 v42, v43, v42
	v_div_scale_f32 v43, vcc_lo, v17, v38, v17
	v_mul_f32_e32 v44, v43, v42
	s_delay_alu instid0(VALU_DEP_1) | instskip(NEXT) | instid1(VALU_DEP_1)
	v_fma_f32 v45, -v39, v44, v43
	v_fmac_f32_e32 v44, v45, v42
	s_delay_alu instid0(VALU_DEP_1) | instskip(NEXT) | instid1(VALU_DEP_1)
	v_fma_f32 v39, -v39, v44, v43
	v_div_fmas_f32 v39, v39, v42, v44
	s_delay_alu instid0(VALU_DEP_1)
	v_div_fixup_f32 v17, v39, v38, v17
.LBB52_43:
	s_or_b32 exec_lo, exec_lo, s11
	v_lshlrev_b32_e32 v38, 16, v40
	s_mov_b32 s11, exec_lo
	s_delay_alu instid0(VALU_DEP_1) | instskip(NEXT) | instid1(VALU_DEP_1)
	v_mul_f32_e32 v38, s13, v38
	v_cmpx_nlt_f32_e32 s14, v38
	s_cbranch_execz .LBB52_45
; %bb.44:
	v_mul_f32_e32 v39, 0x3fb8aa3b, v38
	v_cmp_ngt_f32_e32 vcc_lo, 0xc2ce8ed0, v38
	s_delay_alu instid0(VALU_DEP_2) | instskip(SKIP_1) | instid1(VALU_DEP_2)
	v_rndne_f32_e32 v42, v39
	v_fma_f32 v43, 0x3fb8aa3b, v38, -v39
	v_sub_f32_e32 v39, v39, v42
	s_delay_alu instid0(VALU_DEP_2) | instskip(SKIP_1) | instid1(VALU_DEP_2)
	v_fmamk_f32 v43, v38, 0x32a5705f, v43
	v_cvt_i32_f32_e32 v42, v42
	v_add_f32_e32 v39, v39, v43
	s_delay_alu instid0(VALU_DEP_1) | instskip(SKIP_1) | instid1(TRANS32_DEP_1)
	v_exp_f32_e32 v39, v39
	v_nop
	v_ldexp_f32 v39, v39, v42
	s_delay_alu instid0(VALU_DEP_1) | instskip(SKIP_1) | instid1(VALU_DEP_2)
	v_cndmask_b32_e32 v39, 0, v39, vcc_lo
	v_cmp_nlt_f32_e32 vcc_lo, 0x42b17218, v38
	v_cndmask_b32_e32 v38, 0x7f800000, v39, vcc_lo
	s_delay_alu instid0(VALU_DEP_1) | instskip(NEXT) | instid1(VALU_DEP_1)
	v_dual_mul_f32 v10, v10, v38 :: v_dual_add_f32 v38, 1.0, v38
	v_div_scale_f32 v39, null, v38, v38, v10
	s_delay_alu instid0(VALU_DEP_1) | instskip(SKIP_1) | instid1(TRANS32_DEP_1)
	v_rcp_f32_e32 v42, v39
	v_nop
	v_fma_f32 v43, -v39, v42, 1.0
	s_delay_alu instid0(VALU_DEP_1) | instskip(SKIP_1) | instid1(VALU_DEP_1)
	v_fmac_f32_e32 v42, v43, v42
	v_div_scale_f32 v43, vcc_lo, v10, v38, v10
	v_mul_f32_e32 v44, v43, v42
	s_delay_alu instid0(VALU_DEP_1) | instskip(NEXT) | instid1(VALU_DEP_1)
	v_fma_f32 v45, -v39, v44, v43
	v_fmac_f32_e32 v44, v45, v42
	s_delay_alu instid0(VALU_DEP_1) | instskip(NEXT) | instid1(VALU_DEP_1)
	v_fma_f32 v39, -v39, v44, v43
	v_div_fmas_f32 v39, v39, v42, v44
	s_delay_alu instid0(VALU_DEP_1)
	v_div_fixup_f32 v10, v39, v38, v10
.LBB52_45:
	s_or_b32 exec_lo, exec_lo, s11
	v_and_b32_e32 v38, 0xffff0000, v40
	s_mov_b32 s11, exec_lo
	s_delay_alu instid0(VALU_DEP_1) | instskip(NEXT) | instid1(VALU_DEP_1)
	v_mul_f32_e32 v38, s13, v38
	v_cmpx_nlt_f32_e32 s14, v38
	s_cbranch_execz .LBB52_47
; %bb.46:
	v_mul_f32_e32 v39, 0x3fb8aa3b, v38
	v_cmp_ngt_f32_e32 vcc_lo, 0xc2ce8ed0, v38
	s_delay_alu instid0(VALU_DEP_2) | instskip(SKIP_1) | instid1(VALU_DEP_1)
	v_rndne_f32_e32 v40, v39
	v_fma_f32 v42, 0x3fb8aa3b, v38, -v39
	v_dual_sub_f32 v39, v39, v40 :: v_dual_fmamk_f32 v42, v38, 0x32a5705f, v42
	v_cvt_i32_f32_e32 v40, v40
	s_delay_alu instid0(VALU_DEP_2) | instskip(NEXT) | instid1(VALU_DEP_1)
	v_add_f32_e32 v39, v39, v42
	v_exp_f32_e32 v39, v39
	v_nop
	s_delay_alu instid0(TRANS32_DEP_1) | instskip(NEXT) | instid1(VALU_DEP_1)
	v_ldexp_f32 v39, v39, v40
	v_cndmask_b32_e32 v39, 0, v39, vcc_lo
	v_cmp_nlt_f32_e32 vcc_lo, 0x42b17218, v38
	s_delay_alu instid0(VALU_DEP_2) | instskip(NEXT) | instid1(VALU_DEP_1)
	v_cndmask_b32_e32 v38, 0x7f800000, v39, vcc_lo
	v_dual_mul_f32 v11, v11, v38 :: v_dual_add_f32 v38, 1.0, v38
	s_delay_alu instid0(VALU_DEP_1) | instskip(NEXT) | instid1(VALU_DEP_1)
	v_div_scale_f32 v39, null, v38, v38, v11
	v_rcp_f32_e32 v40, v39
	v_nop
	s_delay_alu instid0(TRANS32_DEP_1) | instskip(NEXT) | instid1(VALU_DEP_1)
	v_fma_f32 v42, -v39, v40, 1.0
	v_fmac_f32_e32 v40, v42, v40
	v_div_scale_f32 v42, vcc_lo, v11, v38, v11
	s_delay_alu instid0(VALU_DEP_1) | instskip(NEXT) | instid1(VALU_DEP_1)
	v_mul_f32_e32 v43, v42, v40
	v_fma_f32 v44, -v39, v43, v42
	s_delay_alu instid0(VALU_DEP_1) | instskip(NEXT) | instid1(VALU_DEP_1)
	v_fmac_f32_e32 v43, v44, v40
	v_fma_f32 v39, -v39, v43, v42
	s_delay_alu instid0(VALU_DEP_1) | instskip(NEXT) | instid1(VALU_DEP_1)
	v_div_fmas_f32 v39, v39, v40, v43
	v_div_fixup_f32 v11, v39, v38, v11
.LBB52_47:
	s_or_b32 exec_lo, exec_lo, s11
	v_lshlrev_b32_e32 v38, 16, v41
	s_mov_b32 s11, exec_lo
	s_delay_alu instid0(VALU_DEP_1) | instskip(NEXT) | instid1(VALU_DEP_1)
	v_mul_f32_e32 v38, s13, v38
	v_cmpx_nlt_f32_e32 s14, v38
	s_cbranch_execz .LBB52_49
; %bb.48:
	v_mul_f32_e32 v39, 0x3fb8aa3b, v38
	v_cmp_ngt_f32_e32 vcc_lo, 0xc2ce8ed0, v38
	s_delay_alu instid0(VALU_DEP_2) | instskip(SKIP_1) | instid1(VALU_DEP_1)
	v_rndne_f32_e32 v40, v39
	v_fma_f32 v42, 0x3fb8aa3b, v38, -v39
	v_dual_sub_f32 v39, v39, v40 :: v_dual_fmamk_f32 v42, v38, 0x32a5705f, v42
	v_cvt_i32_f32_e32 v40, v40
	s_delay_alu instid0(VALU_DEP_2) | instskip(NEXT) | instid1(VALU_DEP_1)
	v_add_f32_e32 v39, v39, v42
	v_exp_f32_e32 v39, v39
	v_nop
	s_delay_alu instid0(TRANS32_DEP_1) | instskip(NEXT) | instid1(VALU_DEP_1)
	v_ldexp_f32 v39, v39, v40
	v_cndmask_b32_e32 v39, 0, v39, vcc_lo
	v_cmp_nlt_f32_e32 vcc_lo, 0x42b17218, v38
	s_delay_alu instid0(VALU_DEP_2) | instskip(NEXT) | instid1(VALU_DEP_1)
	v_cndmask_b32_e32 v38, 0x7f800000, v39, vcc_lo
	v_dual_mul_f32 v12, v12, v38 :: v_dual_add_f32 v38, 1.0, v38
	s_delay_alu instid0(VALU_DEP_1) | instskip(NEXT) | instid1(VALU_DEP_1)
	v_div_scale_f32 v39, null, v38, v38, v12
	v_rcp_f32_e32 v40, v39
	v_nop
	s_delay_alu instid0(TRANS32_DEP_1) | instskip(NEXT) | instid1(VALU_DEP_1)
	v_fma_f32 v42, -v39, v40, 1.0
	v_fmac_f32_e32 v40, v42, v40
	v_div_scale_f32 v42, vcc_lo, v12, v38, v12
	s_delay_alu instid0(VALU_DEP_1) | instskip(NEXT) | instid1(VALU_DEP_1)
	v_mul_f32_e32 v43, v42, v40
	v_fma_f32 v44, -v39, v43, v42
	s_delay_alu instid0(VALU_DEP_1) | instskip(NEXT) | instid1(VALU_DEP_1)
	v_fmac_f32_e32 v43, v44, v40
	v_fma_f32 v39, -v39, v43, v42
	s_delay_alu instid0(VALU_DEP_1) | instskip(NEXT) | instid1(VALU_DEP_1)
	v_div_fmas_f32 v39, v39, v40, v43
	v_div_fixup_f32 v12, v39, v38, v12
.LBB52_49:
	s_or_b32 exec_lo, exec_lo, s11
	v_and_b32_e32 v38, 0xffff0000, v41
	s_mov_b32 s11, exec_lo
	s_delay_alu instid0(VALU_DEP_1) | instskip(NEXT) | instid1(VALU_DEP_1)
	v_mul_f32_e32 v38, s13, v38
	v_cmpx_nlt_f32_e32 s14, v38
	s_cbranch_execz .LBB52_51
; %bb.50:
	v_mul_f32_e32 v39, 0x3fb8aa3b, v38
	v_cmp_ngt_f32_e32 vcc_lo, 0xc2ce8ed0, v38
	s_delay_alu instid0(VALU_DEP_2) | instskip(SKIP_1) | instid1(VALU_DEP_2)
	v_rndne_f32_e32 v40, v39
	v_fma_f32 v41, 0x3fb8aa3b, v38, -v39
	v_sub_f32_e32 v39, v39, v40
	s_delay_alu instid0(VALU_DEP_2) | instskip(SKIP_1) | instid1(VALU_DEP_2)
	v_fmamk_f32 v41, v38, 0x32a5705f, v41
	v_cvt_i32_f32_e32 v40, v40
	v_add_f32_e32 v39, v39, v41
	s_delay_alu instid0(VALU_DEP_1) | instskip(SKIP_1) | instid1(TRANS32_DEP_1)
	v_exp_f32_e32 v39, v39
	v_nop
	v_ldexp_f32 v39, v39, v40
	s_delay_alu instid0(VALU_DEP_1) | instskip(SKIP_1) | instid1(VALU_DEP_2)
	v_cndmask_b32_e32 v39, 0, v39, vcc_lo
	v_cmp_nlt_f32_e32 vcc_lo, 0x42b17218, v38
	v_cndmask_b32_e32 v38, 0x7f800000, v39, vcc_lo
	s_delay_alu instid0(VALU_DEP_1) | instskip(NEXT) | instid1(VALU_DEP_1)
	v_dual_mul_f32 v13, v13, v38 :: v_dual_add_f32 v38, 1.0, v38
	v_div_scale_f32 v39, null, v38, v38, v13
	s_delay_alu instid0(VALU_DEP_1) | instskip(SKIP_1) | instid1(TRANS32_DEP_1)
	v_rcp_f32_e32 v40, v39
	v_nop
	v_fma_f32 v41, -v39, v40, 1.0
	s_delay_alu instid0(VALU_DEP_1) | instskip(SKIP_1) | instid1(VALU_DEP_1)
	v_fmac_f32_e32 v40, v41, v40
	v_div_scale_f32 v41, vcc_lo, v13, v38, v13
	v_mul_f32_e32 v42, v41, v40
	s_delay_alu instid0(VALU_DEP_1) | instskip(NEXT) | instid1(VALU_DEP_1)
	v_fma_f32 v43, -v39, v42, v41
	v_fmac_f32_e32 v42, v43, v40
	s_delay_alu instid0(VALU_DEP_1) | instskip(NEXT) | instid1(VALU_DEP_1)
	v_fma_f32 v39, -v39, v42, v41
	v_div_fmas_f32 v39, v39, v40, v42
	s_delay_alu instid0(VALU_DEP_1)
	v_div_fixup_f32 v13, v39, v38, v13
.LBB52_51:
	s_or_b32 exec_lo, exec_lo, s11
	s_wait_loadcnt 0x0
	v_lshlrev_b32_e32 v38, 16, v34
	s_mov_b32 s11, exec_lo
	s_delay_alu instid0(VALU_DEP_1) | instskip(NEXT) | instid1(VALU_DEP_1)
	v_mul_f32_e32 v38, s13, v38
	v_cmpx_nlt_f32_e32 s14, v38
	s_cbranch_execz .LBB52_53
; %bb.52:
	v_mul_f32_e32 v39, 0x3fb8aa3b, v38
	v_cmp_ngt_f32_e32 vcc_lo, 0xc2ce8ed0, v38
	s_delay_alu instid0(VALU_DEP_2) | instskip(SKIP_1) | instid1(VALU_DEP_2)
	v_rndne_f32_e32 v40, v39
	v_fma_f32 v41, 0x3fb8aa3b, v38, -v39
	v_sub_f32_e32 v39, v39, v40
	s_delay_alu instid0(VALU_DEP_2) | instskip(SKIP_1) | instid1(VALU_DEP_2)
	v_fmamk_f32 v41, v38, 0x32a5705f, v41
	v_cvt_i32_f32_e32 v40, v40
	v_add_f32_e32 v39, v39, v41
	s_delay_alu instid0(VALU_DEP_1) | instskip(SKIP_1) | instid1(TRANS32_DEP_1)
	v_exp_f32_e32 v39, v39
	v_nop
	v_ldexp_f32 v39, v39, v40
	s_delay_alu instid0(VALU_DEP_1) | instskip(SKIP_1) | instid1(VALU_DEP_2)
	v_cndmask_b32_e32 v39, 0, v39, vcc_lo
	v_cmp_nlt_f32_e32 vcc_lo, 0x42b17218, v38
	v_cndmask_b32_e32 v38, 0x7f800000, v39, vcc_lo
	s_delay_alu instid0(VALU_DEP_1) | instskip(NEXT) | instid1(VALU_DEP_1)
	v_dual_mul_f32 v6, v6, v38 :: v_dual_add_f32 v38, 1.0, v38
	v_div_scale_f32 v39, null, v38, v38, v6
	s_delay_alu instid0(VALU_DEP_1) | instskip(SKIP_1) | instid1(TRANS32_DEP_1)
	v_rcp_f32_e32 v40, v39
	v_nop
	v_fma_f32 v41, -v39, v40, 1.0
	s_delay_alu instid0(VALU_DEP_1) | instskip(SKIP_1) | instid1(VALU_DEP_1)
	v_fmac_f32_e32 v40, v41, v40
	v_div_scale_f32 v41, vcc_lo, v6, v38, v6
	v_mul_f32_e32 v42, v41, v40
	s_delay_alu instid0(VALU_DEP_1) | instskip(NEXT) | instid1(VALU_DEP_1)
	v_fma_f32 v43, -v39, v42, v41
	v_fmac_f32_e32 v42, v43, v40
	s_delay_alu instid0(VALU_DEP_1) | instskip(NEXT) | instid1(VALU_DEP_1)
	v_fma_f32 v39, -v39, v42, v41
	v_div_fmas_f32 v39, v39, v40, v42
	s_delay_alu instid0(VALU_DEP_1)
	v_div_fixup_f32 v6, v39, v38, v6
.LBB52_53:
	s_or_b32 exec_lo, exec_lo, s11
	v_and_b32_e32 v34, 0xffff0000, v34
	s_mov_b32 s11, exec_lo
	s_delay_alu instid0(VALU_DEP_1) | instskip(NEXT) | instid1(VALU_DEP_1)
	v_mul_f32_e32 v34, s13, v34
	v_cmpx_nlt_f32_e32 s14, v34
	s_cbranch_execz .LBB52_55
; %bb.54:
	v_mul_f32_e32 v38, 0x3fb8aa3b, v34
	v_cmp_ngt_f32_e32 vcc_lo, 0xc2ce8ed0, v34
	s_delay_alu instid0(VALU_DEP_2) | instskip(SKIP_1) | instid1(VALU_DEP_2)
	v_rndne_f32_e32 v39, v38
	v_fma_f32 v40, 0x3fb8aa3b, v34, -v38
	v_sub_f32_e32 v38, v38, v39
	s_delay_alu instid0(VALU_DEP_2) | instskip(SKIP_1) | instid1(VALU_DEP_2)
	v_fmamk_f32 v40, v34, 0x32a5705f, v40
	v_cvt_i32_f32_e32 v39, v39
	v_add_f32_e32 v38, v38, v40
	s_delay_alu instid0(VALU_DEP_1) | instskip(SKIP_1) | instid1(TRANS32_DEP_1)
	v_exp_f32_e32 v38, v38
	v_nop
	v_ldexp_f32 v38, v38, v39
	s_delay_alu instid0(VALU_DEP_1) | instskip(SKIP_1) | instid1(VALU_DEP_2)
	v_cndmask_b32_e32 v38, 0, v38, vcc_lo
	v_cmp_nlt_f32_e32 vcc_lo, 0x42b17218, v34
	v_cndmask_b32_e32 v34, 0x7f800000, v38, vcc_lo
	s_delay_alu instid0(VALU_DEP_1) | instskip(NEXT) | instid1(VALU_DEP_1)
	v_dual_mul_f32 v7, v7, v34 :: v_dual_add_f32 v34, 1.0, v34
	v_div_scale_f32 v38, null, v34, v34, v7
	s_delay_alu instid0(VALU_DEP_1) | instskip(SKIP_1) | instid1(TRANS32_DEP_1)
	v_rcp_f32_e32 v39, v38
	v_nop
	v_fma_f32 v40, -v38, v39, 1.0
	s_delay_alu instid0(VALU_DEP_1) | instskip(SKIP_1) | instid1(VALU_DEP_1)
	v_fmac_f32_e32 v39, v40, v39
	v_div_scale_f32 v40, vcc_lo, v7, v34, v7
	v_mul_f32_e32 v41, v40, v39
	s_delay_alu instid0(VALU_DEP_1) | instskip(NEXT) | instid1(VALU_DEP_1)
	v_fma_f32 v42, -v38, v41, v40
	v_fmac_f32_e32 v41, v42, v39
	s_delay_alu instid0(VALU_DEP_1) | instskip(NEXT) | instid1(VALU_DEP_1)
	v_fma_f32 v38, -v38, v41, v40
	v_div_fmas_f32 v38, v38, v39, v41
	s_delay_alu instid0(VALU_DEP_1)
	v_div_fixup_f32 v7, v38, v34, v7
.LBB52_55:
	s_or_b32 exec_lo, exec_lo, s11
	v_lshlrev_b32_e32 v34, 16, v35
	s_mov_b32 s11, exec_lo
	s_delay_alu instid0(VALU_DEP_1) | instskip(NEXT) | instid1(VALU_DEP_1)
	v_mul_f32_e32 v34, s13, v34
	v_cmpx_nlt_f32_e32 s14, v34
	s_cbranch_execz .LBB52_57
; %bb.56:
	v_mul_f32_e32 v38, 0x3fb8aa3b, v34
	v_cmp_ngt_f32_e32 vcc_lo, 0xc2ce8ed0, v34
	s_delay_alu instid0(VALU_DEP_2) | instskip(SKIP_1) | instid1(VALU_DEP_2)
	v_rndne_f32_e32 v39, v38
	v_fma_f32 v40, 0x3fb8aa3b, v34, -v38
	v_sub_f32_e32 v38, v38, v39
	s_delay_alu instid0(VALU_DEP_2) | instskip(SKIP_1) | instid1(VALU_DEP_2)
	v_fmamk_f32 v40, v34, 0x32a5705f, v40
	v_cvt_i32_f32_e32 v39, v39
	v_add_f32_e32 v38, v38, v40
	s_delay_alu instid0(VALU_DEP_1) | instskip(SKIP_1) | instid1(TRANS32_DEP_1)
	v_exp_f32_e32 v38, v38
	v_nop
	v_ldexp_f32 v38, v38, v39
	s_delay_alu instid0(VALU_DEP_1) | instskip(SKIP_1) | instid1(VALU_DEP_2)
	v_cndmask_b32_e32 v38, 0, v38, vcc_lo
	v_cmp_nlt_f32_e32 vcc_lo, 0x42b17218, v34
	v_cndmask_b32_e32 v34, 0x7f800000, v38, vcc_lo
	s_delay_alu instid0(VALU_DEP_1) | instskip(NEXT) | instid1(VALU_DEP_1)
	v_dual_mul_f32 v8, v8, v34 :: v_dual_add_f32 v34, 1.0, v34
	v_div_scale_f32 v38, null, v34, v34, v8
	s_delay_alu instid0(VALU_DEP_1) | instskip(SKIP_1) | instid1(TRANS32_DEP_1)
	v_rcp_f32_e32 v39, v38
	v_nop
	v_fma_f32 v40, -v38, v39, 1.0
	s_delay_alu instid0(VALU_DEP_1) | instskip(SKIP_1) | instid1(VALU_DEP_1)
	v_fmac_f32_e32 v39, v40, v39
	v_div_scale_f32 v40, vcc_lo, v8, v34, v8
	v_mul_f32_e32 v41, v40, v39
	s_delay_alu instid0(VALU_DEP_1) | instskip(NEXT) | instid1(VALU_DEP_1)
	v_fma_f32 v42, -v38, v41, v40
	v_fmac_f32_e32 v41, v42, v39
	s_delay_alu instid0(VALU_DEP_1) | instskip(NEXT) | instid1(VALU_DEP_1)
	v_fma_f32 v38, -v38, v41, v40
	v_div_fmas_f32 v38, v38, v39, v41
	s_delay_alu instid0(VALU_DEP_1)
	v_div_fixup_f32 v8, v38, v34, v8
.LBB52_57:
	s_or_b32 exec_lo, exec_lo, s11
	v_and_b32_e32 v34, 0xffff0000, v35
	s_mov_b32 s11, exec_lo
	s_delay_alu instid0(VALU_DEP_1) | instskip(NEXT) | instid1(VALU_DEP_1)
	v_mul_f32_e32 v34, s13, v34
	v_cmpx_nlt_f32_e32 s14, v34
	s_cbranch_execz .LBB52_59
; %bb.58:
	v_mul_f32_e32 v35, 0x3fb8aa3b, v34
	v_cmp_ngt_f32_e32 vcc_lo, 0xc2ce8ed0, v34
	s_delay_alu instid0(VALU_DEP_2) | instskip(SKIP_1) | instid1(VALU_DEP_2)
	v_rndne_f32_e32 v38, v35
	v_fma_f32 v39, 0x3fb8aa3b, v34, -v35
	v_sub_f32_e32 v35, v35, v38
	s_delay_alu instid0(VALU_DEP_2) | instskip(SKIP_1) | instid1(VALU_DEP_2)
	v_fmamk_f32 v39, v34, 0x32a5705f, v39
	v_cvt_i32_f32_e32 v38, v38
	v_add_f32_e32 v35, v35, v39
	s_delay_alu instid0(VALU_DEP_1) | instskip(SKIP_1) | instid1(TRANS32_DEP_1)
	v_exp_f32_e32 v35, v35
	v_nop
	v_ldexp_f32 v35, v35, v38
	s_delay_alu instid0(VALU_DEP_1) | instskip(SKIP_1) | instid1(VALU_DEP_2)
	v_cndmask_b32_e32 v35, 0, v35, vcc_lo
	v_cmp_nlt_f32_e32 vcc_lo, 0x42b17218, v34
	v_cndmask_b32_e32 v34, 0x7f800000, v35, vcc_lo
	s_delay_alu instid0(VALU_DEP_1) | instskip(NEXT) | instid1(VALU_DEP_1)
	v_dual_mul_f32 v9, v9, v34 :: v_dual_add_f32 v34, 1.0, v34
	v_div_scale_f32 v35, null, v34, v34, v9
	s_delay_alu instid0(VALU_DEP_1) | instskip(SKIP_1) | instid1(TRANS32_DEP_1)
	v_rcp_f32_e32 v38, v35
	v_nop
	v_fma_f32 v39, -v35, v38, 1.0
	s_delay_alu instid0(VALU_DEP_1) | instskip(SKIP_1) | instid1(VALU_DEP_1)
	v_fmac_f32_e32 v38, v39, v38
	v_div_scale_f32 v39, vcc_lo, v9, v34, v9
	v_mul_f32_e32 v40, v39, v38
	s_delay_alu instid0(VALU_DEP_1) | instskip(NEXT) | instid1(VALU_DEP_1)
	v_fma_f32 v41, -v35, v40, v39
	v_fmac_f32_e32 v40, v41, v38
	s_delay_alu instid0(VALU_DEP_1) | instskip(NEXT) | instid1(VALU_DEP_1)
	v_fma_f32 v35, -v35, v40, v39
	v_div_fmas_f32 v35, v35, v38, v40
	s_delay_alu instid0(VALU_DEP_1)
	v_div_fixup_f32 v9, v35, v34, v9
.LBB52_59:
	s_or_b32 exec_lo, exec_lo, s11
	v_lshlrev_b32_e32 v34, 16, v36
	s_mov_b32 s11, exec_lo
	s_delay_alu instid0(VALU_DEP_1) | instskip(NEXT) | instid1(VALU_DEP_1)
	v_mul_f32_e32 v34, s13, v34
	v_cmpx_nlt_f32_e32 s14, v34
	s_cbranch_execz .LBB52_61
; %bb.60:
	v_mul_f32_e32 v35, 0x3fb8aa3b, v34
	v_cmp_ngt_f32_e32 vcc_lo, 0xc2ce8ed0, v34
	s_delay_alu instid0(VALU_DEP_2) | instskip(SKIP_1) | instid1(VALU_DEP_2)
	v_rndne_f32_e32 v38, v35
	v_fma_f32 v39, 0x3fb8aa3b, v34, -v35
	v_sub_f32_e32 v35, v35, v38
	s_delay_alu instid0(VALU_DEP_2) | instskip(SKIP_1) | instid1(VALU_DEP_2)
	v_fmamk_f32 v39, v34, 0x32a5705f, v39
	v_cvt_i32_f32_e32 v38, v38
	v_add_f32_e32 v35, v35, v39
	s_delay_alu instid0(VALU_DEP_1) | instskip(SKIP_1) | instid1(TRANS32_DEP_1)
	v_exp_f32_e32 v35, v35
	v_nop
	v_ldexp_f32 v35, v35, v38
	s_delay_alu instid0(VALU_DEP_1) | instskip(SKIP_1) | instid1(VALU_DEP_2)
	v_cndmask_b32_e32 v35, 0, v35, vcc_lo
	v_cmp_nlt_f32_e32 vcc_lo, 0x42b17218, v34
	v_cndmask_b32_e32 v34, 0x7f800000, v35, vcc_lo
	s_delay_alu instid0(VALU_DEP_1) | instskip(NEXT) | instid1(VALU_DEP_1)
	v_dual_mul_f32 v2, v2, v34 :: v_dual_add_f32 v34, 1.0, v34
	v_div_scale_f32 v35, null, v34, v34, v2
	s_delay_alu instid0(VALU_DEP_1) | instskip(SKIP_1) | instid1(TRANS32_DEP_1)
	v_rcp_f32_e32 v38, v35
	v_nop
	v_fma_f32 v39, -v35, v38, 1.0
	s_delay_alu instid0(VALU_DEP_1) | instskip(SKIP_1) | instid1(VALU_DEP_1)
	v_fmac_f32_e32 v38, v39, v38
	v_div_scale_f32 v39, vcc_lo, v2, v34, v2
	v_mul_f32_e32 v40, v39, v38
	s_delay_alu instid0(VALU_DEP_1) | instskip(NEXT) | instid1(VALU_DEP_1)
	v_fma_f32 v41, -v35, v40, v39
	v_fmac_f32_e32 v40, v41, v38
	s_delay_alu instid0(VALU_DEP_1) | instskip(NEXT) | instid1(VALU_DEP_1)
	v_fma_f32 v35, -v35, v40, v39
	v_div_fmas_f32 v35, v35, v38, v40
	s_delay_alu instid0(VALU_DEP_1)
	v_div_fixup_f32 v2, v35, v34, v2
.LBB52_61:
	s_or_b32 exec_lo, exec_lo, s11
	v_and_b32_e32 v34, 0xffff0000, v36
	s_mov_b32 s11, exec_lo
	s_delay_alu instid0(VALU_DEP_1) | instskip(NEXT) | instid1(VALU_DEP_1)
	v_mul_f32_e32 v34, s13, v34
	v_cmpx_nlt_f32_e32 s14, v34
	s_cbranch_execz .LBB52_63
; %bb.62:
	v_mul_f32_e32 v35, 0x3fb8aa3b, v34
	v_cmp_ngt_f32_e32 vcc_lo, 0xc2ce8ed0, v34
	s_delay_alu instid0(VALU_DEP_2) | instskip(SKIP_1) | instid1(VALU_DEP_1)
	v_rndne_f32_e32 v36, v35
	v_fma_f32 v38, 0x3fb8aa3b, v34, -v35
	v_dual_sub_f32 v35, v35, v36 :: v_dual_fmamk_f32 v38, v34, 0x32a5705f, v38
	v_cvt_i32_f32_e32 v36, v36
	s_delay_alu instid0(VALU_DEP_2) | instskip(NEXT) | instid1(VALU_DEP_1)
	v_add_f32_e32 v35, v35, v38
	v_exp_f32_e32 v35, v35
	v_nop
	s_delay_alu instid0(TRANS32_DEP_1) | instskip(NEXT) | instid1(VALU_DEP_1)
	v_ldexp_f32 v35, v35, v36
	v_cndmask_b32_e32 v35, 0, v35, vcc_lo
	v_cmp_nlt_f32_e32 vcc_lo, 0x42b17218, v34
	s_delay_alu instid0(VALU_DEP_2) | instskip(NEXT) | instid1(VALU_DEP_1)
	v_cndmask_b32_e32 v34, 0x7f800000, v35, vcc_lo
	v_dual_mul_f32 v3, v3, v34 :: v_dual_add_f32 v34, 1.0, v34
	s_delay_alu instid0(VALU_DEP_1) | instskip(NEXT) | instid1(VALU_DEP_1)
	v_div_scale_f32 v35, null, v34, v34, v3
	v_rcp_f32_e32 v36, v35
	v_nop
	s_delay_alu instid0(TRANS32_DEP_1) | instskip(NEXT) | instid1(VALU_DEP_1)
	v_fma_f32 v38, -v35, v36, 1.0
	v_fmac_f32_e32 v36, v38, v36
	v_div_scale_f32 v38, vcc_lo, v3, v34, v3
	s_delay_alu instid0(VALU_DEP_1) | instskip(NEXT) | instid1(VALU_DEP_1)
	v_mul_f32_e32 v39, v38, v36
	v_fma_f32 v40, -v35, v39, v38
	s_delay_alu instid0(VALU_DEP_1) | instskip(NEXT) | instid1(VALU_DEP_1)
	v_fmac_f32_e32 v39, v40, v36
	v_fma_f32 v35, -v35, v39, v38
	s_delay_alu instid0(VALU_DEP_1) | instskip(NEXT) | instid1(VALU_DEP_1)
	v_div_fmas_f32 v35, v35, v36, v39
	v_div_fixup_f32 v3, v35, v34, v3
.LBB52_63:
	s_or_b32 exec_lo, exec_lo, s11
	v_lshlrev_b32_e32 v34, 16, v37
	s_mov_b32 s11, exec_lo
	s_delay_alu instid0(VALU_DEP_1) | instskip(NEXT) | instid1(VALU_DEP_1)
	v_mul_f32_e32 v34, s13, v34
	v_cmpx_nlt_f32_e32 s14, v34
	s_cbranch_execz .LBB52_65
; %bb.64:
	v_mul_f32_e32 v35, 0x3fb8aa3b, v34
	v_cmp_ngt_f32_e32 vcc_lo, 0xc2ce8ed0, v34
	s_delay_alu instid0(VALU_DEP_2) | instskip(SKIP_1) | instid1(VALU_DEP_1)
	v_rndne_f32_e32 v36, v35
	v_fma_f32 v38, 0x3fb8aa3b, v34, -v35
	v_dual_sub_f32 v35, v35, v36 :: v_dual_fmamk_f32 v38, v34, 0x32a5705f, v38
	v_cvt_i32_f32_e32 v36, v36
	s_delay_alu instid0(VALU_DEP_2) | instskip(NEXT) | instid1(VALU_DEP_1)
	v_add_f32_e32 v35, v35, v38
	v_exp_f32_e32 v35, v35
	v_nop
	s_delay_alu instid0(TRANS32_DEP_1) | instskip(NEXT) | instid1(VALU_DEP_1)
	v_ldexp_f32 v35, v35, v36
	v_cndmask_b32_e32 v35, 0, v35, vcc_lo
	v_cmp_nlt_f32_e32 vcc_lo, 0x42b17218, v34
	s_delay_alu instid0(VALU_DEP_2) | instskip(NEXT) | instid1(VALU_DEP_1)
	v_cndmask_b32_e32 v34, 0x7f800000, v35, vcc_lo
	v_dual_mul_f32 v4, v4, v34 :: v_dual_add_f32 v34, 1.0, v34
	s_delay_alu instid0(VALU_DEP_1) | instskip(NEXT) | instid1(VALU_DEP_1)
	v_div_scale_f32 v35, null, v34, v34, v4
	v_rcp_f32_e32 v36, v35
	v_nop
	s_delay_alu instid0(TRANS32_DEP_1) | instskip(NEXT) | instid1(VALU_DEP_1)
	v_fma_f32 v38, -v35, v36, 1.0
	v_fmac_f32_e32 v36, v38, v36
	v_div_scale_f32 v38, vcc_lo, v4, v34, v4
	s_delay_alu instid0(VALU_DEP_1) | instskip(NEXT) | instid1(VALU_DEP_1)
	v_mul_f32_e32 v39, v38, v36
	v_fma_f32 v40, -v35, v39, v38
	s_delay_alu instid0(VALU_DEP_1) | instskip(NEXT) | instid1(VALU_DEP_1)
	v_fmac_f32_e32 v39, v40, v36
	v_fma_f32 v35, -v35, v39, v38
	s_delay_alu instid0(VALU_DEP_1) | instskip(NEXT) | instid1(VALU_DEP_1)
	v_div_fmas_f32 v35, v35, v36, v39
	v_div_fixup_f32 v4, v35, v34, v4
.LBB52_65:
	s_or_b32 exec_lo, exec_lo, s11
	v_and_b32_e32 v34, 0xffff0000, v37
	s_mov_b32 s11, exec_lo
	s_delay_alu instid0(VALU_DEP_1) | instskip(NEXT) | instid1(VALU_DEP_1)
	v_mul_f32_e32 v34, s13, v34
	v_cmpx_nlt_f32_e32 s14, v34
	s_cbranch_execz .LBB52_67
; %bb.66:
	v_mul_f32_e32 v35, 0x3fb8aa3b, v34
	v_cmp_ngt_f32_e32 vcc_lo, 0xc2ce8ed0, v34
	s_delay_alu instid0(VALU_DEP_2) | instskip(SKIP_1) | instid1(VALU_DEP_2)
	v_rndne_f32_e32 v36, v35
	v_fma_f32 v37, 0x3fb8aa3b, v34, -v35
	v_sub_f32_e32 v35, v35, v36
	s_delay_alu instid0(VALU_DEP_2) | instskip(SKIP_1) | instid1(VALU_DEP_2)
	v_fmamk_f32 v37, v34, 0x32a5705f, v37
	v_cvt_i32_f32_e32 v36, v36
	v_add_f32_e32 v35, v35, v37
	s_delay_alu instid0(VALU_DEP_1) | instskip(SKIP_1) | instid1(TRANS32_DEP_1)
	v_exp_f32_e32 v35, v35
	v_nop
	v_ldexp_f32 v35, v35, v36
	s_delay_alu instid0(VALU_DEP_1) | instskip(SKIP_1) | instid1(VALU_DEP_2)
	v_cndmask_b32_e32 v35, 0, v35, vcc_lo
	v_cmp_nlt_f32_e32 vcc_lo, 0x42b17218, v34
	v_cndmask_b32_e32 v34, 0x7f800000, v35, vcc_lo
	s_delay_alu instid0(VALU_DEP_1) | instskip(NEXT) | instid1(VALU_DEP_1)
	v_dual_mul_f32 v5, v5, v34 :: v_dual_add_f32 v34, 1.0, v34
	v_div_scale_f32 v35, null, v34, v34, v5
	s_delay_alu instid0(VALU_DEP_1) | instskip(SKIP_1) | instid1(TRANS32_DEP_1)
	v_rcp_f32_e32 v36, v35
	v_nop
	v_fma_f32 v37, -v35, v36, 1.0
	s_delay_alu instid0(VALU_DEP_1) | instskip(SKIP_1) | instid1(VALU_DEP_1)
	v_fmac_f32_e32 v36, v37, v36
	v_div_scale_f32 v37, vcc_lo, v5, v34, v5
	v_mul_f32_e32 v38, v37, v36
	s_delay_alu instid0(VALU_DEP_1) | instskip(NEXT) | instid1(VALU_DEP_1)
	v_fma_f32 v39, -v35, v38, v37
	v_fmac_f32_e32 v38, v39, v36
	s_delay_alu instid0(VALU_DEP_1) | instskip(NEXT) | instid1(VALU_DEP_1)
	v_fma_f32 v35, -v35, v38, v37
	v_div_fmas_f32 v35, v35, v36, v38
	s_delay_alu instid0(VALU_DEP_1)
	v_div_fixup_f32 v5, v35, v34, v5
.LBB52_67:
	s_or_b32 exec_lo, exec_lo, s11
	s_add_nc_u64 s[16:17], s[4:5], s[8:9]
	s_clause 0x7
	global_store_b128 v1, v[30:33], s[16:17]
	global_store_b128 v1, v[26:29], s[16:17] offset:16
	global_store_b128 v1, v[22:25], s[16:17] offset:16384
	;; [unrolled: 1-line block ×7, first 2 shown]
	s_branch .LBB52_2
.LBB52_68:
	s_clause 0x1
	s_load_b32 s11, s[0:1], 0x2c
	s_load_b128 s[16:19], s[0:1], 0x30
	v_dual_mov_b32 v31, v0 :: v_dual_mov_b32 v0, s13
	v_dual_mov_b32 v1, s14 :: v_dual_mov_b32 v2, s4
	;; [unrolled: 1-line block ×5, first 2 shown]
	s_add_nc_u64 s[8:9], s[0:1], 64
	s_wait_xcnt 0x0
	s_get_pc_i64 s[0:1]
	s_add_nc_u64 s[0:1], s[0:1], _ZN2at6native25elementwise_kernel_helperILb1EZZZNS0_12_GLOBAL__N_124softplus_backward_kernelERNS_18TensorIteratorBaseERKN3c106ScalarES8_ENKUlvE_clEvENKUlvE0_clEvEUlffE_NS0_6memory8policies11unroll_baseILi512ESt5arrayIPcLm3EE23TrivialOffsetCalculatorILi2EjESI_ILi1EjENSC_12LoadWithCastILi2EEENSC_13StoreWithCastILi1EEELi32ELi1EEEEEvT0_T1_@rel64+4
	s_wait_kmcnt 0x0
	s_bfe_u32 s12, s11, 0x80008
	v_dual_mov_b32 v9, s11 :: v_dual_mov_b32 v11, s16
	v_dual_mov_b32 v12, s17 :: v_dual_mov_b32 v13, s18
	;; [unrolled: 1-line block ×3, first 2 shown]
	s_swap_pc_i64 s[30:31], s[0:1]
	s_endpgm
	.section	.rodata,"a",@progbits
	.p2align	6, 0x0
	.amdhsa_kernel _ZN2at6native39vectorized_templated_elementwise_kernelILi8EZZZNS0_12_GLOBAL__N_124softplus_backward_kernelERNS_18TensorIteratorBaseERKN3c106ScalarES8_ENKUlvE_clEvENKUlvE0_clEvEUlffE_St5arrayIPcLm3EE23TrivialOffsetCalculatorILi2EjESF_ILi1EjENS0_6memory12LoadWithCastILi2EEENSI_13StoreWithCastILi1EEEfJfNS5_8BFloat16EEEEviT0_T1_T2_T3_T4_T5_
		.amdhsa_group_segment_fixed_size 0
		.amdhsa_private_segment_fixed_size 272
		.amdhsa_kernarg_size 320
		.amdhsa_user_sgpr_count 2
		.amdhsa_user_sgpr_dispatch_ptr 0
		.amdhsa_user_sgpr_queue_ptr 0
		.amdhsa_user_sgpr_kernarg_segment_ptr 1
		.amdhsa_user_sgpr_dispatch_id 0
		.amdhsa_user_sgpr_kernarg_preload_length 0
		.amdhsa_user_sgpr_kernarg_preload_offset 0
		.amdhsa_user_sgpr_private_segment_size 0
		.amdhsa_wavefront_size32 1
		.amdhsa_uses_dynamic_stack 0
		.amdhsa_enable_private_segment 1
		.amdhsa_system_sgpr_workgroup_id_x 1
		.amdhsa_system_sgpr_workgroup_id_y 0
		.amdhsa_system_sgpr_workgroup_id_z 0
		.amdhsa_system_sgpr_workgroup_info 0
		.amdhsa_system_vgpr_workitem_id 0
		.amdhsa_next_free_vgpr 132
		.amdhsa_next_free_sgpr 96
		.amdhsa_named_barrier_count 0
		.amdhsa_reserve_vcc 1
		.amdhsa_float_round_mode_32 0
		.amdhsa_float_round_mode_16_64 0
		.amdhsa_float_denorm_mode_32 3
		.amdhsa_float_denorm_mode_16_64 3
		.amdhsa_fp16_overflow 0
		.amdhsa_memory_ordered 1
		.amdhsa_forward_progress 1
		.amdhsa_inst_pref_size 66
		.amdhsa_round_robin_scheduling 0
		.amdhsa_exception_fp_ieee_invalid_op 0
		.amdhsa_exception_fp_denorm_src 0
		.amdhsa_exception_fp_ieee_div_zero 0
		.amdhsa_exception_fp_ieee_overflow 0
		.amdhsa_exception_fp_ieee_underflow 0
		.amdhsa_exception_fp_ieee_inexact 0
		.amdhsa_exception_int_div_zero 0
	.end_amdhsa_kernel
	.section	.text._ZN2at6native39vectorized_templated_elementwise_kernelILi8EZZZNS0_12_GLOBAL__N_124softplus_backward_kernelERNS_18TensorIteratorBaseERKN3c106ScalarES8_ENKUlvE_clEvENKUlvE0_clEvEUlffE_St5arrayIPcLm3EE23TrivialOffsetCalculatorILi2EjESF_ILi1EjENS0_6memory12LoadWithCastILi2EEENSI_13StoreWithCastILi1EEEfJfNS5_8BFloat16EEEEviT0_T1_T2_T3_T4_T5_,"axG",@progbits,_ZN2at6native39vectorized_templated_elementwise_kernelILi8EZZZNS0_12_GLOBAL__N_124softplus_backward_kernelERNS_18TensorIteratorBaseERKN3c106ScalarES8_ENKUlvE_clEvENKUlvE0_clEvEUlffE_St5arrayIPcLm3EE23TrivialOffsetCalculatorILi2EjESF_ILi1EjENS0_6memory12LoadWithCastILi2EEENSI_13StoreWithCastILi1EEEfJfNS5_8BFloat16EEEEviT0_T1_T2_T3_T4_T5_,comdat
.Lfunc_end52:
	.size	_ZN2at6native39vectorized_templated_elementwise_kernelILi8EZZZNS0_12_GLOBAL__N_124softplus_backward_kernelERNS_18TensorIteratorBaseERKN3c106ScalarES8_ENKUlvE_clEvENKUlvE0_clEvEUlffE_St5arrayIPcLm3EE23TrivialOffsetCalculatorILi2EjESF_ILi1EjENS0_6memory12LoadWithCastILi2EEENSI_13StoreWithCastILi1EEEfJfNS5_8BFloat16EEEEviT0_T1_T2_T3_T4_T5_, .Lfunc_end52-_ZN2at6native39vectorized_templated_elementwise_kernelILi8EZZZNS0_12_GLOBAL__N_124softplus_backward_kernelERNS_18TensorIteratorBaseERKN3c106ScalarES8_ENKUlvE_clEvENKUlvE0_clEvEUlffE_St5arrayIPcLm3EE23TrivialOffsetCalculatorILi2EjESF_ILi1EjENS0_6memory12LoadWithCastILi2EEENSI_13StoreWithCastILi1EEEfJfNS5_8BFloat16EEEEviT0_T1_T2_T3_T4_T5_
                                        ; -- End function
	.set _ZN2at6native39vectorized_templated_elementwise_kernelILi8EZZZNS0_12_GLOBAL__N_124softplus_backward_kernelERNS_18TensorIteratorBaseERKN3c106ScalarES8_ENKUlvE_clEvENKUlvE0_clEvEUlffE_St5arrayIPcLm3EE23TrivialOffsetCalculatorILi2EjESF_ILi1EjENS0_6memory12LoadWithCastILi2EEENSI_13StoreWithCastILi1EEEfJfNS5_8BFloat16EEEEviT0_T1_T2_T3_T4_T5_.num_vgpr, max(56, .L_ZN2at6native25elementwise_kernel_helperILb1EZZZNS0_12_GLOBAL__N_124softplus_backward_kernelERNS_18TensorIteratorBaseERKN3c106ScalarES8_ENKUlvE_clEvENKUlvE0_clEvEUlffE_NS0_6memory8policies11unroll_baseILi512ESt5arrayIPcLm3EE23TrivialOffsetCalculatorILi2EjESI_ILi1EjENSC_12LoadWithCastILi2EEENSC_13StoreWithCastILi1EEELi32ELi1EEEEEvT0_T1_.num_vgpr)
	.set _ZN2at6native39vectorized_templated_elementwise_kernelILi8EZZZNS0_12_GLOBAL__N_124softplus_backward_kernelERNS_18TensorIteratorBaseERKN3c106ScalarES8_ENKUlvE_clEvENKUlvE0_clEvEUlffE_St5arrayIPcLm3EE23TrivialOffsetCalculatorILi2EjESF_ILi1EjENS0_6memory12LoadWithCastILi2EEENSI_13StoreWithCastILi1EEEfJfNS5_8BFloat16EEEEviT0_T1_T2_T3_T4_T5_.num_agpr, max(0, .L_ZN2at6native25elementwise_kernel_helperILb1EZZZNS0_12_GLOBAL__N_124softplus_backward_kernelERNS_18TensorIteratorBaseERKN3c106ScalarES8_ENKUlvE_clEvENKUlvE0_clEvEUlffE_NS0_6memory8policies11unroll_baseILi512ESt5arrayIPcLm3EE23TrivialOffsetCalculatorILi2EjESI_ILi1EjENSC_12LoadWithCastILi2EEENSC_13StoreWithCastILi1EEELi32ELi1EEEEEvT0_T1_.num_agpr)
	.set _ZN2at6native39vectorized_templated_elementwise_kernelILi8EZZZNS0_12_GLOBAL__N_124softplus_backward_kernelERNS_18TensorIteratorBaseERKN3c106ScalarES8_ENKUlvE_clEvENKUlvE0_clEvEUlffE_St5arrayIPcLm3EE23TrivialOffsetCalculatorILi2EjESF_ILi1EjENS0_6memory12LoadWithCastILi2EEENSI_13StoreWithCastILi1EEEfJfNS5_8BFloat16EEEEviT0_T1_T2_T3_T4_T5_.numbered_sgpr, max(33, .L_ZN2at6native25elementwise_kernel_helperILb1EZZZNS0_12_GLOBAL__N_124softplus_backward_kernelERNS_18TensorIteratorBaseERKN3c106ScalarES8_ENKUlvE_clEvENKUlvE0_clEvEUlffE_NS0_6memory8policies11unroll_baseILi512ESt5arrayIPcLm3EE23TrivialOffsetCalculatorILi2EjESI_ILi1EjENSC_12LoadWithCastILi2EEENSC_13StoreWithCastILi1EEELi32ELi1EEEEEvT0_T1_.numbered_sgpr)
	.set _ZN2at6native39vectorized_templated_elementwise_kernelILi8EZZZNS0_12_GLOBAL__N_124softplus_backward_kernelERNS_18TensorIteratorBaseERKN3c106ScalarES8_ENKUlvE_clEvENKUlvE0_clEvEUlffE_St5arrayIPcLm3EE23TrivialOffsetCalculatorILi2EjESF_ILi1EjENS0_6memory12LoadWithCastILi2EEENSI_13StoreWithCastILi1EEEfJfNS5_8BFloat16EEEEviT0_T1_T2_T3_T4_T5_.num_named_barrier, max(0, .L_ZN2at6native25elementwise_kernel_helperILb1EZZZNS0_12_GLOBAL__N_124softplus_backward_kernelERNS_18TensorIteratorBaseERKN3c106ScalarES8_ENKUlvE_clEvENKUlvE0_clEvEUlffE_NS0_6memory8policies11unroll_baseILi512ESt5arrayIPcLm3EE23TrivialOffsetCalculatorILi2EjESI_ILi1EjENSC_12LoadWithCastILi2EEENSC_13StoreWithCastILi1EEELi32ELi1EEEEEvT0_T1_.num_named_barrier)
	.set _ZN2at6native39vectorized_templated_elementwise_kernelILi8EZZZNS0_12_GLOBAL__N_124softplus_backward_kernelERNS_18TensorIteratorBaseERKN3c106ScalarES8_ENKUlvE_clEvENKUlvE0_clEvEUlffE_St5arrayIPcLm3EE23TrivialOffsetCalculatorILi2EjESF_ILi1EjENS0_6memory12LoadWithCastILi2EEENSI_13StoreWithCastILi1EEEfJfNS5_8BFloat16EEEEviT0_T1_T2_T3_T4_T5_.private_seg_size, 0+max(.L_ZN2at6native25elementwise_kernel_helperILb1EZZZNS0_12_GLOBAL__N_124softplus_backward_kernelERNS_18TensorIteratorBaseERKN3c106ScalarES8_ENKUlvE_clEvENKUlvE0_clEvEUlffE_NS0_6memory8policies11unroll_baseILi512ESt5arrayIPcLm3EE23TrivialOffsetCalculatorILi2EjESI_ILi1EjENSC_12LoadWithCastILi2EEENSC_13StoreWithCastILi1EEELi32ELi1EEEEEvT0_T1_.private_seg_size)
	.set _ZN2at6native39vectorized_templated_elementwise_kernelILi8EZZZNS0_12_GLOBAL__N_124softplus_backward_kernelERNS_18TensorIteratorBaseERKN3c106ScalarES8_ENKUlvE_clEvENKUlvE0_clEvEUlffE_St5arrayIPcLm3EE23TrivialOffsetCalculatorILi2EjESF_ILi1EjENS0_6memory12LoadWithCastILi2EEENSI_13StoreWithCastILi1EEEfJfNS5_8BFloat16EEEEviT0_T1_T2_T3_T4_T5_.uses_vcc, or(1, .L_ZN2at6native25elementwise_kernel_helperILb1EZZZNS0_12_GLOBAL__N_124softplus_backward_kernelERNS_18TensorIteratorBaseERKN3c106ScalarES8_ENKUlvE_clEvENKUlvE0_clEvEUlffE_NS0_6memory8policies11unroll_baseILi512ESt5arrayIPcLm3EE23TrivialOffsetCalculatorILi2EjESI_ILi1EjENSC_12LoadWithCastILi2EEENSC_13StoreWithCastILi1EEELi32ELi1EEEEEvT0_T1_.uses_vcc)
	.set _ZN2at6native39vectorized_templated_elementwise_kernelILi8EZZZNS0_12_GLOBAL__N_124softplus_backward_kernelERNS_18TensorIteratorBaseERKN3c106ScalarES8_ENKUlvE_clEvENKUlvE0_clEvEUlffE_St5arrayIPcLm3EE23TrivialOffsetCalculatorILi2EjESF_ILi1EjENS0_6memory12LoadWithCastILi2EEENSI_13StoreWithCastILi1EEEfJfNS5_8BFloat16EEEEviT0_T1_T2_T3_T4_T5_.uses_flat_scratch, or(0, .L_ZN2at6native25elementwise_kernel_helperILb1EZZZNS0_12_GLOBAL__N_124softplus_backward_kernelERNS_18TensorIteratorBaseERKN3c106ScalarES8_ENKUlvE_clEvENKUlvE0_clEvEUlffE_NS0_6memory8policies11unroll_baseILi512ESt5arrayIPcLm3EE23TrivialOffsetCalculatorILi2EjESI_ILi1EjENSC_12LoadWithCastILi2EEENSC_13StoreWithCastILi1EEELi32ELi1EEEEEvT0_T1_.uses_flat_scratch)
	.set _ZN2at6native39vectorized_templated_elementwise_kernelILi8EZZZNS0_12_GLOBAL__N_124softplus_backward_kernelERNS_18TensorIteratorBaseERKN3c106ScalarES8_ENKUlvE_clEvENKUlvE0_clEvEUlffE_St5arrayIPcLm3EE23TrivialOffsetCalculatorILi2EjESF_ILi1EjENS0_6memory12LoadWithCastILi2EEENSI_13StoreWithCastILi1EEEfJfNS5_8BFloat16EEEEviT0_T1_T2_T3_T4_T5_.has_dyn_sized_stack, or(0, .L_ZN2at6native25elementwise_kernel_helperILb1EZZZNS0_12_GLOBAL__N_124softplus_backward_kernelERNS_18TensorIteratorBaseERKN3c106ScalarES8_ENKUlvE_clEvENKUlvE0_clEvEUlffE_NS0_6memory8policies11unroll_baseILi512ESt5arrayIPcLm3EE23TrivialOffsetCalculatorILi2EjESI_ILi1EjENSC_12LoadWithCastILi2EEENSC_13StoreWithCastILi1EEELi32ELi1EEEEEvT0_T1_.has_dyn_sized_stack)
	.set _ZN2at6native39vectorized_templated_elementwise_kernelILi8EZZZNS0_12_GLOBAL__N_124softplus_backward_kernelERNS_18TensorIteratorBaseERKN3c106ScalarES8_ENKUlvE_clEvENKUlvE0_clEvEUlffE_St5arrayIPcLm3EE23TrivialOffsetCalculatorILi2EjESF_ILi1EjENS0_6memory12LoadWithCastILi2EEENSI_13StoreWithCastILi1EEEfJfNS5_8BFloat16EEEEviT0_T1_T2_T3_T4_T5_.has_recursion, or(0, .L_ZN2at6native25elementwise_kernel_helperILb1EZZZNS0_12_GLOBAL__N_124softplus_backward_kernelERNS_18TensorIteratorBaseERKN3c106ScalarES8_ENKUlvE_clEvENKUlvE0_clEvEUlffE_NS0_6memory8policies11unroll_baseILi512ESt5arrayIPcLm3EE23TrivialOffsetCalculatorILi2EjESI_ILi1EjENSC_12LoadWithCastILi2EEENSC_13StoreWithCastILi1EEELi32ELi1EEEEEvT0_T1_.has_recursion)
	.set _ZN2at6native39vectorized_templated_elementwise_kernelILi8EZZZNS0_12_GLOBAL__N_124softplus_backward_kernelERNS_18TensorIteratorBaseERKN3c106ScalarES8_ENKUlvE_clEvENKUlvE0_clEvEUlffE_St5arrayIPcLm3EE23TrivialOffsetCalculatorILi2EjESF_ILi1EjENS0_6memory12LoadWithCastILi2EEENSI_13StoreWithCastILi1EEEfJfNS5_8BFloat16EEEEviT0_T1_T2_T3_T4_T5_.has_indirect_call, or(0, .L_ZN2at6native25elementwise_kernel_helperILb1EZZZNS0_12_GLOBAL__N_124softplus_backward_kernelERNS_18TensorIteratorBaseERKN3c106ScalarES8_ENKUlvE_clEvENKUlvE0_clEvEUlffE_NS0_6memory8policies11unroll_baseILi512ESt5arrayIPcLm3EE23TrivialOffsetCalculatorILi2EjESI_ILi1EjENSC_12LoadWithCastILi2EEENSC_13StoreWithCastILi1EEELi32ELi1EEEEEvT0_T1_.has_indirect_call)
	.section	.AMDGPU.csdata,"",@progbits
; Kernel info:
; codeLenInByte = 8388
; TotalNumSgprs: 98
; NumVgprs: 132
; ScratchSize: 272
; MemoryBound: 0
; FloatMode: 240
; IeeeMode: 1
; LDSByteSize: 0 bytes/workgroup (compile time only)
; SGPRBlocks: 0
; VGPRBlocks: 8
; NumSGPRsForWavesPerEU: 98
; NumVGPRsForWavesPerEU: 132
; NamedBarCnt: 0
; Occupancy: 7
; WaveLimiterHint : 1
; COMPUTE_PGM_RSRC2:SCRATCH_EN: 1
; COMPUTE_PGM_RSRC2:USER_SGPR: 2
; COMPUTE_PGM_RSRC2:TRAP_HANDLER: 0
; COMPUTE_PGM_RSRC2:TGID_X_EN: 1
; COMPUTE_PGM_RSRC2:TGID_Y_EN: 0
; COMPUTE_PGM_RSRC2:TGID_Z_EN: 0
; COMPUTE_PGM_RSRC2:TIDIG_COMP_CNT: 0
	.section	.text._ZN2at6native39vectorized_templated_elementwise_kernelILi4EZZZNS0_12_GLOBAL__N_124softplus_backward_kernelERNS_18TensorIteratorBaseERKN3c106ScalarES8_ENKUlvE_clEvENKUlvE0_clEvEUlffE_St5arrayIPcLm3EE23TrivialOffsetCalculatorILi2EjESF_ILi1EjENS0_6memory12LoadWithCastILi2EEENSI_13StoreWithCastILi1EEEfJfNS5_8BFloat16EEEEviT0_T1_T2_T3_T4_T5_,"axG",@progbits,_ZN2at6native39vectorized_templated_elementwise_kernelILi4EZZZNS0_12_GLOBAL__N_124softplus_backward_kernelERNS_18TensorIteratorBaseERKN3c106ScalarES8_ENKUlvE_clEvENKUlvE0_clEvEUlffE_St5arrayIPcLm3EE23TrivialOffsetCalculatorILi2EjESF_ILi1EjENS0_6memory12LoadWithCastILi2EEENSI_13StoreWithCastILi1EEEfJfNS5_8BFloat16EEEEviT0_T1_T2_T3_T4_T5_,comdat
	.globl	_ZN2at6native39vectorized_templated_elementwise_kernelILi4EZZZNS0_12_GLOBAL__N_124softplus_backward_kernelERNS_18TensorIteratorBaseERKN3c106ScalarES8_ENKUlvE_clEvENKUlvE0_clEvEUlffE_St5arrayIPcLm3EE23TrivialOffsetCalculatorILi2EjESF_ILi1EjENS0_6memory12LoadWithCastILi2EEENSI_13StoreWithCastILi1EEEfJfNS5_8BFloat16EEEEviT0_T1_T2_T3_T4_T5_ ; -- Begin function _ZN2at6native39vectorized_templated_elementwise_kernelILi4EZZZNS0_12_GLOBAL__N_124softplus_backward_kernelERNS_18TensorIteratorBaseERKN3c106ScalarES8_ENKUlvE_clEvENKUlvE0_clEvEUlffE_St5arrayIPcLm3EE23TrivialOffsetCalculatorILi2EjESF_ILi1EjENS0_6memory12LoadWithCastILi2EEENSI_13StoreWithCastILi1EEEfJfNS5_8BFloat16EEEEviT0_T1_T2_T3_T4_T5_
	.p2align	8
	.type	_ZN2at6native39vectorized_templated_elementwise_kernelILi4EZZZNS0_12_GLOBAL__N_124softplus_backward_kernelERNS_18TensorIteratorBaseERKN3c106ScalarES8_ENKUlvE_clEvENKUlvE0_clEvEUlffE_St5arrayIPcLm3EE23TrivialOffsetCalculatorILi2EjESF_ILi1EjENS0_6memory12LoadWithCastILi2EEENSI_13StoreWithCastILi1EEEfJfNS5_8BFloat16EEEEviT0_T1_T2_T3_T4_T5_,@function
_ZN2at6native39vectorized_templated_elementwise_kernelILi4EZZZNS0_12_GLOBAL__N_124softplus_backward_kernelERNS_18TensorIteratorBaseERKN3c106ScalarES8_ENKUlvE_clEvENKUlvE0_clEvEUlffE_St5arrayIPcLm3EE23TrivialOffsetCalculatorILi2EjESF_ILi1EjENS0_6memory12LoadWithCastILi2EEENSI_13StoreWithCastILi1EEEfJfNS5_8BFloat16EEEEviT0_T1_T2_T3_T4_T5_: ; @_ZN2at6native39vectorized_templated_elementwise_kernelILi4EZZZNS0_12_GLOBAL__N_124softplus_backward_kernelERNS_18TensorIteratorBaseERKN3c106ScalarES8_ENKUlvE_clEvENKUlvE0_clEvEUlffE_St5arrayIPcLm3EE23TrivialOffsetCalculatorILi2EjESF_ILi1EjENS0_6memory12LoadWithCastILi2EEENSI_13StoreWithCastILi1EEEfJfNS5_8BFloat16EEEEviT0_T1_T2_T3_T4_T5_
; %bb.0:
	s_clause 0x2
	s_load_b32 s8, s[0:1], 0x40
	s_load_b96 s[12:14], s[0:1], 0x0
	s_load_b64 s[2:3], s[0:1], 0x20
	s_bfe_u32 s9, ttmp6, 0x4000c
	s_load_b128 s[4:7], s[0:1], 0x10
	s_add_co_i32 s9, s9, 1
	s_and_b32 s10, ttmp6, 15
	s_mul_i32 s9, ttmp9, s9
	s_getreg_b32 s11, hwreg(HW_REG_IB_STS2, 6, 4)
	s_add_co_i32 s10, s10, s9
	s_cmp_eq_u32 s11, 0
	s_mov_b32 s32, 0
	s_cselect_b32 s9, ttmp9, s10
	s_delay_alu instid0(SALU_CYCLE_1) | instskip(SKIP_4) | instid1(SALU_CYCLE_1)
	s_not_b32 s9, s9
	s_wait_kmcnt 0x0
	s_add_co_i32 s8, s8, s9
	s_mov_b32 s9, -1
	s_lshl_b32 s8, s8, 14
	s_sub_co_i32 s10, s12, s8
	s_delay_alu instid0(SALU_CYCLE_1)
	s_cmp_gt_i32 s10, 0x3fff
	s_cbranch_scc1 .LBB53_3
; %bb.1:
	s_and_b32 vcc_lo, exec_lo, s9
	s_cbranch_vccnz .LBB53_68
.LBB53_2:
	s_sendmsg sendmsg(MSG_DEALLOC_VGPRS)
	s_endpgm
.LBB53_3:
	s_ashr_i32 s9, s8, 31
	s_mov_b32 s11, exec_lo
	s_lshl_b64 s[16:17], s[8:9], 1
	s_lshl_b64 s[8:9], s[8:9], 2
	s_add_nc_u64 s[16:17], s[2:3], s[16:17]
	s_add_nc_u64 s[18:19], s[6:7], s[8:9]
	s_clause 0xf
	global_load_b64 v[48:49], v0, s[16:17] scale_offset
	global_load_b128 v[30:33], v0, s[18:19] scale_offset
	global_load_b128 v[26:29], v0, s[18:19] offset:8192 scale_offset
	global_load_b128 v[22:25], v0, s[18:19] offset:16384 scale_offset
	;; [unrolled: 1-line block ×7, first 2 shown]
	global_load_b64 v[46:47], v0, s[16:17] offset:4096 scale_offset
	global_load_b64 v[44:45], v0, s[16:17] offset:8192 scale_offset
	;; [unrolled: 1-line block ×6, first 2 shown]
	; meta instruction
	global_load_b64 v[34:35], v0, s[16:17] offset:28672 scale_offset
	s_wait_loadcnt 0xf
	v_lshlrev_b32_e32 v1, 16, v48
	s_delay_alu instid0(VALU_DEP_1) | instskip(SKIP_1) | instid1(VALU_DEP_1)
	v_mul_f32_e32 v1, s13, v1
	s_wait_xcnt 0x0
	v_cmpx_nlt_f32_e32 s14, v1
	s_cbranch_execz .LBB53_5
; %bb.4:
	v_mul_f32_e32 v50, 0x3fb8aa3b, v1
	v_cmp_ngt_f32_e32 vcc_lo, 0xc2ce8ed0, v1
	s_delay_alu instid0(VALU_DEP_2) | instskip(SKIP_1) | instid1(VALU_DEP_2)
	v_rndne_f32_e32 v51, v50
	v_fma_f32 v52, 0x3fb8aa3b, v1, -v50
	v_sub_f32_e32 v50, v50, v51
	s_delay_alu instid0(VALU_DEP_2) | instskip(SKIP_1) | instid1(VALU_DEP_2)
	v_fmamk_f32 v52, v1, 0x32a5705f, v52
	v_cvt_i32_f32_e32 v51, v51
	v_add_f32_e32 v50, v50, v52
	s_delay_alu instid0(VALU_DEP_1) | instskip(SKIP_1) | instid1(TRANS32_DEP_1)
	v_exp_f32_e32 v50, v50
	v_nop
	v_ldexp_f32 v50, v50, v51
	s_delay_alu instid0(VALU_DEP_1) | instskip(SKIP_1) | instid1(VALU_DEP_2)
	v_cndmask_b32_e32 v50, 0, v50, vcc_lo
	v_cmp_nlt_f32_e32 vcc_lo, 0x42b17218, v1
	v_cndmask_b32_e32 v1, 0x7f800000, v50, vcc_lo
	s_wait_loadcnt 0xe
	s_delay_alu instid0(VALU_DEP_1) | instskip(NEXT) | instid1(VALU_DEP_1)
	v_dual_mul_f32 v30, v30, v1 :: v_dual_add_f32 v1, 1.0, v1
	v_div_scale_f32 v50, null, v1, v1, v30
	s_delay_alu instid0(VALU_DEP_1) | instskip(SKIP_1) | instid1(TRANS32_DEP_1)
	v_rcp_f32_e32 v51, v50
	v_nop
	v_fma_f32 v52, -v50, v51, 1.0
	s_delay_alu instid0(VALU_DEP_1) | instskip(SKIP_1) | instid1(VALU_DEP_1)
	v_fmac_f32_e32 v51, v52, v51
	v_div_scale_f32 v52, vcc_lo, v30, v1, v30
	v_mul_f32_e32 v53, v52, v51
	s_delay_alu instid0(VALU_DEP_1) | instskip(NEXT) | instid1(VALU_DEP_1)
	v_fma_f32 v54, -v50, v53, v52
	v_fmac_f32_e32 v53, v54, v51
	s_delay_alu instid0(VALU_DEP_1) | instskip(NEXT) | instid1(VALU_DEP_1)
	v_fma_f32 v50, -v50, v53, v52
	v_div_fmas_f32 v50, v50, v51, v53
	s_delay_alu instid0(VALU_DEP_1)
	v_div_fixup_f32 v30, v50, v1, v30
.LBB53_5:
	s_or_b32 exec_lo, exec_lo, s11
	v_and_b32_e32 v1, 0xffff0000, v48
	s_mov_b32 s11, exec_lo
	s_delay_alu instid0(VALU_DEP_1) | instskip(NEXT) | instid1(VALU_DEP_1)
	v_mul_f32_e32 v1, s13, v1
	v_cmpx_nlt_f32_e32 s14, v1
	s_cbranch_execz .LBB53_7
; %bb.6:
	v_mul_f32_e32 v48, 0x3fb8aa3b, v1
	v_cmp_ngt_f32_e32 vcc_lo, 0xc2ce8ed0, v1
	s_delay_alu instid0(VALU_DEP_2) | instskip(SKIP_1) | instid1(VALU_DEP_1)
	v_rndne_f32_e32 v50, v48
	v_fma_f32 v51, 0x3fb8aa3b, v1, -v48
	v_dual_sub_f32 v48, v48, v50 :: v_dual_fmamk_f32 v51, v1, 0x32a5705f, v51
	v_cvt_i32_f32_e32 v50, v50
	s_delay_alu instid0(VALU_DEP_2) | instskip(NEXT) | instid1(VALU_DEP_1)
	v_add_f32_e32 v48, v48, v51
	v_exp_f32_e32 v48, v48
	v_nop
	s_delay_alu instid0(TRANS32_DEP_1) | instskip(NEXT) | instid1(VALU_DEP_1)
	v_ldexp_f32 v48, v48, v50
	v_cndmask_b32_e32 v48, 0, v48, vcc_lo
	v_cmp_nlt_f32_e32 vcc_lo, 0x42b17218, v1
	s_delay_alu instid0(VALU_DEP_2) | instskip(SKIP_1) | instid1(VALU_DEP_1)
	v_cndmask_b32_e32 v1, 0x7f800000, v48, vcc_lo
	s_wait_loadcnt 0xe
	v_dual_mul_f32 v31, v31, v1 :: v_dual_add_f32 v1, 1.0, v1
	s_delay_alu instid0(VALU_DEP_1) | instskip(NEXT) | instid1(VALU_DEP_1)
	v_div_scale_f32 v48, null, v1, v1, v31
	v_rcp_f32_e32 v50, v48
	v_nop
	s_delay_alu instid0(TRANS32_DEP_1) | instskip(NEXT) | instid1(VALU_DEP_1)
	v_fma_f32 v51, -v48, v50, 1.0
	v_fmac_f32_e32 v50, v51, v50
	v_div_scale_f32 v51, vcc_lo, v31, v1, v31
	s_delay_alu instid0(VALU_DEP_1) | instskip(NEXT) | instid1(VALU_DEP_1)
	v_mul_f32_e32 v52, v51, v50
	v_fma_f32 v53, -v48, v52, v51
	s_delay_alu instid0(VALU_DEP_1) | instskip(NEXT) | instid1(VALU_DEP_1)
	v_fmac_f32_e32 v52, v53, v50
	v_fma_f32 v48, -v48, v52, v51
	s_delay_alu instid0(VALU_DEP_1) | instskip(NEXT) | instid1(VALU_DEP_1)
	v_div_fmas_f32 v48, v48, v50, v52
	v_div_fixup_f32 v31, v48, v1, v31
.LBB53_7:
	s_or_b32 exec_lo, exec_lo, s11
	v_lshlrev_b32_e32 v1, 16, v49
	s_mov_b32 s11, exec_lo
	s_delay_alu instid0(VALU_DEP_1) | instskip(NEXT) | instid1(VALU_DEP_1)
	v_mul_f32_e32 v1, s13, v1
	v_cmpx_nlt_f32_e32 s14, v1
	s_cbranch_execz .LBB53_9
; %bb.8:
	v_mul_f32_e32 v48, 0x3fb8aa3b, v1
	v_cmp_ngt_f32_e32 vcc_lo, 0xc2ce8ed0, v1
	s_delay_alu instid0(VALU_DEP_2) | instskip(SKIP_1) | instid1(VALU_DEP_1)
	v_rndne_f32_e32 v50, v48
	v_fma_f32 v51, 0x3fb8aa3b, v1, -v48
	v_dual_sub_f32 v48, v48, v50 :: v_dual_fmamk_f32 v51, v1, 0x32a5705f, v51
	v_cvt_i32_f32_e32 v50, v50
	s_delay_alu instid0(VALU_DEP_2) | instskip(NEXT) | instid1(VALU_DEP_1)
	v_add_f32_e32 v48, v48, v51
	v_exp_f32_e32 v48, v48
	v_nop
	s_delay_alu instid0(TRANS32_DEP_1) | instskip(NEXT) | instid1(VALU_DEP_1)
	v_ldexp_f32 v48, v48, v50
	v_cndmask_b32_e32 v48, 0, v48, vcc_lo
	v_cmp_nlt_f32_e32 vcc_lo, 0x42b17218, v1
	s_delay_alu instid0(VALU_DEP_2) | instskip(SKIP_1) | instid1(VALU_DEP_1)
	v_cndmask_b32_e32 v1, 0x7f800000, v48, vcc_lo
	s_wait_loadcnt 0xe
	v_dual_mul_f32 v32, v32, v1 :: v_dual_add_f32 v1, 1.0, v1
	s_delay_alu instid0(VALU_DEP_1) | instskip(NEXT) | instid1(VALU_DEP_1)
	v_div_scale_f32 v48, null, v1, v1, v32
	v_rcp_f32_e32 v50, v48
	v_nop
	s_delay_alu instid0(TRANS32_DEP_1) | instskip(NEXT) | instid1(VALU_DEP_1)
	v_fma_f32 v51, -v48, v50, 1.0
	v_fmac_f32_e32 v50, v51, v50
	v_div_scale_f32 v51, vcc_lo, v32, v1, v32
	s_delay_alu instid0(VALU_DEP_1) | instskip(NEXT) | instid1(VALU_DEP_1)
	v_mul_f32_e32 v52, v51, v50
	v_fma_f32 v53, -v48, v52, v51
	s_delay_alu instid0(VALU_DEP_1) | instskip(NEXT) | instid1(VALU_DEP_1)
	v_fmac_f32_e32 v52, v53, v50
	v_fma_f32 v48, -v48, v52, v51
	s_delay_alu instid0(VALU_DEP_1) | instskip(NEXT) | instid1(VALU_DEP_1)
	v_div_fmas_f32 v48, v48, v50, v52
	v_div_fixup_f32 v32, v48, v1, v32
.LBB53_9:
	s_or_b32 exec_lo, exec_lo, s11
	v_and_b32_e32 v1, 0xffff0000, v49
	s_mov_b32 s11, exec_lo
	s_delay_alu instid0(VALU_DEP_1) | instskip(NEXT) | instid1(VALU_DEP_1)
	v_mul_f32_e32 v1, s13, v1
	v_cmpx_nlt_f32_e32 s14, v1
	s_cbranch_execz .LBB53_11
; %bb.10:
	v_mul_f32_e32 v48, 0x3fb8aa3b, v1
	v_cmp_ngt_f32_e32 vcc_lo, 0xc2ce8ed0, v1
	s_delay_alu instid0(VALU_DEP_2) | instskip(SKIP_1) | instid1(VALU_DEP_2)
	v_rndne_f32_e32 v49, v48
	v_fma_f32 v50, 0x3fb8aa3b, v1, -v48
	v_sub_f32_e32 v48, v48, v49
	s_delay_alu instid0(VALU_DEP_2) | instskip(SKIP_1) | instid1(VALU_DEP_2)
	v_fmamk_f32 v50, v1, 0x32a5705f, v50
	v_cvt_i32_f32_e32 v49, v49
	v_add_f32_e32 v48, v48, v50
	s_delay_alu instid0(VALU_DEP_1) | instskip(SKIP_1) | instid1(TRANS32_DEP_1)
	v_exp_f32_e32 v48, v48
	v_nop
	v_ldexp_f32 v48, v48, v49
	s_delay_alu instid0(VALU_DEP_1) | instskip(SKIP_1) | instid1(VALU_DEP_2)
	v_cndmask_b32_e32 v48, 0, v48, vcc_lo
	v_cmp_nlt_f32_e32 vcc_lo, 0x42b17218, v1
	v_cndmask_b32_e32 v1, 0x7f800000, v48, vcc_lo
	s_wait_loadcnt 0xe
	s_delay_alu instid0(VALU_DEP_1) | instskip(NEXT) | instid1(VALU_DEP_1)
	v_dual_mul_f32 v33, v33, v1 :: v_dual_add_f32 v1, 1.0, v1
	v_div_scale_f32 v48, null, v1, v1, v33
	s_delay_alu instid0(VALU_DEP_1) | instskip(SKIP_1) | instid1(TRANS32_DEP_1)
	v_rcp_f32_e32 v49, v48
	v_nop
	v_fma_f32 v50, -v48, v49, 1.0
	s_delay_alu instid0(VALU_DEP_1) | instskip(SKIP_1) | instid1(VALU_DEP_1)
	v_fmac_f32_e32 v49, v50, v49
	v_div_scale_f32 v50, vcc_lo, v33, v1, v33
	v_mul_f32_e32 v51, v50, v49
	s_delay_alu instid0(VALU_DEP_1) | instskip(NEXT) | instid1(VALU_DEP_1)
	v_fma_f32 v52, -v48, v51, v50
	v_fmac_f32_e32 v51, v52, v49
	s_delay_alu instid0(VALU_DEP_1) | instskip(NEXT) | instid1(VALU_DEP_1)
	v_fma_f32 v48, -v48, v51, v50
	v_div_fmas_f32 v48, v48, v49, v51
	s_delay_alu instid0(VALU_DEP_1)
	v_div_fixup_f32 v33, v48, v1, v33
.LBB53_11:
	s_or_b32 exec_lo, exec_lo, s11
	s_wait_loadcnt 0x6
	v_lshlrev_b32_e32 v1, 16, v46
	s_mov_b32 s11, exec_lo
	s_delay_alu instid0(VALU_DEP_1) | instskip(NEXT) | instid1(VALU_DEP_1)
	v_mul_f32_e32 v1, s13, v1
	v_cmpx_nlt_f32_e32 s14, v1
	s_cbranch_execz .LBB53_13
; %bb.12:
	v_mul_f32_e32 v48, 0x3fb8aa3b, v1
	v_cmp_ngt_f32_e32 vcc_lo, 0xc2ce8ed0, v1
	s_delay_alu instid0(VALU_DEP_2) | instskip(SKIP_1) | instid1(VALU_DEP_2)
	v_rndne_f32_e32 v49, v48
	v_fma_f32 v50, 0x3fb8aa3b, v1, -v48
	v_sub_f32_e32 v48, v48, v49
	s_delay_alu instid0(VALU_DEP_2) | instskip(SKIP_1) | instid1(VALU_DEP_2)
	v_fmamk_f32 v50, v1, 0x32a5705f, v50
	v_cvt_i32_f32_e32 v49, v49
	v_add_f32_e32 v48, v48, v50
	s_delay_alu instid0(VALU_DEP_1) | instskip(SKIP_1) | instid1(TRANS32_DEP_1)
	v_exp_f32_e32 v48, v48
	v_nop
	v_ldexp_f32 v48, v48, v49
	s_delay_alu instid0(VALU_DEP_1) | instskip(SKIP_1) | instid1(VALU_DEP_2)
	v_cndmask_b32_e32 v48, 0, v48, vcc_lo
	v_cmp_nlt_f32_e32 vcc_lo, 0x42b17218, v1
	v_cndmask_b32_e32 v1, 0x7f800000, v48, vcc_lo
	s_delay_alu instid0(VALU_DEP_1) | instskip(NEXT) | instid1(VALU_DEP_1)
	v_dual_mul_f32 v26, v26, v1 :: v_dual_add_f32 v1, 1.0, v1
	v_div_scale_f32 v48, null, v1, v1, v26
	s_delay_alu instid0(VALU_DEP_1) | instskip(SKIP_1) | instid1(TRANS32_DEP_1)
	v_rcp_f32_e32 v49, v48
	v_nop
	v_fma_f32 v50, -v48, v49, 1.0
	s_delay_alu instid0(VALU_DEP_1) | instskip(SKIP_1) | instid1(VALU_DEP_1)
	v_fmac_f32_e32 v49, v50, v49
	v_div_scale_f32 v50, vcc_lo, v26, v1, v26
	v_mul_f32_e32 v51, v50, v49
	s_delay_alu instid0(VALU_DEP_1) | instskip(NEXT) | instid1(VALU_DEP_1)
	v_fma_f32 v52, -v48, v51, v50
	v_fmac_f32_e32 v51, v52, v49
	s_delay_alu instid0(VALU_DEP_1) | instskip(NEXT) | instid1(VALU_DEP_1)
	v_fma_f32 v48, -v48, v51, v50
	v_div_fmas_f32 v48, v48, v49, v51
	s_delay_alu instid0(VALU_DEP_1)
	v_div_fixup_f32 v26, v48, v1, v26
.LBB53_13:
	s_or_b32 exec_lo, exec_lo, s11
	v_and_b32_e32 v1, 0xffff0000, v46
	s_mov_b32 s11, exec_lo
	s_delay_alu instid0(VALU_DEP_1) | instskip(NEXT) | instid1(VALU_DEP_1)
	v_mul_f32_e32 v1, s13, v1
	v_cmpx_nlt_f32_e32 s14, v1
	s_cbranch_execz .LBB53_15
; %bb.14:
	v_mul_f32_e32 v46, 0x3fb8aa3b, v1
	v_cmp_ngt_f32_e32 vcc_lo, 0xc2ce8ed0, v1
	s_delay_alu instid0(VALU_DEP_2) | instskip(SKIP_1) | instid1(VALU_DEP_1)
	v_rndne_f32_e32 v48, v46
	v_fma_f32 v49, 0x3fb8aa3b, v1, -v46
	v_dual_sub_f32 v46, v46, v48 :: v_dual_fmamk_f32 v49, v1, 0x32a5705f, v49
	v_cvt_i32_f32_e32 v48, v48
	s_delay_alu instid0(VALU_DEP_2) | instskip(NEXT) | instid1(VALU_DEP_1)
	v_add_f32_e32 v46, v46, v49
	v_exp_f32_e32 v46, v46
	v_nop
	s_delay_alu instid0(TRANS32_DEP_1) | instskip(NEXT) | instid1(VALU_DEP_1)
	v_ldexp_f32 v46, v46, v48
	v_cndmask_b32_e32 v46, 0, v46, vcc_lo
	v_cmp_nlt_f32_e32 vcc_lo, 0x42b17218, v1
	s_delay_alu instid0(VALU_DEP_2) | instskip(NEXT) | instid1(VALU_DEP_1)
	v_cndmask_b32_e32 v1, 0x7f800000, v46, vcc_lo
	v_dual_mul_f32 v27, v27, v1 :: v_dual_add_f32 v1, 1.0, v1
	s_delay_alu instid0(VALU_DEP_1) | instskip(NEXT) | instid1(VALU_DEP_1)
	v_div_scale_f32 v46, null, v1, v1, v27
	v_rcp_f32_e32 v48, v46
	v_nop
	s_delay_alu instid0(TRANS32_DEP_1) | instskip(NEXT) | instid1(VALU_DEP_1)
	v_fma_f32 v49, -v46, v48, 1.0
	v_fmac_f32_e32 v48, v49, v48
	v_div_scale_f32 v49, vcc_lo, v27, v1, v27
	s_delay_alu instid0(VALU_DEP_1) | instskip(NEXT) | instid1(VALU_DEP_1)
	v_mul_f32_e32 v50, v49, v48
	v_fma_f32 v51, -v46, v50, v49
	s_delay_alu instid0(VALU_DEP_1) | instskip(NEXT) | instid1(VALU_DEP_1)
	v_fmac_f32_e32 v50, v51, v48
	v_fma_f32 v46, -v46, v50, v49
	s_delay_alu instid0(VALU_DEP_1) | instskip(NEXT) | instid1(VALU_DEP_1)
	v_div_fmas_f32 v46, v46, v48, v50
	v_div_fixup_f32 v27, v46, v1, v27
.LBB53_15:
	s_or_b32 exec_lo, exec_lo, s11
	v_lshlrev_b32_e32 v1, 16, v47
	s_mov_b32 s11, exec_lo
	s_delay_alu instid0(VALU_DEP_1) | instskip(NEXT) | instid1(VALU_DEP_1)
	v_mul_f32_e32 v1, s13, v1
	v_cmpx_nlt_f32_e32 s14, v1
	s_cbranch_execz .LBB53_17
; %bb.16:
	v_mul_f32_e32 v46, 0x3fb8aa3b, v1
	v_cmp_ngt_f32_e32 vcc_lo, 0xc2ce8ed0, v1
	s_delay_alu instid0(VALU_DEP_2) | instskip(SKIP_1) | instid1(VALU_DEP_1)
	v_rndne_f32_e32 v48, v46
	v_fma_f32 v49, 0x3fb8aa3b, v1, -v46
	v_dual_sub_f32 v46, v46, v48 :: v_dual_fmamk_f32 v49, v1, 0x32a5705f, v49
	v_cvt_i32_f32_e32 v48, v48
	s_delay_alu instid0(VALU_DEP_2) | instskip(NEXT) | instid1(VALU_DEP_1)
	v_add_f32_e32 v46, v46, v49
	v_exp_f32_e32 v46, v46
	v_nop
	s_delay_alu instid0(TRANS32_DEP_1) | instskip(NEXT) | instid1(VALU_DEP_1)
	v_ldexp_f32 v46, v46, v48
	v_cndmask_b32_e32 v46, 0, v46, vcc_lo
	v_cmp_nlt_f32_e32 vcc_lo, 0x42b17218, v1
	s_delay_alu instid0(VALU_DEP_2) | instskip(NEXT) | instid1(VALU_DEP_1)
	v_cndmask_b32_e32 v1, 0x7f800000, v46, vcc_lo
	v_dual_mul_f32 v28, v28, v1 :: v_dual_add_f32 v1, 1.0, v1
	s_delay_alu instid0(VALU_DEP_1) | instskip(NEXT) | instid1(VALU_DEP_1)
	v_div_scale_f32 v46, null, v1, v1, v28
	v_rcp_f32_e32 v48, v46
	v_nop
	s_delay_alu instid0(TRANS32_DEP_1) | instskip(NEXT) | instid1(VALU_DEP_1)
	v_fma_f32 v49, -v46, v48, 1.0
	v_fmac_f32_e32 v48, v49, v48
	v_div_scale_f32 v49, vcc_lo, v28, v1, v28
	s_delay_alu instid0(VALU_DEP_1) | instskip(NEXT) | instid1(VALU_DEP_1)
	v_mul_f32_e32 v50, v49, v48
	v_fma_f32 v51, -v46, v50, v49
	s_delay_alu instid0(VALU_DEP_1) | instskip(NEXT) | instid1(VALU_DEP_1)
	v_fmac_f32_e32 v50, v51, v48
	v_fma_f32 v46, -v46, v50, v49
	s_delay_alu instid0(VALU_DEP_1) | instskip(NEXT) | instid1(VALU_DEP_1)
	v_div_fmas_f32 v46, v46, v48, v50
	v_div_fixup_f32 v28, v46, v1, v28
.LBB53_17:
	s_or_b32 exec_lo, exec_lo, s11
	v_and_b32_e32 v1, 0xffff0000, v47
	s_mov_b32 s11, exec_lo
	s_delay_alu instid0(VALU_DEP_1) | instskip(NEXT) | instid1(VALU_DEP_1)
	v_mul_f32_e32 v1, s13, v1
	v_cmpx_nlt_f32_e32 s14, v1
	s_cbranch_execz .LBB53_19
; %bb.18:
	v_mul_f32_e32 v46, 0x3fb8aa3b, v1
	v_cmp_ngt_f32_e32 vcc_lo, 0xc2ce8ed0, v1
	s_delay_alu instid0(VALU_DEP_2) | instskip(SKIP_1) | instid1(VALU_DEP_2)
	v_rndne_f32_e32 v47, v46
	v_fma_f32 v48, 0x3fb8aa3b, v1, -v46
	v_sub_f32_e32 v46, v46, v47
	s_delay_alu instid0(VALU_DEP_2) | instskip(SKIP_1) | instid1(VALU_DEP_2)
	v_fmamk_f32 v48, v1, 0x32a5705f, v48
	v_cvt_i32_f32_e32 v47, v47
	v_add_f32_e32 v46, v46, v48
	s_delay_alu instid0(VALU_DEP_1) | instskip(SKIP_1) | instid1(TRANS32_DEP_1)
	v_exp_f32_e32 v46, v46
	v_nop
	v_ldexp_f32 v46, v46, v47
	s_delay_alu instid0(VALU_DEP_1) | instskip(SKIP_1) | instid1(VALU_DEP_2)
	v_cndmask_b32_e32 v46, 0, v46, vcc_lo
	v_cmp_nlt_f32_e32 vcc_lo, 0x42b17218, v1
	v_cndmask_b32_e32 v1, 0x7f800000, v46, vcc_lo
	s_delay_alu instid0(VALU_DEP_1) | instskip(NEXT) | instid1(VALU_DEP_1)
	v_dual_mul_f32 v29, v29, v1 :: v_dual_add_f32 v1, 1.0, v1
	v_div_scale_f32 v46, null, v1, v1, v29
	s_delay_alu instid0(VALU_DEP_1) | instskip(SKIP_1) | instid1(TRANS32_DEP_1)
	v_rcp_f32_e32 v47, v46
	v_nop
	v_fma_f32 v48, -v46, v47, 1.0
	s_delay_alu instid0(VALU_DEP_1) | instskip(SKIP_1) | instid1(VALU_DEP_1)
	v_fmac_f32_e32 v47, v48, v47
	v_div_scale_f32 v48, vcc_lo, v29, v1, v29
	v_mul_f32_e32 v49, v48, v47
	s_delay_alu instid0(VALU_DEP_1) | instskip(NEXT) | instid1(VALU_DEP_1)
	v_fma_f32 v50, -v46, v49, v48
	v_fmac_f32_e32 v49, v50, v47
	s_delay_alu instid0(VALU_DEP_1) | instskip(NEXT) | instid1(VALU_DEP_1)
	v_fma_f32 v46, -v46, v49, v48
	v_div_fmas_f32 v46, v46, v47, v49
	s_delay_alu instid0(VALU_DEP_1)
	v_div_fixup_f32 v29, v46, v1, v29
.LBB53_19:
	s_or_b32 exec_lo, exec_lo, s11
	s_wait_loadcnt 0x5
	v_lshlrev_b32_e32 v1, 16, v44
	s_mov_b32 s11, exec_lo
	s_delay_alu instid0(VALU_DEP_1) | instskip(NEXT) | instid1(VALU_DEP_1)
	v_mul_f32_e32 v1, s13, v1
	v_cmpx_nlt_f32_e32 s14, v1
	s_cbranch_execz .LBB53_21
; %bb.20:
	v_mul_f32_e32 v46, 0x3fb8aa3b, v1
	v_cmp_ngt_f32_e32 vcc_lo, 0xc2ce8ed0, v1
	s_delay_alu instid0(VALU_DEP_2) | instskip(SKIP_1) | instid1(VALU_DEP_2)
	v_rndne_f32_e32 v47, v46
	v_fma_f32 v48, 0x3fb8aa3b, v1, -v46
	v_sub_f32_e32 v46, v46, v47
	s_delay_alu instid0(VALU_DEP_2) | instskip(SKIP_1) | instid1(VALU_DEP_2)
	v_fmamk_f32 v48, v1, 0x32a5705f, v48
	v_cvt_i32_f32_e32 v47, v47
	v_add_f32_e32 v46, v46, v48
	s_delay_alu instid0(VALU_DEP_1) | instskip(SKIP_1) | instid1(TRANS32_DEP_1)
	v_exp_f32_e32 v46, v46
	v_nop
	v_ldexp_f32 v46, v46, v47
	s_delay_alu instid0(VALU_DEP_1) | instskip(SKIP_1) | instid1(VALU_DEP_2)
	v_cndmask_b32_e32 v46, 0, v46, vcc_lo
	v_cmp_nlt_f32_e32 vcc_lo, 0x42b17218, v1
	v_cndmask_b32_e32 v1, 0x7f800000, v46, vcc_lo
	s_delay_alu instid0(VALU_DEP_1) | instskip(NEXT) | instid1(VALU_DEP_1)
	v_dual_mul_f32 v22, v22, v1 :: v_dual_add_f32 v1, 1.0, v1
	v_div_scale_f32 v46, null, v1, v1, v22
	s_delay_alu instid0(VALU_DEP_1) | instskip(SKIP_1) | instid1(TRANS32_DEP_1)
	v_rcp_f32_e32 v47, v46
	v_nop
	v_fma_f32 v48, -v46, v47, 1.0
	s_delay_alu instid0(VALU_DEP_1) | instskip(SKIP_1) | instid1(VALU_DEP_1)
	v_fmac_f32_e32 v47, v48, v47
	v_div_scale_f32 v48, vcc_lo, v22, v1, v22
	v_mul_f32_e32 v49, v48, v47
	s_delay_alu instid0(VALU_DEP_1) | instskip(NEXT) | instid1(VALU_DEP_1)
	v_fma_f32 v50, -v46, v49, v48
	v_fmac_f32_e32 v49, v50, v47
	s_delay_alu instid0(VALU_DEP_1) | instskip(NEXT) | instid1(VALU_DEP_1)
	v_fma_f32 v46, -v46, v49, v48
	v_div_fmas_f32 v46, v46, v47, v49
	s_delay_alu instid0(VALU_DEP_1)
	v_div_fixup_f32 v22, v46, v1, v22
.LBB53_21:
	s_or_b32 exec_lo, exec_lo, s11
	v_and_b32_e32 v1, 0xffff0000, v44
	s_mov_b32 s11, exec_lo
	s_delay_alu instid0(VALU_DEP_1) | instskip(NEXT) | instid1(VALU_DEP_1)
	v_mul_f32_e32 v1, s13, v1
	v_cmpx_nlt_f32_e32 s14, v1
	s_cbranch_execz .LBB53_23
; %bb.22:
	v_mul_f32_e32 v44, 0x3fb8aa3b, v1
	v_cmp_ngt_f32_e32 vcc_lo, 0xc2ce8ed0, v1
	s_delay_alu instid0(VALU_DEP_2) | instskip(SKIP_1) | instid1(VALU_DEP_1)
	v_rndne_f32_e32 v46, v44
	v_fma_f32 v47, 0x3fb8aa3b, v1, -v44
	v_dual_sub_f32 v44, v44, v46 :: v_dual_fmamk_f32 v47, v1, 0x32a5705f, v47
	v_cvt_i32_f32_e32 v46, v46
	s_delay_alu instid0(VALU_DEP_2) | instskip(NEXT) | instid1(VALU_DEP_1)
	v_add_f32_e32 v44, v44, v47
	v_exp_f32_e32 v44, v44
	v_nop
	s_delay_alu instid0(TRANS32_DEP_1) | instskip(NEXT) | instid1(VALU_DEP_1)
	v_ldexp_f32 v44, v44, v46
	v_cndmask_b32_e32 v44, 0, v44, vcc_lo
	v_cmp_nlt_f32_e32 vcc_lo, 0x42b17218, v1
	s_delay_alu instid0(VALU_DEP_2) | instskip(NEXT) | instid1(VALU_DEP_1)
	v_cndmask_b32_e32 v1, 0x7f800000, v44, vcc_lo
	v_dual_mul_f32 v23, v23, v1 :: v_dual_add_f32 v1, 1.0, v1
	s_delay_alu instid0(VALU_DEP_1) | instskip(NEXT) | instid1(VALU_DEP_1)
	v_div_scale_f32 v44, null, v1, v1, v23
	v_rcp_f32_e32 v46, v44
	v_nop
	s_delay_alu instid0(TRANS32_DEP_1) | instskip(NEXT) | instid1(VALU_DEP_1)
	v_fma_f32 v47, -v44, v46, 1.0
	v_fmac_f32_e32 v46, v47, v46
	v_div_scale_f32 v47, vcc_lo, v23, v1, v23
	s_delay_alu instid0(VALU_DEP_1) | instskip(NEXT) | instid1(VALU_DEP_1)
	v_mul_f32_e32 v48, v47, v46
	v_fma_f32 v49, -v44, v48, v47
	s_delay_alu instid0(VALU_DEP_1) | instskip(NEXT) | instid1(VALU_DEP_1)
	v_fmac_f32_e32 v48, v49, v46
	v_fma_f32 v44, -v44, v48, v47
	s_delay_alu instid0(VALU_DEP_1) | instskip(NEXT) | instid1(VALU_DEP_1)
	v_div_fmas_f32 v44, v44, v46, v48
	v_div_fixup_f32 v23, v44, v1, v23
.LBB53_23:
	s_or_b32 exec_lo, exec_lo, s11
	v_lshlrev_b32_e32 v1, 16, v45
	s_mov_b32 s11, exec_lo
	s_delay_alu instid0(VALU_DEP_1) | instskip(NEXT) | instid1(VALU_DEP_1)
	v_mul_f32_e32 v1, s13, v1
	v_cmpx_nlt_f32_e32 s14, v1
	s_cbranch_execz .LBB53_25
; %bb.24:
	v_mul_f32_e32 v44, 0x3fb8aa3b, v1
	v_cmp_ngt_f32_e32 vcc_lo, 0xc2ce8ed0, v1
	s_delay_alu instid0(VALU_DEP_2) | instskip(SKIP_1) | instid1(VALU_DEP_1)
	v_rndne_f32_e32 v46, v44
	v_fma_f32 v47, 0x3fb8aa3b, v1, -v44
	v_dual_sub_f32 v44, v44, v46 :: v_dual_fmamk_f32 v47, v1, 0x32a5705f, v47
	v_cvt_i32_f32_e32 v46, v46
	s_delay_alu instid0(VALU_DEP_2) | instskip(NEXT) | instid1(VALU_DEP_1)
	v_add_f32_e32 v44, v44, v47
	v_exp_f32_e32 v44, v44
	v_nop
	s_delay_alu instid0(TRANS32_DEP_1) | instskip(NEXT) | instid1(VALU_DEP_1)
	v_ldexp_f32 v44, v44, v46
	v_cndmask_b32_e32 v44, 0, v44, vcc_lo
	v_cmp_nlt_f32_e32 vcc_lo, 0x42b17218, v1
	s_delay_alu instid0(VALU_DEP_2) | instskip(NEXT) | instid1(VALU_DEP_1)
	v_cndmask_b32_e32 v1, 0x7f800000, v44, vcc_lo
	v_dual_mul_f32 v24, v24, v1 :: v_dual_add_f32 v1, 1.0, v1
	s_delay_alu instid0(VALU_DEP_1) | instskip(NEXT) | instid1(VALU_DEP_1)
	v_div_scale_f32 v44, null, v1, v1, v24
	v_rcp_f32_e32 v46, v44
	v_nop
	s_delay_alu instid0(TRANS32_DEP_1) | instskip(NEXT) | instid1(VALU_DEP_1)
	v_fma_f32 v47, -v44, v46, 1.0
	v_fmac_f32_e32 v46, v47, v46
	v_div_scale_f32 v47, vcc_lo, v24, v1, v24
	s_delay_alu instid0(VALU_DEP_1) | instskip(NEXT) | instid1(VALU_DEP_1)
	v_mul_f32_e32 v48, v47, v46
	v_fma_f32 v49, -v44, v48, v47
	s_delay_alu instid0(VALU_DEP_1) | instskip(NEXT) | instid1(VALU_DEP_1)
	v_fmac_f32_e32 v48, v49, v46
	v_fma_f32 v44, -v44, v48, v47
	s_delay_alu instid0(VALU_DEP_1) | instskip(NEXT) | instid1(VALU_DEP_1)
	v_div_fmas_f32 v44, v44, v46, v48
	v_div_fixup_f32 v24, v44, v1, v24
.LBB53_25:
	s_or_b32 exec_lo, exec_lo, s11
	v_and_b32_e32 v1, 0xffff0000, v45
	s_mov_b32 s11, exec_lo
	s_delay_alu instid0(VALU_DEP_1) | instskip(NEXT) | instid1(VALU_DEP_1)
	v_mul_f32_e32 v1, s13, v1
	v_cmpx_nlt_f32_e32 s14, v1
	s_cbranch_execz .LBB53_27
; %bb.26:
	v_mul_f32_e32 v44, 0x3fb8aa3b, v1
	v_cmp_ngt_f32_e32 vcc_lo, 0xc2ce8ed0, v1
	s_delay_alu instid0(VALU_DEP_2) | instskip(SKIP_1) | instid1(VALU_DEP_2)
	v_rndne_f32_e32 v45, v44
	v_fma_f32 v46, 0x3fb8aa3b, v1, -v44
	v_sub_f32_e32 v44, v44, v45
	s_delay_alu instid0(VALU_DEP_2) | instskip(SKIP_1) | instid1(VALU_DEP_2)
	v_fmamk_f32 v46, v1, 0x32a5705f, v46
	v_cvt_i32_f32_e32 v45, v45
	v_add_f32_e32 v44, v44, v46
	s_delay_alu instid0(VALU_DEP_1) | instskip(SKIP_1) | instid1(TRANS32_DEP_1)
	v_exp_f32_e32 v44, v44
	v_nop
	v_ldexp_f32 v44, v44, v45
	s_delay_alu instid0(VALU_DEP_1) | instskip(SKIP_1) | instid1(VALU_DEP_2)
	v_cndmask_b32_e32 v44, 0, v44, vcc_lo
	v_cmp_nlt_f32_e32 vcc_lo, 0x42b17218, v1
	v_cndmask_b32_e32 v1, 0x7f800000, v44, vcc_lo
	s_delay_alu instid0(VALU_DEP_1) | instskip(NEXT) | instid1(VALU_DEP_1)
	v_dual_mul_f32 v25, v25, v1 :: v_dual_add_f32 v1, 1.0, v1
	v_div_scale_f32 v44, null, v1, v1, v25
	s_delay_alu instid0(VALU_DEP_1) | instskip(SKIP_1) | instid1(TRANS32_DEP_1)
	v_rcp_f32_e32 v45, v44
	v_nop
	v_fma_f32 v46, -v44, v45, 1.0
	s_delay_alu instid0(VALU_DEP_1) | instskip(SKIP_1) | instid1(VALU_DEP_1)
	v_fmac_f32_e32 v45, v46, v45
	v_div_scale_f32 v46, vcc_lo, v25, v1, v25
	v_mul_f32_e32 v47, v46, v45
	s_delay_alu instid0(VALU_DEP_1) | instskip(NEXT) | instid1(VALU_DEP_1)
	v_fma_f32 v48, -v44, v47, v46
	v_fmac_f32_e32 v47, v48, v45
	s_delay_alu instid0(VALU_DEP_1) | instskip(NEXT) | instid1(VALU_DEP_1)
	v_fma_f32 v44, -v44, v47, v46
	v_div_fmas_f32 v44, v44, v45, v47
	s_delay_alu instid0(VALU_DEP_1)
	v_div_fixup_f32 v25, v44, v1, v25
.LBB53_27:
	s_or_b32 exec_lo, exec_lo, s11
	s_wait_loadcnt 0x4
	v_lshlrev_b32_e32 v1, 16, v42
	s_mov_b32 s11, exec_lo
	s_delay_alu instid0(VALU_DEP_1) | instskip(NEXT) | instid1(VALU_DEP_1)
	v_mul_f32_e32 v1, s13, v1
	v_cmpx_nlt_f32_e32 s14, v1
	s_cbranch_execz .LBB53_29
; %bb.28:
	v_mul_f32_e32 v44, 0x3fb8aa3b, v1
	v_cmp_ngt_f32_e32 vcc_lo, 0xc2ce8ed0, v1
	s_delay_alu instid0(VALU_DEP_2) | instskip(SKIP_1) | instid1(VALU_DEP_2)
	v_rndne_f32_e32 v45, v44
	v_fma_f32 v46, 0x3fb8aa3b, v1, -v44
	v_sub_f32_e32 v44, v44, v45
	s_delay_alu instid0(VALU_DEP_2) | instskip(SKIP_1) | instid1(VALU_DEP_2)
	v_fmamk_f32 v46, v1, 0x32a5705f, v46
	v_cvt_i32_f32_e32 v45, v45
	v_add_f32_e32 v44, v44, v46
	s_delay_alu instid0(VALU_DEP_1) | instskip(SKIP_1) | instid1(TRANS32_DEP_1)
	v_exp_f32_e32 v44, v44
	v_nop
	v_ldexp_f32 v44, v44, v45
	s_delay_alu instid0(VALU_DEP_1) | instskip(SKIP_1) | instid1(VALU_DEP_2)
	v_cndmask_b32_e32 v44, 0, v44, vcc_lo
	v_cmp_nlt_f32_e32 vcc_lo, 0x42b17218, v1
	v_cndmask_b32_e32 v1, 0x7f800000, v44, vcc_lo
	s_delay_alu instid0(VALU_DEP_1) | instskip(NEXT) | instid1(VALU_DEP_1)
	v_dual_mul_f32 v18, v18, v1 :: v_dual_add_f32 v1, 1.0, v1
	v_div_scale_f32 v44, null, v1, v1, v18
	s_delay_alu instid0(VALU_DEP_1) | instskip(SKIP_1) | instid1(TRANS32_DEP_1)
	v_rcp_f32_e32 v45, v44
	v_nop
	v_fma_f32 v46, -v44, v45, 1.0
	s_delay_alu instid0(VALU_DEP_1) | instskip(SKIP_1) | instid1(VALU_DEP_1)
	v_fmac_f32_e32 v45, v46, v45
	v_div_scale_f32 v46, vcc_lo, v18, v1, v18
	v_mul_f32_e32 v47, v46, v45
	s_delay_alu instid0(VALU_DEP_1) | instskip(NEXT) | instid1(VALU_DEP_1)
	v_fma_f32 v48, -v44, v47, v46
	v_fmac_f32_e32 v47, v48, v45
	s_delay_alu instid0(VALU_DEP_1) | instskip(NEXT) | instid1(VALU_DEP_1)
	v_fma_f32 v44, -v44, v47, v46
	v_div_fmas_f32 v44, v44, v45, v47
	s_delay_alu instid0(VALU_DEP_1)
	v_div_fixup_f32 v18, v44, v1, v18
.LBB53_29:
	s_or_b32 exec_lo, exec_lo, s11
	v_and_b32_e32 v1, 0xffff0000, v42
	s_mov_b32 s11, exec_lo
	s_delay_alu instid0(VALU_DEP_1) | instskip(NEXT) | instid1(VALU_DEP_1)
	v_mul_f32_e32 v1, s13, v1
	v_cmpx_nlt_f32_e32 s14, v1
	s_cbranch_execz .LBB53_31
; %bb.30:
	v_mul_f32_e32 v42, 0x3fb8aa3b, v1
	v_cmp_ngt_f32_e32 vcc_lo, 0xc2ce8ed0, v1
	s_delay_alu instid0(VALU_DEP_2) | instskip(SKIP_1) | instid1(VALU_DEP_1)
	v_rndne_f32_e32 v44, v42
	v_fma_f32 v45, 0x3fb8aa3b, v1, -v42
	v_dual_sub_f32 v42, v42, v44 :: v_dual_fmamk_f32 v45, v1, 0x32a5705f, v45
	v_cvt_i32_f32_e32 v44, v44
	s_delay_alu instid0(VALU_DEP_2) | instskip(NEXT) | instid1(VALU_DEP_1)
	v_add_f32_e32 v42, v42, v45
	v_exp_f32_e32 v42, v42
	v_nop
	s_delay_alu instid0(TRANS32_DEP_1) | instskip(NEXT) | instid1(VALU_DEP_1)
	v_ldexp_f32 v42, v42, v44
	v_cndmask_b32_e32 v42, 0, v42, vcc_lo
	v_cmp_nlt_f32_e32 vcc_lo, 0x42b17218, v1
	s_delay_alu instid0(VALU_DEP_2) | instskip(NEXT) | instid1(VALU_DEP_1)
	v_cndmask_b32_e32 v1, 0x7f800000, v42, vcc_lo
	v_dual_mul_f32 v19, v19, v1 :: v_dual_add_f32 v1, 1.0, v1
	s_delay_alu instid0(VALU_DEP_1) | instskip(NEXT) | instid1(VALU_DEP_1)
	v_div_scale_f32 v42, null, v1, v1, v19
	v_rcp_f32_e32 v44, v42
	v_nop
	s_delay_alu instid0(TRANS32_DEP_1) | instskip(NEXT) | instid1(VALU_DEP_1)
	v_fma_f32 v45, -v42, v44, 1.0
	v_fmac_f32_e32 v44, v45, v44
	v_div_scale_f32 v45, vcc_lo, v19, v1, v19
	s_delay_alu instid0(VALU_DEP_1) | instskip(NEXT) | instid1(VALU_DEP_1)
	v_mul_f32_e32 v46, v45, v44
	v_fma_f32 v47, -v42, v46, v45
	s_delay_alu instid0(VALU_DEP_1) | instskip(NEXT) | instid1(VALU_DEP_1)
	v_fmac_f32_e32 v46, v47, v44
	v_fma_f32 v42, -v42, v46, v45
	s_delay_alu instid0(VALU_DEP_1) | instskip(NEXT) | instid1(VALU_DEP_1)
	v_div_fmas_f32 v42, v42, v44, v46
	v_div_fixup_f32 v19, v42, v1, v19
.LBB53_31:
	s_or_b32 exec_lo, exec_lo, s11
	v_lshlrev_b32_e32 v1, 16, v43
	s_mov_b32 s11, exec_lo
	s_delay_alu instid0(VALU_DEP_1) | instskip(NEXT) | instid1(VALU_DEP_1)
	v_mul_f32_e32 v1, s13, v1
	v_cmpx_nlt_f32_e32 s14, v1
	s_cbranch_execz .LBB53_33
; %bb.32:
	v_mul_f32_e32 v42, 0x3fb8aa3b, v1
	v_cmp_ngt_f32_e32 vcc_lo, 0xc2ce8ed0, v1
	s_delay_alu instid0(VALU_DEP_2) | instskip(SKIP_1) | instid1(VALU_DEP_1)
	v_rndne_f32_e32 v44, v42
	v_fma_f32 v45, 0x3fb8aa3b, v1, -v42
	v_dual_sub_f32 v42, v42, v44 :: v_dual_fmamk_f32 v45, v1, 0x32a5705f, v45
	v_cvt_i32_f32_e32 v44, v44
	s_delay_alu instid0(VALU_DEP_2) | instskip(NEXT) | instid1(VALU_DEP_1)
	v_add_f32_e32 v42, v42, v45
	v_exp_f32_e32 v42, v42
	v_nop
	s_delay_alu instid0(TRANS32_DEP_1) | instskip(NEXT) | instid1(VALU_DEP_1)
	v_ldexp_f32 v42, v42, v44
	v_cndmask_b32_e32 v42, 0, v42, vcc_lo
	v_cmp_nlt_f32_e32 vcc_lo, 0x42b17218, v1
	s_delay_alu instid0(VALU_DEP_2) | instskip(NEXT) | instid1(VALU_DEP_1)
	v_cndmask_b32_e32 v1, 0x7f800000, v42, vcc_lo
	v_dual_mul_f32 v20, v20, v1 :: v_dual_add_f32 v1, 1.0, v1
	s_delay_alu instid0(VALU_DEP_1) | instskip(NEXT) | instid1(VALU_DEP_1)
	v_div_scale_f32 v42, null, v1, v1, v20
	v_rcp_f32_e32 v44, v42
	v_nop
	s_delay_alu instid0(TRANS32_DEP_1) | instskip(NEXT) | instid1(VALU_DEP_1)
	v_fma_f32 v45, -v42, v44, 1.0
	v_fmac_f32_e32 v44, v45, v44
	v_div_scale_f32 v45, vcc_lo, v20, v1, v20
	s_delay_alu instid0(VALU_DEP_1) | instskip(NEXT) | instid1(VALU_DEP_1)
	v_mul_f32_e32 v46, v45, v44
	v_fma_f32 v47, -v42, v46, v45
	s_delay_alu instid0(VALU_DEP_1) | instskip(NEXT) | instid1(VALU_DEP_1)
	v_fmac_f32_e32 v46, v47, v44
	v_fma_f32 v42, -v42, v46, v45
	s_delay_alu instid0(VALU_DEP_1) | instskip(NEXT) | instid1(VALU_DEP_1)
	v_div_fmas_f32 v42, v42, v44, v46
	v_div_fixup_f32 v20, v42, v1, v20
.LBB53_33:
	s_or_b32 exec_lo, exec_lo, s11
	v_and_b32_e32 v1, 0xffff0000, v43
	s_mov_b32 s11, exec_lo
	s_delay_alu instid0(VALU_DEP_1) | instskip(NEXT) | instid1(VALU_DEP_1)
	v_mul_f32_e32 v1, s13, v1
	v_cmpx_nlt_f32_e32 s14, v1
	s_cbranch_execz .LBB53_35
; %bb.34:
	v_mul_f32_e32 v42, 0x3fb8aa3b, v1
	v_cmp_ngt_f32_e32 vcc_lo, 0xc2ce8ed0, v1
	s_delay_alu instid0(VALU_DEP_2) | instskip(SKIP_1) | instid1(VALU_DEP_2)
	v_rndne_f32_e32 v43, v42
	v_fma_f32 v44, 0x3fb8aa3b, v1, -v42
	v_sub_f32_e32 v42, v42, v43
	s_delay_alu instid0(VALU_DEP_2) | instskip(SKIP_1) | instid1(VALU_DEP_2)
	v_fmamk_f32 v44, v1, 0x32a5705f, v44
	v_cvt_i32_f32_e32 v43, v43
	v_add_f32_e32 v42, v42, v44
	s_delay_alu instid0(VALU_DEP_1) | instskip(SKIP_1) | instid1(TRANS32_DEP_1)
	v_exp_f32_e32 v42, v42
	v_nop
	v_ldexp_f32 v42, v42, v43
	s_delay_alu instid0(VALU_DEP_1) | instskip(SKIP_1) | instid1(VALU_DEP_2)
	v_cndmask_b32_e32 v42, 0, v42, vcc_lo
	v_cmp_nlt_f32_e32 vcc_lo, 0x42b17218, v1
	v_cndmask_b32_e32 v1, 0x7f800000, v42, vcc_lo
	s_delay_alu instid0(VALU_DEP_1) | instskip(NEXT) | instid1(VALU_DEP_1)
	v_dual_mul_f32 v21, v21, v1 :: v_dual_add_f32 v1, 1.0, v1
	v_div_scale_f32 v42, null, v1, v1, v21
	s_delay_alu instid0(VALU_DEP_1) | instskip(SKIP_1) | instid1(TRANS32_DEP_1)
	v_rcp_f32_e32 v43, v42
	v_nop
	v_fma_f32 v44, -v42, v43, 1.0
	s_delay_alu instid0(VALU_DEP_1) | instskip(SKIP_1) | instid1(VALU_DEP_1)
	v_fmac_f32_e32 v43, v44, v43
	v_div_scale_f32 v44, vcc_lo, v21, v1, v21
	v_mul_f32_e32 v45, v44, v43
	s_delay_alu instid0(VALU_DEP_1) | instskip(NEXT) | instid1(VALU_DEP_1)
	v_fma_f32 v46, -v42, v45, v44
	v_fmac_f32_e32 v45, v46, v43
	s_delay_alu instid0(VALU_DEP_1) | instskip(NEXT) | instid1(VALU_DEP_1)
	v_fma_f32 v42, -v42, v45, v44
	v_div_fmas_f32 v42, v42, v43, v45
	s_delay_alu instid0(VALU_DEP_1)
	v_div_fixup_f32 v21, v42, v1, v21
.LBB53_35:
	s_or_b32 exec_lo, exec_lo, s11
	s_wait_loadcnt 0x3
	v_lshlrev_b32_e32 v1, 16, v40
	s_mov_b32 s11, exec_lo
	s_delay_alu instid0(VALU_DEP_1) | instskip(NEXT) | instid1(VALU_DEP_1)
	v_mul_f32_e32 v1, s13, v1
	v_cmpx_nlt_f32_e32 s14, v1
	s_cbranch_execz .LBB53_37
; %bb.36:
	v_mul_f32_e32 v42, 0x3fb8aa3b, v1
	v_cmp_ngt_f32_e32 vcc_lo, 0xc2ce8ed0, v1
	s_delay_alu instid0(VALU_DEP_2) | instskip(SKIP_1) | instid1(VALU_DEP_2)
	v_rndne_f32_e32 v43, v42
	v_fma_f32 v44, 0x3fb8aa3b, v1, -v42
	v_sub_f32_e32 v42, v42, v43
	s_delay_alu instid0(VALU_DEP_2) | instskip(SKIP_1) | instid1(VALU_DEP_2)
	v_fmamk_f32 v44, v1, 0x32a5705f, v44
	v_cvt_i32_f32_e32 v43, v43
	v_add_f32_e32 v42, v42, v44
	s_delay_alu instid0(VALU_DEP_1) | instskip(SKIP_1) | instid1(TRANS32_DEP_1)
	v_exp_f32_e32 v42, v42
	v_nop
	v_ldexp_f32 v42, v42, v43
	s_delay_alu instid0(VALU_DEP_1) | instskip(SKIP_1) | instid1(VALU_DEP_2)
	v_cndmask_b32_e32 v42, 0, v42, vcc_lo
	v_cmp_nlt_f32_e32 vcc_lo, 0x42b17218, v1
	v_cndmask_b32_e32 v1, 0x7f800000, v42, vcc_lo
	s_delay_alu instid0(VALU_DEP_1) | instskip(NEXT) | instid1(VALU_DEP_1)
	v_dual_mul_f32 v14, v14, v1 :: v_dual_add_f32 v1, 1.0, v1
	v_div_scale_f32 v42, null, v1, v1, v14
	s_delay_alu instid0(VALU_DEP_1) | instskip(SKIP_1) | instid1(TRANS32_DEP_1)
	v_rcp_f32_e32 v43, v42
	v_nop
	v_fma_f32 v44, -v42, v43, 1.0
	s_delay_alu instid0(VALU_DEP_1) | instskip(SKIP_1) | instid1(VALU_DEP_1)
	v_fmac_f32_e32 v43, v44, v43
	v_div_scale_f32 v44, vcc_lo, v14, v1, v14
	v_mul_f32_e32 v45, v44, v43
	s_delay_alu instid0(VALU_DEP_1) | instskip(NEXT) | instid1(VALU_DEP_1)
	v_fma_f32 v46, -v42, v45, v44
	v_fmac_f32_e32 v45, v46, v43
	s_delay_alu instid0(VALU_DEP_1) | instskip(NEXT) | instid1(VALU_DEP_1)
	v_fma_f32 v42, -v42, v45, v44
	v_div_fmas_f32 v42, v42, v43, v45
	s_delay_alu instid0(VALU_DEP_1)
	v_div_fixup_f32 v14, v42, v1, v14
.LBB53_37:
	s_or_b32 exec_lo, exec_lo, s11
	v_and_b32_e32 v1, 0xffff0000, v40
	s_mov_b32 s11, exec_lo
	s_delay_alu instid0(VALU_DEP_1) | instskip(NEXT) | instid1(VALU_DEP_1)
	v_mul_f32_e32 v1, s13, v1
	v_cmpx_nlt_f32_e32 s14, v1
	s_cbranch_execz .LBB53_39
; %bb.38:
	v_mul_f32_e32 v40, 0x3fb8aa3b, v1
	v_cmp_ngt_f32_e32 vcc_lo, 0xc2ce8ed0, v1
	s_delay_alu instid0(VALU_DEP_2) | instskip(SKIP_1) | instid1(VALU_DEP_1)
	v_rndne_f32_e32 v42, v40
	v_fma_f32 v43, 0x3fb8aa3b, v1, -v40
	v_dual_sub_f32 v40, v40, v42 :: v_dual_fmamk_f32 v43, v1, 0x32a5705f, v43
	v_cvt_i32_f32_e32 v42, v42
	s_delay_alu instid0(VALU_DEP_2) | instskip(NEXT) | instid1(VALU_DEP_1)
	v_add_f32_e32 v40, v40, v43
	v_exp_f32_e32 v40, v40
	v_nop
	s_delay_alu instid0(TRANS32_DEP_1) | instskip(NEXT) | instid1(VALU_DEP_1)
	v_ldexp_f32 v40, v40, v42
	v_cndmask_b32_e32 v40, 0, v40, vcc_lo
	v_cmp_nlt_f32_e32 vcc_lo, 0x42b17218, v1
	s_delay_alu instid0(VALU_DEP_2) | instskip(NEXT) | instid1(VALU_DEP_1)
	v_cndmask_b32_e32 v1, 0x7f800000, v40, vcc_lo
	v_dual_mul_f32 v15, v15, v1 :: v_dual_add_f32 v1, 1.0, v1
	s_delay_alu instid0(VALU_DEP_1) | instskip(NEXT) | instid1(VALU_DEP_1)
	v_div_scale_f32 v40, null, v1, v1, v15
	v_rcp_f32_e32 v42, v40
	v_nop
	s_delay_alu instid0(TRANS32_DEP_1) | instskip(NEXT) | instid1(VALU_DEP_1)
	v_fma_f32 v43, -v40, v42, 1.0
	v_fmac_f32_e32 v42, v43, v42
	v_div_scale_f32 v43, vcc_lo, v15, v1, v15
	s_delay_alu instid0(VALU_DEP_1) | instskip(NEXT) | instid1(VALU_DEP_1)
	v_mul_f32_e32 v44, v43, v42
	v_fma_f32 v45, -v40, v44, v43
	s_delay_alu instid0(VALU_DEP_1) | instskip(NEXT) | instid1(VALU_DEP_1)
	v_fmac_f32_e32 v44, v45, v42
	v_fma_f32 v40, -v40, v44, v43
	s_delay_alu instid0(VALU_DEP_1) | instskip(NEXT) | instid1(VALU_DEP_1)
	v_div_fmas_f32 v40, v40, v42, v44
	v_div_fixup_f32 v15, v40, v1, v15
.LBB53_39:
	s_or_b32 exec_lo, exec_lo, s11
	v_lshlrev_b32_e32 v1, 16, v41
	s_mov_b32 s11, exec_lo
	s_delay_alu instid0(VALU_DEP_1) | instskip(NEXT) | instid1(VALU_DEP_1)
	v_mul_f32_e32 v1, s13, v1
	v_cmpx_nlt_f32_e32 s14, v1
	s_cbranch_execz .LBB53_41
; %bb.40:
	v_mul_f32_e32 v40, 0x3fb8aa3b, v1
	v_cmp_ngt_f32_e32 vcc_lo, 0xc2ce8ed0, v1
	s_delay_alu instid0(VALU_DEP_2) | instskip(SKIP_1) | instid1(VALU_DEP_1)
	v_rndne_f32_e32 v42, v40
	v_fma_f32 v43, 0x3fb8aa3b, v1, -v40
	v_dual_sub_f32 v40, v40, v42 :: v_dual_fmamk_f32 v43, v1, 0x32a5705f, v43
	v_cvt_i32_f32_e32 v42, v42
	s_delay_alu instid0(VALU_DEP_2) | instskip(NEXT) | instid1(VALU_DEP_1)
	v_add_f32_e32 v40, v40, v43
	v_exp_f32_e32 v40, v40
	v_nop
	s_delay_alu instid0(TRANS32_DEP_1) | instskip(NEXT) | instid1(VALU_DEP_1)
	v_ldexp_f32 v40, v40, v42
	v_cndmask_b32_e32 v40, 0, v40, vcc_lo
	v_cmp_nlt_f32_e32 vcc_lo, 0x42b17218, v1
	s_delay_alu instid0(VALU_DEP_2) | instskip(NEXT) | instid1(VALU_DEP_1)
	v_cndmask_b32_e32 v1, 0x7f800000, v40, vcc_lo
	v_dual_mul_f32 v16, v16, v1 :: v_dual_add_f32 v1, 1.0, v1
	s_delay_alu instid0(VALU_DEP_1) | instskip(NEXT) | instid1(VALU_DEP_1)
	v_div_scale_f32 v40, null, v1, v1, v16
	v_rcp_f32_e32 v42, v40
	v_nop
	s_delay_alu instid0(TRANS32_DEP_1) | instskip(NEXT) | instid1(VALU_DEP_1)
	v_fma_f32 v43, -v40, v42, 1.0
	v_fmac_f32_e32 v42, v43, v42
	v_div_scale_f32 v43, vcc_lo, v16, v1, v16
	s_delay_alu instid0(VALU_DEP_1) | instskip(NEXT) | instid1(VALU_DEP_1)
	v_mul_f32_e32 v44, v43, v42
	v_fma_f32 v45, -v40, v44, v43
	s_delay_alu instid0(VALU_DEP_1) | instskip(NEXT) | instid1(VALU_DEP_1)
	v_fmac_f32_e32 v44, v45, v42
	v_fma_f32 v40, -v40, v44, v43
	s_delay_alu instid0(VALU_DEP_1) | instskip(NEXT) | instid1(VALU_DEP_1)
	v_div_fmas_f32 v40, v40, v42, v44
	v_div_fixup_f32 v16, v40, v1, v16
.LBB53_41:
	s_or_b32 exec_lo, exec_lo, s11
	v_and_b32_e32 v1, 0xffff0000, v41
	s_mov_b32 s11, exec_lo
	s_delay_alu instid0(VALU_DEP_1) | instskip(NEXT) | instid1(VALU_DEP_1)
	v_mul_f32_e32 v1, s13, v1
	v_cmpx_nlt_f32_e32 s14, v1
	s_cbranch_execz .LBB53_43
; %bb.42:
	v_mul_f32_e32 v40, 0x3fb8aa3b, v1
	v_cmp_ngt_f32_e32 vcc_lo, 0xc2ce8ed0, v1
	s_delay_alu instid0(VALU_DEP_2) | instskip(SKIP_1) | instid1(VALU_DEP_2)
	v_rndne_f32_e32 v41, v40
	v_fma_f32 v42, 0x3fb8aa3b, v1, -v40
	v_sub_f32_e32 v40, v40, v41
	s_delay_alu instid0(VALU_DEP_2) | instskip(SKIP_1) | instid1(VALU_DEP_2)
	v_fmamk_f32 v42, v1, 0x32a5705f, v42
	v_cvt_i32_f32_e32 v41, v41
	v_add_f32_e32 v40, v40, v42
	s_delay_alu instid0(VALU_DEP_1) | instskip(SKIP_1) | instid1(TRANS32_DEP_1)
	v_exp_f32_e32 v40, v40
	v_nop
	v_ldexp_f32 v40, v40, v41
	s_delay_alu instid0(VALU_DEP_1) | instskip(SKIP_1) | instid1(VALU_DEP_2)
	v_cndmask_b32_e32 v40, 0, v40, vcc_lo
	v_cmp_nlt_f32_e32 vcc_lo, 0x42b17218, v1
	v_cndmask_b32_e32 v1, 0x7f800000, v40, vcc_lo
	s_delay_alu instid0(VALU_DEP_1) | instskip(NEXT) | instid1(VALU_DEP_1)
	v_dual_mul_f32 v17, v17, v1 :: v_dual_add_f32 v1, 1.0, v1
	v_div_scale_f32 v40, null, v1, v1, v17
	s_delay_alu instid0(VALU_DEP_1) | instskip(SKIP_1) | instid1(TRANS32_DEP_1)
	v_rcp_f32_e32 v41, v40
	v_nop
	v_fma_f32 v42, -v40, v41, 1.0
	s_delay_alu instid0(VALU_DEP_1) | instskip(SKIP_1) | instid1(VALU_DEP_1)
	v_fmac_f32_e32 v41, v42, v41
	v_div_scale_f32 v42, vcc_lo, v17, v1, v17
	v_mul_f32_e32 v43, v42, v41
	s_delay_alu instid0(VALU_DEP_1) | instskip(NEXT) | instid1(VALU_DEP_1)
	v_fma_f32 v44, -v40, v43, v42
	v_fmac_f32_e32 v43, v44, v41
	s_delay_alu instid0(VALU_DEP_1) | instskip(NEXT) | instid1(VALU_DEP_1)
	v_fma_f32 v40, -v40, v43, v42
	v_div_fmas_f32 v40, v40, v41, v43
	s_delay_alu instid0(VALU_DEP_1)
	v_div_fixup_f32 v17, v40, v1, v17
.LBB53_43:
	s_or_b32 exec_lo, exec_lo, s11
	s_wait_loadcnt 0x2
	v_lshlrev_b32_e32 v1, 16, v38
	s_mov_b32 s11, exec_lo
	s_delay_alu instid0(VALU_DEP_1) | instskip(NEXT) | instid1(VALU_DEP_1)
	v_mul_f32_e32 v1, s13, v1
	v_cmpx_nlt_f32_e32 s14, v1
	s_cbranch_execz .LBB53_45
; %bb.44:
	v_mul_f32_e32 v40, 0x3fb8aa3b, v1
	v_cmp_ngt_f32_e32 vcc_lo, 0xc2ce8ed0, v1
	s_delay_alu instid0(VALU_DEP_2) | instskip(SKIP_1) | instid1(VALU_DEP_2)
	v_rndne_f32_e32 v41, v40
	v_fma_f32 v42, 0x3fb8aa3b, v1, -v40
	v_sub_f32_e32 v40, v40, v41
	s_delay_alu instid0(VALU_DEP_2) | instskip(SKIP_1) | instid1(VALU_DEP_2)
	v_fmamk_f32 v42, v1, 0x32a5705f, v42
	v_cvt_i32_f32_e32 v41, v41
	v_add_f32_e32 v40, v40, v42
	s_delay_alu instid0(VALU_DEP_1) | instskip(SKIP_1) | instid1(TRANS32_DEP_1)
	v_exp_f32_e32 v40, v40
	v_nop
	v_ldexp_f32 v40, v40, v41
	s_delay_alu instid0(VALU_DEP_1) | instskip(SKIP_1) | instid1(VALU_DEP_2)
	v_cndmask_b32_e32 v40, 0, v40, vcc_lo
	v_cmp_nlt_f32_e32 vcc_lo, 0x42b17218, v1
	v_cndmask_b32_e32 v1, 0x7f800000, v40, vcc_lo
	s_delay_alu instid0(VALU_DEP_1) | instskip(NEXT) | instid1(VALU_DEP_1)
	v_dual_mul_f32 v10, v10, v1 :: v_dual_add_f32 v1, 1.0, v1
	v_div_scale_f32 v40, null, v1, v1, v10
	s_delay_alu instid0(VALU_DEP_1) | instskip(SKIP_1) | instid1(TRANS32_DEP_1)
	v_rcp_f32_e32 v41, v40
	v_nop
	v_fma_f32 v42, -v40, v41, 1.0
	s_delay_alu instid0(VALU_DEP_1) | instskip(SKIP_1) | instid1(VALU_DEP_1)
	v_fmac_f32_e32 v41, v42, v41
	v_div_scale_f32 v42, vcc_lo, v10, v1, v10
	v_mul_f32_e32 v43, v42, v41
	s_delay_alu instid0(VALU_DEP_1) | instskip(NEXT) | instid1(VALU_DEP_1)
	v_fma_f32 v44, -v40, v43, v42
	v_fmac_f32_e32 v43, v44, v41
	s_delay_alu instid0(VALU_DEP_1) | instskip(NEXT) | instid1(VALU_DEP_1)
	v_fma_f32 v40, -v40, v43, v42
	v_div_fmas_f32 v40, v40, v41, v43
	s_delay_alu instid0(VALU_DEP_1)
	v_div_fixup_f32 v10, v40, v1, v10
.LBB53_45:
	s_or_b32 exec_lo, exec_lo, s11
	v_and_b32_e32 v1, 0xffff0000, v38
	s_mov_b32 s11, exec_lo
	s_delay_alu instid0(VALU_DEP_1) | instskip(NEXT) | instid1(VALU_DEP_1)
	v_mul_f32_e32 v1, s13, v1
	v_cmpx_nlt_f32_e32 s14, v1
	s_cbranch_execz .LBB53_47
; %bb.46:
	v_mul_f32_e32 v38, 0x3fb8aa3b, v1
	v_cmp_ngt_f32_e32 vcc_lo, 0xc2ce8ed0, v1
	s_delay_alu instid0(VALU_DEP_2) | instskip(SKIP_1) | instid1(VALU_DEP_1)
	v_rndne_f32_e32 v40, v38
	v_fma_f32 v41, 0x3fb8aa3b, v1, -v38
	v_dual_sub_f32 v38, v38, v40 :: v_dual_fmamk_f32 v41, v1, 0x32a5705f, v41
	v_cvt_i32_f32_e32 v40, v40
	s_delay_alu instid0(VALU_DEP_2) | instskip(NEXT) | instid1(VALU_DEP_1)
	v_add_f32_e32 v38, v38, v41
	v_exp_f32_e32 v38, v38
	v_nop
	s_delay_alu instid0(TRANS32_DEP_1) | instskip(NEXT) | instid1(VALU_DEP_1)
	v_ldexp_f32 v38, v38, v40
	v_cndmask_b32_e32 v38, 0, v38, vcc_lo
	v_cmp_nlt_f32_e32 vcc_lo, 0x42b17218, v1
	s_delay_alu instid0(VALU_DEP_2) | instskip(NEXT) | instid1(VALU_DEP_1)
	v_cndmask_b32_e32 v1, 0x7f800000, v38, vcc_lo
	v_dual_mul_f32 v11, v11, v1 :: v_dual_add_f32 v1, 1.0, v1
	s_delay_alu instid0(VALU_DEP_1) | instskip(NEXT) | instid1(VALU_DEP_1)
	v_div_scale_f32 v38, null, v1, v1, v11
	v_rcp_f32_e32 v40, v38
	v_nop
	s_delay_alu instid0(TRANS32_DEP_1) | instskip(NEXT) | instid1(VALU_DEP_1)
	v_fma_f32 v41, -v38, v40, 1.0
	v_fmac_f32_e32 v40, v41, v40
	v_div_scale_f32 v41, vcc_lo, v11, v1, v11
	s_delay_alu instid0(VALU_DEP_1) | instskip(NEXT) | instid1(VALU_DEP_1)
	v_mul_f32_e32 v42, v41, v40
	v_fma_f32 v43, -v38, v42, v41
	s_delay_alu instid0(VALU_DEP_1) | instskip(NEXT) | instid1(VALU_DEP_1)
	v_fmac_f32_e32 v42, v43, v40
	v_fma_f32 v38, -v38, v42, v41
	s_delay_alu instid0(VALU_DEP_1) | instskip(NEXT) | instid1(VALU_DEP_1)
	v_div_fmas_f32 v38, v38, v40, v42
	v_div_fixup_f32 v11, v38, v1, v11
.LBB53_47:
	s_or_b32 exec_lo, exec_lo, s11
	v_lshlrev_b32_e32 v1, 16, v39
	s_mov_b32 s11, exec_lo
	s_delay_alu instid0(VALU_DEP_1) | instskip(NEXT) | instid1(VALU_DEP_1)
	v_mul_f32_e32 v1, s13, v1
	v_cmpx_nlt_f32_e32 s14, v1
	s_cbranch_execz .LBB53_49
; %bb.48:
	v_mul_f32_e32 v38, 0x3fb8aa3b, v1
	v_cmp_ngt_f32_e32 vcc_lo, 0xc2ce8ed0, v1
	s_delay_alu instid0(VALU_DEP_2) | instskip(SKIP_1) | instid1(VALU_DEP_1)
	v_rndne_f32_e32 v40, v38
	v_fma_f32 v41, 0x3fb8aa3b, v1, -v38
	v_dual_sub_f32 v38, v38, v40 :: v_dual_fmamk_f32 v41, v1, 0x32a5705f, v41
	v_cvt_i32_f32_e32 v40, v40
	s_delay_alu instid0(VALU_DEP_2) | instskip(NEXT) | instid1(VALU_DEP_1)
	v_add_f32_e32 v38, v38, v41
	v_exp_f32_e32 v38, v38
	v_nop
	s_delay_alu instid0(TRANS32_DEP_1) | instskip(NEXT) | instid1(VALU_DEP_1)
	v_ldexp_f32 v38, v38, v40
	v_cndmask_b32_e32 v38, 0, v38, vcc_lo
	v_cmp_nlt_f32_e32 vcc_lo, 0x42b17218, v1
	s_delay_alu instid0(VALU_DEP_2) | instskip(NEXT) | instid1(VALU_DEP_1)
	v_cndmask_b32_e32 v1, 0x7f800000, v38, vcc_lo
	v_dual_mul_f32 v12, v12, v1 :: v_dual_add_f32 v1, 1.0, v1
	s_delay_alu instid0(VALU_DEP_1) | instskip(NEXT) | instid1(VALU_DEP_1)
	v_div_scale_f32 v38, null, v1, v1, v12
	v_rcp_f32_e32 v40, v38
	v_nop
	s_delay_alu instid0(TRANS32_DEP_1) | instskip(NEXT) | instid1(VALU_DEP_1)
	v_fma_f32 v41, -v38, v40, 1.0
	v_fmac_f32_e32 v40, v41, v40
	v_div_scale_f32 v41, vcc_lo, v12, v1, v12
	s_delay_alu instid0(VALU_DEP_1) | instskip(NEXT) | instid1(VALU_DEP_1)
	v_mul_f32_e32 v42, v41, v40
	v_fma_f32 v43, -v38, v42, v41
	s_delay_alu instid0(VALU_DEP_1) | instskip(NEXT) | instid1(VALU_DEP_1)
	v_fmac_f32_e32 v42, v43, v40
	v_fma_f32 v38, -v38, v42, v41
	s_delay_alu instid0(VALU_DEP_1) | instskip(NEXT) | instid1(VALU_DEP_1)
	v_div_fmas_f32 v38, v38, v40, v42
	v_div_fixup_f32 v12, v38, v1, v12
.LBB53_49:
	s_or_b32 exec_lo, exec_lo, s11
	v_and_b32_e32 v1, 0xffff0000, v39
	s_mov_b32 s11, exec_lo
	s_delay_alu instid0(VALU_DEP_1) | instskip(NEXT) | instid1(VALU_DEP_1)
	v_mul_f32_e32 v1, s13, v1
	v_cmpx_nlt_f32_e32 s14, v1
	s_cbranch_execz .LBB53_51
; %bb.50:
	v_mul_f32_e32 v38, 0x3fb8aa3b, v1
	v_cmp_ngt_f32_e32 vcc_lo, 0xc2ce8ed0, v1
	s_delay_alu instid0(VALU_DEP_2) | instskip(SKIP_1) | instid1(VALU_DEP_2)
	v_rndne_f32_e32 v39, v38
	v_fma_f32 v40, 0x3fb8aa3b, v1, -v38
	v_sub_f32_e32 v38, v38, v39
	s_delay_alu instid0(VALU_DEP_2) | instskip(SKIP_1) | instid1(VALU_DEP_2)
	v_fmamk_f32 v40, v1, 0x32a5705f, v40
	v_cvt_i32_f32_e32 v39, v39
	v_add_f32_e32 v38, v38, v40
	s_delay_alu instid0(VALU_DEP_1) | instskip(SKIP_1) | instid1(TRANS32_DEP_1)
	v_exp_f32_e32 v38, v38
	v_nop
	v_ldexp_f32 v38, v38, v39
	s_delay_alu instid0(VALU_DEP_1) | instskip(SKIP_1) | instid1(VALU_DEP_2)
	v_cndmask_b32_e32 v38, 0, v38, vcc_lo
	v_cmp_nlt_f32_e32 vcc_lo, 0x42b17218, v1
	v_cndmask_b32_e32 v1, 0x7f800000, v38, vcc_lo
	s_delay_alu instid0(VALU_DEP_1) | instskip(NEXT) | instid1(VALU_DEP_1)
	v_dual_mul_f32 v13, v13, v1 :: v_dual_add_f32 v1, 1.0, v1
	v_div_scale_f32 v38, null, v1, v1, v13
	s_delay_alu instid0(VALU_DEP_1) | instskip(SKIP_1) | instid1(TRANS32_DEP_1)
	v_rcp_f32_e32 v39, v38
	v_nop
	v_fma_f32 v40, -v38, v39, 1.0
	s_delay_alu instid0(VALU_DEP_1) | instskip(SKIP_1) | instid1(VALU_DEP_1)
	v_fmac_f32_e32 v39, v40, v39
	v_div_scale_f32 v40, vcc_lo, v13, v1, v13
	v_mul_f32_e32 v41, v40, v39
	s_delay_alu instid0(VALU_DEP_1) | instskip(NEXT) | instid1(VALU_DEP_1)
	v_fma_f32 v42, -v38, v41, v40
	v_fmac_f32_e32 v41, v42, v39
	s_delay_alu instid0(VALU_DEP_1) | instskip(NEXT) | instid1(VALU_DEP_1)
	v_fma_f32 v38, -v38, v41, v40
	v_div_fmas_f32 v38, v38, v39, v41
	s_delay_alu instid0(VALU_DEP_1)
	v_div_fixup_f32 v13, v38, v1, v13
.LBB53_51:
	s_or_b32 exec_lo, exec_lo, s11
	s_wait_loadcnt 0x1
	v_lshlrev_b32_e32 v1, 16, v36
	s_mov_b32 s11, exec_lo
	s_delay_alu instid0(VALU_DEP_1) | instskip(NEXT) | instid1(VALU_DEP_1)
	v_mul_f32_e32 v1, s13, v1
	v_cmpx_nlt_f32_e32 s14, v1
	s_cbranch_execz .LBB53_53
; %bb.52:
	v_mul_f32_e32 v38, 0x3fb8aa3b, v1
	v_cmp_ngt_f32_e32 vcc_lo, 0xc2ce8ed0, v1
	s_delay_alu instid0(VALU_DEP_2) | instskip(SKIP_1) | instid1(VALU_DEP_2)
	v_rndne_f32_e32 v39, v38
	v_fma_f32 v40, 0x3fb8aa3b, v1, -v38
	v_sub_f32_e32 v38, v38, v39
	s_delay_alu instid0(VALU_DEP_2) | instskip(SKIP_1) | instid1(VALU_DEP_2)
	v_fmamk_f32 v40, v1, 0x32a5705f, v40
	v_cvt_i32_f32_e32 v39, v39
	v_add_f32_e32 v38, v38, v40
	s_delay_alu instid0(VALU_DEP_1) | instskip(SKIP_1) | instid1(TRANS32_DEP_1)
	v_exp_f32_e32 v38, v38
	v_nop
	v_ldexp_f32 v38, v38, v39
	s_delay_alu instid0(VALU_DEP_1) | instskip(SKIP_1) | instid1(VALU_DEP_2)
	v_cndmask_b32_e32 v38, 0, v38, vcc_lo
	v_cmp_nlt_f32_e32 vcc_lo, 0x42b17218, v1
	v_cndmask_b32_e32 v1, 0x7f800000, v38, vcc_lo
	s_delay_alu instid0(VALU_DEP_1) | instskip(NEXT) | instid1(VALU_DEP_1)
	v_dual_mul_f32 v6, v6, v1 :: v_dual_add_f32 v1, 1.0, v1
	v_div_scale_f32 v38, null, v1, v1, v6
	s_delay_alu instid0(VALU_DEP_1) | instskip(SKIP_1) | instid1(TRANS32_DEP_1)
	v_rcp_f32_e32 v39, v38
	v_nop
	v_fma_f32 v40, -v38, v39, 1.0
	s_delay_alu instid0(VALU_DEP_1) | instskip(SKIP_1) | instid1(VALU_DEP_1)
	v_fmac_f32_e32 v39, v40, v39
	v_div_scale_f32 v40, vcc_lo, v6, v1, v6
	v_mul_f32_e32 v41, v40, v39
	s_delay_alu instid0(VALU_DEP_1) | instskip(NEXT) | instid1(VALU_DEP_1)
	v_fma_f32 v42, -v38, v41, v40
	v_fmac_f32_e32 v41, v42, v39
	s_delay_alu instid0(VALU_DEP_1) | instskip(NEXT) | instid1(VALU_DEP_1)
	v_fma_f32 v38, -v38, v41, v40
	v_div_fmas_f32 v38, v38, v39, v41
	s_delay_alu instid0(VALU_DEP_1)
	v_div_fixup_f32 v6, v38, v1, v6
.LBB53_53:
	s_or_b32 exec_lo, exec_lo, s11
	v_and_b32_e32 v1, 0xffff0000, v36
	s_mov_b32 s11, exec_lo
	s_delay_alu instid0(VALU_DEP_1) | instskip(NEXT) | instid1(VALU_DEP_1)
	v_mul_f32_e32 v1, s13, v1
	v_cmpx_nlt_f32_e32 s14, v1
	s_cbranch_execz .LBB53_55
; %bb.54:
	v_mul_f32_e32 v36, 0x3fb8aa3b, v1
	v_cmp_ngt_f32_e32 vcc_lo, 0xc2ce8ed0, v1
	s_delay_alu instid0(VALU_DEP_2) | instskip(SKIP_1) | instid1(VALU_DEP_1)
	v_rndne_f32_e32 v38, v36
	v_fma_f32 v39, 0x3fb8aa3b, v1, -v36
	v_dual_sub_f32 v36, v36, v38 :: v_dual_fmamk_f32 v39, v1, 0x32a5705f, v39
	v_cvt_i32_f32_e32 v38, v38
	s_delay_alu instid0(VALU_DEP_2) | instskip(NEXT) | instid1(VALU_DEP_1)
	v_add_f32_e32 v36, v36, v39
	v_exp_f32_e32 v36, v36
	v_nop
	s_delay_alu instid0(TRANS32_DEP_1) | instskip(NEXT) | instid1(VALU_DEP_1)
	v_ldexp_f32 v36, v36, v38
	v_cndmask_b32_e32 v36, 0, v36, vcc_lo
	v_cmp_nlt_f32_e32 vcc_lo, 0x42b17218, v1
	s_delay_alu instid0(VALU_DEP_2) | instskip(NEXT) | instid1(VALU_DEP_1)
	v_cndmask_b32_e32 v1, 0x7f800000, v36, vcc_lo
	v_dual_mul_f32 v7, v7, v1 :: v_dual_add_f32 v1, 1.0, v1
	s_delay_alu instid0(VALU_DEP_1) | instskip(NEXT) | instid1(VALU_DEP_1)
	v_div_scale_f32 v36, null, v1, v1, v7
	v_rcp_f32_e32 v38, v36
	v_nop
	s_delay_alu instid0(TRANS32_DEP_1) | instskip(NEXT) | instid1(VALU_DEP_1)
	v_fma_f32 v39, -v36, v38, 1.0
	v_fmac_f32_e32 v38, v39, v38
	v_div_scale_f32 v39, vcc_lo, v7, v1, v7
	s_delay_alu instid0(VALU_DEP_1) | instskip(NEXT) | instid1(VALU_DEP_1)
	v_mul_f32_e32 v40, v39, v38
	v_fma_f32 v41, -v36, v40, v39
	s_delay_alu instid0(VALU_DEP_1) | instskip(NEXT) | instid1(VALU_DEP_1)
	v_fmac_f32_e32 v40, v41, v38
	v_fma_f32 v36, -v36, v40, v39
	s_delay_alu instid0(VALU_DEP_1) | instskip(NEXT) | instid1(VALU_DEP_1)
	v_div_fmas_f32 v36, v36, v38, v40
	v_div_fixup_f32 v7, v36, v1, v7
.LBB53_55:
	s_or_b32 exec_lo, exec_lo, s11
	v_lshlrev_b32_e32 v1, 16, v37
	s_mov_b32 s11, exec_lo
	s_delay_alu instid0(VALU_DEP_1) | instskip(NEXT) | instid1(VALU_DEP_1)
	v_mul_f32_e32 v1, s13, v1
	v_cmpx_nlt_f32_e32 s14, v1
	s_cbranch_execz .LBB53_57
; %bb.56:
	v_mul_f32_e32 v36, 0x3fb8aa3b, v1
	v_cmp_ngt_f32_e32 vcc_lo, 0xc2ce8ed0, v1
	s_delay_alu instid0(VALU_DEP_2) | instskip(SKIP_1) | instid1(VALU_DEP_1)
	v_rndne_f32_e32 v38, v36
	v_fma_f32 v39, 0x3fb8aa3b, v1, -v36
	v_dual_sub_f32 v36, v36, v38 :: v_dual_fmamk_f32 v39, v1, 0x32a5705f, v39
	v_cvt_i32_f32_e32 v38, v38
	s_delay_alu instid0(VALU_DEP_2) | instskip(NEXT) | instid1(VALU_DEP_1)
	v_add_f32_e32 v36, v36, v39
	v_exp_f32_e32 v36, v36
	v_nop
	s_delay_alu instid0(TRANS32_DEP_1) | instskip(NEXT) | instid1(VALU_DEP_1)
	v_ldexp_f32 v36, v36, v38
	v_cndmask_b32_e32 v36, 0, v36, vcc_lo
	v_cmp_nlt_f32_e32 vcc_lo, 0x42b17218, v1
	s_delay_alu instid0(VALU_DEP_2) | instskip(NEXT) | instid1(VALU_DEP_1)
	v_cndmask_b32_e32 v1, 0x7f800000, v36, vcc_lo
	v_dual_mul_f32 v8, v8, v1 :: v_dual_add_f32 v1, 1.0, v1
	s_delay_alu instid0(VALU_DEP_1) | instskip(NEXT) | instid1(VALU_DEP_1)
	v_div_scale_f32 v36, null, v1, v1, v8
	v_rcp_f32_e32 v38, v36
	v_nop
	s_delay_alu instid0(TRANS32_DEP_1) | instskip(NEXT) | instid1(VALU_DEP_1)
	v_fma_f32 v39, -v36, v38, 1.0
	v_fmac_f32_e32 v38, v39, v38
	v_div_scale_f32 v39, vcc_lo, v8, v1, v8
	s_delay_alu instid0(VALU_DEP_1) | instskip(NEXT) | instid1(VALU_DEP_1)
	v_mul_f32_e32 v40, v39, v38
	v_fma_f32 v41, -v36, v40, v39
	s_delay_alu instid0(VALU_DEP_1) | instskip(NEXT) | instid1(VALU_DEP_1)
	v_fmac_f32_e32 v40, v41, v38
	v_fma_f32 v36, -v36, v40, v39
	s_delay_alu instid0(VALU_DEP_1) | instskip(NEXT) | instid1(VALU_DEP_1)
	v_div_fmas_f32 v36, v36, v38, v40
	v_div_fixup_f32 v8, v36, v1, v8
.LBB53_57:
	s_or_b32 exec_lo, exec_lo, s11
	v_and_b32_e32 v1, 0xffff0000, v37
	s_mov_b32 s11, exec_lo
	s_delay_alu instid0(VALU_DEP_1) | instskip(NEXT) | instid1(VALU_DEP_1)
	v_mul_f32_e32 v1, s13, v1
	v_cmpx_nlt_f32_e32 s14, v1
	s_cbranch_execz .LBB53_59
; %bb.58:
	v_mul_f32_e32 v36, 0x3fb8aa3b, v1
	v_cmp_ngt_f32_e32 vcc_lo, 0xc2ce8ed0, v1
	s_delay_alu instid0(VALU_DEP_2) | instskip(SKIP_1) | instid1(VALU_DEP_2)
	v_rndne_f32_e32 v37, v36
	v_fma_f32 v38, 0x3fb8aa3b, v1, -v36
	v_sub_f32_e32 v36, v36, v37
	s_delay_alu instid0(VALU_DEP_2) | instskip(SKIP_1) | instid1(VALU_DEP_2)
	v_fmamk_f32 v38, v1, 0x32a5705f, v38
	v_cvt_i32_f32_e32 v37, v37
	v_add_f32_e32 v36, v36, v38
	s_delay_alu instid0(VALU_DEP_1) | instskip(SKIP_1) | instid1(TRANS32_DEP_1)
	v_exp_f32_e32 v36, v36
	v_nop
	v_ldexp_f32 v36, v36, v37
	s_delay_alu instid0(VALU_DEP_1) | instskip(SKIP_1) | instid1(VALU_DEP_2)
	v_cndmask_b32_e32 v36, 0, v36, vcc_lo
	v_cmp_nlt_f32_e32 vcc_lo, 0x42b17218, v1
	v_cndmask_b32_e32 v1, 0x7f800000, v36, vcc_lo
	s_delay_alu instid0(VALU_DEP_1) | instskip(NEXT) | instid1(VALU_DEP_1)
	v_dual_mul_f32 v9, v9, v1 :: v_dual_add_f32 v1, 1.0, v1
	v_div_scale_f32 v36, null, v1, v1, v9
	s_delay_alu instid0(VALU_DEP_1) | instskip(SKIP_1) | instid1(TRANS32_DEP_1)
	v_rcp_f32_e32 v37, v36
	v_nop
	v_fma_f32 v38, -v36, v37, 1.0
	s_delay_alu instid0(VALU_DEP_1) | instskip(SKIP_1) | instid1(VALU_DEP_1)
	v_fmac_f32_e32 v37, v38, v37
	v_div_scale_f32 v38, vcc_lo, v9, v1, v9
	v_mul_f32_e32 v39, v38, v37
	s_delay_alu instid0(VALU_DEP_1) | instskip(NEXT) | instid1(VALU_DEP_1)
	v_fma_f32 v40, -v36, v39, v38
	v_fmac_f32_e32 v39, v40, v37
	s_delay_alu instid0(VALU_DEP_1) | instskip(NEXT) | instid1(VALU_DEP_1)
	v_fma_f32 v36, -v36, v39, v38
	v_div_fmas_f32 v36, v36, v37, v39
	s_delay_alu instid0(VALU_DEP_1)
	v_div_fixup_f32 v9, v36, v1, v9
.LBB53_59:
	s_or_b32 exec_lo, exec_lo, s11
	s_wait_loadcnt 0x0
	v_lshlrev_b32_e32 v1, 16, v34
	s_mov_b32 s11, exec_lo
	s_delay_alu instid0(VALU_DEP_1) | instskip(NEXT) | instid1(VALU_DEP_1)
	v_mul_f32_e32 v1, s13, v1
	v_cmpx_nlt_f32_e32 s14, v1
	s_cbranch_execz .LBB53_61
; %bb.60:
	v_mul_f32_e32 v36, 0x3fb8aa3b, v1
	v_cmp_ngt_f32_e32 vcc_lo, 0xc2ce8ed0, v1
	s_delay_alu instid0(VALU_DEP_2) | instskip(SKIP_1) | instid1(VALU_DEP_2)
	v_rndne_f32_e32 v37, v36
	v_fma_f32 v38, 0x3fb8aa3b, v1, -v36
	v_sub_f32_e32 v36, v36, v37
	s_delay_alu instid0(VALU_DEP_2) | instskip(SKIP_1) | instid1(VALU_DEP_2)
	v_fmamk_f32 v38, v1, 0x32a5705f, v38
	v_cvt_i32_f32_e32 v37, v37
	v_add_f32_e32 v36, v36, v38
	s_delay_alu instid0(VALU_DEP_1) | instskip(SKIP_1) | instid1(TRANS32_DEP_1)
	v_exp_f32_e32 v36, v36
	v_nop
	v_ldexp_f32 v36, v36, v37
	s_delay_alu instid0(VALU_DEP_1) | instskip(SKIP_1) | instid1(VALU_DEP_2)
	v_cndmask_b32_e32 v36, 0, v36, vcc_lo
	v_cmp_nlt_f32_e32 vcc_lo, 0x42b17218, v1
	v_cndmask_b32_e32 v1, 0x7f800000, v36, vcc_lo
	s_delay_alu instid0(VALU_DEP_1) | instskip(NEXT) | instid1(VALU_DEP_1)
	v_dual_mul_f32 v2, v2, v1 :: v_dual_add_f32 v1, 1.0, v1
	v_div_scale_f32 v36, null, v1, v1, v2
	s_delay_alu instid0(VALU_DEP_1) | instskip(SKIP_1) | instid1(TRANS32_DEP_1)
	v_rcp_f32_e32 v37, v36
	v_nop
	v_fma_f32 v38, -v36, v37, 1.0
	s_delay_alu instid0(VALU_DEP_1) | instskip(SKIP_1) | instid1(VALU_DEP_1)
	v_fmac_f32_e32 v37, v38, v37
	v_div_scale_f32 v38, vcc_lo, v2, v1, v2
	v_mul_f32_e32 v39, v38, v37
	s_delay_alu instid0(VALU_DEP_1) | instskip(NEXT) | instid1(VALU_DEP_1)
	v_fma_f32 v40, -v36, v39, v38
	v_fmac_f32_e32 v39, v40, v37
	s_delay_alu instid0(VALU_DEP_1) | instskip(NEXT) | instid1(VALU_DEP_1)
	v_fma_f32 v36, -v36, v39, v38
	v_div_fmas_f32 v36, v36, v37, v39
	s_delay_alu instid0(VALU_DEP_1)
	v_div_fixup_f32 v2, v36, v1, v2
.LBB53_61:
	s_or_b32 exec_lo, exec_lo, s11
	v_and_b32_e32 v1, 0xffff0000, v34
	s_mov_b32 s11, exec_lo
	s_delay_alu instid0(VALU_DEP_1) | instskip(NEXT) | instid1(VALU_DEP_1)
	v_mul_f32_e32 v1, s13, v1
	v_cmpx_nlt_f32_e32 s14, v1
	s_cbranch_execz .LBB53_63
; %bb.62:
	v_mul_f32_e32 v34, 0x3fb8aa3b, v1
	v_cmp_ngt_f32_e32 vcc_lo, 0xc2ce8ed0, v1
	s_delay_alu instid0(VALU_DEP_2) | instskip(SKIP_1) | instid1(VALU_DEP_1)
	v_rndne_f32_e32 v36, v34
	v_fma_f32 v37, 0x3fb8aa3b, v1, -v34
	v_dual_sub_f32 v34, v34, v36 :: v_dual_fmamk_f32 v37, v1, 0x32a5705f, v37
	v_cvt_i32_f32_e32 v36, v36
	s_delay_alu instid0(VALU_DEP_2) | instskip(NEXT) | instid1(VALU_DEP_1)
	v_add_f32_e32 v34, v34, v37
	v_exp_f32_e32 v34, v34
	v_nop
	s_delay_alu instid0(TRANS32_DEP_1) | instskip(NEXT) | instid1(VALU_DEP_1)
	v_ldexp_f32 v34, v34, v36
	v_cndmask_b32_e32 v34, 0, v34, vcc_lo
	v_cmp_nlt_f32_e32 vcc_lo, 0x42b17218, v1
	s_delay_alu instid0(VALU_DEP_2) | instskip(NEXT) | instid1(VALU_DEP_1)
	v_cndmask_b32_e32 v1, 0x7f800000, v34, vcc_lo
	v_dual_mul_f32 v3, v3, v1 :: v_dual_add_f32 v1, 1.0, v1
	s_delay_alu instid0(VALU_DEP_1) | instskip(NEXT) | instid1(VALU_DEP_1)
	v_div_scale_f32 v34, null, v1, v1, v3
	v_rcp_f32_e32 v36, v34
	v_nop
	s_delay_alu instid0(TRANS32_DEP_1) | instskip(NEXT) | instid1(VALU_DEP_1)
	v_fma_f32 v37, -v34, v36, 1.0
	v_fmac_f32_e32 v36, v37, v36
	v_div_scale_f32 v37, vcc_lo, v3, v1, v3
	s_delay_alu instid0(VALU_DEP_1) | instskip(NEXT) | instid1(VALU_DEP_1)
	v_mul_f32_e32 v38, v37, v36
	v_fma_f32 v39, -v34, v38, v37
	s_delay_alu instid0(VALU_DEP_1) | instskip(NEXT) | instid1(VALU_DEP_1)
	v_fmac_f32_e32 v38, v39, v36
	v_fma_f32 v34, -v34, v38, v37
	s_delay_alu instid0(VALU_DEP_1) | instskip(NEXT) | instid1(VALU_DEP_1)
	v_div_fmas_f32 v34, v34, v36, v38
	v_div_fixup_f32 v3, v34, v1, v3
.LBB53_63:
	s_or_b32 exec_lo, exec_lo, s11
	v_lshlrev_b32_e32 v1, 16, v35
	s_mov_b32 s11, exec_lo
	s_delay_alu instid0(VALU_DEP_1) | instskip(NEXT) | instid1(VALU_DEP_1)
	v_mul_f32_e32 v1, s13, v1
	v_cmpx_nlt_f32_e32 s14, v1
	s_cbranch_execz .LBB53_65
; %bb.64:
	v_mul_f32_e32 v34, 0x3fb8aa3b, v1
	v_cmp_ngt_f32_e32 vcc_lo, 0xc2ce8ed0, v1
	s_delay_alu instid0(VALU_DEP_2) | instskip(SKIP_1) | instid1(VALU_DEP_1)
	v_rndne_f32_e32 v36, v34
	v_fma_f32 v37, 0x3fb8aa3b, v1, -v34
	v_dual_sub_f32 v34, v34, v36 :: v_dual_fmamk_f32 v37, v1, 0x32a5705f, v37
	v_cvt_i32_f32_e32 v36, v36
	s_delay_alu instid0(VALU_DEP_2) | instskip(NEXT) | instid1(VALU_DEP_1)
	v_add_f32_e32 v34, v34, v37
	v_exp_f32_e32 v34, v34
	v_nop
	s_delay_alu instid0(TRANS32_DEP_1) | instskip(NEXT) | instid1(VALU_DEP_1)
	v_ldexp_f32 v34, v34, v36
	v_cndmask_b32_e32 v34, 0, v34, vcc_lo
	v_cmp_nlt_f32_e32 vcc_lo, 0x42b17218, v1
	s_delay_alu instid0(VALU_DEP_2) | instskip(NEXT) | instid1(VALU_DEP_1)
	v_cndmask_b32_e32 v1, 0x7f800000, v34, vcc_lo
	v_dual_mul_f32 v4, v4, v1 :: v_dual_add_f32 v1, 1.0, v1
	s_delay_alu instid0(VALU_DEP_1) | instskip(NEXT) | instid1(VALU_DEP_1)
	v_div_scale_f32 v34, null, v1, v1, v4
	v_rcp_f32_e32 v36, v34
	v_nop
	s_delay_alu instid0(TRANS32_DEP_1) | instskip(NEXT) | instid1(VALU_DEP_1)
	v_fma_f32 v37, -v34, v36, 1.0
	v_fmac_f32_e32 v36, v37, v36
	v_div_scale_f32 v37, vcc_lo, v4, v1, v4
	s_delay_alu instid0(VALU_DEP_1) | instskip(NEXT) | instid1(VALU_DEP_1)
	v_mul_f32_e32 v38, v37, v36
	v_fma_f32 v39, -v34, v38, v37
	s_delay_alu instid0(VALU_DEP_1) | instskip(NEXT) | instid1(VALU_DEP_1)
	v_fmac_f32_e32 v38, v39, v36
	v_fma_f32 v34, -v34, v38, v37
	s_delay_alu instid0(VALU_DEP_1) | instskip(NEXT) | instid1(VALU_DEP_1)
	v_div_fmas_f32 v34, v34, v36, v38
	v_div_fixup_f32 v4, v34, v1, v4
.LBB53_65:
	s_or_b32 exec_lo, exec_lo, s11
	v_and_b32_e32 v1, 0xffff0000, v35
	s_mov_b32 s11, exec_lo
	s_delay_alu instid0(VALU_DEP_1) | instskip(NEXT) | instid1(VALU_DEP_1)
	v_mul_f32_e32 v1, s13, v1
	v_cmpx_nlt_f32_e32 s14, v1
	s_cbranch_execz .LBB53_67
; %bb.66:
	v_mul_f32_e32 v34, 0x3fb8aa3b, v1
	v_cmp_ngt_f32_e32 vcc_lo, 0xc2ce8ed0, v1
	s_delay_alu instid0(VALU_DEP_2) | instskip(SKIP_1) | instid1(VALU_DEP_2)
	v_rndne_f32_e32 v35, v34
	v_fma_f32 v36, 0x3fb8aa3b, v1, -v34
	v_sub_f32_e32 v34, v34, v35
	s_delay_alu instid0(VALU_DEP_2) | instskip(SKIP_1) | instid1(VALU_DEP_2)
	v_fmamk_f32 v36, v1, 0x32a5705f, v36
	v_cvt_i32_f32_e32 v35, v35
	v_add_f32_e32 v34, v34, v36
	s_delay_alu instid0(VALU_DEP_1) | instskip(SKIP_1) | instid1(TRANS32_DEP_1)
	v_exp_f32_e32 v34, v34
	v_nop
	v_ldexp_f32 v34, v34, v35
	s_delay_alu instid0(VALU_DEP_1) | instskip(SKIP_1) | instid1(VALU_DEP_2)
	v_cndmask_b32_e32 v34, 0, v34, vcc_lo
	v_cmp_nlt_f32_e32 vcc_lo, 0x42b17218, v1
	v_cndmask_b32_e32 v1, 0x7f800000, v34, vcc_lo
	s_delay_alu instid0(VALU_DEP_1) | instskip(NEXT) | instid1(VALU_DEP_1)
	v_dual_mul_f32 v5, v5, v1 :: v_dual_add_f32 v1, 1.0, v1
	v_div_scale_f32 v34, null, v1, v1, v5
	s_delay_alu instid0(VALU_DEP_1) | instskip(SKIP_1) | instid1(TRANS32_DEP_1)
	v_rcp_f32_e32 v35, v34
	v_nop
	v_fma_f32 v36, -v34, v35, 1.0
	s_delay_alu instid0(VALU_DEP_1) | instskip(SKIP_1) | instid1(VALU_DEP_1)
	v_fmac_f32_e32 v35, v36, v35
	v_div_scale_f32 v36, vcc_lo, v5, v1, v5
	v_mul_f32_e32 v37, v36, v35
	s_delay_alu instid0(VALU_DEP_1) | instskip(NEXT) | instid1(VALU_DEP_1)
	v_fma_f32 v38, -v34, v37, v36
	v_fmac_f32_e32 v37, v38, v35
	s_delay_alu instid0(VALU_DEP_1) | instskip(NEXT) | instid1(VALU_DEP_1)
	v_fma_f32 v34, -v34, v37, v36
	v_div_fmas_f32 v34, v34, v35, v37
	s_delay_alu instid0(VALU_DEP_1)
	v_div_fixup_f32 v5, v34, v1, v5
.LBB53_67:
	s_or_b32 exec_lo, exec_lo, s11
	s_add_nc_u64 s[16:17], s[4:5], s[8:9]
	s_clause 0x7
	global_store_b128 v0, v[30:33], s[16:17] scale_offset
	global_store_b128 v0, v[26:29], s[16:17] offset:8192 scale_offset
	global_store_b128 v0, v[22:25], s[16:17] offset:16384 scale_offset
	;; [unrolled: 1-line block ×7, first 2 shown]
	s_branch .LBB53_2
.LBB53_68:
	s_clause 0x1
	s_load_b32 s11, s[0:1], 0x2c
	s_load_b128 s[16:19], s[0:1], 0x30
	v_dual_mov_b32 v31, v0 :: v_dual_mov_b32 v0, s13
	v_dual_mov_b32 v1, s14 :: v_dual_mov_b32 v2, s4
	;; [unrolled: 1-line block ×5, first 2 shown]
	s_add_nc_u64 s[8:9], s[0:1], 64
	s_wait_xcnt 0x0
	s_get_pc_i64 s[0:1]
	s_add_nc_u64 s[0:1], s[0:1], _ZN2at6native25elementwise_kernel_helperILb1EZZZNS0_12_GLOBAL__N_124softplus_backward_kernelERNS_18TensorIteratorBaseERKN3c106ScalarES8_ENKUlvE_clEvENKUlvE0_clEvEUlffE_NS0_6memory8policies11unroll_baseILi512ESt5arrayIPcLm3EE23TrivialOffsetCalculatorILi2EjESI_ILi1EjENSC_12LoadWithCastILi2EEENSC_13StoreWithCastILi1EEELi32ELi1EEEEEvT0_T1_@rel64+4
	s_wait_kmcnt 0x0
	s_bfe_u32 s12, s11, 0x80008
	v_dual_mov_b32 v9, s11 :: v_dual_mov_b32 v11, s16
	v_dual_mov_b32 v12, s17 :: v_dual_mov_b32 v13, s18
	;; [unrolled: 1-line block ×3, first 2 shown]
	s_swap_pc_i64 s[30:31], s[0:1]
	s_endpgm
	.section	.rodata,"a",@progbits
	.p2align	6, 0x0
	.amdhsa_kernel _ZN2at6native39vectorized_templated_elementwise_kernelILi4EZZZNS0_12_GLOBAL__N_124softplus_backward_kernelERNS_18TensorIteratorBaseERKN3c106ScalarES8_ENKUlvE_clEvENKUlvE0_clEvEUlffE_St5arrayIPcLm3EE23TrivialOffsetCalculatorILi2EjESF_ILi1EjENS0_6memory12LoadWithCastILi2EEENSI_13StoreWithCastILi1EEEfJfNS5_8BFloat16EEEEviT0_T1_T2_T3_T4_T5_
		.amdhsa_group_segment_fixed_size 0
		.amdhsa_private_segment_fixed_size 272
		.amdhsa_kernarg_size 320
		.amdhsa_user_sgpr_count 2
		.amdhsa_user_sgpr_dispatch_ptr 0
		.amdhsa_user_sgpr_queue_ptr 0
		.amdhsa_user_sgpr_kernarg_segment_ptr 1
		.amdhsa_user_sgpr_dispatch_id 0
		.amdhsa_user_sgpr_kernarg_preload_length 0
		.amdhsa_user_sgpr_kernarg_preload_offset 0
		.amdhsa_user_sgpr_private_segment_size 0
		.amdhsa_wavefront_size32 1
		.amdhsa_uses_dynamic_stack 0
		.amdhsa_enable_private_segment 1
		.amdhsa_system_sgpr_workgroup_id_x 1
		.amdhsa_system_sgpr_workgroup_id_y 0
		.amdhsa_system_sgpr_workgroup_id_z 0
		.amdhsa_system_sgpr_workgroup_info 0
		.amdhsa_system_vgpr_workitem_id 0
		.amdhsa_next_free_vgpr 132
		.amdhsa_next_free_sgpr 96
		.amdhsa_named_barrier_count 0
		.amdhsa_reserve_vcc 1
		.amdhsa_float_round_mode_32 0
		.amdhsa_float_round_mode_16_64 0
		.amdhsa_float_denorm_mode_32 3
		.amdhsa_float_denorm_mode_16_64 3
		.amdhsa_fp16_overflow 0
		.amdhsa_memory_ordered 1
		.amdhsa_forward_progress 1
		.amdhsa_inst_pref_size 66
		.amdhsa_round_robin_scheduling 0
		.amdhsa_exception_fp_ieee_invalid_op 0
		.amdhsa_exception_fp_denorm_src 0
		.amdhsa_exception_fp_ieee_div_zero 0
		.amdhsa_exception_fp_ieee_overflow 0
		.amdhsa_exception_fp_ieee_underflow 0
		.amdhsa_exception_fp_ieee_inexact 0
		.amdhsa_exception_int_div_zero 0
	.end_amdhsa_kernel
	.section	.text._ZN2at6native39vectorized_templated_elementwise_kernelILi4EZZZNS0_12_GLOBAL__N_124softplus_backward_kernelERNS_18TensorIteratorBaseERKN3c106ScalarES8_ENKUlvE_clEvENKUlvE0_clEvEUlffE_St5arrayIPcLm3EE23TrivialOffsetCalculatorILi2EjESF_ILi1EjENS0_6memory12LoadWithCastILi2EEENSI_13StoreWithCastILi1EEEfJfNS5_8BFloat16EEEEviT0_T1_T2_T3_T4_T5_,"axG",@progbits,_ZN2at6native39vectorized_templated_elementwise_kernelILi4EZZZNS0_12_GLOBAL__N_124softplus_backward_kernelERNS_18TensorIteratorBaseERKN3c106ScalarES8_ENKUlvE_clEvENKUlvE0_clEvEUlffE_St5arrayIPcLm3EE23TrivialOffsetCalculatorILi2EjESF_ILi1EjENS0_6memory12LoadWithCastILi2EEENSI_13StoreWithCastILi1EEEfJfNS5_8BFloat16EEEEviT0_T1_T2_T3_T4_T5_,comdat
.Lfunc_end53:
	.size	_ZN2at6native39vectorized_templated_elementwise_kernelILi4EZZZNS0_12_GLOBAL__N_124softplus_backward_kernelERNS_18TensorIteratorBaseERKN3c106ScalarES8_ENKUlvE_clEvENKUlvE0_clEvEUlffE_St5arrayIPcLm3EE23TrivialOffsetCalculatorILi2EjESF_ILi1EjENS0_6memory12LoadWithCastILi2EEENSI_13StoreWithCastILi1EEEfJfNS5_8BFloat16EEEEviT0_T1_T2_T3_T4_T5_, .Lfunc_end53-_ZN2at6native39vectorized_templated_elementwise_kernelILi4EZZZNS0_12_GLOBAL__N_124softplus_backward_kernelERNS_18TensorIteratorBaseERKN3c106ScalarES8_ENKUlvE_clEvENKUlvE0_clEvEUlffE_St5arrayIPcLm3EE23TrivialOffsetCalculatorILi2EjESF_ILi1EjENS0_6memory12LoadWithCastILi2EEENSI_13StoreWithCastILi1EEEfJfNS5_8BFloat16EEEEviT0_T1_T2_T3_T4_T5_
                                        ; -- End function
	.set _ZN2at6native39vectorized_templated_elementwise_kernelILi4EZZZNS0_12_GLOBAL__N_124softplus_backward_kernelERNS_18TensorIteratorBaseERKN3c106ScalarES8_ENKUlvE_clEvENKUlvE0_clEvEUlffE_St5arrayIPcLm3EE23TrivialOffsetCalculatorILi2EjESF_ILi1EjENS0_6memory12LoadWithCastILi2EEENSI_13StoreWithCastILi1EEEfJfNS5_8BFloat16EEEEviT0_T1_T2_T3_T4_T5_.num_vgpr, max(55, .L_ZN2at6native25elementwise_kernel_helperILb1EZZZNS0_12_GLOBAL__N_124softplus_backward_kernelERNS_18TensorIteratorBaseERKN3c106ScalarES8_ENKUlvE_clEvENKUlvE0_clEvEUlffE_NS0_6memory8policies11unroll_baseILi512ESt5arrayIPcLm3EE23TrivialOffsetCalculatorILi2EjESI_ILi1EjENSC_12LoadWithCastILi2EEENSC_13StoreWithCastILi1EEELi32ELi1EEEEEvT0_T1_.num_vgpr)
	.set _ZN2at6native39vectorized_templated_elementwise_kernelILi4EZZZNS0_12_GLOBAL__N_124softplus_backward_kernelERNS_18TensorIteratorBaseERKN3c106ScalarES8_ENKUlvE_clEvENKUlvE0_clEvEUlffE_St5arrayIPcLm3EE23TrivialOffsetCalculatorILi2EjESF_ILi1EjENS0_6memory12LoadWithCastILi2EEENSI_13StoreWithCastILi1EEEfJfNS5_8BFloat16EEEEviT0_T1_T2_T3_T4_T5_.num_agpr, max(0, .L_ZN2at6native25elementwise_kernel_helperILb1EZZZNS0_12_GLOBAL__N_124softplus_backward_kernelERNS_18TensorIteratorBaseERKN3c106ScalarES8_ENKUlvE_clEvENKUlvE0_clEvEUlffE_NS0_6memory8policies11unroll_baseILi512ESt5arrayIPcLm3EE23TrivialOffsetCalculatorILi2EjESI_ILi1EjENSC_12LoadWithCastILi2EEENSC_13StoreWithCastILi1EEELi32ELi1EEEEEvT0_T1_.num_agpr)
	.set _ZN2at6native39vectorized_templated_elementwise_kernelILi4EZZZNS0_12_GLOBAL__N_124softplus_backward_kernelERNS_18TensorIteratorBaseERKN3c106ScalarES8_ENKUlvE_clEvENKUlvE0_clEvEUlffE_St5arrayIPcLm3EE23TrivialOffsetCalculatorILi2EjESF_ILi1EjENS0_6memory12LoadWithCastILi2EEENSI_13StoreWithCastILi1EEEfJfNS5_8BFloat16EEEEviT0_T1_T2_T3_T4_T5_.numbered_sgpr, max(33, .L_ZN2at6native25elementwise_kernel_helperILb1EZZZNS0_12_GLOBAL__N_124softplus_backward_kernelERNS_18TensorIteratorBaseERKN3c106ScalarES8_ENKUlvE_clEvENKUlvE0_clEvEUlffE_NS0_6memory8policies11unroll_baseILi512ESt5arrayIPcLm3EE23TrivialOffsetCalculatorILi2EjESI_ILi1EjENSC_12LoadWithCastILi2EEENSC_13StoreWithCastILi1EEELi32ELi1EEEEEvT0_T1_.numbered_sgpr)
	.set _ZN2at6native39vectorized_templated_elementwise_kernelILi4EZZZNS0_12_GLOBAL__N_124softplus_backward_kernelERNS_18TensorIteratorBaseERKN3c106ScalarES8_ENKUlvE_clEvENKUlvE0_clEvEUlffE_St5arrayIPcLm3EE23TrivialOffsetCalculatorILi2EjESF_ILi1EjENS0_6memory12LoadWithCastILi2EEENSI_13StoreWithCastILi1EEEfJfNS5_8BFloat16EEEEviT0_T1_T2_T3_T4_T5_.num_named_barrier, max(0, .L_ZN2at6native25elementwise_kernel_helperILb1EZZZNS0_12_GLOBAL__N_124softplus_backward_kernelERNS_18TensorIteratorBaseERKN3c106ScalarES8_ENKUlvE_clEvENKUlvE0_clEvEUlffE_NS0_6memory8policies11unroll_baseILi512ESt5arrayIPcLm3EE23TrivialOffsetCalculatorILi2EjESI_ILi1EjENSC_12LoadWithCastILi2EEENSC_13StoreWithCastILi1EEELi32ELi1EEEEEvT0_T1_.num_named_barrier)
	.set _ZN2at6native39vectorized_templated_elementwise_kernelILi4EZZZNS0_12_GLOBAL__N_124softplus_backward_kernelERNS_18TensorIteratorBaseERKN3c106ScalarES8_ENKUlvE_clEvENKUlvE0_clEvEUlffE_St5arrayIPcLm3EE23TrivialOffsetCalculatorILi2EjESF_ILi1EjENS0_6memory12LoadWithCastILi2EEENSI_13StoreWithCastILi1EEEfJfNS5_8BFloat16EEEEviT0_T1_T2_T3_T4_T5_.private_seg_size, 0+max(.L_ZN2at6native25elementwise_kernel_helperILb1EZZZNS0_12_GLOBAL__N_124softplus_backward_kernelERNS_18TensorIteratorBaseERKN3c106ScalarES8_ENKUlvE_clEvENKUlvE0_clEvEUlffE_NS0_6memory8policies11unroll_baseILi512ESt5arrayIPcLm3EE23TrivialOffsetCalculatorILi2EjESI_ILi1EjENSC_12LoadWithCastILi2EEENSC_13StoreWithCastILi1EEELi32ELi1EEEEEvT0_T1_.private_seg_size)
	.set _ZN2at6native39vectorized_templated_elementwise_kernelILi4EZZZNS0_12_GLOBAL__N_124softplus_backward_kernelERNS_18TensorIteratorBaseERKN3c106ScalarES8_ENKUlvE_clEvENKUlvE0_clEvEUlffE_St5arrayIPcLm3EE23TrivialOffsetCalculatorILi2EjESF_ILi1EjENS0_6memory12LoadWithCastILi2EEENSI_13StoreWithCastILi1EEEfJfNS5_8BFloat16EEEEviT0_T1_T2_T3_T4_T5_.uses_vcc, or(1, .L_ZN2at6native25elementwise_kernel_helperILb1EZZZNS0_12_GLOBAL__N_124softplus_backward_kernelERNS_18TensorIteratorBaseERKN3c106ScalarES8_ENKUlvE_clEvENKUlvE0_clEvEUlffE_NS0_6memory8policies11unroll_baseILi512ESt5arrayIPcLm3EE23TrivialOffsetCalculatorILi2EjESI_ILi1EjENSC_12LoadWithCastILi2EEENSC_13StoreWithCastILi1EEELi32ELi1EEEEEvT0_T1_.uses_vcc)
	.set _ZN2at6native39vectorized_templated_elementwise_kernelILi4EZZZNS0_12_GLOBAL__N_124softplus_backward_kernelERNS_18TensorIteratorBaseERKN3c106ScalarES8_ENKUlvE_clEvENKUlvE0_clEvEUlffE_St5arrayIPcLm3EE23TrivialOffsetCalculatorILi2EjESF_ILi1EjENS0_6memory12LoadWithCastILi2EEENSI_13StoreWithCastILi1EEEfJfNS5_8BFloat16EEEEviT0_T1_T2_T3_T4_T5_.uses_flat_scratch, or(0, .L_ZN2at6native25elementwise_kernel_helperILb1EZZZNS0_12_GLOBAL__N_124softplus_backward_kernelERNS_18TensorIteratorBaseERKN3c106ScalarES8_ENKUlvE_clEvENKUlvE0_clEvEUlffE_NS0_6memory8policies11unroll_baseILi512ESt5arrayIPcLm3EE23TrivialOffsetCalculatorILi2EjESI_ILi1EjENSC_12LoadWithCastILi2EEENSC_13StoreWithCastILi1EEELi32ELi1EEEEEvT0_T1_.uses_flat_scratch)
	.set _ZN2at6native39vectorized_templated_elementwise_kernelILi4EZZZNS0_12_GLOBAL__N_124softplus_backward_kernelERNS_18TensorIteratorBaseERKN3c106ScalarES8_ENKUlvE_clEvENKUlvE0_clEvEUlffE_St5arrayIPcLm3EE23TrivialOffsetCalculatorILi2EjESF_ILi1EjENS0_6memory12LoadWithCastILi2EEENSI_13StoreWithCastILi1EEEfJfNS5_8BFloat16EEEEviT0_T1_T2_T3_T4_T5_.has_dyn_sized_stack, or(0, .L_ZN2at6native25elementwise_kernel_helperILb1EZZZNS0_12_GLOBAL__N_124softplus_backward_kernelERNS_18TensorIteratorBaseERKN3c106ScalarES8_ENKUlvE_clEvENKUlvE0_clEvEUlffE_NS0_6memory8policies11unroll_baseILi512ESt5arrayIPcLm3EE23TrivialOffsetCalculatorILi2EjESI_ILi1EjENSC_12LoadWithCastILi2EEENSC_13StoreWithCastILi1EEELi32ELi1EEEEEvT0_T1_.has_dyn_sized_stack)
	.set _ZN2at6native39vectorized_templated_elementwise_kernelILi4EZZZNS0_12_GLOBAL__N_124softplus_backward_kernelERNS_18TensorIteratorBaseERKN3c106ScalarES8_ENKUlvE_clEvENKUlvE0_clEvEUlffE_St5arrayIPcLm3EE23TrivialOffsetCalculatorILi2EjESF_ILi1EjENS0_6memory12LoadWithCastILi2EEENSI_13StoreWithCastILi1EEEfJfNS5_8BFloat16EEEEviT0_T1_T2_T3_T4_T5_.has_recursion, or(0, .L_ZN2at6native25elementwise_kernel_helperILb1EZZZNS0_12_GLOBAL__N_124softplus_backward_kernelERNS_18TensorIteratorBaseERKN3c106ScalarES8_ENKUlvE_clEvENKUlvE0_clEvEUlffE_NS0_6memory8policies11unroll_baseILi512ESt5arrayIPcLm3EE23TrivialOffsetCalculatorILi2EjESI_ILi1EjENSC_12LoadWithCastILi2EEENSC_13StoreWithCastILi1EEELi32ELi1EEEEEvT0_T1_.has_recursion)
	.set _ZN2at6native39vectorized_templated_elementwise_kernelILi4EZZZNS0_12_GLOBAL__N_124softplus_backward_kernelERNS_18TensorIteratorBaseERKN3c106ScalarES8_ENKUlvE_clEvENKUlvE0_clEvEUlffE_St5arrayIPcLm3EE23TrivialOffsetCalculatorILi2EjESF_ILi1EjENS0_6memory12LoadWithCastILi2EEENSI_13StoreWithCastILi1EEEfJfNS5_8BFloat16EEEEviT0_T1_T2_T3_T4_T5_.has_indirect_call, or(0, .L_ZN2at6native25elementwise_kernel_helperILb1EZZZNS0_12_GLOBAL__N_124softplus_backward_kernelERNS_18TensorIteratorBaseERKN3c106ScalarES8_ENKUlvE_clEvENKUlvE0_clEvEUlffE_NS0_6memory8policies11unroll_baseILi512ESt5arrayIPcLm3EE23TrivialOffsetCalculatorILi2EjESI_ILi1EjENSC_12LoadWithCastILi2EEENSC_13StoreWithCastILi1EEELi32ELi1EEEEEvT0_T1_.has_indirect_call)
	.section	.AMDGPU.csdata,"",@progbits
; Kernel info:
; codeLenInByte = 8392
; TotalNumSgprs: 98
; NumVgprs: 132
; ScratchSize: 272
; MemoryBound: 0
; FloatMode: 240
; IeeeMode: 1
; LDSByteSize: 0 bytes/workgroup (compile time only)
; SGPRBlocks: 0
; VGPRBlocks: 8
; NumSGPRsForWavesPerEU: 98
; NumVGPRsForWavesPerEU: 132
; NamedBarCnt: 0
; Occupancy: 7
; WaveLimiterHint : 1
; COMPUTE_PGM_RSRC2:SCRATCH_EN: 1
; COMPUTE_PGM_RSRC2:USER_SGPR: 2
; COMPUTE_PGM_RSRC2:TRAP_HANDLER: 0
; COMPUTE_PGM_RSRC2:TGID_X_EN: 1
; COMPUTE_PGM_RSRC2:TGID_Y_EN: 0
; COMPUTE_PGM_RSRC2:TGID_Z_EN: 0
; COMPUTE_PGM_RSRC2:TIDIG_COMP_CNT: 0
	.section	.text._ZN2at6native39vectorized_templated_elementwise_kernelILi2EZZZNS0_12_GLOBAL__N_124softplus_backward_kernelERNS_18TensorIteratorBaseERKN3c106ScalarES8_ENKUlvE_clEvENKUlvE0_clEvEUlffE_St5arrayIPcLm3EE23TrivialOffsetCalculatorILi2EjESF_ILi1EjENS0_6memory12LoadWithCastILi2EEENSI_13StoreWithCastILi1EEEfJfNS5_8BFloat16EEEEviT0_T1_T2_T3_T4_T5_,"axG",@progbits,_ZN2at6native39vectorized_templated_elementwise_kernelILi2EZZZNS0_12_GLOBAL__N_124softplus_backward_kernelERNS_18TensorIteratorBaseERKN3c106ScalarES8_ENKUlvE_clEvENKUlvE0_clEvEUlffE_St5arrayIPcLm3EE23TrivialOffsetCalculatorILi2EjESF_ILi1EjENS0_6memory12LoadWithCastILi2EEENSI_13StoreWithCastILi1EEEfJfNS5_8BFloat16EEEEviT0_T1_T2_T3_T4_T5_,comdat
	.globl	_ZN2at6native39vectorized_templated_elementwise_kernelILi2EZZZNS0_12_GLOBAL__N_124softplus_backward_kernelERNS_18TensorIteratorBaseERKN3c106ScalarES8_ENKUlvE_clEvENKUlvE0_clEvEUlffE_St5arrayIPcLm3EE23TrivialOffsetCalculatorILi2EjESF_ILi1EjENS0_6memory12LoadWithCastILi2EEENSI_13StoreWithCastILi1EEEfJfNS5_8BFloat16EEEEviT0_T1_T2_T3_T4_T5_ ; -- Begin function _ZN2at6native39vectorized_templated_elementwise_kernelILi2EZZZNS0_12_GLOBAL__N_124softplus_backward_kernelERNS_18TensorIteratorBaseERKN3c106ScalarES8_ENKUlvE_clEvENKUlvE0_clEvEUlffE_St5arrayIPcLm3EE23TrivialOffsetCalculatorILi2EjESF_ILi1EjENS0_6memory12LoadWithCastILi2EEENSI_13StoreWithCastILi1EEEfJfNS5_8BFloat16EEEEviT0_T1_T2_T3_T4_T5_
	.p2align	8
	.type	_ZN2at6native39vectorized_templated_elementwise_kernelILi2EZZZNS0_12_GLOBAL__N_124softplus_backward_kernelERNS_18TensorIteratorBaseERKN3c106ScalarES8_ENKUlvE_clEvENKUlvE0_clEvEUlffE_St5arrayIPcLm3EE23TrivialOffsetCalculatorILi2EjESF_ILi1EjENS0_6memory12LoadWithCastILi2EEENSI_13StoreWithCastILi1EEEfJfNS5_8BFloat16EEEEviT0_T1_T2_T3_T4_T5_,@function
_ZN2at6native39vectorized_templated_elementwise_kernelILi2EZZZNS0_12_GLOBAL__N_124softplus_backward_kernelERNS_18TensorIteratorBaseERKN3c106ScalarES8_ENKUlvE_clEvENKUlvE0_clEvEUlffE_St5arrayIPcLm3EE23TrivialOffsetCalculatorILi2EjESF_ILi1EjENS0_6memory12LoadWithCastILi2EEENSI_13StoreWithCastILi1EEEfJfNS5_8BFloat16EEEEviT0_T1_T2_T3_T4_T5_: ; @_ZN2at6native39vectorized_templated_elementwise_kernelILi2EZZZNS0_12_GLOBAL__N_124softplus_backward_kernelERNS_18TensorIteratorBaseERKN3c106ScalarES8_ENKUlvE_clEvENKUlvE0_clEvEUlffE_St5arrayIPcLm3EE23TrivialOffsetCalculatorILi2EjESF_ILi1EjENS0_6memory12LoadWithCastILi2EEENSI_13StoreWithCastILi1EEEfJfNS5_8BFloat16EEEEviT0_T1_T2_T3_T4_T5_
; %bb.0:
	s_clause 0x2
	s_load_b32 s8, s[0:1], 0x40
	s_load_b96 s[12:14], s[0:1], 0x0
	s_load_b64 s[2:3], s[0:1], 0x20
	s_bfe_u32 s9, ttmp6, 0x4000c
	s_load_b128 s[4:7], s[0:1], 0x10
	s_add_co_i32 s9, s9, 1
	s_and_b32 s10, ttmp6, 15
	s_mul_i32 s9, ttmp9, s9
	s_getreg_b32 s11, hwreg(HW_REG_IB_STS2, 6, 4)
	s_add_co_i32 s10, s10, s9
	s_cmp_eq_u32 s11, 0
	s_mov_b32 s32, 0
	s_cselect_b32 s9, ttmp9, s10
	s_delay_alu instid0(SALU_CYCLE_1) | instskip(SKIP_2) | instid1(SALU_CYCLE_1)
	s_not_b32 s9, s9
	s_wait_kmcnt 0x0
	s_add_co_i32 s8, s8, s9
	s_lshl_b32 s10, s8, 14
	s_mov_b32 s8, -1
	s_sub_co_i32 s12, s12, s10
	s_delay_alu instid0(SALU_CYCLE_1)
	s_cmp_gt_i32 s12, 0x3fff
	s_cbranch_scc1 .LBB54_3
; %bb.1:
	s_and_b32 vcc_lo, exec_lo, s8
	s_cbranch_vccnz .LBB54_68
.LBB54_2:
	s_sendmsg sendmsg(MSG_DEALLOC_VGPRS)
	s_endpgm
.LBB54_3:
	s_ashr_i32 s11, s10, 31
	s_delay_alu instid0(SALU_CYCLE_1)
	s_lshl_b64 s[8:9], s[10:11], 2
	s_lshl_b64 s[10:11], s[10:11], 1
	s_add_nc_u64 s[16:17], s[6:7], s[8:9]
	s_add_nc_u64 s[10:11], s[2:3], s[10:11]
	s_clause 0x1f
	global_load_b64 v[32:33], v0, s[16:17] scale_offset
	global_load_b64 v[30:31], v0, s[16:17] offset:4096 scale_offset
	global_load_b64 v[28:29], v0, s[16:17] offset:8192 scale_offset
	;; [unrolled: 1-line block ×15, first 2 shown]
	global_load_b32 v48, v0, s[10:11] scale_offset
	global_load_b32 v47, v0, s[10:11] offset:2048 scale_offset
	global_load_b32 v46, v0, s[10:11] offset:4096 scale_offset
	;; [unrolled: 1-line block ×10, first 2 shown]
	; meta instruction
	global_load_b32 v37, v0, s[10:11] offset:22528 scale_offset
	global_load_b32 v36, v0, s[10:11] offset:24576 scale_offset
	;; [unrolled: 1-line block ×5, first 2 shown]
	s_wait_xcnt 0x0
	s_mov_b32 s10, exec_lo
	s_wait_loadcnt 0xf
	v_lshlrev_b32_e32 v49, 16, v48
	s_delay_alu instid0(VALU_DEP_1) | instskip(NEXT) | instid1(VALU_DEP_1)
	v_mul_f32_e32 v49, s13, v49
	v_cmpx_nlt_f32_e32 s14, v49
	s_cbranch_execz .LBB54_5
; %bb.4:
	v_mul_f32_e32 v50, 0x3fb8aa3b, v49
	v_cmp_ngt_f32_e32 vcc_lo, 0xc2ce8ed0, v49
	s_delay_alu instid0(VALU_DEP_2) | instskip(SKIP_1) | instid1(VALU_DEP_2)
	v_rndne_f32_e32 v51, v50
	v_fma_f32 v52, 0x3fb8aa3b, v49, -v50
	v_sub_f32_e32 v50, v50, v51
	s_delay_alu instid0(VALU_DEP_2) | instskip(SKIP_1) | instid1(VALU_DEP_2)
	v_fmamk_f32 v52, v49, 0x32a5705f, v52
	v_cvt_i32_f32_e32 v51, v51
	v_add_f32_e32 v50, v50, v52
	s_delay_alu instid0(VALU_DEP_1) | instskip(SKIP_1) | instid1(TRANS32_DEP_1)
	v_exp_f32_e32 v50, v50
	v_nop
	v_ldexp_f32 v50, v50, v51
	s_delay_alu instid0(VALU_DEP_1) | instskip(SKIP_1) | instid1(VALU_DEP_2)
	v_cndmask_b32_e32 v50, 0, v50, vcc_lo
	v_cmp_nlt_f32_e32 vcc_lo, 0x42b17218, v49
	v_cndmask_b32_e32 v49, 0x7f800000, v50, vcc_lo
	s_delay_alu instid0(VALU_DEP_1) | instskip(NEXT) | instid1(VALU_DEP_1)
	v_dual_mul_f32 v32, v32, v49 :: v_dual_add_f32 v49, 1.0, v49
	v_div_scale_f32 v50, null, v49, v49, v32
	s_delay_alu instid0(VALU_DEP_1) | instskip(SKIP_1) | instid1(TRANS32_DEP_1)
	v_rcp_f32_e32 v51, v50
	v_nop
	v_fma_f32 v52, -v50, v51, 1.0
	s_delay_alu instid0(VALU_DEP_1) | instskip(SKIP_1) | instid1(VALU_DEP_1)
	v_fmac_f32_e32 v51, v52, v51
	v_div_scale_f32 v52, vcc_lo, v32, v49, v32
	v_mul_f32_e32 v53, v52, v51
	s_delay_alu instid0(VALU_DEP_1) | instskip(NEXT) | instid1(VALU_DEP_1)
	v_fma_f32 v54, -v50, v53, v52
	v_fmac_f32_e32 v53, v54, v51
	s_delay_alu instid0(VALU_DEP_1) | instskip(NEXT) | instid1(VALU_DEP_1)
	v_fma_f32 v50, -v50, v53, v52
	v_div_fmas_f32 v50, v50, v51, v53
	s_delay_alu instid0(VALU_DEP_1)
	v_div_fixup_f32 v32, v50, v49, v32
.LBB54_5:
	s_or_b32 exec_lo, exec_lo, s10
	v_and_b32_e32 v48, 0xffff0000, v48
	s_mov_b32 s10, exec_lo
	s_delay_alu instid0(VALU_DEP_1) | instskip(NEXT) | instid1(VALU_DEP_1)
	v_mul_f32_e32 v48, s13, v48
	v_cmpx_nlt_f32_e32 s14, v48
	s_cbranch_execz .LBB54_7
; %bb.6:
	v_mul_f32_e32 v49, 0x3fb8aa3b, v48
	v_cmp_ngt_f32_e32 vcc_lo, 0xc2ce8ed0, v48
	s_delay_alu instid0(VALU_DEP_2) | instskip(SKIP_1) | instid1(VALU_DEP_2)
	v_rndne_f32_e32 v50, v49
	v_fma_f32 v51, 0x3fb8aa3b, v48, -v49
	v_sub_f32_e32 v49, v49, v50
	s_delay_alu instid0(VALU_DEP_2) | instskip(SKIP_1) | instid1(VALU_DEP_2)
	v_fmamk_f32 v51, v48, 0x32a5705f, v51
	v_cvt_i32_f32_e32 v50, v50
	v_add_f32_e32 v49, v49, v51
	s_delay_alu instid0(VALU_DEP_1) | instskip(SKIP_1) | instid1(TRANS32_DEP_1)
	v_exp_f32_e32 v49, v49
	v_nop
	v_ldexp_f32 v49, v49, v50
	s_delay_alu instid0(VALU_DEP_1) | instskip(SKIP_1) | instid1(VALU_DEP_2)
	v_cndmask_b32_e32 v49, 0, v49, vcc_lo
	v_cmp_nlt_f32_e32 vcc_lo, 0x42b17218, v48
	v_cndmask_b32_e32 v48, 0x7f800000, v49, vcc_lo
	s_delay_alu instid0(VALU_DEP_1) | instskip(NEXT) | instid1(VALU_DEP_1)
	v_dual_mul_f32 v33, v33, v48 :: v_dual_add_f32 v48, 1.0, v48
	v_div_scale_f32 v49, null, v48, v48, v33
	s_delay_alu instid0(VALU_DEP_1) | instskip(SKIP_1) | instid1(TRANS32_DEP_1)
	v_rcp_f32_e32 v50, v49
	v_nop
	v_fma_f32 v51, -v49, v50, 1.0
	s_delay_alu instid0(VALU_DEP_1) | instskip(SKIP_1) | instid1(VALU_DEP_1)
	v_fmac_f32_e32 v50, v51, v50
	v_div_scale_f32 v51, vcc_lo, v33, v48, v33
	v_mul_f32_e32 v52, v51, v50
	s_delay_alu instid0(VALU_DEP_1) | instskip(NEXT) | instid1(VALU_DEP_1)
	v_fma_f32 v53, -v49, v52, v51
	v_fmac_f32_e32 v52, v53, v50
	s_delay_alu instid0(VALU_DEP_1) | instskip(NEXT) | instid1(VALU_DEP_1)
	v_fma_f32 v49, -v49, v52, v51
	v_div_fmas_f32 v49, v49, v50, v52
	s_delay_alu instid0(VALU_DEP_1)
	v_div_fixup_f32 v33, v49, v48, v33
.LBB54_7:
	s_or_b32 exec_lo, exec_lo, s10
	s_wait_loadcnt 0xe
	v_lshlrev_b32_e32 v48, 16, v47
	s_mov_b32 s10, exec_lo
	s_delay_alu instid0(VALU_DEP_1) | instskip(NEXT) | instid1(VALU_DEP_1)
	v_mul_f32_e32 v48, s13, v48
	v_cmpx_nlt_f32_e32 s14, v48
	s_cbranch_execz .LBB54_9
; %bb.8:
	v_mul_f32_e32 v49, 0x3fb8aa3b, v48
	v_cmp_ngt_f32_e32 vcc_lo, 0xc2ce8ed0, v48
	s_delay_alu instid0(VALU_DEP_2) | instskip(SKIP_1) | instid1(VALU_DEP_2)
	v_rndne_f32_e32 v50, v49
	v_fma_f32 v51, 0x3fb8aa3b, v48, -v49
	v_sub_f32_e32 v49, v49, v50
	s_delay_alu instid0(VALU_DEP_2) | instskip(SKIP_1) | instid1(VALU_DEP_2)
	v_fmamk_f32 v51, v48, 0x32a5705f, v51
	v_cvt_i32_f32_e32 v50, v50
	v_add_f32_e32 v49, v49, v51
	s_delay_alu instid0(VALU_DEP_1) | instskip(SKIP_1) | instid1(TRANS32_DEP_1)
	v_exp_f32_e32 v49, v49
	v_nop
	v_ldexp_f32 v49, v49, v50
	s_delay_alu instid0(VALU_DEP_1) | instskip(SKIP_1) | instid1(VALU_DEP_2)
	v_cndmask_b32_e32 v49, 0, v49, vcc_lo
	v_cmp_nlt_f32_e32 vcc_lo, 0x42b17218, v48
	v_cndmask_b32_e32 v48, 0x7f800000, v49, vcc_lo
	s_delay_alu instid0(VALU_DEP_1) | instskip(NEXT) | instid1(VALU_DEP_1)
	v_dual_mul_f32 v30, v30, v48 :: v_dual_add_f32 v48, 1.0, v48
	v_div_scale_f32 v49, null, v48, v48, v30
	s_delay_alu instid0(VALU_DEP_1) | instskip(SKIP_1) | instid1(TRANS32_DEP_1)
	v_rcp_f32_e32 v50, v49
	v_nop
	v_fma_f32 v51, -v49, v50, 1.0
	s_delay_alu instid0(VALU_DEP_1) | instskip(SKIP_1) | instid1(VALU_DEP_1)
	v_fmac_f32_e32 v50, v51, v50
	v_div_scale_f32 v51, vcc_lo, v30, v48, v30
	v_mul_f32_e32 v52, v51, v50
	s_delay_alu instid0(VALU_DEP_1) | instskip(NEXT) | instid1(VALU_DEP_1)
	v_fma_f32 v53, -v49, v52, v51
	v_fmac_f32_e32 v52, v53, v50
	s_delay_alu instid0(VALU_DEP_1) | instskip(NEXT) | instid1(VALU_DEP_1)
	v_fma_f32 v49, -v49, v52, v51
	v_div_fmas_f32 v49, v49, v50, v52
	s_delay_alu instid0(VALU_DEP_1)
	v_div_fixup_f32 v30, v49, v48, v30
.LBB54_9:
	s_or_b32 exec_lo, exec_lo, s10
	v_and_b32_e32 v47, 0xffff0000, v47
	s_mov_b32 s10, exec_lo
	s_delay_alu instid0(VALU_DEP_1) | instskip(NEXT) | instid1(VALU_DEP_1)
	v_mul_f32_e32 v47, s13, v47
	v_cmpx_nlt_f32_e32 s14, v47
	s_cbranch_execz .LBB54_11
; %bb.10:
	v_mul_f32_e32 v48, 0x3fb8aa3b, v47
	v_cmp_ngt_f32_e32 vcc_lo, 0xc2ce8ed0, v47
	s_delay_alu instid0(VALU_DEP_2) | instskip(SKIP_1) | instid1(VALU_DEP_2)
	v_rndne_f32_e32 v49, v48
	v_fma_f32 v50, 0x3fb8aa3b, v47, -v48
	v_sub_f32_e32 v48, v48, v49
	s_delay_alu instid0(VALU_DEP_2) | instskip(SKIP_1) | instid1(VALU_DEP_2)
	v_fmamk_f32 v50, v47, 0x32a5705f, v50
	v_cvt_i32_f32_e32 v49, v49
	v_add_f32_e32 v48, v48, v50
	s_delay_alu instid0(VALU_DEP_1) | instskip(SKIP_1) | instid1(TRANS32_DEP_1)
	v_exp_f32_e32 v48, v48
	v_nop
	v_ldexp_f32 v48, v48, v49
	s_delay_alu instid0(VALU_DEP_1) | instskip(SKIP_1) | instid1(VALU_DEP_2)
	v_cndmask_b32_e32 v48, 0, v48, vcc_lo
	v_cmp_nlt_f32_e32 vcc_lo, 0x42b17218, v47
	v_cndmask_b32_e32 v47, 0x7f800000, v48, vcc_lo
	s_delay_alu instid0(VALU_DEP_1) | instskip(NEXT) | instid1(VALU_DEP_1)
	v_dual_mul_f32 v31, v31, v47 :: v_dual_add_f32 v47, 1.0, v47
	v_div_scale_f32 v48, null, v47, v47, v31
	s_delay_alu instid0(VALU_DEP_1) | instskip(SKIP_1) | instid1(TRANS32_DEP_1)
	v_rcp_f32_e32 v49, v48
	v_nop
	v_fma_f32 v50, -v48, v49, 1.0
	s_delay_alu instid0(VALU_DEP_1) | instskip(SKIP_1) | instid1(VALU_DEP_1)
	v_fmac_f32_e32 v49, v50, v49
	v_div_scale_f32 v50, vcc_lo, v31, v47, v31
	v_mul_f32_e32 v51, v50, v49
	s_delay_alu instid0(VALU_DEP_1) | instskip(NEXT) | instid1(VALU_DEP_1)
	v_fma_f32 v52, -v48, v51, v50
	v_fmac_f32_e32 v51, v52, v49
	s_delay_alu instid0(VALU_DEP_1) | instskip(NEXT) | instid1(VALU_DEP_1)
	v_fma_f32 v48, -v48, v51, v50
	v_div_fmas_f32 v48, v48, v49, v51
	s_delay_alu instid0(VALU_DEP_1)
	v_div_fixup_f32 v31, v48, v47, v31
.LBB54_11:
	s_or_b32 exec_lo, exec_lo, s10
	s_wait_loadcnt 0xd
	v_lshlrev_b32_e32 v47, 16, v46
	s_mov_b32 s10, exec_lo
	s_delay_alu instid0(VALU_DEP_1) | instskip(NEXT) | instid1(VALU_DEP_1)
	v_mul_f32_e32 v47, s13, v47
	v_cmpx_nlt_f32_e32 s14, v47
	s_cbranch_execz .LBB54_13
; %bb.12:
	v_mul_f32_e32 v48, 0x3fb8aa3b, v47
	v_cmp_ngt_f32_e32 vcc_lo, 0xc2ce8ed0, v47
	s_delay_alu instid0(VALU_DEP_2) | instskip(SKIP_1) | instid1(VALU_DEP_2)
	v_rndne_f32_e32 v49, v48
	v_fma_f32 v50, 0x3fb8aa3b, v47, -v48
	v_sub_f32_e32 v48, v48, v49
	s_delay_alu instid0(VALU_DEP_2) | instskip(SKIP_1) | instid1(VALU_DEP_2)
	v_fmamk_f32 v50, v47, 0x32a5705f, v50
	v_cvt_i32_f32_e32 v49, v49
	v_add_f32_e32 v48, v48, v50
	s_delay_alu instid0(VALU_DEP_1) | instskip(SKIP_1) | instid1(TRANS32_DEP_1)
	v_exp_f32_e32 v48, v48
	v_nop
	v_ldexp_f32 v48, v48, v49
	s_delay_alu instid0(VALU_DEP_1) | instskip(SKIP_1) | instid1(VALU_DEP_2)
	v_cndmask_b32_e32 v48, 0, v48, vcc_lo
	v_cmp_nlt_f32_e32 vcc_lo, 0x42b17218, v47
	v_cndmask_b32_e32 v47, 0x7f800000, v48, vcc_lo
	s_delay_alu instid0(VALU_DEP_1) | instskip(NEXT) | instid1(VALU_DEP_1)
	v_dual_mul_f32 v28, v28, v47 :: v_dual_add_f32 v47, 1.0, v47
	v_div_scale_f32 v48, null, v47, v47, v28
	s_delay_alu instid0(VALU_DEP_1) | instskip(SKIP_1) | instid1(TRANS32_DEP_1)
	v_rcp_f32_e32 v49, v48
	v_nop
	v_fma_f32 v50, -v48, v49, 1.0
	s_delay_alu instid0(VALU_DEP_1) | instskip(SKIP_1) | instid1(VALU_DEP_1)
	v_fmac_f32_e32 v49, v50, v49
	v_div_scale_f32 v50, vcc_lo, v28, v47, v28
	v_mul_f32_e32 v51, v50, v49
	s_delay_alu instid0(VALU_DEP_1) | instskip(NEXT) | instid1(VALU_DEP_1)
	v_fma_f32 v52, -v48, v51, v50
	v_fmac_f32_e32 v51, v52, v49
	s_delay_alu instid0(VALU_DEP_1) | instskip(NEXT) | instid1(VALU_DEP_1)
	v_fma_f32 v48, -v48, v51, v50
	v_div_fmas_f32 v48, v48, v49, v51
	s_delay_alu instid0(VALU_DEP_1)
	v_div_fixup_f32 v28, v48, v47, v28
.LBB54_13:
	s_or_b32 exec_lo, exec_lo, s10
	v_and_b32_e32 v46, 0xffff0000, v46
	s_mov_b32 s10, exec_lo
	s_delay_alu instid0(VALU_DEP_1) | instskip(NEXT) | instid1(VALU_DEP_1)
	v_mul_f32_e32 v46, s13, v46
	v_cmpx_nlt_f32_e32 s14, v46
	s_cbranch_execz .LBB54_15
; %bb.14:
	v_mul_f32_e32 v47, 0x3fb8aa3b, v46
	v_cmp_ngt_f32_e32 vcc_lo, 0xc2ce8ed0, v46
	s_delay_alu instid0(VALU_DEP_2) | instskip(SKIP_1) | instid1(VALU_DEP_2)
	v_rndne_f32_e32 v48, v47
	v_fma_f32 v49, 0x3fb8aa3b, v46, -v47
	v_sub_f32_e32 v47, v47, v48
	s_delay_alu instid0(VALU_DEP_2) | instskip(SKIP_1) | instid1(VALU_DEP_2)
	v_fmamk_f32 v49, v46, 0x32a5705f, v49
	v_cvt_i32_f32_e32 v48, v48
	v_add_f32_e32 v47, v47, v49
	s_delay_alu instid0(VALU_DEP_1) | instskip(SKIP_1) | instid1(TRANS32_DEP_1)
	v_exp_f32_e32 v47, v47
	v_nop
	v_ldexp_f32 v47, v47, v48
	s_delay_alu instid0(VALU_DEP_1) | instskip(SKIP_1) | instid1(VALU_DEP_2)
	v_cndmask_b32_e32 v47, 0, v47, vcc_lo
	v_cmp_nlt_f32_e32 vcc_lo, 0x42b17218, v46
	v_cndmask_b32_e32 v46, 0x7f800000, v47, vcc_lo
	s_delay_alu instid0(VALU_DEP_1) | instskip(NEXT) | instid1(VALU_DEP_1)
	v_dual_mul_f32 v29, v29, v46 :: v_dual_add_f32 v46, 1.0, v46
	v_div_scale_f32 v47, null, v46, v46, v29
	s_delay_alu instid0(VALU_DEP_1) | instskip(SKIP_1) | instid1(TRANS32_DEP_1)
	v_rcp_f32_e32 v48, v47
	v_nop
	v_fma_f32 v49, -v47, v48, 1.0
	s_delay_alu instid0(VALU_DEP_1) | instskip(SKIP_1) | instid1(VALU_DEP_1)
	v_fmac_f32_e32 v48, v49, v48
	v_div_scale_f32 v49, vcc_lo, v29, v46, v29
	v_mul_f32_e32 v50, v49, v48
	s_delay_alu instid0(VALU_DEP_1) | instskip(NEXT) | instid1(VALU_DEP_1)
	v_fma_f32 v51, -v47, v50, v49
	v_fmac_f32_e32 v50, v51, v48
	s_delay_alu instid0(VALU_DEP_1) | instskip(NEXT) | instid1(VALU_DEP_1)
	v_fma_f32 v47, -v47, v50, v49
	v_div_fmas_f32 v47, v47, v48, v50
	s_delay_alu instid0(VALU_DEP_1)
	v_div_fixup_f32 v29, v47, v46, v29
.LBB54_15:
	s_or_b32 exec_lo, exec_lo, s10
	s_wait_loadcnt 0xc
	v_lshlrev_b32_e32 v46, 16, v45
	s_mov_b32 s10, exec_lo
	s_delay_alu instid0(VALU_DEP_1) | instskip(NEXT) | instid1(VALU_DEP_1)
	v_mul_f32_e32 v46, s13, v46
	v_cmpx_nlt_f32_e32 s14, v46
	s_cbranch_execz .LBB54_17
; %bb.16:
	v_mul_f32_e32 v47, 0x3fb8aa3b, v46
	v_cmp_ngt_f32_e32 vcc_lo, 0xc2ce8ed0, v46
	s_delay_alu instid0(VALU_DEP_2) | instskip(SKIP_1) | instid1(VALU_DEP_2)
	v_rndne_f32_e32 v48, v47
	v_fma_f32 v49, 0x3fb8aa3b, v46, -v47
	v_sub_f32_e32 v47, v47, v48
	s_delay_alu instid0(VALU_DEP_2) | instskip(SKIP_1) | instid1(VALU_DEP_2)
	v_fmamk_f32 v49, v46, 0x32a5705f, v49
	v_cvt_i32_f32_e32 v48, v48
	v_add_f32_e32 v47, v47, v49
	s_delay_alu instid0(VALU_DEP_1) | instskip(SKIP_1) | instid1(TRANS32_DEP_1)
	v_exp_f32_e32 v47, v47
	v_nop
	v_ldexp_f32 v47, v47, v48
	s_delay_alu instid0(VALU_DEP_1) | instskip(SKIP_1) | instid1(VALU_DEP_2)
	v_cndmask_b32_e32 v47, 0, v47, vcc_lo
	v_cmp_nlt_f32_e32 vcc_lo, 0x42b17218, v46
	v_cndmask_b32_e32 v46, 0x7f800000, v47, vcc_lo
	s_delay_alu instid0(VALU_DEP_1) | instskip(NEXT) | instid1(VALU_DEP_1)
	v_dual_mul_f32 v26, v26, v46 :: v_dual_add_f32 v46, 1.0, v46
	v_div_scale_f32 v47, null, v46, v46, v26
	s_delay_alu instid0(VALU_DEP_1) | instskip(SKIP_1) | instid1(TRANS32_DEP_1)
	v_rcp_f32_e32 v48, v47
	v_nop
	v_fma_f32 v49, -v47, v48, 1.0
	s_delay_alu instid0(VALU_DEP_1) | instskip(SKIP_1) | instid1(VALU_DEP_1)
	v_fmac_f32_e32 v48, v49, v48
	v_div_scale_f32 v49, vcc_lo, v26, v46, v26
	v_mul_f32_e32 v50, v49, v48
	s_delay_alu instid0(VALU_DEP_1) | instskip(NEXT) | instid1(VALU_DEP_1)
	v_fma_f32 v51, -v47, v50, v49
	v_fmac_f32_e32 v50, v51, v48
	s_delay_alu instid0(VALU_DEP_1) | instskip(NEXT) | instid1(VALU_DEP_1)
	v_fma_f32 v47, -v47, v50, v49
	v_div_fmas_f32 v47, v47, v48, v50
	s_delay_alu instid0(VALU_DEP_1)
	v_div_fixup_f32 v26, v47, v46, v26
.LBB54_17:
	s_or_b32 exec_lo, exec_lo, s10
	v_and_b32_e32 v45, 0xffff0000, v45
	s_mov_b32 s10, exec_lo
	s_delay_alu instid0(VALU_DEP_1) | instskip(NEXT) | instid1(VALU_DEP_1)
	v_mul_f32_e32 v45, s13, v45
	v_cmpx_nlt_f32_e32 s14, v45
	s_cbranch_execz .LBB54_19
; %bb.18:
	v_mul_f32_e32 v46, 0x3fb8aa3b, v45
	v_cmp_ngt_f32_e32 vcc_lo, 0xc2ce8ed0, v45
	s_delay_alu instid0(VALU_DEP_2) | instskip(SKIP_1) | instid1(VALU_DEP_2)
	v_rndne_f32_e32 v47, v46
	v_fma_f32 v48, 0x3fb8aa3b, v45, -v46
	v_sub_f32_e32 v46, v46, v47
	s_delay_alu instid0(VALU_DEP_2) | instskip(SKIP_1) | instid1(VALU_DEP_2)
	v_fmamk_f32 v48, v45, 0x32a5705f, v48
	v_cvt_i32_f32_e32 v47, v47
	v_add_f32_e32 v46, v46, v48
	s_delay_alu instid0(VALU_DEP_1) | instskip(SKIP_1) | instid1(TRANS32_DEP_1)
	v_exp_f32_e32 v46, v46
	v_nop
	v_ldexp_f32 v46, v46, v47
	s_delay_alu instid0(VALU_DEP_1) | instskip(SKIP_1) | instid1(VALU_DEP_2)
	v_cndmask_b32_e32 v46, 0, v46, vcc_lo
	v_cmp_nlt_f32_e32 vcc_lo, 0x42b17218, v45
	v_cndmask_b32_e32 v45, 0x7f800000, v46, vcc_lo
	s_delay_alu instid0(VALU_DEP_1) | instskip(NEXT) | instid1(VALU_DEP_1)
	v_dual_mul_f32 v27, v27, v45 :: v_dual_add_f32 v45, 1.0, v45
	v_div_scale_f32 v46, null, v45, v45, v27
	s_delay_alu instid0(VALU_DEP_1) | instskip(SKIP_1) | instid1(TRANS32_DEP_1)
	v_rcp_f32_e32 v47, v46
	v_nop
	v_fma_f32 v48, -v46, v47, 1.0
	s_delay_alu instid0(VALU_DEP_1) | instskip(SKIP_1) | instid1(VALU_DEP_1)
	v_fmac_f32_e32 v47, v48, v47
	v_div_scale_f32 v48, vcc_lo, v27, v45, v27
	v_mul_f32_e32 v49, v48, v47
	s_delay_alu instid0(VALU_DEP_1) | instskip(NEXT) | instid1(VALU_DEP_1)
	v_fma_f32 v50, -v46, v49, v48
	v_fmac_f32_e32 v49, v50, v47
	s_delay_alu instid0(VALU_DEP_1) | instskip(NEXT) | instid1(VALU_DEP_1)
	v_fma_f32 v46, -v46, v49, v48
	v_div_fmas_f32 v46, v46, v47, v49
	s_delay_alu instid0(VALU_DEP_1)
	v_div_fixup_f32 v27, v46, v45, v27
.LBB54_19:
	s_or_b32 exec_lo, exec_lo, s10
	s_wait_loadcnt 0xb
	v_lshlrev_b32_e32 v45, 16, v44
	s_mov_b32 s10, exec_lo
	s_delay_alu instid0(VALU_DEP_1) | instskip(NEXT) | instid1(VALU_DEP_1)
	v_mul_f32_e32 v45, s13, v45
	v_cmpx_nlt_f32_e32 s14, v45
	s_cbranch_execz .LBB54_21
; %bb.20:
	v_mul_f32_e32 v46, 0x3fb8aa3b, v45
	v_cmp_ngt_f32_e32 vcc_lo, 0xc2ce8ed0, v45
	s_delay_alu instid0(VALU_DEP_2) | instskip(SKIP_1) | instid1(VALU_DEP_2)
	v_rndne_f32_e32 v47, v46
	v_fma_f32 v48, 0x3fb8aa3b, v45, -v46
	v_sub_f32_e32 v46, v46, v47
	s_delay_alu instid0(VALU_DEP_2) | instskip(SKIP_1) | instid1(VALU_DEP_2)
	v_fmamk_f32 v48, v45, 0x32a5705f, v48
	v_cvt_i32_f32_e32 v47, v47
	v_add_f32_e32 v46, v46, v48
	s_delay_alu instid0(VALU_DEP_1) | instskip(SKIP_1) | instid1(TRANS32_DEP_1)
	v_exp_f32_e32 v46, v46
	v_nop
	v_ldexp_f32 v46, v46, v47
	s_delay_alu instid0(VALU_DEP_1) | instskip(SKIP_1) | instid1(VALU_DEP_2)
	v_cndmask_b32_e32 v46, 0, v46, vcc_lo
	v_cmp_nlt_f32_e32 vcc_lo, 0x42b17218, v45
	v_cndmask_b32_e32 v45, 0x7f800000, v46, vcc_lo
	s_delay_alu instid0(VALU_DEP_1) | instskip(NEXT) | instid1(VALU_DEP_1)
	v_dual_mul_f32 v22, v22, v45 :: v_dual_add_f32 v45, 1.0, v45
	v_div_scale_f32 v46, null, v45, v45, v22
	s_delay_alu instid0(VALU_DEP_1) | instskip(SKIP_1) | instid1(TRANS32_DEP_1)
	v_rcp_f32_e32 v47, v46
	v_nop
	v_fma_f32 v48, -v46, v47, 1.0
	s_delay_alu instid0(VALU_DEP_1) | instskip(SKIP_1) | instid1(VALU_DEP_1)
	v_fmac_f32_e32 v47, v48, v47
	v_div_scale_f32 v48, vcc_lo, v22, v45, v22
	v_mul_f32_e32 v49, v48, v47
	s_delay_alu instid0(VALU_DEP_1) | instskip(NEXT) | instid1(VALU_DEP_1)
	v_fma_f32 v50, -v46, v49, v48
	v_fmac_f32_e32 v49, v50, v47
	s_delay_alu instid0(VALU_DEP_1) | instskip(NEXT) | instid1(VALU_DEP_1)
	v_fma_f32 v46, -v46, v49, v48
	v_div_fmas_f32 v46, v46, v47, v49
	s_delay_alu instid0(VALU_DEP_1)
	v_div_fixup_f32 v22, v46, v45, v22
.LBB54_21:
	s_or_b32 exec_lo, exec_lo, s10
	v_and_b32_e32 v44, 0xffff0000, v44
	s_mov_b32 s10, exec_lo
	s_delay_alu instid0(VALU_DEP_1) | instskip(NEXT) | instid1(VALU_DEP_1)
	v_mul_f32_e32 v44, s13, v44
	v_cmpx_nlt_f32_e32 s14, v44
	s_cbranch_execz .LBB54_23
; %bb.22:
	v_mul_f32_e32 v45, 0x3fb8aa3b, v44
	v_cmp_ngt_f32_e32 vcc_lo, 0xc2ce8ed0, v44
	s_delay_alu instid0(VALU_DEP_2) | instskip(SKIP_1) | instid1(VALU_DEP_2)
	v_rndne_f32_e32 v46, v45
	v_fma_f32 v47, 0x3fb8aa3b, v44, -v45
	v_sub_f32_e32 v45, v45, v46
	s_delay_alu instid0(VALU_DEP_2) | instskip(SKIP_1) | instid1(VALU_DEP_2)
	v_fmamk_f32 v47, v44, 0x32a5705f, v47
	v_cvt_i32_f32_e32 v46, v46
	v_add_f32_e32 v45, v45, v47
	s_delay_alu instid0(VALU_DEP_1) | instskip(SKIP_1) | instid1(TRANS32_DEP_1)
	v_exp_f32_e32 v45, v45
	v_nop
	v_ldexp_f32 v45, v45, v46
	s_delay_alu instid0(VALU_DEP_1) | instskip(SKIP_1) | instid1(VALU_DEP_2)
	v_cndmask_b32_e32 v45, 0, v45, vcc_lo
	v_cmp_nlt_f32_e32 vcc_lo, 0x42b17218, v44
	v_cndmask_b32_e32 v44, 0x7f800000, v45, vcc_lo
	s_delay_alu instid0(VALU_DEP_1) | instskip(NEXT) | instid1(VALU_DEP_1)
	v_dual_mul_f32 v23, v23, v44 :: v_dual_add_f32 v44, 1.0, v44
	v_div_scale_f32 v45, null, v44, v44, v23
	s_delay_alu instid0(VALU_DEP_1) | instskip(SKIP_1) | instid1(TRANS32_DEP_1)
	v_rcp_f32_e32 v46, v45
	v_nop
	v_fma_f32 v47, -v45, v46, 1.0
	s_delay_alu instid0(VALU_DEP_1) | instskip(SKIP_1) | instid1(VALU_DEP_1)
	v_fmac_f32_e32 v46, v47, v46
	v_div_scale_f32 v47, vcc_lo, v23, v44, v23
	v_mul_f32_e32 v48, v47, v46
	s_delay_alu instid0(VALU_DEP_1) | instskip(NEXT) | instid1(VALU_DEP_1)
	v_fma_f32 v49, -v45, v48, v47
	v_fmac_f32_e32 v48, v49, v46
	s_delay_alu instid0(VALU_DEP_1) | instskip(NEXT) | instid1(VALU_DEP_1)
	v_fma_f32 v45, -v45, v48, v47
	v_div_fmas_f32 v45, v45, v46, v48
	s_delay_alu instid0(VALU_DEP_1)
	v_div_fixup_f32 v23, v45, v44, v23
.LBB54_23:
	s_or_b32 exec_lo, exec_lo, s10
	s_wait_loadcnt 0xa
	v_lshlrev_b32_e32 v44, 16, v43
	s_mov_b32 s10, exec_lo
	s_delay_alu instid0(VALU_DEP_1) | instskip(NEXT) | instid1(VALU_DEP_1)
	v_mul_f32_e32 v44, s13, v44
	v_cmpx_nlt_f32_e32 s14, v44
	s_cbranch_execz .LBB54_25
; %bb.24:
	v_mul_f32_e32 v45, 0x3fb8aa3b, v44
	v_cmp_ngt_f32_e32 vcc_lo, 0xc2ce8ed0, v44
	s_delay_alu instid0(VALU_DEP_2) | instskip(SKIP_1) | instid1(VALU_DEP_2)
	v_rndne_f32_e32 v46, v45
	v_fma_f32 v47, 0x3fb8aa3b, v44, -v45
	v_sub_f32_e32 v45, v45, v46
	s_delay_alu instid0(VALU_DEP_2) | instskip(SKIP_1) | instid1(VALU_DEP_2)
	v_fmamk_f32 v47, v44, 0x32a5705f, v47
	v_cvt_i32_f32_e32 v46, v46
	v_add_f32_e32 v45, v45, v47
	s_delay_alu instid0(VALU_DEP_1) | instskip(SKIP_1) | instid1(TRANS32_DEP_1)
	v_exp_f32_e32 v45, v45
	v_nop
	v_ldexp_f32 v45, v45, v46
	s_delay_alu instid0(VALU_DEP_1) | instskip(SKIP_1) | instid1(VALU_DEP_2)
	v_cndmask_b32_e32 v45, 0, v45, vcc_lo
	v_cmp_nlt_f32_e32 vcc_lo, 0x42b17218, v44
	v_cndmask_b32_e32 v44, 0x7f800000, v45, vcc_lo
	s_delay_alu instid0(VALU_DEP_1) | instskip(NEXT) | instid1(VALU_DEP_1)
	v_dual_mul_f32 v18, v18, v44 :: v_dual_add_f32 v44, 1.0, v44
	v_div_scale_f32 v45, null, v44, v44, v18
	s_delay_alu instid0(VALU_DEP_1) | instskip(SKIP_1) | instid1(TRANS32_DEP_1)
	v_rcp_f32_e32 v46, v45
	v_nop
	v_fma_f32 v47, -v45, v46, 1.0
	s_delay_alu instid0(VALU_DEP_1) | instskip(SKIP_1) | instid1(VALU_DEP_1)
	v_fmac_f32_e32 v46, v47, v46
	v_div_scale_f32 v47, vcc_lo, v18, v44, v18
	v_mul_f32_e32 v48, v47, v46
	s_delay_alu instid0(VALU_DEP_1) | instskip(NEXT) | instid1(VALU_DEP_1)
	v_fma_f32 v49, -v45, v48, v47
	v_fmac_f32_e32 v48, v49, v46
	s_delay_alu instid0(VALU_DEP_1) | instskip(NEXT) | instid1(VALU_DEP_1)
	v_fma_f32 v45, -v45, v48, v47
	v_div_fmas_f32 v45, v45, v46, v48
	s_delay_alu instid0(VALU_DEP_1)
	v_div_fixup_f32 v18, v45, v44, v18
.LBB54_25:
	s_or_b32 exec_lo, exec_lo, s10
	v_and_b32_e32 v43, 0xffff0000, v43
	s_mov_b32 s10, exec_lo
	s_delay_alu instid0(VALU_DEP_1) | instskip(NEXT) | instid1(VALU_DEP_1)
	v_mul_f32_e32 v43, s13, v43
	v_cmpx_nlt_f32_e32 s14, v43
	s_cbranch_execz .LBB54_27
; %bb.26:
	v_mul_f32_e32 v44, 0x3fb8aa3b, v43
	v_cmp_ngt_f32_e32 vcc_lo, 0xc2ce8ed0, v43
	s_delay_alu instid0(VALU_DEP_2) | instskip(SKIP_1) | instid1(VALU_DEP_2)
	v_rndne_f32_e32 v45, v44
	v_fma_f32 v46, 0x3fb8aa3b, v43, -v44
	v_sub_f32_e32 v44, v44, v45
	s_delay_alu instid0(VALU_DEP_2) | instskip(SKIP_1) | instid1(VALU_DEP_2)
	v_fmamk_f32 v46, v43, 0x32a5705f, v46
	v_cvt_i32_f32_e32 v45, v45
	v_add_f32_e32 v44, v44, v46
	s_delay_alu instid0(VALU_DEP_1) | instskip(SKIP_1) | instid1(TRANS32_DEP_1)
	v_exp_f32_e32 v44, v44
	v_nop
	v_ldexp_f32 v44, v44, v45
	s_delay_alu instid0(VALU_DEP_1) | instskip(SKIP_1) | instid1(VALU_DEP_2)
	v_cndmask_b32_e32 v44, 0, v44, vcc_lo
	v_cmp_nlt_f32_e32 vcc_lo, 0x42b17218, v43
	v_cndmask_b32_e32 v43, 0x7f800000, v44, vcc_lo
	s_delay_alu instid0(VALU_DEP_1) | instskip(NEXT) | instid1(VALU_DEP_1)
	v_dual_mul_f32 v19, v19, v43 :: v_dual_add_f32 v43, 1.0, v43
	v_div_scale_f32 v44, null, v43, v43, v19
	s_delay_alu instid0(VALU_DEP_1) | instskip(SKIP_1) | instid1(TRANS32_DEP_1)
	v_rcp_f32_e32 v45, v44
	v_nop
	v_fma_f32 v46, -v44, v45, 1.0
	s_delay_alu instid0(VALU_DEP_1) | instskip(SKIP_1) | instid1(VALU_DEP_1)
	v_fmac_f32_e32 v45, v46, v45
	v_div_scale_f32 v46, vcc_lo, v19, v43, v19
	v_mul_f32_e32 v47, v46, v45
	s_delay_alu instid0(VALU_DEP_1) | instskip(NEXT) | instid1(VALU_DEP_1)
	v_fma_f32 v48, -v44, v47, v46
	v_fmac_f32_e32 v47, v48, v45
	s_delay_alu instid0(VALU_DEP_1) | instskip(NEXT) | instid1(VALU_DEP_1)
	v_fma_f32 v44, -v44, v47, v46
	v_div_fmas_f32 v44, v44, v45, v47
	s_delay_alu instid0(VALU_DEP_1)
	v_div_fixup_f32 v19, v44, v43, v19
.LBB54_27:
	s_or_b32 exec_lo, exec_lo, s10
	s_wait_loadcnt 0x9
	v_lshlrev_b32_e32 v43, 16, v42
	s_mov_b32 s10, exec_lo
	s_delay_alu instid0(VALU_DEP_1) | instskip(NEXT) | instid1(VALU_DEP_1)
	v_mul_f32_e32 v43, s13, v43
	v_cmpx_nlt_f32_e32 s14, v43
	s_cbranch_execz .LBB54_29
; %bb.28:
	v_mul_f32_e32 v44, 0x3fb8aa3b, v43
	v_cmp_ngt_f32_e32 vcc_lo, 0xc2ce8ed0, v43
	s_delay_alu instid0(VALU_DEP_2) | instskip(SKIP_1) | instid1(VALU_DEP_2)
	v_rndne_f32_e32 v45, v44
	v_fma_f32 v46, 0x3fb8aa3b, v43, -v44
	v_sub_f32_e32 v44, v44, v45
	s_delay_alu instid0(VALU_DEP_2) | instskip(SKIP_1) | instid1(VALU_DEP_2)
	v_fmamk_f32 v46, v43, 0x32a5705f, v46
	v_cvt_i32_f32_e32 v45, v45
	v_add_f32_e32 v44, v44, v46
	s_delay_alu instid0(VALU_DEP_1) | instskip(SKIP_1) | instid1(TRANS32_DEP_1)
	v_exp_f32_e32 v44, v44
	v_nop
	v_ldexp_f32 v44, v44, v45
	s_delay_alu instid0(VALU_DEP_1) | instskip(SKIP_1) | instid1(VALU_DEP_2)
	v_cndmask_b32_e32 v44, 0, v44, vcc_lo
	v_cmp_nlt_f32_e32 vcc_lo, 0x42b17218, v43
	v_cndmask_b32_e32 v43, 0x7f800000, v44, vcc_lo
	s_delay_alu instid0(VALU_DEP_1) | instskip(NEXT) | instid1(VALU_DEP_1)
	v_dual_mul_f32 v14, v14, v43 :: v_dual_add_f32 v43, 1.0, v43
	v_div_scale_f32 v44, null, v43, v43, v14
	s_delay_alu instid0(VALU_DEP_1) | instskip(SKIP_1) | instid1(TRANS32_DEP_1)
	v_rcp_f32_e32 v45, v44
	v_nop
	v_fma_f32 v46, -v44, v45, 1.0
	s_delay_alu instid0(VALU_DEP_1) | instskip(SKIP_1) | instid1(VALU_DEP_1)
	v_fmac_f32_e32 v45, v46, v45
	v_div_scale_f32 v46, vcc_lo, v14, v43, v14
	v_mul_f32_e32 v47, v46, v45
	s_delay_alu instid0(VALU_DEP_1) | instskip(NEXT) | instid1(VALU_DEP_1)
	v_fma_f32 v48, -v44, v47, v46
	v_fmac_f32_e32 v47, v48, v45
	s_delay_alu instid0(VALU_DEP_1) | instskip(NEXT) | instid1(VALU_DEP_1)
	v_fma_f32 v44, -v44, v47, v46
	v_div_fmas_f32 v44, v44, v45, v47
	s_delay_alu instid0(VALU_DEP_1)
	v_div_fixup_f32 v14, v44, v43, v14
.LBB54_29:
	s_or_b32 exec_lo, exec_lo, s10
	v_and_b32_e32 v42, 0xffff0000, v42
	s_mov_b32 s10, exec_lo
	s_delay_alu instid0(VALU_DEP_1) | instskip(NEXT) | instid1(VALU_DEP_1)
	v_mul_f32_e32 v42, s13, v42
	v_cmpx_nlt_f32_e32 s14, v42
	s_cbranch_execz .LBB54_31
; %bb.30:
	v_mul_f32_e32 v43, 0x3fb8aa3b, v42
	v_cmp_ngt_f32_e32 vcc_lo, 0xc2ce8ed0, v42
	s_delay_alu instid0(VALU_DEP_2) | instskip(SKIP_1) | instid1(VALU_DEP_2)
	v_rndne_f32_e32 v44, v43
	v_fma_f32 v45, 0x3fb8aa3b, v42, -v43
	v_sub_f32_e32 v43, v43, v44
	s_delay_alu instid0(VALU_DEP_2) | instskip(SKIP_1) | instid1(VALU_DEP_2)
	v_fmamk_f32 v45, v42, 0x32a5705f, v45
	v_cvt_i32_f32_e32 v44, v44
	v_add_f32_e32 v43, v43, v45
	s_delay_alu instid0(VALU_DEP_1) | instskip(SKIP_1) | instid1(TRANS32_DEP_1)
	v_exp_f32_e32 v43, v43
	v_nop
	v_ldexp_f32 v43, v43, v44
	s_delay_alu instid0(VALU_DEP_1) | instskip(SKIP_1) | instid1(VALU_DEP_2)
	v_cndmask_b32_e32 v43, 0, v43, vcc_lo
	v_cmp_nlt_f32_e32 vcc_lo, 0x42b17218, v42
	v_cndmask_b32_e32 v42, 0x7f800000, v43, vcc_lo
	s_delay_alu instid0(VALU_DEP_1) | instskip(NEXT) | instid1(VALU_DEP_1)
	v_dual_mul_f32 v15, v15, v42 :: v_dual_add_f32 v42, 1.0, v42
	v_div_scale_f32 v43, null, v42, v42, v15
	s_delay_alu instid0(VALU_DEP_1) | instskip(SKIP_1) | instid1(TRANS32_DEP_1)
	v_rcp_f32_e32 v44, v43
	v_nop
	v_fma_f32 v45, -v43, v44, 1.0
	s_delay_alu instid0(VALU_DEP_1) | instskip(SKIP_1) | instid1(VALU_DEP_1)
	v_fmac_f32_e32 v44, v45, v44
	v_div_scale_f32 v45, vcc_lo, v15, v42, v15
	v_mul_f32_e32 v46, v45, v44
	s_delay_alu instid0(VALU_DEP_1) | instskip(NEXT) | instid1(VALU_DEP_1)
	v_fma_f32 v47, -v43, v46, v45
	v_fmac_f32_e32 v46, v47, v44
	s_delay_alu instid0(VALU_DEP_1) | instskip(NEXT) | instid1(VALU_DEP_1)
	v_fma_f32 v43, -v43, v46, v45
	v_div_fmas_f32 v43, v43, v44, v46
	s_delay_alu instid0(VALU_DEP_1)
	v_div_fixup_f32 v15, v43, v42, v15
.LBB54_31:
	s_or_b32 exec_lo, exec_lo, s10
	s_wait_loadcnt 0x8
	v_lshlrev_b32_e32 v42, 16, v41
	s_mov_b32 s10, exec_lo
	s_delay_alu instid0(VALU_DEP_1) | instskip(NEXT) | instid1(VALU_DEP_1)
	v_mul_f32_e32 v42, s13, v42
	v_cmpx_nlt_f32_e32 s14, v42
	s_cbranch_execz .LBB54_33
; %bb.32:
	v_mul_f32_e32 v43, 0x3fb8aa3b, v42
	v_cmp_ngt_f32_e32 vcc_lo, 0xc2ce8ed0, v42
	s_delay_alu instid0(VALU_DEP_2) | instskip(SKIP_1) | instid1(VALU_DEP_2)
	v_rndne_f32_e32 v44, v43
	v_fma_f32 v45, 0x3fb8aa3b, v42, -v43
	v_sub_f32_e32 v43, v43, v44
	s_delay_alu instid0(VALU_DEP_2) | instskip(SKIP_1) | instid1(VALU_DEP_2)
	v_fmamk_f32 v45, v42, 0x32a5705f, v45
	v_cvt_i32_f32_e32 v44, v44
	v_add_f32_e32 v43, v43, v45
	s_delay_alu instid0(VALU_DEP_1) | instskip(SKIP_1) | instid1(TRANS32_DEP_1)
	v_exp_f32_e32 v43, v43
	v_nop
	v_ldexp_f32 v43, v43, v44
	s_delay_alu instid0(VALU_DEP_1) | instskip(SKIP_1) | instid1(VALU_DEP_2)
	v_cndmask_b32_e32 v43, 0, v43, vcc_lo
	v_cmp_nlt_f32_e32 vcc_lo, 0x42b17218, v42
	v_cndmask_b32_e32 v42, 0x7f800000, v43, vcc_lo
	s_delay_alu instid0(VALU_DEP_1) | instskip(NEXT) | instid1(VALU_DEP_1)
	v_dual_mul_f32 v10, v10, v42 :: v_dual_add_f32 v42, 1.0, v42
	v_div_scale_f32 v43, null, v42, v42, v10
	s_delay_alu instid0(VALU_DEP_1) | instskip(SKIP_1) | instid1(TRANS32_DEP_1)
	v_rcp_f32_e32 v44, v43
	v_nop
	v_fma_f32 v45, -v43, v44, 1.0
	s_delay_alu instid0(VALU_DEP_1) | instskip(SKIP_1) | instid1(VALU_DEP_1)
	v_fmac_f32_e32 v44, v45, v44
	v_div_scale_f32 v45, vcc_lo, v10, v42, v10
	v_mul_f32_e32 v46, v45, v44
	s_delay_alu instid0(VALU_DEP_1) | instskip(NEXT) | instid1(VALU_DEP_1)
	v_fma_f32 v47, -v43, v46, v45
	v_fmac_f32_e32 v46, v47, v44
	s_delay_alu instid0(VALU_DEP_1) | instskip(NEXT) | instid1(VALU_DEP_1)
	v_fma_f32 v43, -v43, v46, v45
	v_div_fmas_f32 v43, v43, v44, v46
	s_delay_alu instid0(VALU_DEP_1)
	v_div_fixup_f32 v10, v43, v42, v10
.LBB54_33:
	s_or_b32 exec_lo, exec_lo, s10
	v_and_b32_e32 v41, 0xffff0000, v41
	s_mov_b32 s10, exec_lo
	s_delay_alu instid0(VALU_DEP_1) | instskip(NEXT) | instid1(VALU_DEP_1)
	v_mul_f32_e32 v41, s13, v41
	v_cmpx_nlt_f32_e32 s14, v41
	s_cbranch_execz .LBB54_35
; %bb.34:
	v_mul_f32_e32 v42, 0x3fb8aa3b, v41
	v_cmp_ngt_f32_e32 vcc_lo, 0xc2ce8ed0, v41
	s_delay_alu instid0(VALU_DEP_2) | instskip(SKIP_1) | instid1(VALU_DEP_2)
	v_rndne_f32_e32 v43, v42
	v_fma_f32 v44, 0x3fb8aa3b, v41, -v42
	v_sub_f32_e32 v42, v42, v43
	s_delay_alu instid0(VALU_DEP_2) | instskip(SKIP_1) | instid1(VALU_DEP_2)
	v_fmamk_f32 v44, v41, 0x32a5705f, v44
	v_cvt_i32_f32_e32 v43, v43
	v_add_f32_e32 v42, v42, v44
	s_delay_alu instid0(VALU_DEP_1) | instskip(SKIP_1) | instid1(TRANS32_DEP_1)
	v_exp_f32_e32 v42, v42
	v_nop
	v_ldexp_f32 v42, v42, v43
	s_delay_alu instid0(VALU_DEP_1) | instskip(SKIP_1) | instid1(VALU_DEP_2)
	v_cndmask_b32_e32 v42, 0, v42, vcc_lo
	v_cmp_nlt_f32_e32 vcc_lo, 0x42b17218, v41
	v_cndmask_b32_e32 v41, 0x7f800000, v42, vcc_lo
	s_delay_alu instid0(VALU_DEP_1) | instskip(NEXT) | instid1(VALU_DEP_1)
	v_dual_mul_f32 v11, v11, v41 :: v_dual_add_f32 v41, 1.0, v41
	v_div_scale_f32 v42, null, v41, v41, v11
	s_delay_alu instid0(VALU_DEP_1) | instskip(SKIP_1) | instid1(TRANS32_DEP_1)
	v_rcp_f32_e32 v43, v42
	v_nop
	v_fma_f32 v44, -v42, v43, 1.0
	s_delay_alu instid0(VALU_DEP_1) | instskip(SKIP_1) | instid1(VALU_DEP_1)
	v_fmac_f32_e32 v43, v44, v43
	v_div_scale_f32 v44, vcc_lo, v11, v41, v11
	v_mul_f32_e32 v45, v44, v43
	s_delay_alu instid0(VALU_DEP_1) | instskip(NEXT) | instid1(VALU_DEP_1)
	v_fma_f32 v46, -v42, v45, v44
	v_fmac_f32_e32 v45, v46, v43
	s_delay_alu instid0(VALU_DEP_1) | instskip(NEXT) | instid1(VALU_DEP_1)
	v_fma_f32 v42, -v42, v45, v44
	v_div_fmas_f32 v42, v42, v43, v45
	s_delay_alu instid0(VALU_DEP_1)
	v_div_fixup_f32 v11, v42, v41, v11
.LBB54_35:
	s_or_b32 exec_lo, exec_lo, s10
	s_wait_loadcnt 0x7
	v_lshlrev_b32_e32 v41, 16, v40
	s_mov_b32 s10, exec_lo
	s_delay_alu instid0(VALU_DEP_1) | instskip(NEXT) | instid1(VALU_DEP_1)
	v_mul_f32_e32 v41, s13, v41
	v_cmpx_nlt_f32_e32 s14, v41
	s_cbranch_execz .LBB54_37
; %bb.36:
	v_mul_f32_e32 v42, 0x3fb8aa3b, v41
	v_cmp_ngt_f32_e32 vcc_lo, 0xc2ce8ed0, v41
	s_delay_alu instid0(VALU_DEP_2) | instskip(SKIP_1) | instid1(VALU_DEP_2)
	v_rndne_f32_e32 v43, v42
	v_fma_f32 v44, 0x3fb8aa3b, v41, -v42
	v_sub_f32_e32 v42, v42, v43
	s_delay_alu instid0(VALU_DEP_2) | instskip(SKIP_1) | instid1(VALU_DEP_2)
	v_fmamk_f32 v44, v41, 0x32a5705f, v44
	v_cvt_i32_f32_e32 v43, v43
	v_add_f32_e32 v42, v42, v44
	s_delay_alu instid0(VALU_DEP_1) | instskip(SKIP_1) | instid1(TRANS32_DEP_1)
	v_exp_f32_e32 v42, v42
	v_nop
	v_ldexp_f32 v42, v42, v43
	s_delay_alu instid0(VALU_DEP_1) | instskip(SKIP_1) | instid1(VALU_DEP_2)
	v_cndmask_b32_e32 v42, 0, v42, vcc_lo
	v_cmp_nlt_f32_e32 vcc_lo, 0x42b17218, v41
	v_cndmask_b32_e32 v41, 0x7f800000, v42, vcc_lo
	s_delay_alu instid0(VALU_DEP_1) | instskip(NEXT) | instid1(VALU_DEP_1)
	v_dual_mul_f32 v24, v24, v41 :: v_dual_add_f32 v41, 1.0, v41
	v_div_scale_f32 v42, null, v41, v41, v24
	s_delay_alu instid0(VALU_DEP_1) | instskip(SKIP_1) | instid1(TRANS32_DEP_1)
	v_rcp_f32_e32 v43, v42
	v_nop
	v_fma_f32 v44, -v42, v43, 1.0
	s_delay_alu instid0(VALU_DEP_1) | instskip(SKIP_1) | instid1(VALU_DEP_1)
	v_fmac_f32_e32 v43, v44, v43
	v_div_scale_f32 v44, vcc_lo, v24, v41, v24
	v_mul_f32_e32 v45, v44, v43
	s_delay_alu instid0(VALU_DEP_1) | instskip(NEXT) | instid1(VALU_DEP_1)
	v_fma_f32 v46, -v42, v45, v44
	v_fmac_f32_e32 v45, v46, v43
	s_delay_alu instid0(VALU_DEP_1) | instskip(NEXT) | instid1(VALU_DEP_1)
	v_fma_f32 v42, -v42, v45, v44
	v_div_fmas_f32 v42, v42, v43, v45
	s_delay_alu instid0(VALU_DEP_1)
	v_div_fixup_f32 v24, v42, v41, v24
.LBB54_37:
	s_or_b32 exec_lo, exec_lo, s10
	v_and_b32_e32 v40, 0xffff0000, v40
	s_mov_b32 s10, exec_lo
	s_delay_alu instid0(VALU_DEP_1) | instskip(NEXT) | instid1(VALU_DEP_1)
	v_mul_f32_e32 v40, s13, v40
	v_cmpx_nlt_f32_e32 s14, v40
	s_cbranch_execz .LBB54_39
; %bb.38:
	v_mul_f32_e32 v41, 0x3fb8aa3b, v40
	v_cmp_ngt_f32_e32 vcc_lo, 0xc2ce8ed0, v40
	s_delay_alu instid0(VALU_DEP_2) | instskip(SKIP_1) | instid1(VALU_DEP_2)
	v_rndne_f32_e32 v42, v41
	v_fma_f32 v43, 0x3fb8aa3b, v40, -v41
	v_sub_f32_e32 v41, v41, v42
	s_delay_alu instid0(VALU_DEP_2) | instskip(SKIP_1) | instid1(VALU_DEP_2)
	v_fmamk_f32 v43, v40, 0x32a5705f, v43
	v_cvt_i32_f32_e32 v42, v42
	v_add_f32_e32 v41, v41, v43
	s_delay_alu instid0(VALU_DEP_1) | instskip(SKIP_1) | instid1(TRANS32_DEP_1)
	v_exp_f32_e32 v41, v41
	v_nop
	v_ldexp_f32 v41, v41, v42
	s_delay_alu instid0(VALU_DEP_1) | instskip(SKIP_1) | instid1(VALU_DEP_2)
	v_cndmask_b32_e32 v41, 0, v41, vcc_lo
	v_cmp_nlt_f32_e32 vcc_lo, 0x42b17218, v40
	v_cndmask_b32_e32 v40, 0x7f800000, v41, vcc_lo
	s_delay_alu instid0(VALU_DEP_1) | instskip(NEXT) | instid1(VALU_DEP_1)
	v_dual_mul_f32 v25, v25, v40 :: v_dual_add_f32 v40, 1.0, v40
	v_div_scale_f32 v41, null, v40, v40, v25
	s_delay_alu instid0(VALU_DEP_1) | instskip(SKIP_1) | instid1(TRANS32_DEP_1)
	v_rcp_f32_e32 v42, v41
	v_nop
	v_fma_f32 v43, -v41, v42, 1.0
	s_delay_alu instid0(VALU_DEP_1) | instskip(SKIP_1) | instid1(VALU_DEP_1)
	v_fmac_f32_e32 v42, v43, v42
	v_div_scale_f32 v43, vcc_lo, v25, v40, v25
	v_mul_f32_e32 v44, v43, v42
	s_delay_alu instid0(VALU_DEP_1) | instskip(NEXT) | instid1(VALU_DEP_1)
	v_fma_f32 v45, -v41, v44, v43
	v_fmac_f32_e32 v44, v45, v42
	s_delay_alu instid0(VALU_DEP_1) | instskip(NEXT) | instid1(VALU_DEP_1)
	v_fma_f32 v41, -v41, v44, v43
	v_div_fmas_f32 v41, v41, v42, v44
	s_delay_alu instid0(VALU_DEP_1)
	v_div_fixup_f32 v25, v41, v40, v25
.LBB54_39:
	s_or_b32 exec_lo, exec_lo, s10
	s_wait_loadcnt 0x6
	v_lshlrev_b32_e32 v40, 16, v39
	s_mov_b32 s10, exec_lo
	s_delay_alu instid0(VALU_DEP_1) | instskip(NEXT) | instid1(VALU_DEP_1)
	v_mul_f32_e32 v40, s13, v40
	v_cmpx_nlt_f32_e32 s14, v40
	s_cbranch_execz .LBB54_41
; %bb.40:
	v_mul_f32_e32 v41, 0x3fb8aa3b, v40
	v_cmp_ngt_f32_e32 vcc_lo, 0xc2ce8ed0, v40
	s_delay_alu instid0(VALU_DEP_2) | instskip(SKIP_1) | instid1(VALU_DEP_2)
	v_rndne_f32_e32 v42, v41
	v_fma_f32 v43, 0x3fb8aa3b, v40, -v41
	v_sub_f32_e32 v41, v41, v42
	s_delay_alu instid0(VALU_DEP_2) | instskip(SKIP_1) | instid1(VALU_DEP_2)
	v_fmamk_f32 v43, v40, 0x32a5705f, v43
	v_cvt_i32_f32_e32 v42, v42
	v_add_f32_e32 v41, v41, v43
	s_delay_alu instid0(VALU_DEP_1) | instskip(SKIP_1) | instid1(TRANS32_DEP_1)
	v_exp_f32_e32 v41, v41
	v_nop
	v_ldexp_f32 v41, v41, v42
	s_delay_alu instid0(VALU_DEP_1) | instskip(SKIP_1) | instid1(VALU_DEP_2)
	v_cndmask_b32_e32 v41, 0, v41, vcc_lo
	v_cmp_nlt_f32_e32 vcc_lo, 0x42b17218, v40
	v_cndmask_b32_e32 v40, 0x7f800000, v41, vcc_lo
	s_delay_alu instid0(VALU_DEP_1) | instskip(NEXT) | instid1(VALU_DEP_1)
	v_dual_mul_f32 v20, v20, v40 :: v_dual_add_f32 v40, 1.0, v40
	v_div_scale_f32 v41, null, v40, v40, v20
	s_delay_alu instid0(VALU_DEP_1) | instskip(SKIP_1) | instid1(TRANS32_DEP_1)
	v_rcp_f32_e32 v42, v41
	v_nop
	v_fma_f32 v43, -v41, v42, 1.0
	s_delay_alu instid0(VALU_DEP_1) | instskip(SKIP_1) | instid1(VALU_DEP_1)
	v_fmac_f32_e32 v42, v43, v42
	v_div_scale_f32 v43, vcc_lo, v20, v40, v20
	v_mul_f32_e32 v44, v43, v42
	s_delay_alu instid0(VALU_DEP_1) | instskip(NEXT) | instid1(VALU_DEP_1)
	v_fma_f32 v45, -v41, v44, v43
	v_fmac_f32_e32 v44, v45, v42
	s_delay_alu instid0(VALU_DEP_1) | instskip(NEXT) | instid1(VALU_DEP_1)
	v_fma_f32 v41, -v41, v44, v43
	v_div_fmas_f32 v41, v41, v42, v44
	s_delay_alu instid0(VALU_DEP_1)
	v_div_fixup_f32 v20, v41, v40, v20
.LBB54_41:
	s_or_b32 exec_lo, exec_lo, s10
	v_and_b32_e32 v39, 0xffff0000, v39
	s_mov_b32 s10, exec_lo
	s_delay_alu instid0(VALU_DEP_1) | instskip(NEXT) | instid1(VALU_DEP_1)
	v_mul_f32_e32 v39, s13, v39
	v_cmpx_nlt_f32_e32 s14, v39
	s_cbranch_execz .LBB54_43
; %bb.42:
	v_mul_f32_e32 v40, 0x3fb8aa3b, v39
	v_cmp_ngt_f32_e32 vcc_lo, 0xc2ce8ed0, v39
	s_delay_alu instid0(VALU_DEP_2) | instskip(SKIP_1) | instid1(VALU_DEP_2)
	v_rndne_f32_e32 v41, v40
	v_fma_f32 v42, 0x3fb8aa3b, v39, -v40
	v_sub_f32_e32 v40, v40, v41
	s_delay_alu instid0(VALU_DEP_2) | instskip(SKIP_1) | instid1(VALU_DEP_2)
	v_fmamk_f32 v42, v39, 0x32a5705f, v42
	v_cvt_i32_f32_e32 v41, v41
	v_add_f32_e32 v40, v40, v42
	s_delay_alu instid0(VALU_DEP_1) | instskip(SKIP_1) | instid1(TRANS32_DEP_1)
	v_exp_f32_e32 v40, v40
	v_nop
	v_ldexp_f32 v40, v40, v41
	s_delay_alu instid0(VALU_DEP_1) | instskip(SKIP_1) | instid1(VALU_DEP_2)
	v_cndmask_b32_e32 v40, 0, v40, vcc_lo
	v_cmp_nlt_f32_e32 vcc_lo, 0x42b17218, v39
	v_cndmask_b32_e32 v39, 0x7f800000, v40, vcc_lo
	s_delay_alu instid0(VALU_DEP_1) | instskip(NEXT) | instid1(VALU_DEP_1)
	v_dual_mul_f32 v21, v21, v39 :: v_dual_add_f32 v39, 1.0, v39
	v_div_scale_f32 v40, null, v39, v39, v21
	s_delay_alu instid0(VALU_DEP_1) | instskip(SKIP_1) | instid1(TRANS32_DEP_1)
	v_rcp_f32_e32 v41, v40
	v_nop
	v_fma_f32 v42, -v40, v41, 1.0
	s_delay_alu instid0(VALU_DEP_1) | instskip(SKIP_1) | instid1(VALU_DEP_1)
	v_fmac_f32_e32 v41, v42, v41
	v_div_scale_f32 v42, vcc_lo, v21, v39, v21
	v_mul_f32_e32 v43, v42, v41
	s_delay_alu instid0(VALU_DEP_1) | instskip(NEXT) | instid1(VALU_DEP_1)
	v_fma_f32 v44, -v40, v43, v42
	v_fmac_f32_e32 v43, v44, v41
	s_delay_alu instid0(VALU_DEP_1) | instskip(NEXT) | instid1(VALU_DEP_1)
	v_fma_f32 v40, -v40, v43, v42
	v_div_fmas_f32 v40, v40, v41, v43
	s_delay_alu instid0(VALU_DEP_1)
	v_div_fixup_f32 v21, v40, v39, v21
.LBB54_43:
	s_or_b32 exec_lo, exec_lo, s10
	s_wait_loadcnt 0x5
	v_lshlrev_b32_e32 v39, 16, v38
	s_mov_b32 s10, exec_lo
	s_delay_alu instid0(VALU_DEP_1) | instskip(NEXT) | instid1(VALU_DEP_1)
	v_mul_f32_e32 v39, s13, v39
	v_cmpx_nlt_f32_e32 s14, v39
	s_cbranch_execz .LBB54_45
; %bb.44:
	v_mul_f32_e32 v40, 0x3fb8aa3b, v39
	v_cmp_ngt_f32_e32 vcc_lo, 0xc2ce8ed0, v39
	s_delay_alu instid0(VALU_DEP_2) | instskip(SKIP_1) | instid1(VALU_DEP_2)
	v_rndne_f32_e32 v41, v40
	v_fma_f32 v42, 0x3fb8aa3b, v39, -v40
	v_sub_f32_e32 v40, v40, v41
	s_delay_alu instid0(VALU_DEP_2) | instskip(SKIP_1) | instid1(VALU_DEP_2)
	v_fmamk_f32 v42, v39, 0x32a5705f, v42
	v_cvt_i32_f32_e32 v41, v41
	v_add_f32_e32 v40, v40, v42
	s_delay_alu instid0(VALU_DEP_1) | instskip(SKIP_1) | instid1(TRANS32_DEP_1)
	v_exp_f32_e32 v40, v40
	v_nop
	v_ldexp_f32 v40, v40, v41
	s_delay_alu instid0(VALU_DEP_1) | instskip(SKIP_1) | instid1(VALU_DEP_2)
	v_cndmask_b32_e32 v40, 0, v40, vcc_lo
	v_cmp_nlt_f32_e32 vcc_lo, 0x42b17218, v39
	v_cndmask_b32_e32 v39, 0x7f800000, v40, vcc_lo
	s_delay_alu instid0(VALU_DEP_1) | instskip(NEXT) | instid1(VALU_DEP_1)
	v_dual_mul_f32 v16, v16, v39 :: v_dual_add_f32 v39, 1.0, v39
	v_div_scale_f32 v40, null, v39, v39, v16
	s_delay_alu instid0(VALU_DEP_1) | instskip(SKIP_1) | instid1(TRANS32_DEP_1)
	v_rcp_f32_e32 v41, v40
	v_nop
	v_fma_f32 v42, -v40, v41, 1.0
	s_delay_alu instid0(VALU_DEP_1) | instskip(SKIP_1) | instid1(VALU_DEP_1)
	v_fmac_f32_e32 v41, v42, v41
	v_div_scale_f32 v42, vcc_lo, v16, v39, v16
	v_mul_f32_e32 v43, v42, v41
	s_delay_alu instid0(VALU_DEP_1) | instskip(NEXT) | instid1(VALU_DEP_1)
	v_fma_f32 v44, -v40, v43, v42
	v_fmac_f32_e32 v43, v44, v41
	s_delay_alu instid0(VALU_DEP_1) | instskip(NEXT) | instid1(VALU_DEP_1)
	v_fma_f32 v40, -v40, v43, v42
	v_div_fmas_f32 v40, v40, v41, v43
	s_delay_alu instid0(VALU_DEP_1)
	v_div_fixup_f32 v16, v40, v39, v16
.LBB54_45:
	s_or_b32 exec_lo, exec_lo, s10
	v_and_b32_e32 v38, 0xffff0000, v38
	s_mov_b32 s10, exec_lo
	s_delay_alu instid0(VALU_DEP_1) | instskip(NEXT) | instid1(VALU_DEP_1)
	v_mul_f32_e32 v38, s13, v38
	v_cmpx_nlt_f32_e32 s14, v38
	s_cbranch_execz .LBB54_47
; %bb.46:
	v_mul_f32_e32 v39, 0x3fb8aa3b, v38
	v_cmp_ngt_f32_e32 vcc_lo, 0xc2ce8ed0, v38
	s_delay_alu instid0(VALU_DEP_2) | instskip(SKIP_1) | instid1(VALU_DEP_2)
	v_rndne_f32_e32 v40, v39
	v_fma_f32 v41, 0x3fb8aa3b, v38, -v39
	v_sub_f32_e32 v39, v39, v40
	s_delay_alu instid0(VALU_DEP_2) | instskip(SKIP_1) | instid1(VALU_DEP_2)
	v_fmamk_f32 v41, v38, 0x32a5705f, v41
	v_cvt_i32_f32_e32 v40, v40
	v_add_f32_e32 v39, v39, v41
	s_delay_alu instid0(VALU_DEP_1) | instskip(SKIP_1) | instid1(TRANS32_DEP_1)
	v_exp_f32_e32 v39, v39
	v_nop
	v_ldexp_f32 v39, v39, v40
	s_delay_alu instid0(VALU_DEP_1) | instskip(SKIP_1) | instid1(VALU_DEP_2)
	v_cndmask_b32_e32 v39, 0, v39, vcc_lo
	v_cmp_nlt_f32_e32 vcc_lo, 0x42b17218, v38
	v_cndmask_b32_e32 v38, 0x7f800000, v39, vcc_lo
	s_delay_alu instid0(VALU_DEP_1) | instskip(NEXT) | instid1(VALU_DEP_1)
	v_dual_mul_f32 v17, v17, v38 :: v_dual_add_f32 v38, 1.0, v38
	v_div_scale_f32 v39, null, v38, v38, v17
	s_delay_alu instid0(VALU_DEP_1) | instskip(SKIP_1) | instid1(TRANS32_DEP_1)
	v_rcp_f32_e32 v40, v39
	v_nop
	v_fma_f32 v41, -v39, v40, 1.0
	s_delay_alu instid0(VALU_DEP_1) | instskip(SKIP_1) | instid1(VALU_DEP_1)
	v_fmac_f32_e32 v40, v41, v40
	v_div_scale_f32 v41, vcc_lo, v17, v38, v17
	v_mul_f32_e32 v42, v41, v40
	s_delay_alu instid0(VALU_DEP_1) | instskip(NEXT) | instid1(VALU_DEP_1)
	v_fma_f32 v43, -v39, v42, v41
	v_fmac_f32_e32 v42, v43, v40
	s_delay_alu instid0(VALU_DEP_1) | instskip(NEXT) | instid1(VALU_DEP_1)
	v_fma_f32 v39, -v39, v42, v41
	v_div_fmas_f32 v39, v39, v40, v42
	s_delay_alu instid0(VALU_DEP_1)
	v_div_fixup_f32 v17, v39, v38, v17
.LBB54_47:
	s_or_b32 exec_lo, exec_lo, s10
	s_wait_loadcnt 0x4
	v_lshlrev_b32_e32 v38, 16, v37
	s_mov_b32 s10, exec_lo
	s_delay_alu instid0(VALU_DEP_1) | instskip(NEXT) | instid1(VALU_DEP_1)
	v_mul_f32_e32 v38, s13, v38
	v_cmpx_nlt_f32_e32 s14, v38
	s_cbranch_execz .LBB54_49
; %bb.48:
	v_mul_f32_e32 v39, 0x3fb8aa3b, v38
	v_cmp_ngt_f32_e32 vcc_lo, 0xc2ce8ed0, v38
	s_delay_alu instid0(VALU_DEP_2) | instskip(SKIP_1) | instid1(VALU_DEP_2)
	v_rndne_f32_e32 v40, v39
	v_fma_f32 v41, 0x3fb8aa3b, v38, -v39
	v_sub_f32_e32 v39, v39, v40
	s_delay_alu instid0(VALU_DEP_2) | instskip(SKIP_1) | instid1(VALU_DEP_2)
	v_fmamk_f32 v41, v38, 0x32a5705f, v41
	v_cvt_i32_f32_e32 v40, v40
	v_add_f32_e32 v39, v39, v41
	s_delay_alu instid0(VALU_DEP_1) | instskip(SKIP_1) | instid1(TRANS32_DEP_1)
	v_exp_f32_e32 v39, v39
	v_nop
	v_ldexp_f32 v39, v39, v40
	s_delay_alu instid0(VALU_DEP_1) | instskip(SKIP_1) | instid1(VALU_DEP_2)
	v_cndmask_b32_e32 v39, 0, v39, vcc_lo
	v_cmp_nlt_f32_e32 vcc_lo, 0x42b17218, v38
	v_cndmask_b32_e32 v38, 0x7f800000, v39, vcc_lo
	s_delay_alu instid0(VALU_DEP_1) | instskip(NEXT) | instid1(VALU_DEP_1)
	v_dual_mul_f32 v12, v12, v38 :: v_dual_add_f32 v38, 1.0, v38
	v_div_scale_f32 v39, null, v38, v38, v12
	s_delay_alu instid0(VALU_DEP_1) | instskip(SKIP_1) | instid1(TRANS32_DEP_1)
	v_rcp_f32_e32 v40, v39
	v_nop
	v_fma_f32 v41, -v39, v40, 1.0
	s_delay_alu instid0(VALU_DEP_1) | instskip(SKIP_1) | instid1(VALU_DEP_1)
	v_fmac_f32_e32 v40, v41, v40
	v_div_scale_f32 v41, vcc_lo, v12, v38, v12
	v_mul_f32_e32 v42, v41, v40
	s_delay_alu instid0(VALU_DEP_1) | instskip(NEXT) | instid1(VALU_DEP_1)
	v_fma_f32 v43, -v39, v42, v41
	v_fmac_f32_e32 v42, v43, v40
	s_delay_alu instid0(VALU_DEP_1) | instskip(NEXT) | instid1(VALU_DEP_1)
	v_fma_f32 v39, -v39, v42, v41
	v_div_fmas_f32 v39, v39, v40, v42
	s_delay_alu instid0(VALU_DEP_1)
	v_div_fixup_f32 v12, v39, v38, v12
.LBB54_49:
	s_or_b32 exec_lo, exec_lo, s10
	v_and_b32_e32 v37, 0xffff0000, v37
	s_mov_b32 s10, exec_lo
	s_delay_alu instid0(VALU_DEP_1) | instskip(NEXT) | instid1(VALU_DEP_1)
	v_mul_f32_e32 v37, s13, v37
	v_cmpx_nlt_f32_e32 s14, v37
	s_cbranch_execz .LBB54_51
; %bb.50:
	v_mul_f32_e32 v38, 0x3fb8aa3b, v37
	v_cmp_ngt_f32_e32 vcc_lo, 0xc2ce8ed0, v37
	s_delay_alu instid0(VALU_DEP_2) | instskip(SKIP_1) | instid1(VALU_DEP_2)
	v_rndne_f32_e32 v39, v38
	v_fma_f32 v40, 0x3fb8aa3b, v37, -v38
	v_sub_f32_e32 v38, v38, v39
	s_delay_alu instid0(VALU_DEP_2) | instskip(SKIP_1) | instid1(VALU_DEP_2)
	v_fmamk_f32 v40, v37, 0x32a5705f, v40
	v_cvt_i32_f32_e32 v39, v39
	v_add_f32_e32 v38, v38, v40
	s_delay_alu instid0(VALU_DEP_1) | instskip(SKIP_1) | instid1(TRANS32_DEP_1)
	v_exp_f32_e32 v38, v38
	v_nop
	v_ldexp_f32 v38, v38, v39
	s_delay_alu instid0(VALU_DEP_1) | instskip(SKIP_1) | instid1(VALU_DEP_2)
	v_cndmask_b32_e32 v38, 0, v38, vcc_lo
	v_cmp_nlt_f32_e32 vcc_lo, 0x42b17218, v37
	v_cndmask_b32_e32 v37, 0x7f800000, v38, vcc_lo
	s_delay_alu instid0(VALU_DEP_1) | instskip(NEXT) | instid1(VALU_DEP_1)
	v_dual_mul_f32 v13, v13, v37 :: v_dual_add_f32 v37, 1.0, v37
	v_div_scale_f32 v38, null, v37, v37, v13
	s_delay_alu instid0(VALU_DEP_1) | instskip(SKIP_1) | instid1(TRANS32_DEP_1)
	v_rcp_f32_e32 v39, v38
	v_nop
	v_fma_f32 v40, -v38, v39, 1.0
	s_delay_alu instid0(VALU_DEP_1) | instskip(SKIP_1) | instid1(VALU_DEP_1)
	v_fmac_f32_e32 v39, v40, v39
	v_div_scale_f32 v40, vcc_lo, v13, v37, v13
	v_mul_f32_e32 v41, v40, v39
	s_delay_alu instid0(VALU_DEP_1) | instskip(NEXT) | instid1(VALU_DEP_1)
	v_fma_f32 v42, -v38, v41, v40
	v_fmac_f32_e32 v41, v42, v39
	s_delay_alu instid0(VALU_DEP_1) | instskip(NEXT) | instid1(VALU_DEP_1)
	v_fma_f32 v38, -v38, v41, v40
	v_div_fmas_f32 v38, v38, v39, v41
	s_delay_alu instid0(VALU_DEP_1)
	v_div_fixup_f32 v13, v38, v37, v13
.LBB54_51:
	s_or_b32 exec_lo, exec_lo, s10
	s_wait_loadcnt 0x3
	v_lshlrev_b32_e32 v37, 16, v36
	s_mov_b32 s10, exec_lo
	s_delay_alu instid0(VALU_DEP_1) | instskip(NEXT) | instid1(VALU_DEP_1)
	v_mul_f32_e32 v37, s13, v37
	v_cmpx_nlt_f32_e32 s14, v37
	s_cbranch_execz .LBB54_53
; %bb.52:
	v_mul_f32_e32 v38, 0x3fb8aa3b, v37
	v_cmp_ngt_f32_e32 vcc_lo, 0xc2ce8ed0, v37
	s_delay_alu instid0(VALU_DEP_2) | instskip(SKIP_1) | instid1(VALU_DEP_2)
	v_rndne_f32_e32 v39, v38
	v_fma_f32 v40, 0x3fb8aa3b, v37, -v38
	v_sub_f32_e32 v38, v38, v39
	s_delay_alu instid0(VALU_DEP_2) | instskip(SKIP_1) | instid1(VALU_DEP_2)
	v_fmamk_f32 v40, v37, 0x32a5705f, v40
	v_cvt_i32_f32_e32 v39, v39
	v_add_f32_e32 v38, v38, v40
	s_delay_alu instid0(VALU_DEP_1) | instskip(SKIP_1) | instid1(TRANS32_DEP_1)
	v_exp_f32_e32 v38, v38
	v_nop
	v_ldexp_f32 v38, v38, v39
	s_delay_alu instid0(VALU_DEP_1) | instskip(SKIP_1) | instid1(VALU_DEP_2)
	v_cndmask_b32_e32 v38, 0, v38, vcc_lo
	v_cmp_nlt_f32_e32 vcc_lo, 0x42b17218, v37
	v_cndmask_b32_e32 v37, 0x7f800000, v38, vcc_lo
	s_delay_alu instid0(VALU_DEP_1) | instskip(NEXT) | instid1(VALU_DEP_1)
	v_dual_mul_f32 v8, v8, v37 :: v_dual_add_f32 v37, 1.0, v37
	v_div_scale_f32 v38, null, v37, v37, v8
	s_delay_alu instid0(VALU_DEP_1) | instskip(SKIP_1) | instid1(TRANS32_DEP_1)
	v_rcp_f32_e32 v39, v38
	v_nop
	v_fma_f32 v40, -v38, v39, 1.0
	s_delay_alu instid0(VALU_DEP_1) | instskip(SKIP_1) | instid1(VALU_DEP_1)
	v_fmac_f32_e32 v39, v40, v39
	v_div_scale_f32 v40, vcc_lo, v8, v37, v8
	v_mul_f32_e32 v41, v40, v39
	s_delay_alu instid0(VALU_DEP_1) | instskip(NEXT) | instid1(VALU_DEP_1)
	v_fma_f32 v42, -v38, v41, v40
	v_fmac_f32_e32 v41, v42, v39
	s_delay_alu instid0(VALU_DEP_1) | instskip(NEXT) | instid1(VALU_DEP_1)
	v_fma_f32 v38, -v38, v41, v40
	v_div_fmas_f32 v38, v38, v39, v41
	s_delay_alu instid0(VALU_DEP_1)
	v_div_fixup_f32 v8, v38, v37, v8
.LBB54_53:
	s_or_b32 exec_lo, exec_lo, s10
	v_and_b32_e32 v36, 0xffff0000, v36
	s_mov_b32 s10, exec_lo
	s_delay_alu instid0(VALU_DEP_1) | instskip(NEXT) | instid1(VALU_DEP_1)
	v_mul_f32_e32 v36, s13, v36
	v_cmpx_nlt_f32_e32 s14, v36
	s_cbranch_execz .LBB54_55
; %bb.54:
	v_mul_f32_e32 v37, 0x3fb8aa3b, v36
	v_cmp_ngt_f32_e32 vcc_lo, 0xc2ce8ed0, v36
	s_delay_alu instid0(VALU_DEP_2) | instskip(SKIP_1) | instid1(VALU_DEP_2)
	v_rndne_f32_e32 v38, v37
	v_fma_f32 v39, 0x3fb8aa3b, v36, -v37
	v_sub_f32_e32 v37, v37, v38
	s_delay_alu instid0(VALU_DEP_2) | instskip(SKIP_1) | instid1(VALU_DEP_2)
	v_fmamk_f32 v39, v36, 0x32a5705f, v39
	v_cvt_i32_f32_e32 v38, v38
	v_add_f32_e32 v37, v37, v39
	s_delay_alu instid0(VALU_DEP_1) | instskip(SKIP_1) | instid1(TRANS32_DEP_1)
	v_exp_f32_e32 v37, v37
	v_nop
	v_ldexp_f32 v37, v37, v38
	s_delay_alu instid0(VALU_DEP_1) | instskip(SKIP_1) | instid1(VALU_DEP_2)
	v_cndmask_b32_e32 v37, 0, v37, vcc_lo
	v_cmp_nlt_f32_e32 vcc_lo, 0x42b17218, v36
	v_cndmask_b32_e32 v36, 0x7f800000, v37, vcc_lo
	s_delay_alu instid0(VALU_DEP_1) | instskip(NEXT) | instid1(VALU_DEP_1)
	v_dual_mul_f32 v9, v9, v36 :: v_dual_add_f32 v36, 1.0, v36
	v_div_scale_f32 v37, null, v36, v36, v9
	s_delay_alu instid0(VALU_DEP_1) | instskip(SKIP_1) | instid1(TRANS32_DEP_1)
	v_rcp_f32_e32 v38, v37
	v_nop
	v_fma_f32 v39, -v37, v38, 1.0
	s_delay_alu instid0(VALU_DEP_1) | instskip(SKIP_1) | instid1(VALU_DEP_1)
	v_fmac_f32_e32 v38, v39, v38
	v_div_scale_f32 v39, vcc_lo, v9, v36, v9
	v_mul_f32_e32 v40, v39, v38
	s_delay_alu instid0(VALU_DEP_1) | instskip(NEXT) | instid1(VALU_DEP_1)
	v_fma_f32 v41, -v37, v40, v39
	v_fmac_f32_e32 v40, v41, v38
	s_delay_alu instid0(VALU_DEP_1) | instskip(NEXT) | instid1(VALU_DEP_1)
	v_fma_f32 v37, -v37, v40, v39
	v_div_fmas_f32 v37, v37, v38, v40
	s_delay_alu instid0(VALU_DEP_1)
	v_div_fixup_f32 v9, v37, v36, v9
.LBB54_55:
	s_or_b32 exec_lo, exec_lo, s10
	s_wait_loadcnt 0x2
	v_lshlrev_b32_e32 v36, 16, v35
	s_mov_b32 s10, exec_lo
	s_delay_alu instid0(VALU_DEP_1) | instskip(NEXT) | instid1(VALU_DEP_1)
	v_mul_f32_e32 v36, s13, v36
	v_cmpx_nlt_f32_e32 s14, v36
	s_cbranch_execz .LBB54_57
; %bb.56:
	v_mul_f32_e32 v37, 0x3fb8aa3b, v36
	v_cmp_ngt_f32_e32 vcc_lo, 0xc2ce8ed0, v36
	s_delay_alu instid0(VALU_DEP_2) | instskip(SKIP_1) | instid1(VALU_DEP_2)
	v_rndne_f32_e32 v38, v37
	v_fma_f32 v39, 0x3fb8aa3b, v36, -v37
	v_sub_f32_e32 v37, v37, v38
	s_delay_alu instid0(VALU_DEP_2) | instskip(SKIP_1) | instid1(VALU_DEP_2)
	v_fmamk_f32 v39, v36, 0x32a5705f, v39
	v_cvt_i32_f32_e32 v38, v38
	v_add_f32_e32 v37, v37, v39
	s_delay_alu instid0(VALU_DEP_1) | instskip(SKIP_1) | instid1(TRANS32_DEP_1)
	v_exp_f32_e32 v37, v37
	v_nop
	v_ldexp_f32 v37, v37, v38
	s_delay_alu instid0(VALU_DEP_1) | instskip(SKIP_1) | instid1(VALU_DEP_2)
	v_cndmask_b32_e32 v37, 0, v37, vcc_lo
	v_cmp_nlt_f32_e32 vcc_lo, 0x42b17218, v36
	v_cndmask_b32_e32 v36, 0x7f800000, v37, vcc_lo
	s_delay_alu instid0(VALU_DEP_1) | instskip(NEXT) | instid1(VALU_DEP_1)
	v_dual_mul_f32 v6, v6, v36 :: v_dual_add_f32 v36, 1.0, v36
	v_div_scale_f32 v37, null, v36, v36, v6
	s_delay_alu instid0(VALU_DEP_1) | instskip(SKIP_1) | instid1(TRANS32_DEP_1)
	v_rcp_f32_e32 v38, v37
	v_nop
	v_fma_f32 v39, -v37, v38, 1.0
	s_delay_alu instid0(VALU_DEP_1) | instskip(SKIP_1) | instid1(VALU_DEP_1)
	v_fmac_f32_e32 v38, v39, v38
	v_div_scale_f32 v39, vcc_lo, v6, v36, v6
	v_mul_f32_e32 v40, v39, v38
	s_delay_alu instid0(VALU_DEP_1) | instskip(NEXT) | instid1(VALU_DEP_1)
	v_fma_f32 v41, -v37, v40, v39
	v_fmac_f32_e32 v40, v41, v38
	s_delay_alu instid0(VALU_DEP_1) | instskip(NEXT) | instid1(VALU_DEP_1)
	v_fma_f32 v37, -v37, v40, v39
	v_div_fmas_f32 v37, v37, v38, v40
	s_delay_alu instid0(VALU_DEP_1)
	v_div_fixup_f32 v6, v37, v36, v6
.LBB54_57:
	s_or_b32 exec_lo, exec_lo, s10
	v_and_b32_e32 v35, 0xffff0000, v35
	s_mov_b32 s10, exec_lo
	s_delay_alu instid0(VALU_DEP_1) | instskip(NEXT) | instid1(VALU_DEP_1)
	v_mul_f32_e32 v35, s13, v35
	v_cmpx_nlt_f32_e32 s14, v35
	s_cbranch_execz .LBB54_59
; %bb.58:
	v_mul_f32_e32 v36, 0x3fb8aa3b, v35
	v_cmp_ngt_f32_e32 vcc_lo, 0xc2ce8ed0, v35
	s_delay_alu instid0(VALU_DEP_2) | instskip(SKIP_1) | instid1(VALU_DEP_2)
	v_rndne_f32_e32 v37, v36
	v_fma_f32 v38, 0x3fb8aa3b, v35, -v36
	v_sub_f32_e32 v36, v36, v37
	s_delay_alu instid0(VALU_DEP_2) | instskip(SKIP_1) | instid1(VALU_DEP_2)
	v_fmamk_f32 v38, v35, 0x32a5705f, v38
	v_cvt_i32_f32_e32 v37, v37
	v_add_f32_e32 v36, v36, v38
	s_delay_alu instid0(VALU_DEP_1) | instskip(SKIP_1) | instid1(TRANS32_DEP_1)
	v_exp_f32_e32 v36, v36
	v_nop
	v_ldexp_f32 v36, v36, v37
	s_delay_alu instid0(VALU_DEP_1) | instskip(SKIP_1) | instid1(VALU_DEP_2)
	v_cndmask_b32_e32 v36, 0, v36, vcc_lo
	v_cmp_nlt_f32_e32 vcc_lo, 0x42b17218, v35
	v_cndmask_b32_e32 v35, 0x7f800000, v36, vcc_lo
	s_delay_alu instid0(VALU_DEP_1) | instskip(NEXT) | instid1(VALU_DEP_1)
	v_dual_mul_f32 v7, v7, v35 :: v_dual_add_f32 v35, 1.0, v35
	v_div_scale_f32 v36, null, v35, v35, v7
	s_delay_alu instid0(VALU_DEP_1) | instskip(SKIP_1) | instid1(TRANS32_DEP_1)
	v_rcp_f32_e32 v37, v36
	v_nop
	v_fma_f32 v38, -v36, v37, 1.0
	s_delay_alu instid0(VALU_DEP_1) | instskip(SKIP_1) | instid1(VALU_DEP_1)
	v_fmac_f32_e32 v37, v38, v37
	v_div_scale_f32 v38, vcc_lo, v7, v35, v7
	v_mul_f32_e32 v39, v38, v37
	s_delay_alu instid0(VALU_DEP_1) | instskip(NEXT) | instid1(VALU_DEP_1)
	v_fma_f32 v40, -v36, v39, v38
	v_fmac_f32_e32 v39, v40, v37
	s_delay_alu instid0(VALU_DEP_1) | instskip(NEXT) | instid1(VALU_DEP_1)
	v_fma_f32 v36, -v36, v39, v38
	v_div_fmas_f32 v36, v36, v37, v39
	s_delay_alu instid0(VALU_DEP_1)
	v_div_fixup_f32 v7, v36, v35, v7
.LBB54_59:
	s_or_b32 exec_lo, exec_lo, s10
	s_wait_loadcnt 0x1
	v_lshlrev_b32_e32 v35, 16, v34
	s_mov_b32 s10, exec_lo
	s_delay_alu instid0(VALU_DEP_1) | instskip(NEXT) | instid1(VALU_DEP_1)
	v_mul_f32_e32 v35, s13, v35
	v_cmpx_nlt_f32_e32 s14, v35
	s_cbranch_execz .LBB54_61
; %bb.60:
	v_mul_f32_e32 v36, 0x3fb8aa3b, v35
	v_cmp_ngt_f32_e32 vcc_lo, 0xc2ce8ed0, v35
	s_delay_alu instid0(VALU_DEP_2) | instskip(SKIP_1) | instid1(VALU_DEP_2)
	v_rndne_f32_e32 v37, v36
	v_fma_f32 v38, 0x3fb8aa3b, v35, -v36
	v_sub_f32_e32 v36, v36, v37
	s_delay_alu instid0(VALU_DEP_2) | instskip(SKIP_1) | instid1(VALU_DEP_2)
	v_fmamk_f32 v38, v35, 0x32a5705f, v38
	v_cvt_i32_f32_e32 v37, v37
	v_add_f32_e32 v36, v36, v38
	s_delay_alu instid0(VALU_DEP_1) | instskip(SKIP_1) | instid1(TRANS32_DEP_1)
	v_exp_f32_e32 v36, v36
	v_nop
	v_ldexp_f32 v36, v36, v37
	s_delay_alu instid0(VALU_DEP_1) | instskip(SKIP_1) | instid1(VALU_DEP_2)
	v_cndmask_b32_e32 v36, 0, v36, vcc_lo
	v_cmp_nlt_f32_e32 vcc_lo, 0x42b17218, v35
	v_cndmask_b32_e32 v35, 0x7f800000, v36, vcc_lo
	s_delay_alu instid0(VALU_DEP_1) | instskip(NEXT) | instid1(VALU_DEP_1)
	v_dual_mul_f32 v4, v4, v35 :: v_dual_add_f32 v35, 1.0, v35
	v_div_scale_f32 v36, null, v35, v35, v4
	s_delay_alu instid0(VALU_DEP_1) | instskip(SKIP_1) | instid1(TRANS32_DEP_1)
	v_rcp_f32_e32 v37, v36
	v_nop
	v_fma_f32 v38, -v36, v37, 1.0
	s_delay_alu instid0(VALU_DEP_1) | instskip(SKIP_1) | instid1(VALU_DEP_1)
	v_fmac_f32_e32 v37, v38, v37
	v_div_scale_f32 v38, vcc_lo, v4, v35, v4
	v_mul_f32_e32 v39, v38, v37
	s_delay_alu instid0(VALU_DEP_1) | instskip(NEXT) | instid1(VALU_DEP_1)
	v_fma_f32 v40, -v36, v39, v38
	v_fmac_f32_e32 v39, v40, v37
	s_delay_alu instid0(VALU_DEP_1) | instskip(NEXT) | instid1(VALU_DEP_1)
	v_fma_f32 v36, -v36, v39, v38
	v_div_fmas_f32 v36, v36, v37, v39
	s_delay_alu instid0(VALU_DEP_1)
	v_div_fixup_f32 v4, v36, v35, v4
.LBB54_61:
	s_or_b32 exec_lo, exec_lo, s10
	v_and_b32_e32 v34, 0xffff0000, v34
	s_mov_b32 s10, exec_lo
	s_delay_alu instid0(VALU_DEP_1) | instskip(NEXT) | instid1(VALU_DEP_1)
	v_mul_f32_e32 v34, s13, v34
	v_cmpx_nlt_f32_e32 s14, v34
	s_cbranch_execz .LBB54_63
; %bb.62:
	v_mul_f32_e32 v35, 0x3fb8aa3b, v34
	v_cmp_ngt_f32_e32 vcc_lo, 0xc2ce8ed0, v34
	s_delay_alu instid0(VALU_DEP_2) | instskip(SKIP_1) | instid1(VALU_DEP_2)
	v_rndne_f32_e32 v36, v35
	v_fma_f32 v37, 0x3fb8aa3b, v34, -v35
	v_sub_f32_e32 v35, v35, v36
	s_delay_alu instid0(VALU_DEP_2) | instskip(SKIP_1) | instid1(VALU_DEP_2)
	v_fmamk_f32 v37, v34, 0x32a5705f, v37
	v_cvt_i32_f32_e32 v36, v36
	v_add_f32_e32 v35, v35, v37
	s_delay_alu instid0(VALU_DEP_1) | instskip(SKIP_1) | instid1(TRANS32_DEP_1)
	v_exp_f32_e32 v35, v35
	v_nop
	v_ldexp_f32 v35, v35, v36
	s_delay_alu instid0(VALU_DEP_1) | instskip(SKIP_1) | instid1(VALU_DEP_2)
	v_cndmask_b32_e32 v35, 0, v35, vcc_lo
	v_cmp_nlt_f32_e32 vcc_lo, 0x42b17218, v34
	v_cndmask_b32_e32 v34, 0x7f800000, v35, vcc_lo
	s_delay_alu instid0(VALU_DEP_1) | instskip(NEXT) | instid1(VALU_DEP_1)
	v_dual_mul_f32 v5, v5, v34 :: v_dual_add_f32 v34, 1.0, v34
	v_div_scale_f32 v35, null, v34, v34, v5
	s_delay_alu instid0(VALU_DEP_1) | instskip(SKIP_1) | instid1(TRANS32_DEP_1)
	v_rcp_f32_e32 v36, v35
	v_nop
	v_fma_f32 v37, -v35, v36, 1.0
	s_delay_alu instid0(VALU_DEP_1) | instskip(SKIP_1) | instid1(VALU_DEP_1)
	v_fmac_f32_e32 v36, v37, v36
	v_div_scale_f32 v37, vcc_lo, v5, v34, v5
	v_mul_f32_e32 v38, v37, v36
	s_delay_alu instid0(VALU_DEP_1) | instskip(NEXT) | instid1(VALU_DEP_1)
	v_fma_f32 v39, -v35, v38, v37
	v_fmac_f32_e32 v38, v39, v36
	s_delay_alu instid0(VALU_DEP_1) | instskip(NEXT) | instid1(VALU_DEP_1)
	v_fma_f32 v35, -v35, v38, v37
	v_div_fmas_f32 v35, v35, v36, v38
	s_delay_alu instid0(VALU_DEP_1)
	v_div_fixup_f32 v5, v35, v34, v5
.LBB54_63:
	s_or_b32 exec_lo, exec_lo, s10
	s_wait_loadcnt 0x0
	v_lshlrev_b32_e32 v34, 16, v1
	s_mov_b32 s10, exec_lo
	s_delay_alu instid0(VALU_DEP_1) | instskip(NEXT) | instid1(VALU_DEP_1)
	v_mul_f32_e32 v34, s13, v34
	v_cmpx_nlt_f32_e32 s14, v34
	s_cbranch_execz .LBB54_65
; %bb.64:
	v_mul_f32_e32 v35, 0x3fb8aa3b, v34
	v_cmp_ngt_f32_e32 vcc_lo, 0xc2ce8ed0, v34
	s_delay_alu instid0(VALU_DEP_2) | instskip(SKIP_1) | instid1(VALU_DEP_2)
	v_rndne_f32_e32 v36, v35
	v_fma_f32 v37, 0x3fb8aa3b, v34, -v35
	v_sub_f32_e32 v35, v35, v36
	s_delay_alu instid0(VALU_DEP_2) | instskip(SKIP_1) | instid1(VALU_DEP_2)
	v_fmamk_f32 v37, v34, 0x32a5705f, v37
	v_cvt_i32_f32_e32 v36, v36
	v_add_f32_e32 v35, v35, v37
	s_delay_alu instid0(VALU_DEP_1) | instskip(SKIP_1) | instid1(TRANS32_DEP_1)
	v_exp_f32_e32 v35, v35
	v_nop
	v_ldexp_f32 v35, v35, v36
	s_delay_alu instid0(VALU_DEP_1) | instskip(SKIP_1) | instid1(VALU_DEP_2)
	v_cndmask_b32_e32 v35, 0, v35, vcc_lo
	v_cmp_nlt_f32_e32 vcc_lo, 0x42b17218, v34
	v_cndmask_b32_e32 v34, 0x7f800000, v35, vcc_lo
	s_delay_alu instid0(VALU_DEP_1) | instskip(NEXT) | instid1(VALU_DEP_1)
	v_dual_mul_f32 v2, v2, v34 :: v_dual_add_f32 v34, 1.0, v34
	v_div_scale_f32 v35, null, v34, v34, v2
	s_delay_alu instid0(VALU_DEP_1) | instskip(SKIP_1) | instid1(TRANS32_DEP_1)
	v_rcp_f32_e32 v36, v35
	v_nop
	v_fma_f32 v37, -v35, v36, 1.0
	s_delay_alu instid0(VALU_DEP_1) | instskip(SKIP_1) | instid1(VALU_DEP_1)
	v_fmac_f32_e32 v36, v37, v36
	v_div_scale_f32 v37, vcc_lo, v2, v34, v2
	v_mul_f32_e32 v38, v37, v36
	s_delay_alu instid0(VALU_DEP_1) | instskip(NEXT) | instid1(VALU_DEP_1)
	v_fma_f32 v39, -v35, v38, v37
	v_fmac_f32_e32 v38, v39, v36
	s_delay_alu instid0(VALU_DEP_1) | instskip(NEXT) | instid1(VALU_DEP_1)
	v_fma_f32 v35, -v35, v38, v37
	v_div_fmas_f32 v35, v35, v36, v38
	s_delay_alu instid0(VALU_DEP_1)
	v_div_fixup_f32 v2, v35, v34, v2
.LBB54_65:
	s_or_b32 exec_lo, exec_lo, s10
	v_and_b32_e32 v1, 0xffff0000, v1
	s_mov_b32 s10, exec_lo
	s_delay_alu instid0(VALU_DEP_1) | instskip(NEXT) | instid1(VALU_DEP_1)
	v_mul_f32_e32 v1, s13, v1
	v_cmpx_nlt_f32_e32 s14, v1
	s_cbranch_execz .LBB54_67
; %bb.66:
	v_mul_f32_e32 v34, 0x3fb8aa3b, v1
	v_cmp_ngt_f32_e32 vcc_lo, 0xc2ce8ed0, v1
	s_delay_alu instid0(VALU_DEP_2) | instskip(SKIP_1) | instid1(VALU_DEP_2)
	v_rndne_f32_e32 v35, v34
	v_fma_f32 v36, 0x3fb8aa3b, v1, -v34
	v_sub_f32_e32 v34, v34, v35
	s_delay_alu instid0(VALU_DEP_2) | instskip(SKIP_1) | instid1(VALU_DEP_2)
	v_fmamk_f32 v36, v1, 0x32a5705f, v36
	v_cvt_i32_f32_e32 v35, v35
	v_add_f32_e32 v34, v34, v36
	s_delay_alu instid0(VALU_DEP_1) | instskip(SKIP_1) | instid1(TRANS32_DEP_1)
	v_exp_f32_e32 v34, v34
	v_nop
	v_ldexp_f32 v34, v34, v35
	s_delay_alu instid0(VALU_DEP_1) | instskip(SKIP_1) | instid1(VALU_DEP_2)
	v_cndmask_b32_e32 v34, 0, v34, vcc_lo
	v_cmp_nlt_f32_e32 vcc_lo, 0x42b17218, v1
	v_cndmask_b32_e32 v1, 0x7f800000, v34, vcc_lo
	s_delay_alu instid0(VALU_DEP_1) | instskip(NEXT) | instid1(VALU_DEP_1)
	v_dual_mul_f32 v3, v3, v1 :: v_dual_add_f32 v1, 1.0, v1
	v_div_scale_f32 v34, null, v1, v1, v3
	s_delay_alu instid0(VALU_DEP_1) | instskip(SKIP_1) | instid1(TRANS32_DEP_1)
	v_rcp_f32_e32 v35, v34
	v_nop
	v_fma_f32 v36, -v34, v35, 1.0
	s_delay_alu instid0(VALU_DEP_1) | instskip(SKIP_1) | instid1(VALU_DEP_1)
	v_fmac_f32_e32 v35, v36, v35
	v_div_scale_f32 v36, vcc_lo, v3, v1, v3
	v_mul_f32_e32 v37, v36, v35
	s_delay_alu instid0(VALU_DEP_1) | instskip(NEXT) | instid1(VALU_DEP_1)
	v_fma_f32 v38, -v34, v37, v36
	v_fmac_f32_e32 v37, v38, v35
	s_delay_alu instid0(VALU_DEP_1) | instskip(NEXT) | instid1(VALU_DEP_1)
	v_fma_f32 v34, -v34, v37, v36
	v_div_fmas_f32 v34, v34, v35, v37
	s_delay_alu instid0(VALU_DEP_1)
	v_div_fixup_f32 v3, v34, v1, v3
.LBB54_67:
	s_or_b32 exec_lo, exec_lo, s10
	s_add_nc_u64 s[10:11], s[4:5], s[8:9]
	s_clause 0xf
	global_store_b64 v0, v[32:33], s[10:11] scale_offset
	global_store_b64 v0, v[30:31], s[10:11] offset:4096 scale_offset
	global_store_b64 v0, v[28:29], s[10:11] offset:8192 scale_offset
	;; [unrolled: 1-line block ×15, first 2 shown]
	s_branch .LBB54_2
.LBB54_68:
	s_wait_xcnt 0x0
	s_clause 0x1
	s_load_b32 s10, s[0:1], 0x2c
	s_load_b128 s[16:19], s[0:1], 0x30
	v_dual_mov_b32 v31, v0 :: v_dual_mov_b32 v0, s13
	v_dual_mov_b32 v1, s14 :: v_dual_mov_b32 v2, s4
	;; [unrolled: 1-line block ×5, first 2 shown]
	s_add_nc_u64 s[8:9], s[0:1], 64
	s_wait_xcnt 0x0
	s_get_pc_i64 s[0:1]
	s_add_nc_u64 s[0:1], s[0:1], _ZN2at6native25elementwise_kernel_helperILb1EZZZNS0_12_GLOBAL__N_124softplus_backward_kernelERNS_18TensorIteratorBaseERKN3c106ScalarES8_ENKUlvE_clEvENKUlvE0_clEvEUlffE_NS0_6memory8policies11unroll_baseILi512ESt5arrayIPcLm3EE23TrivialOffsetCalculatorILi2EjESI_ILi1EjENSC_12LoadWithCastILi2EEENSC_13StoreWithCastILi1EEELi32ELi1EEEEEvT0_T1_@rel64+4
	s_wait_kmcnt 0x0
	s_bfe_u32 s11, s10, 0x80008
	v_dual_mov_b32 v9, s10 :: v_dual_mov_b32 v11, s16
	v_dual_mov_b32 v12, s17 :: v_dual_mov_b32 v13, s18
	;; [unrolled: 1-line block ×3, first 2 shown]
	s_swap_pc_i64 s[30:31], s[0:1]
	s_endpgm
	.section	.rodata,"a",@progbits
	.p2align	6, 0x0
	.amdhsa_kernel _ZN2at6native39vectorized_templated_elementwise_kernelILi2EZZZNS0_12_GLOBAL__N_124softplus_backward_kernelERNS_18TensorIteratorBaseERKN3c106ScalarES8_ENKUlvE_clEvENKUlvE0_clEvEUlffE_St5arrayIPcLm3EE23TrivialOffsetCalculatorILi2EjESF_ILi1EjENS0_6memory12LoadWithCastILi2EEENSI_13StoreWithCastILi1EEEfJfNS5_8BFloat16EEEEviT0_T1_T2_T3_T4_T5_
		.amdhsa_group_segment_fixed_size 0
		.amdhsa_private_segment_fixed_size 272
		.amdhsa_kernarg_size 320
		.amdhsa_user_sgpr_count 2
		.amdhsa_user_sgpr_dispatch_ptr 0
		.amdhsa_user_sgpr_queue_ptr 0
		.amdhsa_user_sgpr_kernarg_segment_ptr 1
		.amdhsa_user_sgpr_dispatch_id 0
		.amdhsa_user_sgpr_kernarg_preload_length 0
		.amdhsa_user_sgpr_kernarg_preload_offset 0
		.amdhsa_user_sgpr_private_segment_size 0
		.amdhsa_wavefront_size32 1
		.amdhsa_uses_dynamic_stack 0
		.amdhsa_enable_private_segment 1
		.amdhsa_system_sgpr_workgroup_id_x 1
		.amdhsa_system_sgpr_workgroup_id_y 0
		.amdhsa_system_sgpr_workgroup_id_z 0
		.amdhsa_system_sgpr_workgroup_info 0
		.amdhsa_system_vgpr_workitem_id 0
		.amdhsa_next_free_vgpr 132
		.amdhsa_next_free_sgpr 96
		.amdhsa_named_barrier_count 0
		.amdhsa_reserve_vcc 1
		.amdhsa_float_round_mode_32 0
		.amdhsa_float_round_mode_16_64 0
		.amdhsa_float_denorm_mode_32 3
		.amdhsa_float_denorm_mode_16_64 3
		.amdhsa_fp16_overflow 0
		.amdhsa_memory_ordered 1
		.amdhsa_forward_progress 1
		.amdhsa_inst_pref_size 69
		.amdhsa_round_robin_scheduling 0
		.amdhsa_exception_fp_ieee_invalid_op 0
		.amdhsa_exception_fp_denorm_src 0
		.amdhsa_exception_fp_ieee_div_zero 0
		.amdhsa_exception_fp_ieee_overflow 0
		.amdhsa_exception_fp_ieee_underflow 0
		.amdhsa_exception_fp_ieee_inexact 0
		.amdhsa_exception_int_div_zero 0
	.end_amdhsa_kernel
	.section	.text._ZN2at6native39vectorized_templated_elementwise_kernelILi2EZZZNS0_12_GLOBAL__N_124softplus_backward_kernelERNS_18TensorIteratorBaseERKN3c106ScalarES8_ENKUlvE_clEvENKUlvE0_clEvEUlffE_St5arrayIPcLm3EE23TrivialOffsetCalculatorILi2EjESF_ILi1EjENS0_6memory12LoadWithCastILi2EEENSI_13StoreWithCastILi1EEEfJfNS5_8BFloat16EEEEviT0_T1_T2_T3_T4_T5_,"axG",@progbits,_ZN2at6native39vectorized_templated_elementwise_kernelILi2EZZZNS0_12_GLOBAL__N_124softplus_backward_kernelERNS_18TensorIteratorBaseERKN3c106ScalarES8_ENKUlvE_clEvENKUlvE0_clEvEUlffE_St5arrayIPcLm3EE23TrivialOffsetCalculatorILi2EjESF_ILi1EjENS0_6memory12LoadWithCastILi2EEENSI_13StoreWithCastILi1EEEfJfNS5_8BFloat16EEEEviT0_T1_T2_T3_T4_T5_,comdat
.Lfunc_end54:
	.size	_ZN2at6native39vectorized_templated_elementwise_kernelILi2EZZZNS0_12_GLOBAL__N_124softplus_backward_kernelERNS_18TensorIteratorBaseERKN3c106ScalarES8_ENKUlvE_clEvENKUlvE0_clEvEUlffE_St5arrayIPcLm3EE23TrivialOffsetCalculatorILi2EjESF_ILi1EjENS0_6memory12LoadWithCastILi2EEENSI_13StoreWithCastILi1EEEfJfNS5_8BFloat16EEEEviT0_T1_T2_T3_T4_T5_, .Lfunc_end54-_ZN2at6native39vectorized_templated_elementwise_kernelILi2EZZZNS0_12_GLOBAL__N_124softplus_backward_kernelERNS_18TensorIteratorBaseERKN3c106ScalarES8_ENKUlvE_clEvENKUlvE0_clEvEUlffE_St5arrayIPcLm3EE23TrivialOffsetCalculatorILi2EjESF_ILi1EjENS0_6memory12LoadWithCastILi2EEENSI_13StoreWithCastILi1EEEfJfNS5_8BFloat16EEEEviT0_T1_T2_T3_T4_T5_
                                        ; -- End function
	.set _ZN2at6native39vectorized_templated_elementwise_kernelILi2EZZZNS0_12_GLOBAL__N_124softplus_backward_kernelERNS_18TensorIteratorBaseERKN3c106ScalarES8_ENKUlvE_clEvENKUlvE0_clEvEUlffE_St5arrayIPcLm3EE23TrivialOffsetCalculatorILi2EjESF_ILi1EjENS0_6memory12LoadWithCastILi2EEENSI_13StoreWithCastILi1EEEfJfNS5_8BFloat16EEEEviT0_T1_T2_T3_T4_T5_.num_vgpr, max(55, .L_ZN2at6native25elementwise_kernel_helperILb1EZZZNS0_12_GLOBAL__N_124softplus_backward_kernelERNS_18TensorIteratorBaseERKN3c106ScalarES8_ENKUlvE_clEvENKUlvE0_clEvEUlffE_NS0_6memory8policies11unroll_baseILi512ESt5arrayIPcLm3EE23TrivialOffsetCalculatorILi2EjESI_ILi1EjENSC_12LoadWithCastILi2EEENSC_13StoreWithCastILi1EEELi32ELi1EEEEEvT0_T1_.num_vgpr)
	.set _ZN2at6native39vectorized_templated_elementwise_kernelILi2EZZZNS0_12_GLOBAL__N_124softplus_backward_kernelERNS_18TensorIteratorBaseERKN3c106ScalarES8_ENKUlvE_clEvENKUlvE0_clEvEUlffE_St5arrayIPcLm3EE23TrivialOffsetCalculatorILi2EjESF_ILi1EjENS0_6memory12LoadWithCastILi2EEENSI_13StoreWithCastILi1EEEfJfNS5_8BFloat16EEEEviT0_T1_T2_T3_T4_T5_.num_agpr, max(0, .L_ZN2at6native25elementwise_kernel_helperILb1EZZZNS0_12_GLOBAL__N_124softplus_backward_kernelERNS_18TensorIteratorBaseERKN3c106ScalarES8_ENKUlvE_clEvENKUlvE0_clEvEUlffE_NS0_6memory8policies11unroll_baseILi512ESt5arrayIPcLm3EE23TrivialOffsetCalculatorILi2EjESI_ILi1EjENSC_12LoadWithCastILi2EEENSC_13StoreWithCastILi1EEELi32ELi1EEEEEvT0_T1_.num_agpr)
	.set _ZN2at6native39vectorized_templated_elementwise_kernelILi2EZZZNS0_12_GLOBAL__N_124softplus_backward_kernelERNS_18TensorIteratorBaseERKN3c106ScalarES8_ENKUlvE_clEvENKUlvE0_clEvEUlffE_St5arrayIPcLm3EE23TrivialOffsetCalculatorILi2EjESF_ILi1EjENS0_6memory12LoadWithCastILi2EEENSI_13StoreWithCastILi1EEEfJfNS5_8BFloat16EEEEviT0_T1_T2_T3_T4_T5_.numbered_sgpr, max(33, .L_ZN2at6native25elementwise_kernel_helperILb1EZZZNS0_12_GLOBAL__N_124softplus_backward_kernelERNS_18TensorIteratorBaseERKN3c106ScalarES8_ENKUlvE_clEvENKUlvE0_clEvEUlffE_NS0_6memory8policies11unroll_baseILi512ESt5arrayIPcLm3EE23TrivialOffsetCalculatorILi2EjESI_ILi1EjENSC_12LoadWithCastILi2EEENSC_13StoreWithCastILi1EEELi32ELi1EEEEEvT0_T1_.numbered_sgpr)
	.set _ZN2at6native39vectorized_templated_elementwise_kernelILi2EZZZNS0_12_GLOBAL__N_124softplus_backward_kernelERNS_18TensorIteratorBaseERKN3c106ScalarES8_ENKUlvE_clEvENKUlvE0_clEvEUlffE_St5arrayIPcLm3EE23TrivialOffsetCalculatorILi2EjESF_ILi1EjENS0_6memory12LoadWithCastILi2EEENSI_13StoreWithCastILi1EEEfJfNS5_8BFloat16EEEEviT0_T1_T2_T3_T4_T5_.num_named_barrier, max(0, .L_ZN2at6native25elementwise_kernel_helperILb1EZZZNS0_12_GLOBAL__N_124softplus_backward_kernelERNS_18TensorIteratorBaseERKN3c106ScalarES8_ENKUlvE_clEvENKUlvE0_clEvEUlffE_NS0_6memory8policies11unroll_baseILi512ESt5arrayIPcLm3EE23TrivialOffsetCalculatorILi2EjESI_ILi1EjENSC_12LoadWithCastILi2EEENSC_13StoreWithCastILi1EEELi32ELi1EEEEEvT0_T1_.num_named_barrier)
	.set _ZN2at6native39vectorized_templated_elementwise_kernelILi2EZZZNS0_12_GLOBAL__N_124softplus_backward_kernelERNS_18TensorIteratorBaseERKN3c106ScalarES8_ENKUlvE_clEvENKUlvE0_clEvEUlffE_St5arrayIPcLm3EE23TrivialOffsetCalculatorILi2EjESF_ILi1EjENS0_6memory12LoadWithCastILi2EEENSI_13StoreWithCastILi1EEEfJfNS5_8BFloat16EEEEviT0_T1_T2_T3_T4_T5_.private_seg_size, 0+max(.L_ZN2at6native25elementwise_kernel_helperILb1EZZZNS0_12_GLOBAL__N_124softplus_backward_kernelERNS_18TensorIteratorBaseERKN3c106ScalarES8_ENKUlvE_clEvENKUlvE0_clEvEUlffE_NS0_6memory8policies11unroll_baseILi512ESt5arrayIPcLm3EE23TrivialOffsetCalculatorILi2EjESI_ILi1EjENSC_12LoadWithCastILi2EEENSC_13StoreWithCastILi1EEELi32ELi1EEEEEvT0_T1_.private_seg_size)
	.set _ZN2at6native39vectorized_templated_elementwise_kernelILi2EZZZNS0_12_GLOBAL__N_124softplus_backward_kernelERNS_18TensorIteratorBaseERKN3c106ScalarES8_ENKUlvE_clEvENKUlvE0_clEvEUlffE_St5arrayIPcLm3EE23TrivialOffsetCalculatorILi2EjESF_ILi1EjENS0_6memory12LoadWithCastILi2EEENSI_13StoreWithCastILi1EEEfJfNS5_8BFloat16EEEEviT0_T1_T2_T3_T4_T5_.uses_vcc, or(1, .L_ZN2at6native25elementwise_kernel_helperILb1EZZZNS0_12_GLOBAL__N_124softplus_backward_kernelERNS_18TensorIteratorBaseERKN3c106ScalarES8_ENKUlvE_clEvENKUlvE0_clEvEUlffE_NS0_6memory8policies11unroll_baseILi512ESt5arrayIPcLm3EE23TrivialOffsetCalculatorILi2EjESI_ILi1EjENSC_12LoadWithCastILi2EEENSC_13StoreWithCastILi1EEELi32ELi1EEEEEvT0_T1_.uses_vcc)
	.set _ZN2at6native39vectorized_templated_elementwise_kernelILi2EZZZNS0_12_GLOBAL__N_124softplus_backward_kernelERNS_18TensorIteratorBaseERKN3c106ScalarES8_ENKUlvE_clEvENKUlvE0_clEvEUlffE_St5arrayIPcLm3EE23TrivialOffsetCalculatorILi2EjESF_ILi1EjENS0_6memory12LoadWithCastILi2EEENSI_13StoreWithCastILi1EEEfJfNS5_8BFloat16EEEEviT0_T1_T2_T3_T4_T5_.uses_flat_scratch, or(0, .L_ZN2at6native25elementwise_kernel_helperILb1EZZZNS0_12_GLOBAL__N_124softplus_backward_kernelERNS_18TensorIteratorBaseERKN3c106ScalarES8_ENKUlvE_clEvENKUlvE0_clEvEUlffE_NS0_6memory8policies11unroll_baseILi512ESt5arrayIPcLm3EE23TrivialOffsetCalculatorILi2EjESI_ILi1EjENSC_12LoadWithCastILi2EEENSC_13StoreWithCastILi1EEELi32ELi1EEEEEvT0_T1_.uses_flat_scratch)
	.set _ZN2at6native39vectorized_templated_elementwise_kernelILi2EZZZNS0_12_GLOBAL__N_124softplus_backward_kernelERNS_18TensorIteratorBaseERKN3c106ScalarES8_ENKUlvE_clEvENKUlvE0_clEvEUlffE_St5arrayIPcLm3EE23TrivialOffsetCalculatorILi2EjESF_ILi1EjENS0_6memory12LoadWithCastILi2EEENSI_13StoreWithCastILi1EEEfJfNS5_8BFloat16EEEEviT0_T1_T2_T3_T4_T5_.has_dyn_sized_stack, or(0, .L_ZN2at6native25elementwise_kernel_helperILb1EZZZNS0_12_GLOBAL__N_124softplus_backward_kernelERNS_18TensorIteratorBaseERKN3c106ScalarES8_ENKUlvE_clEvENKUlvE0_clEvEUlffE_NS0_6memory8policies11unroll_baseILi512ESt5arrayIPcLm3EE23TrivialOffsetCalculatorILi2EjESI_ILi1EjENSC_12LoadWithCastILi2EEENSC_13StoreWithCastILi1EEELi32ELi1EEEEEvT0_T1_.has_dyn_sized_stack)
	.set _ZN2at6native39vectorized_templated_elementwise_kernelILi2EZZZNS0_12_GLOBAL__N_124softplus_backward_kernelERNS_18TensorIteratorBaseERKN3c106ScalarES8_ENKUlvE_clEvENKUlvE0_clEvEUlffE_St5arrayIPcLm3EE23TrivialOffsetCalculatorILi2EjESF_ILi1EjENS0_6memory12LoadWithCastILi2EEENSI_13StoreWithCastILi1EEEfJfNS5_8BFloat16EEEEviT0_T1_T2_T3_T4_T5_.has_recursion, or(0, .L_ZN2at6native25elementwise_kernel_helperILb1EZZZNS0_12_GLOBAL__N_124softplus_backward_kernelERNS_18TensorIteratorBaseERKN3c106ScalarES8_ENKUlvE_clEvENKUlvE0_clEvEUlffE_NS0_6memory8policies11unroll_baseILi512ESt5arrayIPcLm3EE23TrivialOffsetCalculatorILi2EjESI_ILi1EjENSC_12LoadWithCastILi2EEENSC_13StoreWithCastILi1EEELi32ELi1EEEEEvT0_T1_.has_recursion)
	.set _ZN2at6native39vectorized_templated_elementwise_kernelILi2EZZZNS0_12_GLOBAL__N_124softplus_backward_kernelERNS_18TensorIteratorBaseERKN3c106ScalarES8_ENKUlvE_clEvENKUlvE0_clEvEUlffE_St5arrayIPcLm3EE23TrivialOffsetCalculatorILi2EjESF_ILi1EjENS0_6memory12LoadWithCastILi2EEENSI_13StoreWithCastILi1EEEfJfNS5_8BFloat16EEEEviT0_T1_T2_T3_T4_T5_.has_indirect_call, or(0, .L_ZN2at6native25elementwise_kernel_helperILb1EZZZNS0_12_GLOBAL__N_124softplus_backward_kernelERNS_18TensorIteratorBaseERKN3c106ScalarES8_ENKUlvE_clEvENKUlvE0_clEvEUlffE_NS0_6memory8policies11unroll_baseILi512ESt5arrayIPcLm3EE23TrivialOffsetCalculatorILi2EjESI_ILi1EjENSC_12LoadWithCastILi2EEENSC_13StoreWithCastILi1EEELi32ELi1EEEEEvT0_T1_.has_indirect_call)
	.section	.AMDGPU.csdata,"",@progbits
; Kernel info:
; codeLenInByte = 8768
; TotalNumSgprs: 98
; NumVgprs: 132
; ScratchSize: 272
; MemoryBound: 0
; FloatMode: 240
; IeeeMode: 1
; LDSByteSize: 0 bytes/workgroup (compile time only)
; SGPRBlocks: 0
; VGPRBlocks: 8
; NumSGPRsForWavesPerEU: 98
; NumVGPRsForWavesPerEU: 132
; NamedBarCnt: 0
; Occupancy: 7
; WaveLimiterHint : 1
; COMPUTE_PGM_RSRC2:SCRATCH_EN: 1
; COMPUTE_PGM_RSRC2:USER_SGPR: 2
; COMPUTE_PGM_RSRC2:TRAP_HANDLER: 0
; COMPUTE_PGM_RSRC2:TGID_X_EN: 1
; COMPUTE_PGM_RSRC2:TGID_Y_EN: 0
; COMPUTE_PGM_RSRC2:TGID_Z_EN: 0
; COMPUTE_PGM_RSRC2:TIDIG_COMP_CNT: 0
	.section	.text._ZN2at6native39vectorized_templated_elementwise_kernelILi8EZZZNS0_12_GLOBAL__N_124softplus_backward_kernelERNS_18TensorIteratorBaseERKN3c106ScalarES8_ENKUlvE_clEvENKUlvE0_clEvEUlffE_St5arrayIPcLm3EE23TrivialOffsetCalculatorILi2EjESF_ILi1EjENS0_6memory12LoadWithCastILi2EEENSI_13StoreWithCastILi1EEEfJNS5_8BFloat16EfEEEviT0_T1_T2_T3_T4_T5_,"axG",@progbits,_ZN2at6native39vectorized_templated_elementwise_kernelILi8EZZZNS0_12_GLOBAL__N_124softplus_backward_kernelERNS_18TensorIteratorBaseERKN3c106ScalarES8_ENKUlvE_clEvENKUlvE0_clEvEUlffE_St5arrayIPcLm3EE23TrivialOffsetCalculatorILi2EjESF_ILi1EjENS0_6memory12LoadWithCastILi2EEENSI_13StoreWithCastILi1EEEfJNS5_8BFloat16EfEEEviT0_T1_T2_T3_T4_T5_,comdat
	.globl	_ZN2at6native39vectorized_templated_elementwise_kernelILi8EZZZNS0_12_GLOBAL__N_124softplus_backward_kernelERNS_18TensorIteratorBaseERKN3c106ScalarES8_ENKUlvE_clEvENKUlvE0_clEvEUlffE_St5arrayIPcLm3EE23TrivialOffsetCalculatorILi2EjESF_ILi1EjENS0_6memory12LoadWithCastILi2EEENSI_13StoreWithCastILi1EEEfJNS5_8BFloat16EfEEEviT0_T1_T2_T3_T4_T5_ ; -- Begin function _ZN2at6native39vectorized_templated_elementwise_kernelILi8EZZZNS0_12_GLOBAL__N_124softplus_backward_kernelERNS_18TensorIteratorBaseERKN3c106ScalarES8_ENKUlvE_clEvENKUlvE0_clEvEUlffE_St5arrayIPcLm3EE23TrivialOffsetCalculatorILi2EjESF_ILi1EjENS0_6memory12LoadWithCastILi2EEENSI_13StoreWithCastILi1EEEfJNS5_8BFloat16EfEEEviT0_T1_T2_T3_T4_T5_
	.p2align	8
	.type	_ZN2at6native39vectorized_templated_elementwise_kernelILi8EZZZNS0_12_GLOBAL__N_124softplus_backward_kernelERNS_18TensorIteratorBaseERKN3c106ScalarES8_ENKUlvE_clEvENKUlvE0_clEvEUlffE_St5arrayIPcLm3EE23TrivialOffsetCalculatorILi2EjESF_ILi1EjENS0_6memory12LoadWithCastILi2EEENSI_13StoreWithCastILi1EEEfJNS5_8BFloat16EfEEEviT0_T1_T2_T3_T4_T5_,@function
_ZN2at6native39vectorized_templated_elementwise_kernelILi8EZZZNS0_12_GLOBAL__N_124softplus_backward_kernelERNS_18TensorIteratorBaseERKN3c106ScalarES8_ENKUlvE_clEvENKUlvE0_clEvEUlffE_St5arrayIPcLm3EE23TrivialOffsetCalculatorILi2EjESF_ILi1EjENS0_6memory12LoadWithCastILi2EEENSI_13StoreWithCastILi1EEEfJNS5_8BFloat16EfEEEviT0_T1_T2_T3_T4_T5_: ; @_ZN2at6native39vectorized_templated_elementwise_kernelILi8EZZZNS0_12_GLOBAL__N_124softplus_backward_kernelERNS_18TensorIteratorBaseERKN3c106ScalarES8_ENKUlvE_clEvENKUlvE0_clEvEUlffE_St5arrayIPcLm3EE23TrivialOffsetCalculatorILi2EjESF_ILi1EjENS0_6memory12LoadWithCastILi2EEENSI_13StoreWithCastILi1EEEfJNS5_8BFloat16EfEEEviT0_T1_T2_T3_T4_T5_
; %bb.0:
	s_clause 0x2
	s_load_b32 s8, s[0:1], 0x40
	s_load_b96 s[12:14], s[0:1], 0x0
	s_load_b64 s[2:3], s[0:1], 0x20
	s_bfe_u32 s9, ttmp6, 0x4000c
	s_load_b128 s[4:7], s[0:1], 0x10
	s_add_co_i32 s9, s9, 1
	s_and_b32 s10, ttmp6, 15
	s_mul_i32 s9, ttmp9, s9
	s_getreg_b32 s11, hwreg(HW_REG_IB_STS2, 6, 4)
	s_add_co_i32 s10, s10, s9
	s_cmp_eq_u32 s11, 0
	s_mov_b32 s32, 0
	s_cselect_b32 s9, ttmp9, s10
	s_delay_alu instid0(SALU_CYCLE_1) | instskip(SKIP_2) | instid1(SALU_CYCLE_1)
	s_not_b32 s9, s9
	s_wait_kmcnt 0x0
	s_add_co_i32 s8, s8, s9
	s_lshl_b32 s10, s8, 14
	s_mov_b32 s8, -1
	s_sub_co_i32 s12, s12, s10
	s_delay_alu instid0(SALU_CYCLE_1)
	s_cmp_gt_i32 s12, 0x3fff
	s_cbranch_scc1 .LBB55_3
; %bb.1:
	s_and_b32 vcc_lo, exec_lo, s8
	s_cbranch_vccnz .LBB55_68
.LBB55_2:
	s_sendmsg sendmsg(MSG_DEALLOC_VGPRS)
	s_endpgm
.LBB55_3:
	s_ashr_i32 s11, s10, 31
	v_lshlrev_b32_e32 v1, 5, v0
	s_lshl_b64 s[8:9], s[10:11], 2
	s_lshl_b64 s[10:11], s[10:11], 1
	s_add_nc_u64 s[16:17], s[2:3], s[8:9]
	s_add_nc_u64 s[10:11], s[6:7], s[10:11]
	s_clause 0x1
	global_load_b128 v[14:17], v1, s[16:17] offset:16
	global_load_b128 v[2:5], v1, s[16:17]
	s_clause 0x3
	global_load_b128 v[46:49], v0, s[10:11] scale_offset
	global_load_b128 v[34:37], v0, s[10:11] offset:8192 scale_offset
	global_load_b128 v[26:29], v0, s[10:11] offset:16384 scale_offset
	;; [unrolled: 1-line block ×3, first 2 shown]
	s_clause 0x5
	global_load_b128 v[42:45], v1, s[16:17] offset:16400
	global_load_b128 v[22:25], v1, s[16:17] offset:16384
	;; [unrolled: 1-line block ×6, first 2 shown]
	s_wait_xcnt 0x6
	s_mov_b32 s10, exec_lo
	s_wait_loadcnt 0xa
	v_mul_f32_e32 v50, s13, v2
	s_wait_loadcnt 0x9
	v_lshlrev_b32_e32 v2, 16, v46
	s_wait_xcnt 0x0
	s_delay_alu instid0(VALU_DEP_2)
	v_cmpx_nlt_f32_e32 s14, v50
	s_cbranch_execz .LBB55_5
; %bb.4:
	v_mul_f32_e32 v51, 0x3fb8aa3b, v50
	v_cmp_ngt_f32_e32 vcc_lo, 0xc2ce8ed0, v50
	s_delay_alu instid0(VALU_DEP_2) | instskip(SKIP_1) | instid1(VALU_DEP_2)
	v_rndne_f32_e32 v52, v51
	v_fma_f32 v53, 0x3fb8aa3b, v50, -v51
	v_sub_f32_e32 v51, v51, v52
	s_delay_alu instid0(VALU_DEP_2) | instskip(SKIP_1) | instid1(VALU_DEP_2)
	v_fmamk_f32 v53, v50, 0x32a5705f, v53
	v_cvt_i32_f32_e32 v52, v52
	v_add_f32_e32 v51, v51, v53
	s_delay_alu instid0(VALU_DEP_1) | instskip(SKIP_1) | instid1(TRANS32_DEP_1)
	v_exp_f32_e32 v51, v51
	v_nop
	v_ldexp_f32 v51, v51, v52
	s_delay_alu instid0(VALU_DEP_1) | instskip(SKIP_1) | instid1(VALU_DEP_2)
	v_cndmask_b32_e32 v51, 0, v51, vcc_lo
	v_cmp_nlt_f32_e32 vcc_lo, 0x42b17218, v50
	v_cndmask_b32_e32 v50, 0x7f800000, v51, vcc_lo
	s_delay_alu instid0(VALU_DEP_1) | instskip(SKIP_1) | instid1(VALU_DEP_1)
	v_mul_f32_e32 v2, v50, v2
	v_add_f32_e32 v50, 1.0, v50
	v_div_scale_f32 v51, null, v50, v50, v2
	s_delay_alu instid0(VALU_DEP_1) | instskip(SKIP_1) | instid1(TRANS32_DEP_1)
	v_rcp_f32_e32 v52, v51
	v_nop
	v_fma_f32 v53, -v51, v52, 1.0
	s_delay_alu instid0(VALU_DEP_1) | instskip(SKIP_1) | instid1(VALU_DEP_1)
	v_fmac_f32_e32 v52, v53, v52
	v_div_scale_f32 v53, vcc_lo, v2, v50, v2
	v_mul_f32_e32 v54, v53, v52
	s_delay_alu instid0(VALU_DEP_1) | instskip(NEXT) | instid1(VALU_DEP_1)
	v_fma_f32 v55, -v51, v54, v53
	v_fmac_f32_e32 v54, v55, v52
	s_delay_alu instid0(VALU_DEP_1) | instskip(NEXT) | instid1(VALU_DEP_1)
	v_fma_f32 v51, -v51, v54, v53
	v_div_fmas_f32 v51, v51, v52, v54
	s_delay_alu instid0(VALU_DEP_1)
	v_div_fixup_f32 v2, v51, v50, v2
.LBB55_5:
	s_or_b32 exec_lo, exec_lo, s10
	v_mul_f32_e32 v50, s13, v3
	v_and_b32_e32 v3, 0xffff0000, v46
	s_mov_b32 s10, exec_lo
	s_delay_alu instid0(VALU_DEP_2)
	v_cmpx_nlt_f32_e32 s14, v50
	s_cbranch_execz .LBB55_7
; %bb.6:
	v_mul_f32_e32 v46, 0x3fb8aa3b, v50
	v_cmp_ngt_f32_e32 vcc_lo, 0xc2ce8ed0, v50
	s_delay_alu instid0(VALU_DEP_2) | instskip(SKIP_1) | instid1(VALU_DEP_2)
	v_rndne_f32_e32 v51, v46
	v_fma_f32 v52, 0x3fb8aa3b, v50, -v46
	v_sub_f32_e32 v46, v46, v51
	s_delay_alu instid0(VALU_DEP_2) | instskip(SKIP_1) | instid1(VALU_DEP_2)
	v_fmamk_f32 v52, v50, 0x32a5705f, v52
	v_cvt_i32_f32_e32 v51, v51
	v_add_f32_e32 v46, v46, v52
	s_delay_alu instid0(VALU_DEP_1) | instskip(SKIP_1) | instid1(TRANS32_DEP_1)
	v_exp_f32_e32 v46, v46
	v_nop
	v_ldexp_f32 v46, v46, v51
	s_delay_alu instid0(VALU_DEP_1) | instskip(SKIP_1) | instid1(VALU_DEP_2)
	v_cndmask_b32_e32 v46, 0, v46, vcc_lo
	v_cmp_nlt_f32_e32 vcc_lo, 0x42b17218, v50
	v_cndmask_b32_e32 v46, 0x7f800000, v46, vcc_lo
	s_delay_alu instid0(VALU_DEP_1) | instskip(NEXT) | instid1(VALU_DEP_1)
	v_dual_mul_f32 v3, v46, v3 :: v_dual_add_f32 v46, 1.0, v46
	v_div_scale_f32 v50, null, v46, v46, v3
	s_delay_alu instid0(VALU_DEP_1) | instskip(SKIP_1) | instid1(TRANS32_DEP_1)
	v_rcp_f32_e32 v51, v50
	v_nop
	v_fma_f32 v52, -v50, v51, 1.0
	s_delay_alu instid0(VALU_DEP_1) | instskip(SKIP_1) | instid1(VALU_DEP_1)
	v_fmac_f32_e32 v51, v52, v51
	v_div_scale_f32 v52, vcc_lo, v3, v46, v3
	v_mul_f32_e32 v53, v52, v51
	s_delay_alu instid0(VALU_DEP_1) | instskip(NEXT) | instid1(VALU_DEP_1)
	v_fma_f32 v54, -v50, v53, v52
	v_fmac_f32_e32 v53, v54, v51
	s_delay_alu instid0(VALU_DEP_1) | instskip(NEXT) | instid1(VALU_DEP_1)
	v_fma_f32 v50, -v50, v53, v52
	v_div_fmas_f32 v50, v50, v51, v53
	s_delay_alu instid0(VALU_DEP_1)
	v_div_fixup_f32 v3, v50, v46, v3
.LBB55_7:
	s_or_b32 exec_lo, exec_lo, s10
	v_dual_mul_f32 v46, s13, v4 :: v_dual_lshlrev_b32 v4, 16, v47
	s_mov_b32 s10, exec_lo
	s_delay_alu instid0(VALU_DEP_1)
	v_cmpx_nlt_f32_e32 s14, v46
	s_cbranch_execz .LBB55_9
; %bb.8:
	v_mul_f32_e32 v50, 0x3fb8aa3b, v46
	v_cmp_ngt_f32_e32 vcc_lo, 0xc2ce8ed0, v46
	s_delay_alu instid0(VALU_DEP_2) | instskip(SKIP_1) | instid1(VALU_DEP_2)
	v_rndne_f32_e32 v51, v50
	v_fma_f32 v52, 0x3fb8aa3b, v46, -v50
	v_sub_f32_e32 v50, v50, v51
	s_delay_alu instid0(VALU_DEP_2) | instskip(SKIP_1) | instid1(VALU_DEP_2)
	v_fmamk_f32 v52, v46, 0x32a5705f, v52
	v_cvt_i32_f32_e32 v51, v51
	v_add_f32_e32 v50, v50, v52
	s_delay_alu instid0(VALU_DEP_1) | instskip(SKIP_1) | instid1(TRANS32_DEP_1)
	v_exp_f32_e32 v50, v50
	v_nop
	v_ldexp_f32 v50, v50, v51
	s_delay_alu instid0(VALU_DEP_1) | instskip(SKIP_1) | instid1(VALU_DEP_2)
	v_cndmask_b32_e32 v50, 0, v50, vcc_lo
	v_cmp_nlt_f32_e32 vcc_lo, 0x42b17218, v46
	v_cndmask_b32_e32 v46, 0x7f800000, v50, vcc_lo
	s_delay_alu instid0(VALU_DEP_1) | instskip(NEXT) | instid1(VALU_DEP_1)
	v_dual_mul_f32 v4, v46, v4 :: v_dual_add_f32 v46, 1.0, v46
	v_div_scale_f32 v50, null, v46, v46, v4
	s_delay_alu instid0(VALU_DEP_1) | instskip(SKIP_1) | instid1(TRANS32_DEP_1)
	v_rcp_f32_e32 v51, v50
	v_nop
	v_fma_f32 v52, -v50, v51, 1.0
	s_delay_alu instid0(VALU_DEP_1) | instskip(SKIP_1) | instid1(VALU_DEP_1)
	v_fmac_f32_e32 v51, v52, v51
	v_div_scale_f32 v52, vcc_lo, v4, v46, v4
	v_mul_f32_e32 v53, v52, v51
	s_delay_alu instid0(VALU_DEP_1) | instskip(NEXT) | instid1(VALU_DEP_1)
	v_fma_f32 v54, -v50, v53, v52
	v_fmac_f32_e32 v53, v54, v51
	s_delay_alu instid0(VALU_DEP_1) | instskip(NEXT) | instid1(VALU_DEP_1)
	v_fma_f32 v50, -v50, v53, v52
	v_div_fmas_f32 v50, v50, v51, v53
	s_delay_alu instid0(VALU_DEP_1)
	v_div_fixup_f32 v4, v50, v46, v4
.LBB55_9:
	s_or_b32 exec_lo, exec_lo, s10
	v_mul_f32_e32 v46, s13, v5
	v_and_b32_e32 v5, 0xffff0000, v47
	s_mov_b32 s10, exec_lo
	s_delay_alu instid0(VALU_DEP_2)
	v_cmpx_nlt_f32_e32 s14, v46
	s_cbranch_execz .LBB55_11
; %bb.10:
	v_mul_f32_e32 v47, 0x3fb8aa3b, v46
	v_cmp_ngt_f32_e32 vcc_lo, 0xc2ce8ed0, v46
	s_delay_alu instid0(VALU_DEP_2) | instskip(SKIP_1) | instid1(VALU_DEP_2)
	v_rndne_f32_e32 v50, v47
	v_fma_f32 v51, 0x3fb8aa3b, v46, -v47
	v_sub_f32_e32 v47, v47, v50
	s_delay_alu instid0(VALU_DEP_2) | instskip(SKIP_1) | instid1(VALU_DEP_2)
	v_fmamk_f32 v51, v46, 0x32a5705f, v51
	v_cvt_i32_f32_e32 v50, v50
	v_add_f32_e32 v47, v47, v51
	s_delay_alu instid0(VALU_DEP_1) | instskip(SKIP_1) | instid1(TRANS32_DEP_1)
	v_exp_f32_e32 v47, v47
	v_nop
	v_ldexp_f32 v47, v47, v50
	s_delay_alu instid0(VALU_DEP_1) | instskip(SKIP_1) | instid1(VALU_DEP_2)
	v_cndmask_b32_e32 v47, 0, v47, vcc_lo
	v_cmp_nlt_f32_e32 vcc_lo, 0x42b17218, v46
	v_cndmask_b32_e32 v46, 0x7f800000, v47, vcc_lo
	s_delay_alu instid0(VALU_DEP_1) | instskip(NEXT) | instid1(VALU_DEP_1)
	v_dual_mul_f32 v5, v46, v5 :: v_dual_add_f32 v46, 1.0, v46
	v_div_scale_f32 v47, null, v46, v46, v5
	s_delay_alu instid0(VALU_DEP_1) | instskip(SKIP_1) | instid1(TRANS32_DEP_1)
	v_rcp_f32_e32 v50, v47
	v_nop
	v_fma_f32 v51, -v47, v50, 1.0
	s_delay_alu instid0(VALU_DEP_1) | instskip(SKIP_1) | instid1(VALU_DEP_1)
	v_fmac_f32_e32 v50, v51, v50
	v_div_scale_f32 v51, vcc_lo, v5, v46, v5
	v_mul_f32_e32 v52, v51, v50
	s_delay_alu instid0(VALU_DEP_1) | instskip(NEXT) | instid1(VALU_DEP_1)
	v_fma_f32 v53, -v47, v52, v51
	v_fmac_f32_e32 v52, v53, v50
	s_delay_alu instid0(VALU_DEP_1) | instskip(NEXT) | instid1(VALU_DEP_1)
	v_fma_f32 v47, -v47, v52, v51
	v_div_fmas_f32 v47, v47, v50, v52
	s_delay_alu instid0(VALU_DEP_1)
	v_div_fixup_f32 v5, v47, v46, v5
.LBB55_11:
	s_or_b32 exec_lo, exec_lo, s10
	v_dual_mul_f32 v46, s13, v14 :: v_dual_lshlrev_b32 v14, 16, v48
	s_mov_b32 s10, exec_lo
	s_delay_alu instid0(VALU_DEP_1)
	v_cmpx_nlt_f32_e32 s14, v46
	s_cbranch_execz .LBB55_13
; %bb.12:
	v_mul_f32_e32 v47, 0x3fb8aa3b, v46
	v_cmp_ngt_f32_e32 vcc_lo, 0xc2ce8ed0, v46
	s_delay_alu instid0(VALU_DEP_2) | instskip(SKIP_1) | instid1(VALU_DEP_2)
	v_rndne_f32_e32 v50, v47
	v_fma_f32 v51, 0x3fb8aa3b, v46, -v47
	v_sub_f32_e32 v47, v47, v50
	s_delay_alu instid0(VALU_DEP_2) | instskip(SKIP_1) | instid1(VALU_DEP_2)
	v_fmamk_f32 v51, v46, 0x32a5705f, v51
	v_cvt_i32_f32_e32 v50, v50
	v_add_f32_e32 v47, v47, v51
	s_delay_alu instid0(VALU_DEP_1) | instskip(SKIP_1) | instid1(TRANS32_DEP_1)
	v_exp_f32_e32 v47, v47
	v_nop
	v_ldexp_f32 v47, v47, v50
	s_delay_alu instid0(VALU_DEP_1) | instskip(SKIP_1) | instid1(VALU_DEP_2)
	v_cndmask_b32_e32 v47, 0, v47, vcc_lo
	v_cmp_nlt_f32_e32 vcc_lo, 0x42b17218, v46
	v_cndmask_b32_e32 v46, 0x7f800000, v47, vcc_lo
	s_delay_alu instid0(VALU_DEP_1) | instskip(SKIP_1) | instid1(VALU_DEP_1)
	v_mul_f32_e32 v14, v46, v14
	v_add_f32_e32 v46, 1.0, v46
	v_div_scale_f32 v47, null, v46, v46, v14
	s_delay_alu instid0(VALU_DEP_1) | instskip(SKIP_1) | instid1(TRANS32_DEP_1)
	v_rcp_f32_e32 v50, v47
	v_nop
	v_fma_f32 v51, -v47, v50, 1.0
	s_delay_alu instid0(VALU_DEP_1) | instskip(SKIP_1) | instid1(VALU_DEP_1)
	v_fmac_f32_e32 v50, v51, v50
	v_div_scale_f32 v51, vcc_lo, v14, v46, v14
	v_mul_f32_e32 v52, v51, v50
	s_delay_alu instid0(VALU_DEP_1) | instskip(NEXT) | instid1(VALU_DEP_1)
	v_fma_f32 v53, -v47, v52, v51
	v_fmac_f32_e32 v52, v53, v50
	s_delay_alu instid0(VALU_DEP_1) | instskip(NEXT) | instid1(VALU_DEP_1)
	v_fma_f32 v47, -v47, v52, v51
	v_div_fmas_f32 v47, v47, v50, v52
	s_delay_alu instid0(VALU_DEP_1)
	v_div_fixup_f32 v14, v47, v46, v14
.LBB55_13:
	s_or_b32 exec_lo, exec_lo, s10
	v_mul_f32_e32 v46, s13, v15
	v_and_b32_e32 v15, 0xffff0000, v48
	s_mov_b32 s10, exec_lo
	s_delay_alu instid0(VALU_DEP_2)
	v_cmpx_nlt_f32_e32 s14, v46
	s_cbranch_execz .LBB55_15
; %bb.14:
	v_mul_f32_e32 v47, 0x3fb8aa3b, v46
	v_cmp_ngt_f32_e32 vcc_lo, 0xc2ce8ed0, v46
	s_delay_alu instid0(VALU_DEP_2) | instskip(SKIP_1) | instid1(VALU_DEP_1)
	v_rndne_f32_e32 v48, v47
	v_fma_f32 v50, 0x3fb8aa3b, v46, -v47
	v_dual_sub_f32 v47, v47, v48 :: v_dual_fmamk_f32 v50, v46, 0x32a5705f, v50
	v_cvt_i32_f32_e32 v48, v48
	s_delay_alu instid0(VALU_DEP_2) | instskip(NEXT) | instid1(VALU_DEP_1)
	v_add_f32_e32 v47, v47, v50
	v_exp_f32_e32 v47, v47
	v_nop
	s_delay_alu instid0(TRANS32_DEP_1) | instskip(NEXT) | instid1(VALU_DEP_1)
	v_ldexp_f32 v47, v47, v48
	v_cndmask_b32_e32 v47, 0, v47, vcc_lo
	v_cmp_nlt_f32_e32 vcc_lo, 0x42b17218, v46
	s_delay_alu instid0(VALU_DEP_2) | instskip(NEXT) | instid1(VALU_DEP_1)
	v_cndmask_b32_e32 v46, 0x7f800000, v47, vcc_lo
	v_dual_mul_f32 v15, v46, v15 :: v_dual_add_f32 v46, 1.0, v46
	s_delay_alu instid0(VALU_DEP_1) | instskip(NEXT) | instid1(VALU_DEP_1)
	v_div_scale_f32 v47, null, v46, v46, v15
	v_rcp_f32_e32 v48, v47
	v_nop
	s_delay_alu instid0(TRANS32_DEP_1) | instskip(NEXT) | instid1(VALU_DEP_1)
	v_fma_f32 v50, -v47, v48, 1.0
	v_fmac_f32_e32 v48, v50, v48
	v_div_scale_f32 v50, vcc_lo, v15, v46, v15
	s_delay_alu instid0(VALU_DEP_1) | instskip(NEXT) | instid1(VALU_DEP_1)
	v_mul_f32_e32 v51, v50, v48
	v_fma_f32 v52, -v47, v51, v50
	s_delay_alu instid0(VALU_DEP_1) | instskip(NEXT) | instid1(VALU_DEP_1)
	v_fmac_f32_e32 v51, v52, v48
	v_fma_f32 v47, -v47, v51, v50
	s_delay_alu instid0(VALU_DEP_1) | instskip(NEXT) | instid1(VALU_DEP_1)
	v_div_fmas_f32 v47, v47, v48, v51
	v_div_fixup_f32 v15, v47, v46, v15
.LBB55_15:
	s_or_b32 exec_lo, exec_lo, s10
	v_dual_mul_f32 v46, s13, v16 :: v_dual_lshlrev_b32 v16, 16, v49
	s_mov_b32 s10, exec_lo
	s_delay_alu instid0(VALU_DEP_1)
	v_cmpx_nlt_f32_e32 s14, v46
	s_cbranch_execz .LBB55_17
; %bb.16:
	v_mul_f32_e32 v47, 0x3fb8aa3b, v46
	v_cmp_ngt_f32_e32 vcc_lo, 0xc2ce8ed0, v46
	s_delay_alu instid0(VALU_DEP_2) | instskip(SKIP_1) | instid1(VALU_DEP_1)
	v_rndne_f32_e32 v48, v47
	v_fma_f32 v50, 0x3fb8aa3b, v46, -v47
	v_dual_sub_f32 v47, v47, v48 :: v_dual_fmamk_f32 v50, v46, 0x32a5705f, v50
	v_cvt_i32_f32_e32 v48, v48
	s_delay_alu instid0(VALU_DEP_2) | instskip(NEXT) | instid1(VALU_DEP_1)
	v_add_f32_e32 v47, v47, v50
	v_exp_f32_e32 v47, v47
	v_nop
	s_delay_alu instid0(TRANS32_DEP_1) | instskip(NEXT) | instid1(VALU_DEP_1)
	v_ldexp_f32 v47, v47, v48
	v_cndmask_b32_e32 v47, 0, v47, vcc_lo
	v_cmp_nlt_f32_e32 vcc_lo, 0x42b17218, v46
	s_delay_alu instid0(VALU_DEP_2) | instskip(NEXT) | instid1(VALU_DEP_1)
	v_cndmask_b32_e32 v46, 0x7f800000, v47, vcc_lo
	v_dual_mul_f32 v16, v46, v16 :: v_dual_add_f32 v46, 1.0, v46
	s_delay_alu instid0(VALU_DEP_1) | instskip(NEXT) | instid1(VALU_DEP_1)
	v_div_scale_f32 v47, null, v46, v46, v16
	v_rcp_f32_e32 v48, v47
	v_nop
	s_delay_alu instid0(TRANS32_DEP_1) | instskip(NEXT) | instid1(VALU_DEP_1)
	v_fma_f32 v50, -v47, v48, 1.0
	v_fmac_f32_e32 v48, v50, v48
	v_div_scale_f32 v50, vcc_lo, v16, v46, v16
	s_delay_alu instid0(VALU_DEP_1) | instskip(NEXT) | instid1(VALU_DEP_1)
	v_mul_f32_e32 v51, v50, v48
	v_fma_f32 v52, -v47, v51, v50
	s_delay_alu instid0(VALU_DEP_1) | instskip(NEXT) | instid1(VALU_DEP_1)
	v_fmac_f32_e32 v51, v52, v48
	v_fma_f32 v47, -v47, v51, v50
	s_delay_alu instid0(VALU_DEP_1) | instskip(NEXT) | instid1(VALU_DEP_1)
	v_div_fmas_f32 v47, v47, v48, v51
	v_div_fixup_f32 v16, v47, v46, v16
.LBB55_17:
	s_or_b32 exec_lo, exec_lo, s10
	v_mul_f32_e32 v46, s13, v17
	v_and_b32_e32 v17, 0xffff0000, v49
	s_mov_b32 s10, exec_lo
	s_delay_alu instid0(VALU_DEP_2)
	v_cmpx_nlt_f32_e32 s14, v46
	s_cbranch_execz .LBB55_19
; %bb.18:
	v_mul_f32_e32 v47, 0x3fb8aa3b, v46
	v_cmp_ngt_f32_e32 vcc_lo, 0xc2ce8ed0, v46
	s_delay_alu instid0(VALU_DEP_2) | instskip(SKIP_1) | instid1(VALU_DEP_2)
	v_rndne_f32_e32 v48, v47
	v_fma_f32 v49, 0x3fb8aa3b, v46, -v47
	v_sub_f32_e32 v47, v47, v48
	s_delay_alu instid0(VALU_DEP_2) | instskip(SKIP_1) | instid1(VALU_DEP_2)
	v_fmamk_f32 v49, v46, 0x32a5705f, v49
	v_cvt_i32_f32_e32 v48, v48
	v_add_f32_e32 v47, v47, v49
	s_delay_alu instid0(VALU_DEP_1) | instskip(SKIP_1) | instid1(TRANS32_DEP_1)
	v_exp_f32_e32 v47, v47
	v_nop
	v_ldexp_f32 v47, v47, v48
	s_delay_alu instid0(VALU_DEP_1) | instskip(SKIP_1) | instid1(VALU_DEP_2)
	v_cndmask_b32_e32 v47, 0, v47, vcc_lo
	v_cmp_nlt_f32_e32 vcc_lo, 0x42b17218, v46
	v_cndmask_b32_e32 v46, 0x7f800000, v47, vcc_lo
	s_delay_alu instid0(VALU_DEP_1) | instskip(NEXT) | instid1(VALU_DEP_1)
	v_dual_mul_f32 v17, v46, v17 :: v_dual_add_f32 v46, 1.0, v46
	v_div_scale_f32 v47, null, v46, v46, v17
	s_delay_alu instid0(VALU_DEP_1) | instskip(SKIP_1) | instid1(TRANS32_DEP_1)
	v_rcp_f32_e32 v48, v47
	v_nop
	v_fma_f32 v49, -v47, v48, 1.0
	s_delay_alu instid0(VALU_DEP_1) | instskip(SKIP_1) | instid1(VALU_DEP_1)
	v_fmac_f32_e32 v48, v49, v48
	v_div_scale_f32 v49, vcc_lo, v17, v46, v17
	v_mul_f32_e32 v50, v49, v48
	s_delay_alu instid0(VALU_DEP_1) | instskip(NEXT) | instid1(VALU_DEP_1)
	v_fma_f32 v51, -v47, v50, v49
	v_fmac_f32_e32 v50, v51, v48
	s_delay_alu instid0(VALU_DEP_1) | instskip(NEXT) | instid1(VALU_DEP_1)
	v_fma_f32 v47, -v47, v50, v49
	v_div_fmas_f32 v47, v47, v48, v50
	s_delay_alu instid0(VALU_DEP_1)
	v_div_fixup_f32 v17, v47, v46, v17
.LBB55_19:
	s_or_b32 exec_lo, exec_lo, s10
	s_wait_loadcnt 0x4
	v_mul_f32_e32 v46, s13, v22
	v_lshlrev_b32_e32 v22, 16, v34
	s_mov_b32 s10, exec_lo
	s_delay_alu instid0(VALU_DEP_2)
	v_cmpx_nlt_f32_e32 s14, v46
	s_cbranch_execz .LBB55_21
; %bb.20:
	v_mul_f32_e32 v47, 0x3fb8aa3b, v46
	v_cmp_ngt_f32_e32 vcc_lo, 0xc2ce8ed0, v46
	s_delay_alu instid0(VALU_DEP_2) | instskip(SKIP_1) | instid1(VALU_DEP_2)
	v_rndne_f32_e32 v48, v47
	v_fma_f32 v49, 0x3fb8aa3b, v46, -v47
	v_sub_f32_e32 v47, v47, v48
	s_delay_alu instid0(VALU_DEP_2) | instskip(SKIP_1) | instid1(VALU_DEP_2)
	v_fmamk_f32 v49, v46, 0x32a5705f, v49
	v_cvt_i32_f32_e32 v48, v48
	v_add_f32_e32 v47, v47, v49
	s_delay_alu instid0(VALU_DEP_1) | instskip(SKIP_1) | instid1(TRANS32_DEP_1)
	v_exp_f32_e32 v47, v47
	v_nop
	v_ldexp_f32 v47, v47, v48
	s_delay_alu instid0(VALU_DEP_1) | instskip(SKIP_1) | instid1(VALU_DEP_2)
	v_cndmask_b32_e32 v47, 0, v47, vcc_lo
	v_cmp_nlt_f32_e32 vcc_lo, 0x42b17218, v46
	v_cndmask_b32_e32 v46, 0x7f800000, v47, vcc_lo
	s_delay_alu instid0(VALU_DEP_1) | instskip(SKIP_1) | instid1(VALU_DEP_1)
	v_mul_f32_e32 v22, v46, v22
	v_add_f32_e32 v46, 1.0, v46
	v_div_scale_f32 v47, null, v46, v46, v22
	s_delay_alu instid0(VALU_DEP_1) | instskip(SKIP_1) | instid1(TRANS32_DEP_1)
	v_rcp_f32_e32 v48, v47
	v_nop
	v_fma_f32 v49, -v47, v48, 1.0
	s_delay_alu instid0(VALU_DEP_1) | instskip(SKIP_1) | instid1(VALU_DEP_1)
	v_fmac_f32_e32 v48, v49, v48
	v_div_scale_f32 v49, vcc_lo, v22, v46, v22
	v_mul_f32_e32 v50, v49, v48
	s_delay_alu instid0(VALU_DEP_1) | instskip(NEXT) | instid1(VALU_DEP_1)
	v_fma_f32 v51, -v47, v50, v49
	v_fmac_f32_e32 v50, v51, v48
	s_delay_alu instid0(VALU_DEP_1) | instskip(NEXT) | instid1(VALU_DEP_1)
	v_fma_f32 v47, -v47, v50, v49
	v_div_fmas_f32 v47, v47, v48, v50
	s_delay_alu instid0(VALU_DEP_1)
	v_div_fixup_f32 v22, v47, v46, v22
.LBB55_21:
	s_or_b32 exec_lo, exec_lo, s10
	v_mul_f32_e32 v46, s13, v23
	v_and_b32_e32 v23, 0xffff0000, v34
	s_mov_b32 s10, exec_lo
	s_delay_alu instid0(VALU_DEP_2)
	v_cmpx_nlt_f32_e32 s14, v46
	s_cbranch_execz .LBB55_23
; %bb.22:
	v_mul_f32_e32 v34, 0x3fb8aa3b, v46
	v_cmp_ngt_f32_e32 vcc_lo, 0xc2ce8ed0, v46
	s_delay_alu instid0(VALU_DEP_2) | instskip(SKIP_1) | instid1(VALU_DEP_2)
	v_rndne_f32_e32 v47, v34
	v_fma_f32 v48, 0x3fb8aa3b, v46, -v34
	v_sub_f32_e32 v34, v34, v47
	s_delay_alu instid0(VALU_DEP_2) | instskip(SKIP_1) | instid1(VALU_DEP_2)
	v_fmamk_f32 v48, v46, 0x32a5705f, v48
	v_cvt_i32_f32_e32 v47, v47
	v_add_f32_e32 v34, v34, v48
	s_delay_alu instid0(VALU_DEP_1) | instskip(SKIP_1) | instid1(TRANS32_DEP_1)
	v_exp_f32_e32 v34, v34
	v_nop
	v_ldexp_f32 v34, v34, v47
	s_delay_alu instid0(VALU_DEP_1) | instskip(SKIP_1) | instid1(VALU_DEP_2)
	v_cndmask_b32_e32 v34, 0, v34, vcc_lo
	v_cmp_nlt_f32_e32 vcc_lo, 0x42b17218, v46
	v_cndmask_b32_e32 v34, 0x7f800000, v34, vcc_lo
	s_delay_alu instid0(VALU_DEP_1) | instskip(NEXT) | instid1(VALU_DEP_1)
	v_dual_mul_f32 v23, v34, v23 :: v_dual_add_f32 v34, 1.0, v34
	v_div_scale_f32 v46, null, v34, v34, v23
	s_delay_alu instid0(VALU_DEP_1) | instskip(SKIP_1) | instid1(TRANS32_DEP_1)
	v_rcp_f32_e32 v47, v46
	v_nop
	v_fma_f32 v48, -v46, v47, 1.0
	s_delay_alu instid0(VALU_DEP_1) | instskip(SKIP_1) | instid1(VALU_DEP_1)
	v_fmac_f32_e32 v47, v48, v47
	v_div_scale_f32 v48, vcc_lo, v23, v34, v23
	v_mul_f32_e32 v49, v48, v47
	s_delay_alu instid0(VALU_DEP_1) | instskip(NEXT) | instid1(VALU_DEP_1)
	v_fma_f32 v50, -v46, v49, v48
	v_fmac_f32_e32 v49, v50, v47
	s_delay_alu instid0(VALU_DEP_1) | instskip(NEXT) | instid1(VALU_DEP_1)
	v_fma_f32 v46, -v46, v49, v48
	v_div_fmas_f32 v46, v46, v47, v49
	s_delay_alu instid0(VALU_DEP_1)
	v_div_fixup_f32 v23, v46, v34, v23
.LBB55_23:
	s_or_b32 exec_lo, exec_lo, s10
	v_dual_mul_f32 v34, s13, v24 :: v_dual_lshlrev_b32 v24, 16, v35
	s_mov_b32 s10, exec_lo
	s_delay_alu instid0(VALU_DEP_1)
	v_cmpx_nlt_f32_e32 s14, v34
	s_cbranch_execz .LBB55_25
; %bb.24:
	v_mul_f32_e32 v46, 0x3fb8aa3b, v34
	v_cmp_ngt_f32_e32 vcc_lo, 0xc2ce8ed0, v34
	s_delay_alu instid0(VALU_DEP_2) | instskip(SKIP_1) | instid1(VALU_DEP_2)
	v_rndne_f32_e32 v47, v46
	v_fma_f32 v48, 0x3fb8aa3b, v34, -v46
	v_sub_f32_e32 v46, v46, v47
	s_delay_alu instid0(VALU_DEP_2) | instskip(SKIP_1) | instid1(VALU_DEP_2)
	v_fmamk_f32 v48, v34, 0x32a5705f, v48
	v_cvt_i32_f32_e32 v47, v47
	v_add_f32_e32 v46, v46, v48
	s_delay_alu instid0(VALU_DEP_1) | instskip(SKIP_1) | instid1(TRANS32_DEP_1)
	v_exp_f32_e32 v46, v46
	v_nop
	v_ldexp_f32 v46, v46, v47
	s_delay_alu instid0(VALU_DEP_1) | instskip(SKIP_1) | instid1(VALU_DEP_2)
	v_cndmask_b32_e32 v46, 0, v46, vcc_lo
	v_cmp_nlt_f32_e32 vcc_lo, 0x42b17218, v34
	v_cndmask_b32_e32 v34, 0x7f800000, v46, vcc_lo
	s_delay_alu instid0(VALU_DEP_1) | instskip(NEXT) | instid1(VALU_DEP_1)
	v_dual_mul_f32 v24, v34, v24 :: v_dual_add_f32 v34, 1.0, v34
	v_div_scale_f32 v46, null, v34, v34, v24
	s_delay_alu instid0(VALU_DEP_1) | instskip(SKIP_1) | instid1(TRANS32_DEP_1)
	v_rcp_f32_e32 v47, v46
	v_nop
	v_fma_f32 v48, -v46, v47, 1.0
	s_delay_alu instid0(VALU_DEP_1) | instskip(SKIP_1) | instid1(VALU_DEP_1)
	v_fmac_f32_e32 v47, v48, v47
	v_div_scale_f32 v48, vcc_lo, v24, v34, v24
	v_mul_f32_e32 v49, v48, v47
	s_delay_alu instid0(VALU_DEP_1) | instskip(NEXT) | instid1(VALU_DEP_1)
	v_fma_f32 v50, -v46, v49, v48
	v_fmac_f32_e32 v49, v50, v47
	s_delay_alu instid0(VALU_DEP_1) | instskip(NEXT) | instid1(VALU_DEP_1)
	v_fma_f32 v46, -v46, v49, v48
	v_div_fmas_f32 v46, v46, v47, v49
	s_delay_alu instid0(VALU_DEP_1)
	v_div_fixup_f32 v24, v46, v34, v24
.LBB55_25:
	s_or_b32 exec_lo, exec_lo, s10
	v_mul_f32_e32 v34, s13, v25
	v_and_b32_e32 v25, 0xffff0000, v35
	s_mov_b32 s10, exec_lo
	s_delay_alu instid0(VALU_DEP_2)
	v_cmpx_nlt_f32_e32 s14, v34
	s_cbranch_execz .LBB55_27
; %bb.26:
	v_mul_f32_e32 v35, 0x3fb8aa3b, v34
	v_cmp_ngt_f32_e32 vcc_lo, 0xc2ce8ed0, v34
	s_delay_alu instid0(VALU_DEP_2) | instskip(SKIP_1) | instid1(VALU_DEP_2)
	v_rndne_f32_e32 v46, v35
	v_fma_f32 v47, 0x3fb8aa3b, v34, -v35
	v_sub_f32_e32 v35, v35, v46
	s_delay_alu instid0(VALU_DEP_2) | instskip(SKIP_1) | instid1(VALU_DEP_2)
	v_fmamk_f32 v47, v34, 0x32a5705f, v47
	v_cvt_i32_f32_e32 v46, v46
	v_add_f32_e32 v35, v35, v47
	s_delay_alu instid0(VALU_DEP_1) | instskip(SKIP_1) | instid1(TRANS32_DEP_1)
	v_exp_f32_e32 v35, v35
	v_nop
	v_ldexp_f32 v35, v35, v46
	s_delay_alu instid0(VALU_DEP_1) | instskip(SKIP_1) | instid1(VALU_DEP_2)
	v_cndmask_b32_e32 v35, 0, v35, vcc_lo
	v_cmp_nlt_f32_e32 vcc_lo, 0x42b17218, v34
	v_cndmask_b32_e32 v34, 0x7f800000, v35, vcc_lo
	s_delay_alu instid0(VALU_DEP_1) | instskip(NEXT) | instid1(VALU_DEP_1)
	v_dual_mul_f32 v25, v34, v25 :: v_dual_add_f32 v34, 1.0, v34
	v_div_scale_f32 v35, null, v34, v34, v25
	s_delay_alu instid0(VALU_DEP_1) | instskip(SKIP_1) | instid1(TRANS32_DEP_1)
	v_rcp_f32_e32 v46, v35
	v_nop
	v_fma_f32 v47, -v35, v46, 1.0
	s_delay_alu instid0(VALU_DEP_1) | instskip(SKIP_1) | instid1(VALU_DEP_1)
	v_fmac_f32_e32 v46, v47, v46
	v_div_scale_f32 v47, vcc_lo, v25, v34, v25
	v_mul_f32_e32 v48, v47, v46
	s_delay_alu instid0(VALU_DEP_1) | instskip(NEXT) | instid1(VALU_DEP_1)
	v_fma_f32 v49, -v35, v48, v47
	v_fmac_f32_e32 v48, v49, v46
	s_delay_alu instid0(VALU_DEP_1) | instskip(NEXT) | instid1(VALU_DEP_1)
	v_fma_f32 v35, -v35, v48, v47
	v_div_fmas_f32 v35, v35, v46, v48
	s_delay_alu instid0(VALU_DEP_1)
	v_div_fixup_f32 v25, v35, v34, v25
.LBB55_27:
	s_or_b32 exec_lo, exec_lo, s10
	v_dual_mul_f32 v35, s13, v42 :: v_dual_lshlrev_b32 v34, 16, v36
	s_mov_b32 s10, exec_lo
	s_delay_alu instid0(VALU_DEP_1)
	v_cmpx_nlt_f32_e32 s14, v35
	s_cbranch_execz .LBB55_29
; %bb.28:
	v_mul_f32_e32 v42, 0x3fb8aa3b, v35
	v_cmp_ngt_f32_e32 vcc_lo, 0xc2ce8ed0, v35
	s_delay_alu instid0(VALU_DEP_2) | instskip(SKIP_1) | instid1(VALU_DEP_1)
	v_rndne_f32_e32 v46, v42
	v_fma_f32 v47, 0x3fb8aa3b, v35, -v42
	v_dual_sub_f32 v42, v42, v46 :: v_dual_fmamk_f32 v47, v35, 0x32a5705f, v47
	v_cvt_i32_f32_e32 v46, v46
	s_delay_alu instid0(VALU_DEP_2) | instskip(NEXT) | instid1(VALU_DEP_1)
	v_add_f32_e32 v42, v42, v47
	v_exp_f32_e32 v42, v42
	v_nop
	s_delay_alu instid0(TRANS32_DEP_1) | instskip(NEXT) | instid1(VALU_DEP_1)
	v_ldexp_f32 v42, v42, v46
	v_cndmask_b32_e32 v42, 0, v42, vcc_lo
	v_cmp_nlt_f32_e32 vcc_lo, 0x42b17218, v35
	s_delay_alu instid0(VALU_DEP_2) | instskip(NEXT) | instid1(VALU_DEP_1)
	v_cndmask_b32_e32 v35, 0x7f800000, v42, vcc_lo
	v_dual_mul_f32 v34, v35, v34 :: v_dual_add_f32 v35, 1.0, v35
	s_delay_alu instid0(VALU_DEP_1) | instskip(NEXT) | instid1(VALU_DEP_1)
	v_div_scale_f32 v42, null, v35, v35, v34
	v_rcp_f32_e32 v46, v42
	v_nop
	s_delay_alu instid0(TRANS32_DEP_1) | instskip(NEXT) | instid1(VALU_DEP_1)
	v_fma_f32 v47, -v42, v46, 1.0
	v_fmac_f32_e32 v46, v47, v46
	v_div_scale_f32 v47, vcc_lo, v34, v35, v34
	s_delay_alu instid0(VALU_DEP_1) | instskip(NEXT) | instid1(VALU_DEP_1)
	v_mul_f32_e32 v48, v47, v46
	v_fma_f32 v49, -v42, v48, v47
	s_delay_alu instid0(VALU_DEP_1) | instskip(NEXT) | instid1(VALU_DEP_1)
	v_fmac_f32_e32 v48, v49, v46
	v_fma_f32 v42, -v42, v48, v47
	s_delay_alu instid0(VALU_DEP_1) | instskip(NEXT) | instid1(VALU_DEP_1)
	v_div_fmas_f32 v42, v42, v46, v48
	v_div_fixup_f32 v34, v42, v35, v34
.LBB55_29:
	s_or_b32 exec_lo, exec_lo, s10
	v_mul_f32_e32 v42, s13, v43
	v_and_b32_e32 v35, 0xffff0000, v36
	s_mov_b32 s10, exec_lo
	s_delay_alu instid0(VALU_DEP_2)
	v_cmpx_nlt_f32_e32 s14, v42
	s_cbranch_execz .LBB55_31
; %bb.30:
	v_mul_f32_e32 v36, 0x3fb8aa3b, v42
	v_cmp_ngt_f32_e32 vcc_lo, 0xc2ce8ed0, v42
	s_delay_alu instid0(VALU_DEP_2) | instskip(SKIP_1) | instid1(VALU_DEP_2)
	v_rndne_f32_e32 v43, v36
	v_fma_f32 v46, 0x3fb8aa3b, v42, -v36
	v_sub_f32_e32 v36, v36, v43
	s_delay_alu instid0(VALU_DEP_2) | instskip(SKIP_1) | instid1(VALU_DEP_2)
	v_fmamk_f32 v46, v42, 0x32a5705f, v46
	v_cvt_i32_f32_e32 v43, v43
	v_add_f32_e32 v36, v36, v46
	s_delay_alu instid0(VALU_DEP_1) | instskip(SKIP_1) | instid1(TRANS32_DEP_1)
	v_exp_f32_e32 v36, v36
	v_nop
	v_ldexp_f32 v36, v36, v43
	s_delay_alu instid0(VALU_DEP_1) | instskip(SKIP_1) | instid1(VALU_DEP_2)
	v_cndmask_b32_e32 v36, 0, v36, vcc_lo
	v_cmp_nlt_f32_e32 vcc_lo, 0x42b17218, v42
	v_cndmask_b32_e32 v36, 0x7f800000, v36, vcc_lo
	s_delay_alu instid0(VALU_DEP_1) | instskip(NEXT) | instid1(VALU_DEP_1)
	v_dual_mul_f32 v35, v36, v35 :: v_dual_add_f32 v36, 1.0, v36
	v_div_scale_f32 v42, null, v36, v36, v35
	s_delay_alu instid0(VALU_DEP_1) | instskip(SKIP_1) | instid1(TRANS32_DEP_1)
	v_rcp_f32_e32 v43, v42
	v_nop
	v_fma_f32 v46, -v42, v43, 1.0
	s_delay_alu instid0(VALU_DEP_1) | instskip(SKIP_1) | instid1(VALU_DEP_1)
	v_fmac_f32_e32 v43, v46, v43
	v_div_scale_f32 v46, vcc_lo, v35, v36, v35
	v_mul_f32_e32 v47, v46, v43
	s_delay_alu instid0(VALU_DEP_1) | instskip(NEXT) | instid1(VALU_DEP_1)
	v_fma_f32 v48, -v42, v47, v46
	v_fmac_f32_e32 v47, v48, v43
	s_delay_alu instid0(VALU_DEP_1) | instskip(NEXT) | instid1(VALU_DEP_1)
	v_fma_f32 v42, -v42, v47, v46
	v_div_fmas_f32 v42, v42, v43, v47
	s_delay_alu instid0(VALU_DEP_1)
	v_div_fixup_f32 v35, v42, v36, v35
.LBB55_31:
	s_or_b32 exec_lo, exec_lo, s10
	v_dual_mul_f32 v42, s13, v44 :: v_dual_lshlrev_b32 v36, 16, v37
	s_mov_b32 s10, exec_lo
	s_delay_alu instid0(VALU_DEP_1)
	v_cmpx_nlt_f32_e32 s14, v42
	s_cbranch_execz .LBB55_33
; %bb.32:
	v_mul_f32_e32 v43, 0x3fb8aa3b, v42
	v_cmp_ngt_f32_e32 vcc_lo, 0xc2ce8ed0, v42
	s_delay_alu instid0(VALU_DEP_2) | instskip(SKIP_1) | instid1(VALU_DEP_1)
	v_rndne_f32_e32 v44, v43
	v_fma_f32 v46, 0x3fb8aa3b, v42, -v43
	v_dual_sub_f32 v43, v43, v44 :: v_dual_fmamk_f32 v46, v42, 0x32a5705f, v46
	v_cvt_i32_f32_e32 v44, v44
	s_delay_alu instid0(VALU_DEP_2) | instskip(NEXT) | instid1(VALU_DEP_1)
	v_add_f32_e32 v43, v43, v46
	v_exp_f32_e32 v43, v43
	v_nop
	s_delay_alu instid0(TRANS32_DEP_1) | instskip(NEXT) | instid1(VALU_DEP_1)
	v_ldexp_f32 v43, v43, v44
	v_cndmask_b32_e32 v43, 0, v43, vcc_lo
	v_cmp_nlt_f32_e32 vcc_lo, 0x42b17218, v42
	s_delay_alu instid0(VALU_DEP_2) | instskip(NEXT) | instid1(VALU_DEP_1)
	v_cndmask_b32_e32 v42, 0x7f800000, v43, vcc_lo
	v_dual_mul_f32 v36, v42, v36 :: v_dual_add_f32 v42, 1.0, v42
	s_delay_alu instid0(VALU_DEP_1) | instskip(NEXT) | instid1(VALU_DEP_1)
	v_div_scale_f32 v43, null, v42, v42, v36
	v_rcp_f32_e32 v44, v43
	v_nop
	s_delay_alu instid0(TRANS32_DEP_1) | instskip(NEXT) | instid1(VALU_DEP_1)
	v_fma_f32 v46, -v43, v44, 1.0
	v_fmac_f32_e32 v44, v46, v44
	v_div_scale_f32 v46, vcc_lo, v36, v42, v36
	s_delay_alu instid0(VALU_DEP_1) | instskip(NEXT) | instid1(VALU_DEP_1)
	v_mul_f32_e32 v47, v46, v44
	v_fma_f32 v48, -v43, v47, v46
	s_delay_alu instid0(VALU_DEP_1) | instskip(NEXT) | instid1(VALU_DEP_1)
	v_fmac_f32_e32 v47, v48, v44
	v_fma_f32 v43, -v43, v47, v46
	s_delay_alu instid0(VALU_DEP_1) | instskip(NEXT) | instid1(VALU_DEP_1)
	v_div_fmas_f32 v43, v43, v44, v47
	v_div_fixup_f32 v36, v43, v42, v36
.LBB55_33:
	s_or_b32 exec_lo, exec_lo, s10
	v_mul_f32_e32 v42, s13, v45
	v_and_b32_e32 v37, 0xffff0000, v37
	s_mov_b32 s10, exec_lo
	s_delay_alu instid0(VALU_DEP_2)
	v_cmpx_nlt_f32_e32 s14, v42
	s_cbranch_execz .LBB55_35
; %bb.34:
	v_mul_f32_e32 v43, 0x3fb8aa3b, v42
	v_cmp_ngt_f32_e32 vcc_lo, 0xc2ce8ed0, v42
	s_delay_alu instid0(VALU_DEP_2) | instskip(SKIP_1) | instid1(VALU_DEP_2)
	v_rndne_f32_e32 v44, v43
	v_fma_f32 v45, 0x3fb8aa3b, v42, -v43
	v_sub_f32_e32 v43, v43, v44
	s_delay_alu instid0(VALU_DEP_2) | instskip(SKIP_1) | instid1(VALU_DEP_2)
	v_fmamk_f32 v45, v42, 0x32a5705f, v45
	v_cvt_i32_f32_e32 v44, v44
	v_add_f32_e32 v43, v43, v45
	s_delay_alu instid0(VALU_DEP_1) | instskip(SKIP_1) | instid1(TRANS32_DEP_1)
	v_exp_f32_e32 v43, v43
	v_nop
	v_ldexp_f32 v43, v43, v44
	s_delay_alu instid0(VALU_DEP_1) | instskip(SKIP_1) | instid1(VALU_DEP_2)
	v_cndmask_b32_e32 v43, 0, v43, vcc_lo
	v_cmp_nlt_f32_e32 vcc_lo, 0x42b17218, v42
	v_cndmask_b32_e32 v42, 0x7f800000, v43, vcc_lo
	s_delay_alu instid0(VALU_DEP_1) | instskip(NEXT) | instid1(VALU_DEP_1)
	v_dual_mul_f32 v37, v42, v37 :: v_dual_add_f32 v42, 1.0, v42
	v_div_scale_f32 v43, null, v42, v42, v37
	s_delay_alu instid0(VALU_DEP_1) | instskip(SKIP_1) | instid1(TRANS32_DEP_1)
	v_rcp_f32_e32 v44, v43
	v_nop
	v_fma_f32 v45, -v43, v44, 1.0
	s_delay_alu instid0(VALU_DEP_1) | instskip(SKIP_1) | instid1(VALU_DEP_1)
	v_fmac_f32_e32 v44, v45, v44
	v_div_scale_f32 v45, vcc_lo, v37, v42, v37
	v_mul_f32_e32 v46, v45, v44
	s_delay_alu instid0(VALU_DEP_1) | instskip(NEXT) | instid1(VALU_DEP_1)
	v_fma_f32 v47, -v43, v46, v45
	v_fmac_f32_e32 v46, v47, v44
	s_delay_alu instid0(VALU_DEP_1) | instskip(NEXT) | instid1(VALU_DEP_1)
	v_fma_f32 v43, -v43, v46, v45
	v_div_fmas_f32 v43, v43, v44, v46
	s_delay_alu instid0(VALU_DEP_1)
	v_div_fixup_f32 v37, v43, v42, v37
.LBB55_35:
	s_or_b32 exec_lo, exec_lo, s10
	s_wait_loadcnt 0x2
	v_mul_f32_e32 v42, s13, v38
	v_lshlrev_b32_e32 v38, 16, v26
	s_mov_b32 s10, exec_lo
	s_delay_alu instid0(VALU_DEP_2)
	v_cmpx_nlt_f32_e32 s14, v42
	s_cbranch_execz .LBB55_37
; %bb.36:
	v_mul_f32_e32 v43, 0x3fb8aa3b, v42
	v_cmp_ngt_f32_e32 vcc_lo, 0xc2ce8ed0, v42
	s_delay_alu instid0(VALU_DEP_2) | instskip(SKIP_1) | instid1(VALU_DEP_2)
	v_rndne_f32_e32 v44, v43
	v_fma_f32 v45, 0x3fb8aa3b, v42, -v43
	v_sub_f32_e32 v43, v43, v44
	s_delay_alu instid0(VALU_DEP_2) | instskip(SKIP_1) | instid1(VALU_DEP_2)
	v_fmamk_f32 v45, v42, 0x32a5705f, v45
	v_cvt_i32_f32_e32 v44, v44
	v_add_f32_e32 v43, v43, v45
	s_delay_alu instid0(VALU_DEP_1) | instskip(SKIP_1) | instid1(TRANS32_DEP_1)
	v_exp_f32_e32 v43, v43
	v_nop
	v_ldexp_f32 v43, v43, v44
	s_delay_alu instid0(VALU_DEP_1) | instskip(SKIP_1) | instid1(VALU_DEP_2)
	v_cndmask_b32_e32 v43, 0, v43, vcc_lo
	v_cmp_nlt_f32_e32 vcc_lo, 0x42b17218, v42
	v_cndmask_b32_e32 v42, 0x7f800000, v43, vcc_lo
	s_delay_alu instid0(VALU_DEP_1) | instskip(SKIP_1) | instid1(VALU_DEP_1)
	v_mul_f32_e32 v38, v42, v38
	v_add_f32_e32 v42, 1.0, v42
	v_div_scale_f32 v43, null, v42, v42, v38
	s_delay_alu instid0(VALU_DEP_1) | instskip(SKIP_1) | instid1(TRANS32_DEP_1)
	v_rcp_f32_e32 v44, v43
	v_nop
	v_fma_f32 v45, -v43, v44, 1.0
	s_delay_alu instid0(VALU_DEP_1) | instskip(SKIP_1) | instid1(VALU_DEP_1)
	v_fmac_f32_e32 v44, v45, v44
	v_div_scale_f32 v45, vcc_lo, v38, v42, v38
	v_mul_f32_e32 v46, v45, v44
	s_delay_alu instid0(VALU_DEP_1) | instskip(NEXT) | instid1(VALU_DEP_1)
	v_fma_f32 v47, -v43, v46, v45
	v_fmac_f32_e32 v46, v47, v44
	s_delay_alu instid0(VALU_DEP_1) | instskip(NEXT) | instid1(VALU_DEP_1)
	v_fma_f32 v43, -v43, v46, v45
	v_div_fmas_f32 v43, v43, v44, v46
	s_delay_alu instid0(VALU_DEP_1)
	v_div_fixup_f32 v38, v43, v42, v38
.LBB55_37:
	s_or_b32 exec_lo, exec_lo, s10
	v_mul_f32_e32 v42, s13, v39
	v_and_b32_e32 v39, 0xffff0000, v26
	s_mov_b32 s10, exec_lo
	s_delay_alu instid0(VALU_DEP_2)
	v_cmpx_nlt_f32_e32 s14, v42
	s_cbranch_execz .LBB55_39
; %bb.38:
	v_mul_f32_e32 v26, 0x3fb8aa3b, v42
	v_cmp_ngt_f32_e32 vcc_lo, 0xc2ce8ed0, v42
	s_delay_alu instid0(VALU_DEP_2) | instskip(SKIP_1) | instid1(VALU_DEP_2)
	v_rndne_f32_e32 v43, v26
	v_fma_f32 v44, 0x3fb8aa3b, v42, -v26
	v_sub_f32_e32 v26, v26, v43
	s_delay_alu instid0(VALU_DEP_2) | instskip(SKIP_1) | instid1(VALU_DEP_2)
	v_fmamk_f32 v44, v42, 0x32a5705f, v44
	v_cvt_i32_f32_e32 v43, v43
	v_add_f32_e32 v26, v26, v44
	s_delay_alu instid0(VALU_DEP_1) | instskip(SKIP_1) | instid1(TRANS32_DEP_1)
	v_exp_f32_e32 v26, v26
	v_nop
	v_ldexp_f32 v26, v26, v43
	s_delay_alu instid0(VALU_DEP_1) | instskip(SKIP_1) | instid1(VALU_DEP_2)
	v_cndmask_b32_e32 v26, 0, v26, vcc_lo
	v_cmp_nlt_f32_e32 vcc_lo, 0x42b17218, v42
	v_cndmask_b32_e32 v26, 0x7f800000, v26, vcc_lo
	s_delay_alu instid0(VALU_DEP_1) | instskip(NEXT) | instid1(VALU_DEP_1)
	v_dual_mul_f32 v39, v26, v39 :: v_dual_add_f32 v26, 1.0, v26
	v_div_scale_f32 v42, null, v26, v26, v39
	s_delay_alu instid0(VALU_DEP_1) | instskip(SKIP_1) | instid1(TRANS32_DEP_1)
	v_rcp_f32_e32 v43, v42
	v_nop
	v_fma_f32 v44, -v42, v43, 1.0
	s_delay_alu instid0(VALU_DEP_1) | instskip(SKIP_1) | instid1(VALU_DEP_1)
	v_fmac_f32_e32 v43, v44, v43
	v_div_scale_f32 v44, vcc_lo, v39, v26, v39
	v_mul_f32_e32 v45, v44, v43
	s_delay_alu instid0(VALU_DEP_1) | instskip(NEXT) | instid1(VALU_DEP_1)
	v_fma_f32 v46, -v42, v45, v44
	v_fmac_f32_e32 v45, v46, v43
	s_delay_alu instid0(VALU_DEP_1) | instskip(NEXT) | instid1(VALU_DEP_1)
	v_fma_f32 v42, -v42, v45, v44
	v_div_fmas_f32 v42, v42, v43, v45
	s_delay_alu instid0(VALU_DEP_1)
	v_div_fixup_f32 v39, v42, v26, v39
.LBB55_39:
	s_or_b32 exec_lo, exec_lo, s10
	v_dual_mul_f32 v26, s13, v40 :: v_dual_lshlrev_b32 v40, 16, v27
	s_mov_b32 s10, exec_lo
	s_delay_alu instid0(VALU_DEP_1)
	v_cmpx_nlt_f32_e32 s14, v26
	s_cbranch_execz .LBB55_41
; %bb.40:
	v_mul_f32_e32 v42, 0x3fb8aa3b, v26
	v_cmp_ngt_f32_e32 vcc_lo, 0xc2ce8ed0, v26
	s_delay_alu instid0(VALU_DEP_2) | instskip(SKIP_1) | instid1(VALU_DEP_2)
	v_rndne_f32_e32 v43, v42
	v_fma_f32 v44, 0x3fb8aa3b, v26, -v42
	v_sub_f32_e32 v42, v42, v43
	s_delay_alu instid0(VALU_DEP_2) | instskip(SKIP_1) | instid1(VALU_DEP_2)
	v_fmamk_f32 v44, v26, 0x32a5705f, v44
	v_cvt_i32_f32_e32 v43, v43
	v_add_f32_e32 v42, v42, v44
	s_delay_alu instid0(VALU_DEP_1) | instskip(SKIP_1) | instid1(TRANS32_DEP_1)
	v_exp_f32_e32 v42, v42
	v_nop
	v_ldexp_f32 v42, v42, v43
	s_delay_alu instid0(VALU_DEP_1) | instskip(SKIP_1) | instid1(VALU_DEP_2)
	v_cndmask_b32_e32 v42, 0, v42, vcc_lo
	v_cmp_nlt_f32_e32 vcc_lo, 0x42b17218, v26
	v_cndmask_b32_e32 v26, 0x7f800000, v42, vcc_lo
	s_delay_alu instid0(VALU_DEP_1) | instskip(NEXT) | instid1(VALU_DEP_1)
	v_dual_mul_f32 v40, v26, v40 :: v_dual_add_f32 v26, 1.0, v26
	v_div_scale_f32 v42, null, v26, v26, v40
	s_delay_alu instid0(VALU_DEP_1) | instskip(SKIP_1) | instid1(TRANS32_DEP_1)
	v_rcp_f32_e32 v43, v42
	v_nop
	v_fma_f32 v44, -v42, v43, 1.0
	s_delay_alu instid0(VALU_DEP_1) | instskip(SKIP_1) | instid1(VALU_DEP_1)
	v_fmac_f32_e32 v43, v44, v43
	v_div_scale_f32 v44, vcc_lo, v40, v26, v40
	v_mul_f32_e32 v45, v44, v43
	s_delay_alu instid0(VALU_DEP_1) | instskip(NEXT) | instid1(VALU_DEP_1)
	v_fma_f32 v46, -v42, v45, v44
	v_fmac_f32_e32 v45, v46, v43
	s_delay_alu instid0(VALU_DEP_1) | instskip(NEXT) | instid1(VALU_DEP_1)
	v_fma_f32 v42, -v42, v45, v44
	v_div_fmas_f32 v42, v42, v43, v45
	s_delay_alu instid0(VALU_DEP_1)
	v_div_fixup_f32 v40, v42, v26, v40
.LBB55_41:
	s_or_b32 exec_lo, exec_lo, s10
	v_mul_f32_e32 v26, s13, v41
	v_and_b32_e32 v41, 0xffff0000, v27
	s_mov_b32 s10, exec_lo
	s_delay_alu instid0(VALU_DEP_2)
	v_cmpx_nlt_f32_e32 s14, v26
	s_cbranch_execz .LBB55_43
; %bb.42:
	v_mul_f32_e32 v27, 0x3fb8aa3b, v26
	v_cmp_ngt_f32_e32 vcc_lo, 0xc2ce8ed0, v26
	s_delay_alu instid0(VALU_DEP_2) | instskip(SKIP_1) | instid1(VALU_DEP_2)
	v_rndne_f32_e32 v42, v27
	v_fma_f32 v43, 0x3fb8aa3b, v26, -v27
	v_sub_f32_e32 v27, v27, v42
	s_delay_alu instid0(VALU_DEP_2) | instskip(SKIP_1) | instid1(VALU_DEP_2)
	v_fmamk_f32 v43, v26, 0x32a5705f, v43
	v_cvt_i32_f32_e32 v42, v42
	v_add_f32_e32 v27, v27, v43
	s_delay_alu instid0(VALU_DEP_1) | instskip(SKIP_1) | instid1(TRANS32_DEP_1)
	v_exp_f32_e32 v27, v27
	v_nop
	v_ldexp_f32 v27, v27, v42
	s_delay_alu instid0(VALU_DEP_1) | instskip(SKIP_1) | instid1(VALU_DEP_2)
	v_cndmask_b32_e32 v27, 0, v27, vcc_lo
	v_cmp_nlt_f32_e32 vcc_lo, 0x42b17218, v26
	v_cndmask_b32_e32 v26, 0x7f800000, v27, vcc_lo
	s_delay_alu instid0(VALU_DEP_1) | instskip(NEXT) | instid1(VALU_DEP_1)
	v_dual_mul_f32 v27, v26, v41 :: v_dual_add_f32 v26, 1.0, v26
	v_div_scale_f32 v41, null, v26, v26, v27
	s_delay_alu instid0(VALU_DEP_1) | instskip(SKIP_1) | instid1(TRANS32_DEP_1)
	v_rcp_f32_e32 v42, v41
	v_nop
	v_fma_f32 v43, -v41, v42, 1.0
	s_delay_alu instid0(VALU_DEP_1) | instskip(SKIP_1) | instid1(VALU_DEP_1)
	v_fmac_f32_e32 v42, v43, v42
	v_div_scale_f32 v43, vcc_lo, v27, v26, v27
	v_mul_f32_e32 v44, v43, v42
	s_delay_alu instid0(VALU_DEP_1) | instskip(NEXT) | instid1(VALU_DEP_1)
	v_fma_f32 v45, -v41, v44, v43
	v_fmac_f32_e32 v44, v45, v42
	s_delay_alu instid0(VALU_DEP_1) | instskip(NEXT) | instid1(VALU_DEP_1)
	v_fma_f32 v41, -v41, v44, v43
	v_div_fmas_f32 v41, v41, v42, v44
	s_delay_alu instid0(VALU_DEP_1)
	v_div_fixup_f32 v41, v41, v26, v27
.LBB55_43:
	s_or_b32 exec_lo, exec_lo, s10
	v_dual_mul_f32 v27, s13, v30 :: v_dual_lshlrev_b32 v26, 16, v28
	s_mov_b32 s10, exec_lo
	s_delay_alu instid0(VALU_DEP_1)
	v_cmpx_nlt_f32_e32 s14, v27
	s_cbranch_execz .LBB55_45
; %bb.44:
	v_mul_f32_e32 v30, 0x3fb8aa3b, v27
	v_cmp_ngt_f32_e32 vcc_lo, 0xc2ce8ed0, v27
	s_delay_alu instid0(VALU_DEP_2) | instskip(SKIP_1) | instid1(VALU_DEP_1)
	v_rndne_f32_e32 v42, v30
	v_fma_f32 v43, 0x3fb8aa3b, v27, -v30
	v_dual_sub_f32 v30, v30, v42 :: v_dual_fmamk_f32 v43, v27, 0x32a5705f, v43
	v_cvt_i32_f32_e32 v42, v42
	s_delay_alu instid0(VALU_DEP_2) | instskip(NEXT) | instid1(VALU_DEP_1)
	v_add_f32_e32 v30, v30, v43
	v_exp_f32_e32 v30, v30
	v_nop
	s_delay_alu instid0(TRANS32_DEP_1) | instskip(NEXT) | instid1(VALU_DEP_1)
	v_ldexp_f32 v30, v30, v42
	v_cndmask_b32_e32 v30, 0, v30, vcc_lo
	v_cmp_nlt_f32_e32 vcc_lo, 0x42b17218, v27
	s_delay_alu instid0(VALU_DEP_2) | instskip(NEXT) | instid1(VALU_DEP_1)
	v_cndmask_b32_e32 v27, 0x7f800000, v30, vcc_lo
	v_dual_mul_f32 v26, v27, v26 :: v_dual_add_f32 v27, 1.0, v27
	s_delay_alu instid0(VALU_DEP_1) | instskip(NEXT) | instid1(VALU_DEP_1)
	v_div_scale_f32 v30, null, v27, v27, v26
	v_rcp_f32_e32 v42, v30
	v_nop
	s_delay_alu instid0(TRANS32_DEP_1) | instskip(NEXT) | instid1(VALU_DEP_1)
	v_fma_f32 v43, -v30, v42, 1.0
	v_fmac_f32_e32 v42, v43, v42
	v_div_scale_f32 v43, vcc_lo, v26, v27, v26
	s_delay_alu instid0(VALU_DEP_1) | instskip(NEXT) | instid1(VALU_DEP_1)
	v_mul_f32_e32 v44, v43, v42
	v_fma_f32 v45, -v30, v44, v43
	s_delay_alu instid0(VALU_DEP_1) | instskip(NEXT) | instid1(VALU_DEP_1)
	v_fmac_f32_e32 v44, v45, v42
	v_fma_f32 v30, -v30, v44, v43
	s_delay_alu instid0(VALU_DEP_1) | instskip(NEXT) | instid1(VALU_DEP_1)
	v_div_fmas_f32 v30, v30, v42, v44
	v_div_fixup_f32 v26, v30, v27, v26
.LBB55_45:
	s_or_b32 exec_lo, exec_lo, s10
	v_mul_f32_e32 v30, s13, v31
	v_and_b32_e32 v27, 0xffff0000, v28
	s_mov_b32 s10, exec_lo
	s_delay_alu instid0(VALU_DEP_2)
	v_cmpx_nlt_f32_e32 s14, v30
	s_cbranch_execz .LBB55_47
; %bb.46:
	v_mul_f32_e32 v28, 0x3fb8aa3b, v30
	v_cmp_ngt_f32_e32 vcc_lo, 0xc2ce8ed0, v30
	s_delay_alu instid0(VALU_DEP_2) | instskip(SKIP_1) | instid1(VALU_DEP_2)
	v_rndne_f32_e32 v31, v28
	v_fma_f32 v42, 0x3fb8aa3b, v30, -v28
	v_sub_f32_e32 v28, v28, v31
	s_delay_alu instid0(VALU_DEP_2) | instskip(SKIP_1) | instid1(VALU_DEP_2)
	v_fmamk_f32 v42, v30, 0x32a5705f, v42
	v_cvt_i32_f32_e32 v31, v31
	v_add_f32_e32 v28, v28, v42
	s_delay_alu instid0(VALU_DEP_1) | instskip(SKIP_1) | instid1(TRANS32_DEP_1)
	v_exp_f32_e32 v28, v28
	v_nop
	v_ldexp_f32 v28, v28, v31
	s_delay_alu instid0(VALU_DEP_1) | instskip(SKIP_1) | instid1(VALU_DEP_2)
	v_cndmask_b32_e32 v28, 0, v28, vcc_lo
	v_cmp_nlt_f32_e32 vcc_lo, 0x42b17218, v30
	v_cndmask_b32_e32 v28, 0x7f800000, v28, vcc_lo
	s_delay_alu instid0(VALU_DEP_1) | instskip(NEXT) | instid1(VALU_DEP_1)
	v_dual_mul_f32 v27, v28, v27 :: v_dual_add_f32 v28, 1.0, v28
	v_div_scale_f32 v30, null, v28, v28, v27
	s_delay_alu instid0(VALU_DEP_1) | instskip(SKIP_1) | instid1(TRANS32_DEP_1)
	v_rcp_f32_e32 v31, v30
	v_nop
	v_fma_f32 v42, -v30, v31, 1.0
	s_delay_alu instid0(VALU_DEP_1) | instskip(SKIP_1) | instid1(VALU_DEP_1)
	v_fmac_f32_e32 v31, v42, v31
	v_div_scale_f32 v42, vcc_lo, v27, v28, v27
	v_mul_f32_e32 v43, v42, v31
	s_delay_alu instid0(VALU_DEP_1) | instskip(NEXT) | instid1(VALU_DEP_1)
	v_fma_f32 v44, -v30, v43, v42
	v_fmac_f32_e32 v43, v44, v31
	s_delay_alu instid0(VALU_DEP_1) | instskip(NEXT) | instid1(VALU_DEP_1)
	v_fma_f32 v30, -v30, v43, v42
	v_div_fmas_f32 v30, v30, v31, v43
	s_delay_alu instid0(VALU_DEP_1)
	v_div_fixup_f32 v27, v30, v28, v27
.LBB55_47:
	s_or_b32 exec_lo, exec_lo, s10
	v_dual_mul_f32 v30, s13, v32 :: v_dual_lshlrev_b32 v28, 16, v29
	s_mov_b32 s10, exec_lo
	s_delay_alu instid0(VALU_DEP_1)
	v_cmpx_nlt_f32_e32 s14, v30
	s_cbranch_execz .LBB55_49
; %bb.48:
	v_mul_f32_e32 v31, 0x3fb8aa3b, v30
	v_cmp_ngt_f32_e32 vcc_lo, 0xc2ce8ed0, v30
	s_delay_alu instid0(VALU_DEP_2) | instskip(SKIP_1) | instid1(VALU_DEP_1)
	v_rndne_f32_e32 v32, v31
	v_fma_f32 v42, 0x3fb8aa3b, v30, -v31
	v_dual_sub_f32 v31, v31, v32 :: v_dual_fmamk_f32 v42, v30, 0x32a5705f, v42
	v_cvt_i32_f32_e32 v32, v32
	s_delay_alu instid0(VALU_DEP_2) | instskip(NEXT) | instid1(VALU_DEP_1)
	v_add_f32_e32 v31, v31, v42
	v_exp_f32_e32 v31, v31
	v_nop
	s_delay_alu instid0(TRANS32_DEP_1) | instskip(NEXT) | instid1(VALU_DEP_1)
	v_ldexp_f32 v31, v31, v32
	v_cndmask_b32_e32 v31, 0, v31, vcc_lo
	v_cmp_nlt_f32_e32 vcc_lo, 0x42b17218, v30
	s_delay_alu instid0(VALU_DEP_2) | instskip(NEXT) | instid1(VALU_DEP_1)
	v_cndmask_b32_e32 v30, 0x7f800000, v31, vcc_lo
	v_dual_mul_f32 v28, v30, v28 :: v_dual_add_f32 v30, 1.0, v30
	s_delay_alu instid0(VALU_DEP_1) | instskip(NEXT) | instid1(VALU_DEP_1)
	v_div_scale_f32 v31, null, v30, v30, v28
	v_rcp_f32_e32 v32, v31
	v_nop
	s_delay_alu instid0(TRANS32_DEP_1) | instskip(NEXT) | instid1(VALU_DEP_1)
	v_fma_f32 v42, -v31, v32, 1.0
	v_fmac_f32_e32 v32, v42, v32
	v_div_scale_f32 v42, vcc_lo, v28, v30, v28
	s_delay_alu instid0(VALU_DEP_1) | instskip(NEXT) | instid1(VALU_DEP_1)
	v_mul_f32_e32 v43, v42, v32
	v_fma_f32 v44, -v31, v43, v42
	s_delay_alu instid0(VALU_DEP_1) | instskip(NEXT) | instid1(VALU_DEP_1)
	v_fmac_f32_e32 v43, v44, v32
	v_fma_f32 v31, -v31, v43, v42
	s_delay_alu instid0(VALU_DEP_1) | instskip(NEXT) | instid1(VALU_DEP_1)
	v_div_fmas_f32 v31, v31, v32, v43
	v_div_fixup_f32 v28, v31, v30, v28
.LBB55_49:
	s_or_b32 exec_lo, exec_lo, s10
	v_mul_f32_e32 v30, s13, v33
	v_and_b32_e32 v29, 0xffff0000, v29
	s_mov_b32 s10, exec_lo
	s_delay_alu instid0(VALU_DEP_2)
	v_cmpx_nlt_f32_e32 s14, v30
	s_cbranch_execz .LBB55_51
; %bb.50:
	v_mul_f32_e32 v31, 0x3fb8aa3b, v30
	v_cmp_ngt_f32_e32 vcc_lo, 0xc2ce8ed0, v30
	s_delay_alu instid0(VALU_DEP_2) | instskip(SKIP_1) | instid1(VALU_DEP_2)
	v_rndne_f32_e32 v32, v31
	v_fma_f32 v33, 0x3fb8aa3b, v30, -v31
	v_sub_f32_e32 v31, v31, v32
	s_delay_alu instid0(VALU_DEP_2) | instskip(SKIP_1) | instid1(VALU_DEP_2)
	v_fmamk_f32 v33, v30, 0x32a5705f, v33
	v_cvt_i32_f32_e32 v32, v32
	v_add_f32_e32 v31, v31, v33
	s_delay_alu instid0(VALU_DEP_1) | instskip(SKIP_1) | instid1(TRANS32_DEP_1)
	v_exp_f32_e32 v31, v31
	v_nop
	v_ldexp_f32 v31, v31, v32
	s_delay_alu instid0(VALU_DEP_1) | instskip(SKIP_1) | instid1(VALU_DEP_2)
	v_cndmask_b32_e32 v31, 0, v31, vcc_lo
	v_cmp_nlt_f32_e32 vcc_lo, 0x42b17218, v30
	v_cndmask_b32_e32 v30, 0x7f800000, v31, vcc_lo
	s_delay_alu instid0(VALU_DEP_1) | instskip(NEXT) | instid1(VALU_DEP_1)
	v_dual_mul_f32 v29, v30, v29 :: v_dual_add_f32 v30, 1.0, v30
	v_div_scale_f32 v31, null, v30, v30, v29
	s_delay_alu instid0(VALU_DEP_1) | instskip(SKIP_1) | instid1(TRANS32_DEP_1)
	v_rcp_f32_e32 v32, v31
	v_nop
	v_fma_f32 v33, -v31, v32, 1.0
	s_delay_alu instid0(VALU_DEP_1) | instskip(SKIP_1) | instid1(VALU_DEP_1)
	v_fmac_f32_e32 v32, v33, v32
	v_div_scale_f32 v33, vcc_lo, v29, v30, v29
	v_mul_f32_e32 v42, v33, v32
	s_delay_alu instid0(VALU_DEP_1) | instskip(NEXT) | instid1(VALU_DEP_1)
	v_fma_f32 v43, -v31, v42, v33
	v_fmac_f32_e32 v42, v43, v32
	s_delay_alu instid0(VALU_DEP_1) | instskip(NEXT) | instid1(VALU_DEP_1)
	v_fma_f32 v31, -v31, v42, v33
	v_div_fmas_f32 v31, v31, v32, v42
	s_delay_alu instid0(VALU_DEP_1)
	v_div_fixup_f32 v29, v31, v30, v29
.LBB55_51:
	s_or_b32 exec_lo, exec_lo, s10
	s_wait_loadcnt 0x0
	v_mul_f32_e32 v30, s13, v18
	v_lshlrev_b32_e32 v18, 16, v6
	s_mov_b32 s10, exec_lo
	s_delay_alu instid0(VALU_DEP_2)
	v_cmpx_nlt_f32_e32 s14, v30
	s_cbranch_execz .LBB55_53
; %bb.52:
	v_mul_f32_e32 v31, 0x3fb8aa3b, v30
	v_cmp_ngt_f32_e32 vcc_lo, 0xc2ce8ed0, v30
	s_delay_alu instid0(VALU_DEP_2) | instskip(SKIP_1) | instid1(VALU_DEP_2)
	v_rndne_f32_e32 v32, v31
	v_fma_f32 v33, 0x3fb8aa3b, v30, -v31
	v_sub_f32_e32 v31, v31, v32
	s_delay_alu instid0(VALU_DEP_2) | instskip(SKIP_1) | instid1(VALU_DEP_2)
	v_fmamk_f32 v33, v30, 0x32a5705f, v33
	v_cvt_i32_f32_e32 v32, v32
	v_add_f32_e32 v31, v31, v33
	s_delay_alu instid0(VALU_DEP_1) | instskip(SKIP_1) | instid1(TRANS32_DEP_1)
	v_exp_f32_e32 v31, v31
	v_nop
	v_ldexp_f32 v31, v31, v32
	s_delay_alu instid0(VALU_DEP_1) | instskip(SKIP_1) | instid1(VALU_DEP_2)
	v_cndmask_b32_e32 v31, 0, v31, vcc_lo
	v_cmp_nlt_f32_e32 vcc_lo, 0x42b17218, v30
	v_cndmask_b32_e32 v30, 0x7f800000, v31, vcc_lo
	s_delay_alu instid0(VALU_DEP_1) | instskip(SKIP_1) | instid1(VALU_DEP_1)
	v_mul_f32_e32 v18, v30, v18
	v_add_f32_e32 v30, 1.0, v30
	v_div_scale_f32 v31, null, v30, v30, v18
	s_delay_alu instid0(VALU_DEP_1) | instskip(SKIP_1) | instid1(TRANS32_DEP_1)
	v_rcp_f32_e32 v32, v31
	v_nop
	v_fma_f32 v33, -v31, v32, 1.0
	s_delay_alu instid0(VALU_DEP_1) | instskip(SKIP_1) | instid1(VALU_DEP_1)
	v_fmac_f32_e32 v32, v33, v32
	v_div_scale_f32 v33, vcc_lo, v18, v30, v18
	v_mul_f32_e32 v42, v33, v32
	s_delay_alu instid0(VALU_DEP_1) | instskip(NEXT) | instid1(VALU_DEP_1)
	v_fma_f32 v43, -v31, v42, v33
	v_fmac_f32_e32 v42, v43, v32
	s_delay_alu instid0(VALU_DEP_1) | instskip(NEXT) | instid1(VALU_DEP_1)
	v_fma_f32 v31, -v31, v42, v33
	v_div_fmas_f32 v31, v31, v32, v42
	s_delay_alu instid0(VALU_DEP_1)
	v_div_fixup_f32 v18, v31, v30, v18
.LBB55_53:
	s_or_b32 exec_lo, exec_lo, s10
	v_mul_f32_e32 v30, s13, v19
	v_and_b32_e32 v19, 0xffff0000, v6
	s_mov_b32 s10, exec_lo
	s_delay_alu instid0(VALU_DEP_2)
	v_cmpx_nlt_f32_e32 s14, v30
	s_cbranch_execz .LBB55_55
; %bb.54:
	v_mul_f32_e32 v6, 0x3fb8aa3b, v30
	v_cmp_ngt_f32_e32 vcc_lo, 0xc2ce8ed0, v30
	s_delay_alu instid0(VALU_DEP_2) | instskip(SKIP_1) | instid1(VALU_DEP_2)
	v_rndne_f32_e32 v31, v6
	v_fma_f32 v32, 0x3fb8aa3b, v30, -v6
	v_sub_f32_e32 v6, v6, v31
	s_delay_alu instid0(VALU_DEP_2) | instskip(SKIP_1) | instid1(VALU_DEP_2)
	v_fmamk_f32 v32, v30, 0x32a5705f, v32
	v_cvt_i32_f32_e32 v31, v31
	v_add_f32_e32 v6, v6, v32
	s_delay_alu instid0(VALU_DEP_1) | instskip(SKIP_1) | instid1(TRANS32_DEP_1)
	v_exp_f32_e32 v6, v6
	v_nop
	v_ldexp_f32 v6, v6, v31
	s_delay_alu instid0(VALU_DEP_1) | instskip(SKIP_1) | instid1(VALU_DEP_2)
	v_cndmask_b32_e32 v6, 0, v6, vcc_lo
	v_cmp_nlt_f32_e32 vcc_lo, 0x42b17218, v30
	v_cndmask_b32_e32 v6, 0x7f800000, v6, vcc_lo
	s_delay_alu instid0(VALU_DEP_1) | instskip(NEXT) | instid1(VALU_DEP_1)
	v_dual_mul_f32 v19, v6, v19 :: v_dual_add_f32 v6, 1.0, v6
	v_div_scale_f32 v30, null, v6, v6, v19
	s_delay_alu instid0(VALU_DEP_1) | instskip(SKIP_1) | instid1(TRANS32_DEP_1)
	v_rcp_f32_e32 v31, v30
	v_nop
	v_fma_f32 v32, -v30, v31, 1.0
	s_delay_alu instid0(VALU_DEP_1) | instskip(SKIP_1) | instid1(VALU_DEP_1)
	v_fmac_f32_e32 v31, v32, v31
	v_div_scale_f32 v32, vcc_lo, v19, v6, v19
	v_mul_f32_e32 v33, v32, v31
	s_delay_alu instid0(VALU_DEP_1) | instskip(NEXT) | instid1(VALU_DEP_1)
	v_fma_f32 v42, -v30, v33, v32
	v_fmac_f32_e32 v33, v42, v31
	s_delay_alu instid0(VALU_DEP_1) | instskip(NEXT) | instid1(VALU_DEP_1)
	v_fma_f32 v30, -v30, v33, v32
	v_div_fmas_f32 v30, v30, v31, v33
	s_delay_alu instid0(VALU_DEP_1)
	v_div_fixup_f32 v19, v30, v6, v19
.LBB55_55:
	s_or_b32 exec_lo, exec_lo, s10
	v_dual_mul_f32 v6, s13, v20 :: v_dual_lshlrev_b32 v20, 16, v7
	s_mov_b32 s10, exec_lo
	s_delay_alu instid0(VALU_DEP_1)
	v_cmpx_nlt_f32_e32 s14, v6
	s_cbranch_execz .LBB55_57
; %bb.56:
	v_mul_f32_e32 v30, 0x3fb8aa3b, v6
	v_cmp_ngt_f32_e32 vcc_lo, 0xc2ce8ed0, v6
	s_delay_alu instid0(VALU_DEP_2) | instskip(SKIP_1) | instid1(VALU_DEP_2)
	v_rndne_f32_e32 v31, v30
	v_fma_f32 v32, 0x3fb8aa3b, v6, -v30
	v_sub_f32_e32 v30, v30, v31
	s_delay_alu instid0(VALU_DEP_2) | instskip(SKIP_1) | instid1(VALU_DEP_2)
	v_fmamk_f32 v32, v6, 0x32a5705f, v32
	v_cvt_i32_f32_e32 v31, v31
	v_add_f32_e32 v30, v30, v32
	s_delay_alu instid0(VALU_DEP_1) | instskip(SKIP_1) | instid1(TRANS32_DEP_1)
	v_exp_f32_e32 v30, v30
	v_nop
	v_ldexp_f32 v30, v30, v31
	s_delay_alu instid0(VALU_DEP_1) | instskip(SKIP_1) | instid1(VALU_DEP_2)
	v_cndmask_b32_e32 v30, 0, v30, vcc_lo
	v_cmp_nlt_f32_e32 vcc_lo, 0x42b17218, v6
	v_cndmask_b32_e32 v6, 0x7f800000, v30, vcc_lo
	s_delay_alu instid0(VALU_DEP_1) | instskip(NEXT) | instid1(VALU_DEP_1)
	v_dual_mul_f32 v20, v6, v20 :: v_dual_add_f32 v6, 1.0, v6
	v_div_scale_f32 v30, null, v6, v6, v20
	s_delay_alu instid0(VALU_DEP_1) | instskip(SKIP_1) | instid1(TRANS32_DEP_1)
	v_rcp_f32_e32 v31, v30
	v_nop
	v_fma_f32 v32, -v30, v31, 1.0
	s_delay_alu instid0(VALU_DEP_1) | instskip(SKIP_1) | instid1(VALU_DEP_1)
	v_fmac_f32_e32 v31, v32, v31
	v_div_scale_f32 v32, vcc_lo, v20, v6, v20
	v_mul_f32_e32 v33, v32, v31
	s_delay_alu instid0(VALU_DEP_1) | instskip(NEXT) | instid1(VALU_DEP_1)
	v_fma_f32 v42, -v30, v33, v32
	v_fmac_f32_e32 v33, v42, v31
	s_delay_alu instid0(VALU_DEP_1) | instskip(NEXT) | instid1(VALU_DEP_1)
	v_fma_f32 v30, -v30, v33, v32
	v_div_fmas_f32 v30, v30, v31, v33
	s_delay_alu instid0(VALU_DEP_1)
	v_div_fixup_f32 v20, v30, v6, v20
.LBB55_57:
	s_or_b32 exec_lo, exec_lo, s10
	v_mul_f32_e32 v6, s13, v21
	v_and_b32_e32 v21, 0xffff0000, v7
	s_mov_b32 s10, exec_lo
	s_delay_alu instid0(VALU_DEP_2)
	v_cmpx_nlt_f32_e32 s14, v6
	s_cbranch_execz .LBB55_59
; %bb.58:
	v_mul_f32_e32 v7, 0x3fb8aa3b, v6
	v_cmp_ngt_f32_e32 vcc_lo, 0xc2ce8ed0, v6
	s_delay_alu instid0(VALU_DEP_2) | instskip(SKIP_1) | instid1(VALU_DEP_2)
	v_rndne_f32_e32 v30, v7
	v_fma_f32 v31, 0x3fb8aa3b, v6, -v7
	v_sub_f32_e32 v7, v7, v30
	s_delay_alu instid0(VALU_DEP_2) | instskip(SKIP_1) | instid1(VALU_DEP_2)
	v_fmamk_f32 v31, v6, 0x32a5705f, v31
	v_cvt_i32_f32_e32 v30, v30
	v_add_f32_e32 v7, v7, v31
	s_delay_alu instid0(VALU_DEP_1) | instskip(SKIP_1) | instid1(TRANS32_DEP_1)
	v_exp_f32_e32 v7, v7
	v_nop
	v_ldexp_f32 v7, v7, v30
	s_delay_alu instid0(VALU_DEP_1) | instskip(SKIP_1) | instid1(VALU_DEP_2)
	v_cndmask_b32_e32 v7, 0, v7, vcc_lo
	v_cmp_nlt_f32_e32 vcc_lo, 0x42b17218, v6
	v_cndmask_b32_e32 v6, 0x7f800000, v7, vcc_lo
	s_delay_alu instid0(VALU_DEP_1) | instskip(NEXT) | instid1(VALU_DEP_1)
	v_dual_mul_f32 v7, v6, v21 :: v_dual_add_f32 v6, 1.0, v6
	v_div_scale_f32 v21, null, v6, v6, v7
	s_delay_alu instid0(VALU_DEP_1) | instskip(SKIP_1) | instid1(TRANS32_DEP_1)
	v_rcp_f32_e32 v30, v21
	v_nop
	v_fma_f32 v31, -v21, v30, 1.0
	s_delay_alu instid0(VALU_DEP_1) | instskip(SKIP_1) | instid1(VALU_DEP_1)
	v_fmac_f32_e32 v30, v31, v30
	v_div_scale_f32 v31, vcc_lo, v7, v6, v7
	v_mul_f32_e32 v32, v31, v30
	s_delay_alu instid0(VALU_DEP_1) | instskip(NEXT) | instid1(VALU_DEP_1)
	v_fma_f32 v33, -v21, v32, v31
	v_fmac_f32_e32 v32, v33, v30
	s_delay_alu instid0(VALU_DEP_1) | instskip(NEXT) | instid1(VALU_DEP_1)
	v_fma_f32 v21, -v21, v32, v31
	v_div_fmas_f32 v21, v21, v30, v32
	s_delay_alu instid0(VALU_DEP_1)
	v_div_fixup_f32 v21, v21, v6, v7
.LBB55_59:
	s_or_b32 exec_lo, exec_lo, s10
	v_dual_mul_f32 v7, s13, v10 :: v_dual_lshlrev_b32 v6, 16, v8
	s_mov_b32 s10, exec_lo
	s_delay_alu instid0(VALU_DEP_1)
	v_cmpx_nlt_f32_e32 s14, v7
	s_cbranch_execz .LBB55_61
; %bb.60:
	v_mul_f32_e32 v10, 0x3fb8aa3b, v7
	v_cmp_ngt_f32_e32 vcc_lo, 0xc2ce8ed0, v7
	s_delay_alu instid0(VALU_DEP_2) | instskip(SKIP_1) | instid1(VALU_DEP_1)
	v_rndne_f32_e32 v30, v10
	v_fma_f32 v31, 0x3fb8aa3b, v7, -v10
	v_dual_sub_f32 v10, v10, v30 :: v_dual_fmamk_f32 v31, v7, 0x32a5705f, v31
	v_cvt_i32_f32_e32 v30, v30
	s_delay_alu instid0(VALU_DEP_2) | instskip(NEXT) | instid1(VALU_DEP_1)
	v_add_f32_e32 v10, v10, v31
	v_exp_f32_e32 v10, v10
	v_nop
	s_delay_alu instid0(TRANS32_DEP_1) | instskip(NEXT) | instid1(VALU_DEP_1)
	v_ldexp_f32 v10, v10, v30
	v_cndmask_b32_e32 v10, 0, v10, vcc_lo
	v_cmp_nlt_f32_e32 vcc_lo, 0x42b17218, v7
	s_delay_alu instid0(VALU_DEP_2) | instskip(NEXT) | instid1(VALU_DEP_1)
	v_cndmask_b32_e32 v7, 0x7f800000, v10, vcc_lo
	v_dual_mul_f32 v6, v7, v6 :: v_dual_add_f32 v7, 1.0, v7
	s_delay_alu instid0(VALU_DEP_1) | instskip(NEXT) | instid1(VALU_DEP_1)
	v_div_scale_f32 v10, null, v7, v7, v6
	v_rcp_f32_e32 v30, v10
	v_nop
	s_delay_alu instid0(TRANS32_DEP_1) | instskip(NEXT) | instid1(VALU_DEP_1)
	v_fma_f32 v31, -v10, v30, 1.0
	v_fmac_f32_e32 v30, v31, v30
	v_div_scale_f32 v31, vcc_lo, v6, v7, v6
	s_delay_alu instid0(VALU_DEP_1) | instskip(NEXT) | instid1(VALU_DEP_1)
	v_mul_f32_e32 v32, v31, v30
	v_fma_f32 v33, -v10, v32, v31
	s_delay_alu instid0(VALU_DEP_1) | instskip(NEXT) | instid1(VALU_DEP_1)
	v_fmac_f32_e32 v32, v33, v30
	v_fma_f32 v10, -v10, v32, v31
	s_delay_alu instid0(VALU_DEP_1) | instskip(NEXT) | instid1(VALU_DEP_1)
	v_div_fmas_f32 v10, v10, v30, v32
	v_div_fixup_f32 v6, v10, v7, v6
.LBB55_61:
	s_or_b32 exec_lo, exec_lo, s10
	v_mul_f32_e32 v10, s13, v11
	v_and_b32_e32 v7, 0xffff0000, v8
	s_mov_b32 s10, exec_lo
	s_delay_alu instid0(VALU_DEP_2)
	v_cmpx_nlt_f32_e32 s14, v10
	s_cbranch_execz .LBB55_63
; %bb.62:
	v_mul_f32_e32 v8, 0x3fb8aa3b, v10
	v_cmp_ngt_f32_e32 vcc_lo, 0xc2ce8ed0, v10
	s_delay_alu instid0(VALU_DEP_2) | instskip(SKIP_1) | instid1(VALU_DEP_2)
	v_rndne_f32_e32 v11, v8
	v_fma_f32 v30, 0x3fb8aa3b, v10, -v8
	v_sub_f32_e32 v8, v8, v11
	s_delay_alu instid0(VALU_DEP_2) | instskip(SKIP_1) | instid1(VALU_DEP_2)
	v_fmamk_f32 v30, v10, 0x32a5705f, v30
	v_cvt_i32_f32_e32 v11, v11
	v_add_f32_e32 v8, v8, v30
	s_delay_alu instid0(VALU_DEP_1) | instskip(SKIP_1) | instid1(TRANS32_DEP_1)
	v_exp_f32_e32 v8, v8
	v_nop
	v_ldexp_f32 v8, v8, v11
	s_delay_alu instid0(VALU_DEP_1) | instskip(SKIP_1) | instid1(VALU_DEP_2)
	v_cndmask_b32_e32 v8, 0, v8, vcc_lo
	v_cmp_nlt_f32_e32 vcc_lo, 0x42b17218, v10
	v_cndmask_b32_e32 v8, 0x7f800000, v8, vcc_lo
	s_delay_alu instid0(VALU_DEP_1) | instskip(NEXT) | instid1(VALU_DEP_1)
	v_dual_mul_f32 v7, v8, v7 :: v_dual_add_f32 v8, 1.0, v8
	v_div_scale_f32 v10, null, v8, v8, v7
	s_delay_alu instid0(VALU_DEP_1) | instskip(SKIP_1) | instid1(TRANS32_DEP_1)
	v_rcp_f32_e32 v11, v10
	v_nop
	v_fma_f32 v30, -v10, v11, 1.0
	s_delay_alu instid0(VALU_DEP_1) | instskip(SKIP_1) | instid1(VALU_DEP_1)
	v_fmac_f32_e32 v11, v30, v11
	v_div_scale_f32 v30, vcc_lo, v7, v8, v7
	v_mul_f32_e32 v31, v30, v11
	s_delay_alu instid0(VALU_DEP_1) | instskip(NEXT) | instid1(VALU_DEP_1)
	v_fma_f32 v32, -v10, v31, v30
	v_fmac_f32_e32 v31, v32, v11
	s_delay_alu instid0(VALU_DEP_1) | instskip(NEXT) | instid1(VALU_DEP_1)
	v_fma_f32 v10, -v10, v31, v30
	v_div_fmas_f32 v10, v10, v11, v31
	s_delay_alu instid0(VALU_DEP_1)
	v_div_fixup_f32 v7, v10, v8, v7
.LBB55_63:
	s_or_b32 exec_lo, exec_lo, s10
	v_dual_mul_f32 v10, s13, v12 :: v_dual_lshlrev_b32 v8, 16, v9
	s_mov_b32 s10, exec_lo
	s_delay_alu instid0(VALU_DEP_1)
	v_cmpx_nlt_f32_e32 s14, v10
	s_cbranch_execz .LBB55_65
; %bb.64:
	v_mul_f32_e32 v11, 0x3fb8aa3b, v10
	v_cmp_ngt_f32_e32 vcc_lo, 0xc2ce8ed0, v10
	s_delay_alu instid0(VALU_DEP_2) | instskip(SKIP_1) | instid1(VALU_DEP_1)
	v_rndne_f32_e32 v12, v11
	v_fma_f32 v30, 0x3fb8aa3b, v10, -v11
	v_dual_sub_f32 v11, v11, v12 :: v_dual_fmamk_f32 v30, v10, 0x32a5705f, v30
	v_cvt_i32_f32_e32 v12, v12
	s_delay_alu instid0(VALU_DEP_2) | instskip(NEXT) | instid1(VALU_DEP_1)
	v_add_f32_e32 v11, v11, v30
	v_exp_f32_e32 v11, v11
	v_nop
	s_delay_alu instid0(TRANS32_DEP_1) | instskip(NEXT) | instid1(VALU_DEP_1)
	v_ldexp_f32 v11, v11, v12
	v_cndmask_b32_e32 v11, 0, v11, vcc_lo
	v_cmp_nlt_f32_e32 vcc_lo, 0x42b17218, v10
	s_delay_alu instid0(VALU_DEP_2) | instskip(NEXT) | instid1(VALU_DEP_1)
	v_cndmask_b32_e32 v10, 0x7f800000, v11, vcc_lo
	v_dual_mul_f32 v8, v10, v8 :: v_dual_add_f32 v10, 1.0, v10
	s_delay_alu instid0(VALU_DEP_1) | instskip(NEXT) | instid1(VALU_DEP_1)
	v_div_scale_f32 v11, null, v10, v10, v8
	v_rcp_f32_e32 v12, v11
	v_nop
	s_delay_alu instid0(TRANS32_DEP_1) | instskip(NEXT) | instid1(VALU_DEP_1)
	v_fma_f32 v30, -v11, v12, 1.0
	v_fmac_f32_e32 v12, v30, v12
	v_div_scale_f32 v30, vcc_lo, v8, v10, v8
	s_delay_alu instid0(VALU_DEP_1) | instskip(NEXT) | instid1(VALU_DEP_1)
	v_mul_f32_e32 v31, v30, v12
	v_fma_f32 v32, -v11, v31, v30
	s_delay_alu instid0(VALU_DEP_1) | instskip(NEXT) | instid1(VALU_DEP_1)
	v_fmac_f32_e32 v31, v32, v12
	v_fma_f32 v11, -v11, v31, v30
	s_delay_alu instid0(VALU_DEP_1) | instskip(NEXT) | instid1(VALU_DEP_1)
	v_div_fmas_f32 v11, v11, v12, v31
	v_div_fixup_f32 v8, v11, v10, v8
.LBB55_65:
	s_or_b32 exec_lo, exec_lo, s10
	v_mul_f32_e32 v10, s13, v13
	v_and_b32_e32 v9, 0xffff0000, v9
	s_mov_b32 s10, exec_lo
	s_delay_alu instid0(VALU_DEP_2)
	v_cmpx_nlt_f32_e32 s14, v10
	s_cbranch_execz .LBB55_67
; %bb.66:
	v_mul_f32_e32 v11, 0x3fb8aa3b, v10
	v_cmp_ngt_f32_e32 vcc_lo, 0xc2ce8ed0, v10
	s_delay_alu instid0(VALU_DEP_2) | instskip(SKIP_1) | instid1(VALU_DEP_2)
	v_rndne_f32_e32 v12, v11
	v_fma_f32 v13, 0x3fb8aa3b, v10, -v11
	v_sub_f32_e32 v11, v11, v12
	s_delay_alu instid0(VALU_DEP_2) | instskip(SKIP_1) | instid1(VALU_DEP_2)
	v_fmamk_f32 v13, v10, 0x32a5705f, v13
	v_cvt_i32_f32_e32 v12, v12
	v_add_f32_e32 v11, v11, v13
	s_delay_alu instid0(VALU_DEP_1) | instskip(SKIP_1) | instid1(TRANS32_DEP_1)
	v_exp_f32_e32 v11, v11
	v_nop
	v_ldexp_f32 v11, v11, v12
	s_delay_alu instid0(VALU_DEP_1) | instskip(SKIP_1) | instid1(VALU_DEP_2)
	v_cndmask_b32_e32 v11, 0, v11, vcc_lo
	v_cmp_nlt_f32_e32 vcc_lo, 0x42b17218, v10
	v_cndmask_b32_e32 v10, 0x7f800000, v11, vcc_lo
	s_delay_alu instid0(VALU_DEP_1) | instskip(NEXT) | instid1(VALU_DEP_1)
	v_dual_mul_f32 v9, v10, v9 :: v_dual_add_f32 v10, 1.0, v10
	v_div_scale_f32 v11, null, v10, v10, v9
	s_delay_alu instid0(VALU_DEP_1) | instskip(SKIP_1) | instid1(TRANS32_DEP_1)
	v_rcp_f32_e32 v12, v11
	v_nop
	v_fma_f32 v13, -v11, v12, 1.0
	s_delay_alu instid0(VALU_DEP_1) | instskip(SKIP_1) | instid1(VALU_DEP_1)
	v_fmac_f32_e32 v12, v13, v12
	v_div_scale_f32 v13, vcc_lo, v9, v10, v9
	v_mul_f32_e32 v30, v13, v12
	s_delay_alu instid0(VALU_DEP_1) | instskip(NEXT) | instid1(VALU_DEP_1)
	v_fma_f32 v31, -v11, v30, v13
	v_fmac_f32_e32 v30, v31, v12
	s_delay_alu instid0(VALU_DEP_1) | instskip(NEXT) | instid1(VALU_DEP_1)
	v_fma_f32 v11, -v11, v30, v13
	v_div_fmas_f32 v11, v11, v12, v30
	s_delay_alu instid0(VALU_DEP_1)
	v_div_fixup_f32 v9, v11, v10, v9
.LBB55_67:
	s_or_b32 exec_lo, exec_lo, s10
	s_add_nc_u64 s[10:11], s[4:5], s[8:9]
	s_clause 0x7
	global_store_b128 v1, v[2:5], s[10:11]
	global_store_b128 v1, v[14:17], s[10:11] offset:16
	global_store_b128 v1, v[22:25], s[10:11] offset:16384
	;; [unrolled: 1-line block ×7, first 2 shown]
	s_branch .LBB55_2
.LBB55_68:
	s_wait_xcnt 0x0
	s_clause 0x1
	s_load_b32 s10, s[0:1], 0x2c
	s_load_b128 s[16:19], s[0:1], 0x30
	v_dual_mov_b32 v31, v0 :: v_dual_mov_b32 v0, s13
	v_dual_mov_b32 v1, s14 :: v_dual_mov_b32 v2, s4
	;; [unrolled: 1-line block ×5, first 2 shown]
	s_add_nc_u64 s[8:9], s[0:1], 64
	s_wait_xcnt 0x0
	s_get_pc_i64 s[0:1]
	s_add_nc_u64 s[0:1], s[0:1], _ZN2at6native25elementwise_kernel_helperILb1EZZZNS0_12_GLOBAL__N_124softplus_backward_kernelERNS_18TensorIteratorBaseERKN3c106ScalarES8_ENKUlvE_clEvENKUlvE0_clEvEUlffE_NS0_6memory8policies11unroll_baseILi512ESt5arrayIPcLm3EE23TrivialOffsetCalculatorILi2EjESI_ILi1EjENSC_12LoadWithCastILi2EEENSC_13StoreWithCastILi1EEELi32ELi1EEEEEvT0_T1_@rel64+4
	s_wait_kmcnt 0x0
	s_bfe_u32 s11, s10, 0x80008
	v_dual_mov_b32 v9, s10 :: v_dual_mov_b32 v11, s16
	v_dual_mov_b32 v12, s17 :: v_dual_mov_b32 v13, s18
	;; [unrolled: 1-line block ×3, first 2 shown]
	s_swap_pc_i64 s[30:31], s[0:1]
	s_endpgm
	.section	.rodata,"a",@progbits
	.p2align	6, 0x0
	.amdhsa_kernel _ZN2at6native39vectorized_templated_elementwise_kernelILi8EZZZNS0_12_GLOBAL__N_124softplus_backward_kernelERNS_18TensorIteratorBaseERKN3c106ScalarES8_ENKUlvE_clEvENKUlvE0_clEvEUlffE_St5arrayIPcLm3EE23TrivialOffsetCalculatorILi2EjESF_ILi1EjENS0_6memory12LoadWithCastILi2EEENSI_13StoreWithCastILi1EEEfJNS5_8BFloat16EfEEEviT0_T1_T2_T3_T4_T5_
		.amdhsa_group_segment_fixed_size 0
		.amdhsa_private_segment_fixed_size 272
		.amdhsa_kernarg_size 320
		.amdhsa_user_sgpr_count 2
		.amdhsa_user_sgpr_dispatch_ptr 0
		.amdhsa_user_sgpr_queue_ptr 0
		.amdhsa_user_sgpr_kernarg_segment_ptr 1
		.amdhsa_user_sgpr_dispatch_id 0
		.amdhsa_user_sgpr_kernarg_preload_length 0
		.amdhsa_user_sgpr_kernarg_preload_offset 0
		.amdhsa_user_sgpr_private_segment_size 0
		.amdhsa_wavefront_size32 1
		.amdhsa_uses_dynamic_stack 0
		.amdhsa_enable_private_segment 1
		.amdhsa_system_sgpr_workgroup_id_x 1
		.amdhsa_system_sgpr_workgroup_id_y 0
		.amdhsa_system_sgpr_workgroup_id_z 0
		.amdhsa_system_sgpr_workgroup_info 0
		.amdhsa_system_vgpr_workitem_id 0
		.amdhsa_next_free_vgpr 132
		.amdhsa_next_free_sgpr 96
		.amdhsa_named_barrier_count 0
		.amdhsa_reserve_vcc 1
		.amdhsa_float_round_mode_32 0
		.amdhsa_float_round_mode_16_64 0
		.amdhsa_float_denorm_mode_32 3
		.amdhsa_float_denorm_mode_16_64 3
		.amdhsa_fp16_overflow 0
		.amdhsa_memory_ordered 1
		.amdhsa_forward_progress 1
		.amdhsa_inst_pref_size 66
		.amdhsa_round_robin_scheduling 0
		.amdhsa_exception_fp_ieee_invalid_op 0
		.amdhsa_exception_fp_denorm_src 0
		.amdhsa_exception_fp_ieee_div_zero 0
		.amdhsa_exception_fp_ieee_overflow 0
		.amdhsa_exception_fp_ieee_underflow 0
		.amdhsa_exception_fp_ieee_inexact 0
		.amdhsa_exception_int_div_zero 0
	.end_amdhsa_kernel
	.section	.text._ZN2at6native39vectorized_templated_elementwise_kernelILi8EZZZNS0_12_GLOBAL__N_124softplus_backward_kernelERNS_18TensorIteratorBaseERKN3c106ScalarES8_ENKUlvE_clEvENKUlvE0_clEvEUlffE_St5arrayIPcLm3EE23TrivialOffsetCalculatorILi2EjESF_ILi1EjENS0_6memory12LoadWithCastILi2EEENSI_13StoreWithCastILi1EEEfJNS5_8BFloat16EfEEEviT0_T1_T2_T3_T4_T5_,"axG",@progbits,_ZN2at6native39vectorized_templated_elementwise_kernelILi8EZZZNS0_12_GLOBAL__N_124softplus_backward_kernelERNS_18TensorIteratorBaseERKN3c106ScalarES8_ENKUlvE_clEvENKUlvE0_clEvEUlffE_St5arrayIPcLm3EE23TrivialOffsetCalculatorILi2EjESF_ILi1EjENS0_6memory12LoadWithCastILi2EEENSI_13StoreWithCastILi1EEEfJNS5_8BFloat16EfEEEviT0_T1_T2_T3_T4_T5_,comdat
.Lfunc_end55:
	.size	_ZN2at6native39vectorized_templated_elementwise_kernelILi8EZZZNS0_12_GLOBAL__N_124softplus_backward_kernelERNS_18TensorIteratorBaseERKN3c106ScalarES8_ENKUlvE_clEvENKUlvE0_clEvEUlffE_St5arrayIPcLm3EE23TrivialOffsetCalculatorILi2EjESF_ILi1EjENS0_6memory12LoadWithCastILi2EEENSI_13StoreWithCastILi1EEEfJNS5_8BFloat16EfEEEviT0_T1_T2_T3_T4_T5_, .Lfunc_end55-_ZN2at6native39vectorized_templated_elementwise_kernelILi8EZZZNS0_12_GLOBAL__N_124softplus_backward_kernelERNS_18TensorIteratorBaseERKN3c106ScalarES8_ENKUlvE_clEvENKUlvE0_clEvEUlffE_St5arrayIPcLm3EE23TrivialOffsetCalculatorILi2EjESF_ILi1EjENS0_6memory12LoadWithCastILi2EEENSI_13StoreWithCastILi1EEEfJNS5_8BFloat16EfEEEviT0_T1_T2_T3_T4_T5_
                                        ; -- End function
	.set _ZN2at6native39vectorized_templated_elementwise_kernelILi8EZZZNS0_12_GLOBAL__N_124softplus_backward_kernelERNS_18TensorIteratorBaseERKN3c106ScalarES8_ENKUlvE_clEvENKUlvE0_clEvEUlffE_St5arrayIPcLm3EE23TrivialOffsetCalculatorILi2EjESF_ILi1EjENS0_6memory12LoadWithCastILi2EEENSI_13StoreWithCastILi1EEEfJNS5_8BFloat16EfEEEviT0_T1_T2_T3_T4_T5_.num_vgpr, max(56, .L_ZN2at6native25elementwise_kernel_helperILb1EZZZNS0_12_GLOBAL__N_124softplus_backward_kernelERNS_18TensorIteratorBaseERKN3c106ScalarES8_ENKUlvE_clEvENKUlvE0_clEvEUlffE_NS0_6memory8policies11unroll_baseILi512ESt5arrayIPcLm3EE23TrivialOffsetCalculatorILi2EjESI_ILi1EjENSC_12LoadWithCastILi2EEENSC_13StoreWithCastILi1EEELi32ELi1EEEEEvT0_T1_.num_vgpr)
	.set _ZN2at6native39vectorized_templated_elementwise_kernelILi8EZZZNS0_12_GLOBAL__N_124softplus_backward_kernelERNS_18TensorIteratorBaseERKN3c106ScalarES8_ENKUlvE_clEvENKUlvE0_clEvEUlffE_St5arrayIPcLm3EE23TrivialOffsetCalculatorILi2EjESF_ILi1EjENS0_6memory12LoadWithCastILi2EEENSI_13StoreWithCastILi1EEEfJNS5_8BFloat16EfEEEviT0_T1_T2_T3_T4_T5_.num_agpr, max(0, .L_ZN2at6native25elementwise_kernel_helperILb1EZZZNS0_12_GLOBAL__N_124softplus_backward_kernelERNS_18TensorIteratorBaseERKN3c106ScalarES8_ENKUlvE_clEvENKUlvE0_clEvEUlffE_NS0_6memory8policies11unroll_baseILi512ESt5arrayIPcLm3EE23TrivialOffsetCalculatorILi2EjESI_ILi1EjENSC_12LoadWithCastILi2EEENSC_13StoreWithCastILi1EEELi32ELi1EEEEEvT0_T1_.num_agpr)
	.set _ZN2at6native39vectorized_templated_elementwise_kernelILi8EZZZNS0_12_GLOBAL__N_124softplus_backward_kernelERNS_18TensorIteratorBaseERKN3c106ScalarES8_ENKUlvE_clEvENKUlvE0_clEvEUlffE_St5arrayIPcLm3EE23TrivialOffsetCalculatorILi2EjESF_ILi1EjENS0_6memory12LoadWithCastILi2EEENSI_13StoreWithCastILi1EEEfJNS5_8BFloat16EfEEEviT0_T1_T2_T3_T4_T5_.numbered_sgpr, max(33, .L_ZN2at6native25elementwise_kernel_helperILb1EZZZNS0_12_GLOBAL__N_124softplus_backward_kernelERNS_18TensorIteratorBaseERKN3c106ScalarES8_ENKUlvE_clEvENKUlvE0_clEvEUlffE_NS0_6memory8policies11unroll_baseILi512ESt5arrayIPcLm3EE23TrivialOffsetCalculatorILi2EjESI_ILi1EjENSC_12LoadWithCastILi2EEENSC_13StoreWithCastILi1EEELi32ELi1EEEEEvT0_T1_.numbered_sgpr)
	.set _ZN2at6native39vectorized_templated_elementwise_kernelILi8EZZZNS0_12_GLOBAL__N_124softplus_backward_kernelERNS_18TensorIteratorBaseERKN3c106ScalarES8_ENKUlvE_clEvENKUlvE0_clEvEUlffE_St5arrayIPcLm3EE23TrivialOffsetCalculatorILi2EjESF_ILi1EjENS0_6memory12LoadWithCastILi2EEENSI_13StoreWithCastILi1EEEfJNS5_8BFloat16EfEEEviT0_T1_T2_T3_T4_T5_.num_named_barrier, max(0, .L_ZN2at6native25elementwise_kernel_helperILb1EZZZNS0_12_GLOBAL__N_124softplus_backward_kernelERNS_18TensorIteratorBaseERKN3c106ScalarES8_ENKUlvE_clEvENKUlvE0_clEvEUlffE_NS0_6memory8policies11unroll_baseILi512ESt5arrayIPcLm3EE23TrivialOffsetCalculatorILi2EjESI_ILi1EjENSC_12LoadWithCastILi2EEENSC_13StoreWithCastILi1EEELi32ELi1EEEEEvT0_T1_.num_named_barrier)
	.set _ZN2at6native39vectorized_templated_elementwise_kernelILi8EZZZNS0_12_GLOBAL__N_124softplus_backward_kernelERNS_18TensorIteratorBaseERKN3c106ScalarES8_ENKUlvE_clEvENKUlvE0_clEvEUlffE_St5arrayIPcLm3EE23TrivialOffsetCalculatorILi2EjESF_ILi1EjENS0_6memory12LoadWithCastILi2EEENSI_13StoreWithCastILi1EEEfJNS5_8BFloat16EfEEEviT0_T1_T2_T3_T4_T5_.private_seg_size, 0+max(.L_ZN2at6native25elementwise_kernel_helperILb1EZZZNS0_12_GLOBAL__N_124softplus_backward_kernelERNS_18TensorIteratorBaseERKN3c106ScalarES8_ENKUlvE_clEvENKUlvE0_clEvEUlffE_NS0_6memory8policies11unroll_baseILi512ESt5arrayIPcLm3EE23TrivialOffsetCalculatorILi2EjESI_ILi1EjENSC_12LoadWithCastILi2EEENSC_13StoreWithCastILi1EEELi32ELi1EEEEEvT0_T1_.private_seg_size)
	.set _ZN2at6native39vectorized_templated_elementwise_kernelILi8EZZZNS0_12_GLOBAL__N_124softplus_backward_kernelERNS_18TensorIteratorBaseERKN3c106ScalarES8_ENKUlvE_clEvENKUlvE0_clEvEUlffE_St5arrayIPcLm3EE23TrivialOffsetCalculatorILi2EjESF_ILi1EjENS0_6memory12LoadWithCastILi2EEENSI_13StoreWithCastILi1EEEfJNS5_8BFloat16EfEEEviT0_T1_T2_T3_T4_T5_.uses_vcc, or(1, .L_ZN2at6native25elementwise_kernel_helperILb1EZZZNS0_12_GLOBAL__N_124softplus_backward_kernelERNS_18TensorIteratorBaseERKN3c106ScalarES8_ENKUlvE_clEvENKUlvE0_clEvEUlffE_NS0_6memory8policies11unroll_baseILi512ESt5arrayIPcLm3EE23TrivialOffsetCalculatorILi2EjESI_ILi1EjENSC_12LoadWithCastILi2EEENSC_13StoreWithCastILi1EEELi32ELi1EEEEEvT0_T1_.uses_vcc)
	.set _ZN2at6native39vectorized_templated_elementwise_kernelILi8EZZZNS0_12_GLOBAL__N_124softplus_backward_kernelERNS_18TensorIteratorBaseERKN3c106ScalarES8_ENKUlvE_clEvENKUlvE0_clEvEUlffE_St5arrayIPcLm3EE23TrivialOffsetCalculatorILi2EjESF_ILi1EjENS0_6memory12LoadWithCastILi2EEENSI_13StoreWithCastILi1EEEfJNS5_8BFloat16EfEEEviT0_T1_T2_T3_T4_T5_.uses_flat_scratch, or(0, .L_ZN2at6native25elementwise_kernel_helperILb1EZZZNS0_12_GLOBAL__N_124softplus_backward_kernelERNS_18TensorIteratorBaseERKN3c106ScalarES8_ENKUlvE_clEvENKUlvE0_clEvEUlffE_NS0_6memory8policies11unroll_baseILi512ESt5arrayIPcLm3EE23TrivialOffsetCalculatorILi2EjESI_ILi1EjENSC_12LoadWithCastILi2EEENSC_13StoreWithCastILi1EEELi32ELi1EEEEEvT0_T1_.uses_flat_scratch)
	.set _ZN2at6native39vectorized_templated_elementwise_kernelILi8EZZZNS0_12_GLOBAL__N_124softplus_backward_kernelERNS_18TensorIteratorBaseERKN3c106ScalarES8_ENKUlvE_clEvENKUlvE0_clEvEUlffE_St5arrayIPcLm3EE23TrivialOffsetCalculatorILi2EjESF_ILi1EjENS0_6memory12LoadWithCastILi2EEENSI_13StoreWithCastILi1EEEfJNS5_8BFloat16EfEEEviT0_T1_T2_T3_T4_T5_.has_dyn_sized_stack, or(0, .L_ZN2at6native25elementwise_kernel_helperILb1EZZZNS0_12_GLOBAL__N_124softplus_backward_kernelERNS_18TensorIteratorBaseERKN3c106ScalarES8_ENKUlvE_clEvENKUlvE0_clEvEUlffE_NS0_6memory8policies11unroll_baseILi512ESt5arrayIPcLm3EE23TrivialOffsetCalculatorILi2EjESI_ILi1EjENSC_12LoadWithCastILi2EEENSC_13StoreWithCastILi1EEELi32ELi1EEEEEvT0_T1_.has_dyn_sized_stack)
	.set _ZN2at6native39vectorized_templated_elementwise_kernelILi8EZZZNS0_12_GLOBAL__N_124softplus_backward_kernelERNS_18TensorIteratorBaseERKN3c106ScalarES8_ENKUlvE_clEvENKUlvE0_clEvEUlffE_St5arrayIPcLm3EE23TrivialOffsetCalculatorILi2EjESF_ILi1EjENS0_6memory12LoadWithCastILi2EEENSI_13StoreWithCastILi1EEEfJNS5_8BFloat16EfEEEviT0_T1_T2_T3_T4_T5_.has_recursion, or(0, .L_ZN2at6native25elementwise_kernel_helperILb1EZZZNS0_12_GLOBAL__N_124softplus_backward_kernelERNS_18TensorIteratorBaseERKN3c106ScalarES8_ENKUlvE_clEvENKUlvE0_clEvEUlffE_NS0_6memory8policies11unroll_baseILi512ESt5arrayIPcLm3EE23TrivialOffsetCalculatorILi2EjESI_ILi1EjENSC_12LoadWithCastILi2EEENSC_13StoreWithCastILi1EEELi32ELi1EEEEEvT0_T1_.has_recursion)
	.set _ZN2at6native39vectorized_templated_elementwise_kernelILi8EZZZNS0_12_GLOBAL__N_124softplus_backward_kernelERNS_18TensorIteratorBaseERKN3c106ScalarES8_ENKUlvE_clEvENKUlvE0_clEvEUlffE_St5arrayIPcLm3EE23TrivialOffsetCalculatorILi2EjESF_ILi1EjENS0_6memory12LoadWithCastILi2EEENSI_13StoreWithCastILi1EEEfJNS5_8BFloat16EfEEEviT0_T1_T2_T3_T4_T5_.has_indirect_call, or(0, .L_ZN2at6native25elementwise_kernel_helperILb1EZZZNS0_12_GLOBAL__N_124softplus_backward_kernelERNS_18TensorIteratorBaseERKN3c106ScalarES8_ENKUlvE_clEvENKUlvE0_clEvEUlffE_NS0_6memory8policies11unroll_baseILi512ESt5arrayIPcLm3EE23TrivialOffsetCalculatorILi2EjESI_ILi1EjENSC_12LoadWithCastILi2EEENSC_13StoreWithCastILi1EEELi32ELi1EEEEEvT0_T1_.has_indirect_call)
	.section	.AMDGPU.csdata,"",@progbits
; Kernel info:
; codeLenInByte = 8372
; TotalNumSgprs: 98
; NumVgprs: 132
; ScratchSize: 272
; MemoryBound: 0
; FloatMode: 240
; IeeeMode: 1
; LDSByteSize: 0 bytes/workgroup (compile time only)
; SGPRBlocks: 0
; VGPRBlocks: 8
; NumSGPRsForWavesPerEU: 98
; NumVGPRsForWavesPerEU: 132
; NamedBarCnt: 0
; Occupancy: 7
; WaveLimiterHint : 1
; COMPUTE_PGM_RSRC2:SCRATCH_EN: 1
; COMPUTE_PGM_RSRC2:USER_SGPR: 2
; COMPUTE_PGM_RSRC2:TRAP_HANDLER: 0
; COMPUTE_PGM_RSRC2:TGID_X_EN: 1
; COMPUTE_PGM_RSRC2:TGID_Y_EN: 0
; COMPUTE_PGM_RSRC2:TGID_Z_EN: 0
; COMPUTE_PGM_RSRC2:TIDIG_COMP_CNT: 0
	.section	.text._ZN2at6native39vectorized_templated_elementwise_kernelILi4EZZZNS0_12_GLOBAL__N_124softplus_backward_kernelERNS_18TensorIteratorBaseERKN3c106ScalarES8_ENKUlvE_clEvENKUlvE0_clEvEUlffE_St5arrayIPcLm3EE23TrivialOffsetCalculatorILi2EjESF_ILi1EjENS0_6memory12LoadWithCastILi2EEENSI_13StoreWithCastILi1EEEfJNS5_8BFloat16EfEEEviT0_T1_T2_T3_T4_T5_,"axG",@progbits,_ZN2at6native39vectorized_templated_elementwise_kernelILi4EZZZNS0_12_GLOBAL__N_124softplus_backward_kernelERNS_18TensorIteratorBaseERKN3c106ScalarES8_ENKUlvE_clEvENKUlvE0_clEvEUlffE_St5arrayIPcLm3EE23TrivialOffsetCalculatorILi2EjESF_ILi1EjENS0_6memory12LoadWithCastILi2EEENSI_13StoreWithCastILi1EEEfJNS5_8BFloat16EfEEEviT0_T1_T2_T3_T4_T5_,comdat
	.globl	_ZN2at6native39vectorized_templated_elementwise_kernelILi4EZZZNS0_12_GLOBAL__N_124softplus_backward_kernelERNS_18TensorIteratorBaseERKN3c106ScalarES8_ENKUlvE_clEvENKUlvE0_clEvEUlffE_St5arrayIPcLm3EE23TrivialOffsetCalculatorILi2EjESF_ILi1EjENS0_6memory12LoadWithCastILi2EEENSI_13StoreWithCastILi1EEEfJNS5_8BFloat16EfEEEviT0_T1_T2_T3_T4_T5_ ; -- Begin function _ZN2at6native39vectorized_templated_elementwise_kernelILi4EZZZNS0_12_GLOBAL__N_124softplus_backward_kernelERNS_18TensorIteratorBaseERKN3c106ScalarES8_ENKUlvE_clEvENKUlvE0_clEvEUlffE_St5arrayIPcLm3EE23TrivialOffsetCalculatorILi2EjESF_ILi1EjENS0_6memory12LoadWithCastILi2EEENSI_13StoreWithCastILi1EEEfJNS5_8BFloat16EfEEEviT0_T1_T2_T3_T4_T5_
	.p2align	8
	.type	_ZN2at6native39vectorized_templated_elementwise_kernelILi4EZZZNS0_12_GLOBAL__N_124softplus_backward_kernelERNS_18TensorIteratorBaseERKN3c106ScalarES8_ENKUlvE_clEvENKUlvE0_clEvEUlffE_St5arrayIPcLm3EE23TrivialOffsetCalculatorILi2EjESF_ILi1EjENS0_6memory12LoadWithCastILi2EEENSI_13StoreWithCastILi1EEEfJNS5_8BFloat16EfEEEviT0_T1_T2_T3_T4_T5_,@function
_ZN2at6native39vectorized_templated_elementwise_kernelILi4EZZZNS0_12_GLOBAL__N_124softplus_backward_kernelERNS_18TensorIteratorBaseERKN3c106ScalarES8_ENKUlvE_clEvENKUlvE0_clEvEUlffE_St5arrayIPcLm3EE23TrivialOffsetCalculatorILi2EjESF_ILi1EjENS0_6memory12LoadWithCastILi2EEENSI_13StoreWithCastILi1EEEfJNS5_8BFloat16EfEEEviT0_T1_T2_T3_T4_T5_: ; @_ZN2at6native39vectorized_templated_elementwise_kernelILi4EZZZNS0_12_GLOBAL__N_124softplus_backward_kernelERNS_18TensorIteratorBaseERKN3c106ScalarES8_ENKUlvE_clEvENKUlvE0_clEvEUlffE_St5arrayIPcLm3EE23TrivialOffsetCalculatorILi2EjESF_ILi1EjENS0_6memory12LoadWithCastILi2EEENSI_13StoreWithCastILi1EEEfJNS5_8BFloat16EfEEEviT0_T1_T2_T3_T4_T5_
; %bb.0:
	s_clause 0x2
	s_load_b32 s8, s[0:1], 0x40
	s_load_b96 s[12:14], s[0:1], 0x0
	s_load_b64 s[2:3], s[0:1], 0x20
	s_bfe_u32 s9, ttmp6, 0x4000c
	s_load_b128 s[4:7], s[0:1], 0x10
	s_add_co_i32 s9, s9, 1
	s_and_b32 s10, ttmp6, 15
	s_mul_i32 s9, ttmp9, s9
	s_getreg_b32 s11, hwreg(HW_REG_IB_STS2, 6, 4)
	s_add_co_i32 s10, s10, s9
	s_cmp_eq_u32 s11, 0
	s_mov_b32 s32, 0
	s_cselect_b32 s9, ttmp9, s10
	s_delay_alu instid0(SALU_CYCLE_1) | instskip(SKIP_4) | instid1(SALU_CYCLE_1)
	s_not_b32 s9, s9
	s_wait_kmcnt 0x0
	s_add_co_i32 s8, s8, s9
	s_mov_b32 s9, -1
	s_lshl_b32 s8, s8, 14
	s_sub_co_i32 s10, s12, s8
	s_delay_alu instid0(SALU_CYCLE_1)
	s_cmp_gt_i32 s10, 0x3fff
	s_cbranch_scc1 .LBB56_3
; %bb.1:
	s_and_b32 vcc_lo, exec_lo, s9
	s_cbranch_vccnz .LBB56_68
.LBB56_2:
	s_sendmsg sendmsg(MSG_DEALLOC_VGPRS)
	s_endpgm
.LBB56_3:
	s_ashr_i32 s9, s8, 31
	s_mov_b32 s11, exec_lo
	s_lshl_b64 s[16:17], s[8:9], 1
	s_lshl_b64 s[8:9], s[8:9], 2
	s_add_nc_u64 s[16:17], s[6:7], s[16:17]
	s_add_nc_u64 s[18:19], s[2:3], s[8:9]
	s_clause 0xf
	global_load_b64 v[48:49], v0, s[16:17] scale_offset
	global_load_b64 v[46:47], v0, s[16:17] offset:4096 scale_offset
	global_load_b64 v[44:45], v0, s[16:17] offset:8192 scale_offset
	;; [unrolled: 1-line block ×3, first 2 shown]
	global_load_b128 v[2:5], v0, s[18:19] scale_offset
	global_load_b64 v[40:41], v0, s[16:17] offset:16384 scale_offset
	global_load_b64 v[38:39], v0, s[16:17] offset:20480 scale_offset
	;; [unrolled: 1-line block ×4, first 2 shown]
	global_load_b128 v[10:13], v0, s[18:19] offset:8192 scale_offset
	global_load_b128 v[18:21], v0, s[18:19] offset:16384 scale_offset
	;; [unrolled: 1-line block ×6, first 2 shown]
	; meta instruction
	global_load_b128 v[6:9], v0, s[18:19] offset:57344 scale_offset
	s_wait_loadcnt 0xb
	v_dual_mul_f32 v1, s13, v2 :: v_dual_lshlrev_b32 v2, 16, v48
	s_wait_xcnt 0x0
	s_delay_alu instid0(VALU_DEP_1)
	v_cmpx_nlt_f32_e32 s14, v1
	s_cbranch_execz .LBB56_5
; %bb.4:
	v_mul_f32_e32 v50, 0x3fb8aa3b, v1
	v_cmp_ngt_f32_e32 vcc_lo, 0xc2ce8ed0, v1
	s_delay_alu instid0(VALU_DEP_2) | instskip(SKIP_1) | instid1(VALU_DEP_2)
	v_rndne_f32_e32 v51, v50
	v_fma_f32 v52, 0x3fb8aa3b, v1, -v50
	v_sub_f32_e32 v50, v50, v51
	s_delay_alu instid0(VALU_DEP_2) | instskip(SKIP_1) | instid1(VALU_DEP_2)
	v_fmamk_f32 v52, v1, 0x32a5705f, v52
	v_cvt_i32_f32_e32 v51, v51
	v_add_f32_e32 v50, v50, v52
	s_delay_alu instid0(VALU_DEP_1) | instskip(SKIP_1) | instid1(TRANS32_DEP_1)
	v_exp_f32_e32 v50, v50
	v_nop
	v_ldexp_f32 v50, v50, v51
	s_delay_alu instid0(VALU_DEP_1) | instskip(SKIP_1) | instid1(VALU_DEP_2)
	v_cndmask_b32_e32 v50, 0, v50, vcc_lo
	v_cmp_nlt_f32_e32 vcc_lo, 0x42b17218, v1
	v_cndmask_b32_e32 v1, 0x7f800000, v50, vcc_lo
	s_delay_alu instid0(VALU_DEP_1) | instskip(NEXT) | instid1(VALU_DEP_1)
	v_dual_mul_f32 v2, v1, v2 :: v_dual_add_f32 v1, 1.0, v1
	v_div_scale_f32 v50, null, v1, v1, v2
	s_delay_alu instid0(VALU_DEP_1) | instskip(SKIP_1) | instid1(TRANS32_DEP_1)
	v_rcp_f32_e32 v51, v50
	v_nop
	v_fma_f32 v52, -v50, v51, 1.0
	s_delay_alu instid0(VALU_DEP_1) | instskip(SKIP_1) | instid1(VALU_DEP_1)
	v_fmac_f32_e32 v51, v52, v51
	v_div_scale_f32 v52, vcc_lo, v2, v1, v2
	v_mul_f32_e32 v53, v52, v51
	s_delay_alu instid0(VALU_DEP_1) | instskip(NEXT) | instid1(VALU_DEP_1)
	v_fma_f32 v54, -v50, v53, v52
	v_fmac_f32_e32 v53, v54, v51
	s_delay_alu instid0(VALU_DEP_1) | instskip(NEXT) | instid1(VALU_DEP_1)
	v_fma_f32 v50, -v50, v53, v52
	v_div_fmas_f32 v50, v50, v51, v53
	s_delay_alu instid0(VALU_DEP_1)
	v_div_fixup_f32 v2, v50, v1, v2
.LBB56_5:
	s_or_b32 exec_lo, exec_lo, s11
	v_mul_f32_e32 v1, s13, v3
	v_and_b32_e32 v3, 0xffff0000, v48
	s_mov_b32 s11, exec_lo
	s_delay_alu instid0(VALU_DEP_2)
	v_cmpx_nlt_f32_e32 s14, v1
	s_cbranch_execz .LBB56_7
; %bb.6:
	v_mul_f32_e32 v48, 0x3fb8aa3b, v1
	v_cmp_ngt_f32_e32 vcc_lo, 0xc2ce8ed0, v1
	s_delay_alu instid0(VALU_DEP_2) | instskip(SKIP_1) | instid1(VALU_DEP_1)
	v_rndne_f32_e32 v50, v48
	v_fma_f32 v51, 0x3fb8aa3b, v1, -v48
	v_dual_sub_f32 v48, v48, v50 :: v_dual_fmamk_f32 v51, v1, 0x32a5705f, v51
	v_cvt_i32_f32_e32 v50, v50
	s_delay_alu instid0(VALU_DEP_2) | instskip(NEXT) | instid1(VALU_DEP_1)
	v_add_f32_e32 v48, v48, v51
	v_exp_f32_e32 v48, v48
	v_nop
	s_delay_alu instid0(TRANS32_DEP_1) | instskip(NEXT) | instid1(VALU_DEP_1)
	v_ldexp_f32 v48, v48, v50
	v_cndmask_b32_e32 v48, 0, v48, vcc_lo
	v_cmp_nlt_f32_e32 vcc_lo, 0x42b17218, v1
	s_delay_alu instid0(VALU_DEP_2) | instskip(NEXT) | instid1(VALU_DEP_1)
	v_cndmask_b32_e32 v1, 0x7f800000, v48, vcc_lo
	v_dual_mul_f32 v3, v1, v3 :: v_dual_add_f32 v1, 1.0, v1
	s_delay_alu instid0(VALU_DEP_1) | instskip(NEXT) | instid1(VALU_DEP_1)
	v_div_scale_f32 v48, null, v1, v1, v3
	v_rcp_f32_e32 v50, v48
	v_nop
	s_delay_alu instid0(TRANS32_DEP_1) | instskip(NEXT) | instid1(VALU_DEP_1)
	v_fma_f32 v51, -v48, v50, 1.0
	v_fmac_f32_e32 v50, v51, v50
	v_div_scale_f32 v51, vcc_lo, v3, v1, v3
	s_delay_alu instid0(VALU_DEP_1) | instskip(NEXT) | instid1(VALU_DEP_1)
	v_mul_f32_e32 v52, v51, v50
	v_fma_f32 v53, -v48, v52, v51
	s_delay_alu instid0(VALU_DEP_1) | instskip(NEXT) | instid1(VALU_DEP_1)
	v_fmac_f32_e32 v52, v53, v50
	v_fma_f32 v48, -v48, v52, v51
	s_delay_alu instid0(VALU_DEP_1) | instskip(NEXT) | instid1(VALU_DEP_1)
	v_div_fmas_f32 v48, v48, v50, v52
	v_div_fixup_f32 v3, v48, v1, v3
.LBB56_7:
	s_or_b32 exec_lo, exec_lo, s11
	v_dual_mul_f32 v1, s13, v4 :: v_dual_lshlrev_b32 v4, 16, v49
	s_mov_b32 s11, exec_lo
	s_delay_alu instid0(VALU_DEP_1)
	v_cmpx_nlt_f32_e32 s14, v1
	s_cbranch_execz .LBB56_9
; %bb.8:
	v_mul_f32_e32 v48, 0x3fb8aa3b, v1
	v_cmp_ngt_f32_e32 vcc_lo, 0xc2ce8ed0, v1
	s_delay_alu instid0(VALU_DEP_2) | instskip(SKIP_1) | instid1(VALU_DEP_1)
	v_rndne_f32_e32 v50, v48
	v_fma_f32 v51, 0x3fb8aa3b, v1, -v48
	v_dual_sub_f32 v48, v48, v50 :: v_dual_fmamk_f32 v51, v1, 0x32a5705f, v51
	v_cvt_i32_f32_e32 v50, v50
	s_delay_alu instid0(VALU_DEP_2) | instskip(NEXT) | instid1(VALU_DEP_1)
	v_add_f32_e32 v48, v48, v51
	v_exp_f32_e32 v48, v48
	v_nop
	s_delay_alu instid0(TRANS32_DEP_1) | instskip(NEXT) | instid1(VALU_DEP_1)
	v_ldexp_f32 v48, v48, v50
	v_cndmask_b32_e32 v48, 0, v48, vcc_lo
	v_cmp_nlt_f32_e32 vcc_lo, 0x42b17218, v1
	s_delay_alu instid0(VALU_DEP_2) | instskip(NEXT) | instid1(VALU_DEP_1)
	v_cndmask_b32_e32 v1, 0x7f800000, v48, vcc_lo
	v_dual_mul_f32 v4, v1, v4 :: v_dual_add_f32 v1, 1.0, v1
	s_delay_alu instid0(VALU_DEP_1) | instskip(NEXT) | instid1(VALU_DEP_1)
	v_div_scale_f32 v48, null, v1, v1, v4
	v_rcp_f32_e32 v50, v48
	v_nop
	s_delay_alu instid0(TRANS32_DEP_1) | instskip(NEXT) | instid1(VALU_DEP_1)
	v_fma_f32 v51, -v48, v50, 1.0
	v_fmac_f32_e32 v50, v51, v50
	v_div_scale_f32 v51, vcc_lo, v4, v1, v4
	s_delay_alu instid0(VALU_DEP_1) | instskip(NEXT) | instid1(VALU_DEP_1)
	v_mul_f32_e32 v52, v51, v50
	v_fma_f32 v53, -v48, v52, v51
	s_delay_alu instid0(VALU_DEP_1) | instskip(NEXT) | instid1(VALU_DEP_1)
	v_fmac_f32_e32 v52, v53, v50
	v_fma_f32 v48, -v48, v52, v51
	s_delay_alu instid0(VALU_DEP_1) | instskip(NEXT) | instid1(VALU_DEP_1)
	v_div_fmas_f32 v48, v48, v50, v52
	v_div_fixup_f32 v4, v48, v1, v4
.LBB56_9:
	s_or_b32 exec_lo, exec_lo, s11
	v_mul_f32_e32 v1, s13, v5
	v_and_b32_e32 v5, 0xffff0000, v49
	s_mov_b32 s11, exec_lo
	s_delay_alu instid0(VALU_DEP_2)
	v_cmpx_nlt_f32_e32 s14, v1
	s_cbranch_execz .LBB56_11
; %bb.10:
	v_mul_f32_e32 v48, 0x3fb8aa3b, v1
	v_cmp_ngt_f32_e32 vcc_lo, 0xc2ce8ed0, v1
	s_delay_alu instid0(VALU_DEP_2) | instskip(SKIP_1) | instid1(VALU_DEP_2)
	v_rndne_f32_e32 v49, v48
	v_fma_f32 v50, 0x3fb8aa3b, v1, -v48
	v_sub_f32_e32 v48, v48, v49
	s_delay_alu instid0(VALU_DEP_2) | instskip(SKIP_1) | instid1(VALU_DEP_2)
	v_fmamk_f32 v50, v1, 0x32a5705f, v50
	v_cvt_i32_f32_e32 v49, v49
	v_add_f32_e32 v48, v48, v50
	s_delay_alu instid0(VALU_DEP_1) | instskip(SKIP_1) | instid1(TRANS32_DEP_1)
	v_exp_f32_e32 v48, v48
	v_nop
	v_ldexp_f32 v48, v48, v49
	s_delay_alu instid0(VALU_DEP_1) | instskip(SKIP_1) | instid1(VALU_DEP_2)
	v_cndmask_b32_e32 v48, 0, v48, vcc_lo
	v_cmp_nlt_f32_e32 vcc_lo, 0x42b17218, v1
	v_cndmask_b32_e32 v1, 0x7f800000, v48, vcc_lo
	s_delay_alu instid0(VALU_DEP_1) | instskip(SKIP_1) | instid1(VALU_DEP_1)
	v_mul_f32_e32 v5, v1, v5
	v_add_f32_e32 v1, 1.0, v1
	v_div_scale_f32 v48, null, v1, v1, v5
	s_delay_alu instid0(VALU_DEP_1) | instskip(SKIP_1) | instid1(TRANS32_DEP_1)
	v_rcp_f32_e32 v49, v48
	v_nop
	v_fma_f32 v50, -v48, v49, 1.0
	s_delay_alu instid0(VALU_DEP_1) | instskip(SKIP_1) | instid1(VALU_DEP_1)
	v_fmac_f32_e32 v49, v50, v49
	v_div_scale_f32 v50, vcc_lo, v5, v1, v5
	v_mul_f32_e32 v51, v50, v49
	s_delay_alu instid0(VALU_DEP_1) | instskip(NEXT) | instid1(VALU_DEP_1)
	v_fma_f32 v52, -v48, v51, v50
	v_fmac_f32_e32 v51, v52, v49
	s_delay_alu instid0(VALU_DEP_1) | instskip(NEXT) | instid1(VALU_DEP_1)
	v_fma_f32 v48, -v48, v51, v50
	v_div_fmas_f32 v48, v48, v49, v51
	s_delay_alu instid0(VALU_DEP_1)
	v_div_fixup_f32 v5, v48, v1, v5
.LBB56_11:
	s_or_b32 exec_lo, exec_lo, s11
	s_wait_loadcnt 0x6
	v_mul_f32_e32 v1, s13, v10
	v_lshlrev_b32_e32 v10, 16, v46
	s_mov_b32 s11, exec_lo
	s_delay_alu instid0(VALU_DEP_2)
	v_cmpx_nlt_f32_e32 s14, v1
	s_cbranch_execz .LBB56_13
; %bb.12:
	v_mul_f32_e32 v48, 0x3fb8aa3b, v1
	v_cmp_ngt_f32_e32 vcc_lo, 0xc2ce8ed0, v1
	s_delay_alu instid0(VALU_DEP_2) | instskip(SKIP_1) | instid1(VALU_DEP_2)
	v_rndne_f32_e32 v49, v48
	v_fma_f32 v50, 0x3fb8aa3b, v1, -v48
	v_sub_f32_e32 v48, v48, v49
	s_delay_alu instid0(VALU_DEP_2) | instskip(SKIP_1) | instid1(VALU_DEP_2)
	v_fmamk_f32 v50, v1, 0x32a5705f, v50
	v_cvt_i32_f32_e32 v49, v49
	v_add_f32_e32 v48, v48, v50
	s_delay_alu instid0(VALU_DEP_1) | instskip(SKIP_1) | instid1(TRANS32_DEP_1)
	v_exp_f32_e32 v48, v48
	v_nop
	v_ldexp_f32 v48, v48, v49
	s_delay_alu instid0(VALU_DEP_1) | instskip(SKIP_1) | instid1(VALU_DEP_2)
	v_cndmask_b32_e32 v48, 0, v48, vcc_lo
	v_cmp_nlt_f32_e32 vcc_lo, 0x42b17218, v1
	v_cndmask_b32_e32 v1, 0x7f800000, v48, vcc_lo
	s_delay_alu instid0(VALU_DEP_1) | instskip(NEXT) | instid1(VALU_DEP_1)
	v_dual_mul_f32 v10, v1, v10 :: v_dual_add_f32 v1, 1.0, v1
	v_div_scale_f32 v48, null, v1, v1, v10
	s_delay_alu instid0(VALU_DEP_1) | instskip(SKIP_1) | instid1(TRANS32_DEP_1)
	v_rcp_f32_e32 v49, v48
	v_nop
	v_fma_f32 v50, -v48, v49, 1.0
	s_delay_alu instid0(VALU_DEP_1) | instskip(SKIP_1) | instid1(VALU_DEP_1)
	v_fmac_f32_e32 v49, v50, v49
	v_div_scale_f32 v50, vcc_lo, v10, v1, v10
	v_mul_f32_e32 v51, v50, v49
	s_delay_alu instid0(VALU_DEP_1) | instskip(NEXT) | instid1(VALU_DEP_1)
	v_fma_f32 v52, -v48, v51, v50
	v_fmac_f32_e32 v51, v52, v49
	s_delay_alu instid0(VALU_DEP_1) | instskip(NEXT) | instid1(VALU_DEP_1)
	v_fma_f32 v48, -v48, v51, v50
	v_div_fmas_f32 v48, v48, v49, v51
	s_delay_alu instid0(VALU_DEP_1)
	v_div_fixup_f32 v10, v48, v1, v10
.LBB56_13:
	s_or_b32 exec_lo, exec_lo, s11
	v_mul_f32_e32 v1, s13, v11
	v_and_b32_e32 v11, 0xffff0000, v46
	s_mov_b32 s11, exec_lo
	s_delay_alu instid0(VALU_DEP_2)
	v_cmpx_nlt_f32_e32 s14, v1
	s_cbranch_execz .LBB56_15
; %bb.14:
	v_mul_f32_e32 v46, 0x3fb8aa3b, v1
	v_cmp_ngt_f32_e32 vcc_lo, 0xc2ce8ed0, v1
	s_delay_alu instid0(VALU_DEP_2) | instskip(SKIP_1) | instid1(VALU_DEP_1)
	v_rndne_f32_e32 v48, v46
	v_fma_f32 v49, 0x3fb8aa3b, v1, -v46
	v_dual_sub_f32 v46, v46, v48 :: v_dual_fmamk_f32 v49, v1, 0x32a5705f, v49
	v_cvt_i32_f32_e32 v48, v48
	s_delay_alu instid0(VALU_DEP_2) | instskip(NEXT) | instid1(VALU_DEP_1)
	v_add_f32_e32 v46, v46, v49
	v_exp_f32_e32 v46, v46
	v_nop
	s_delay_alu instid0(TRANS32_DEP_1) | instskip(NEXT) | instid1(VALU_DEP_1)
	v_ldexp_f32 v46, v46, v48
	v_cndmask_b32_e32 v46, 0, v46, vcc_lo
	v_cmp_nlt_f32_e32 vcc_lo, 0x42b17218, v1
	s_delay_alu instid0(VALU_DEP_2) | instskip(NEXT) | instid1(VALU_DEP_1)
	v_cndmask_b32_e32 v1, 0x7f800000, v46, vcc_lo
	v_dual_mul_f32 v11, v1, v11 :: v_dual_add_f32 v1, 1.0, v1
	s_delay_alu instid0(VALU_DEP_1) | instskip(NEXT) | instid1(VALU_DEP_1)
	v_div_scale_f32 v46, null, v1, v1, v11
	v_rcp_f32_e32 v48, v46
	v_nop
	s_delay_alu instid0(TRANS32_DEP_1) | instskip(NEXT) | instid1(VALU_DEP_1)
	v_fma_f32 v49, -v46, v48, 1.0
	v_fmac_f32_e32 v48, v49, v48
	v_div_scale_f32 v49, vcc_lo, v11, v1, v11
	s_delay_alu instid0(VALU_DEP_1) | instskip(NEXT) | instid1(VALU_DEP_1)
	v_mul_f32_e32 v50, v49, v48
	v_fma_f32 v51, -v46, v50, v49
	s_delay_alu instid0(VALU_DEP_1) | instskip(NEXT) | instid1(VALU_DEP_1)
	v_fmac_f32_e32 v50, v51, v48
	v_fma_f32 v46, -v46, v50, v49
	s_delay_alu instid0(VALU_DEP_1) | instskip(NEXT) | instid1(VALU_DEP_1)
	v_div_fmas_f32 v46, v46, v48, v50
	v_div_fixup_f32 v11, v46, v1, v11
.LBB56_15:
	s_or_b32 exec_lo, exec_lo, s11
	v_dual_mul_f32 v1, s13, v12 :: v_dual_lshlrev_b32 v12, 16, v47
	s_mov_b32 s11, exec_lo
	s_delay_alu instid0(VALU_DEP_1)
	v_cmpx_nlt_f32_e32 s14, v1
	s_cbranch_execz .LBB56_17
; %bb.16:
	v_mul_f32_e32 v46, 0x3fb8aa3b, v1
	v_cmp_ngt_f32_e32 vcc_lo, 0xc2ce8ed0, v1
	s_delay_alu instid0(VALU_DEP_2) | instskip(SKIP_1) | instid1(VALU_DEP_1)
	v_rndne_f32_e32 v48, v46
	v_fma_f32 v49, 0x3fb8aa3b, v1, -v46
	v_dual_sub_f32 v46, v46, v48 :: v_dual_fmamk_f32 v49, v1, 0x32a5705f, v49
	v_cvt_i32_f32_e32 v48, v48
	s_delay_alu instid0(VALU_DEP_2) | instskip(NEXT) | instid1(VALU_DEP_1)
	v_add_f32_e32 v46, v46, v49
	v_exp_f32_e32 v46, v46
	v_nop
	s_delay_alu instid0(TRANS32_DEP_1) | instskip(NEXT) | instid1(VALU_DEP_1)
	v_ldexp_f32 v46, v46, v48
	v_cndmask_b32_e32 v46, 0, v46, vcc_lo
	v_cmp_nlt_f32_e32 vcc_lo, 0x42b17218, v1
	s_delay_alu instid0(VALU_DEP_2) | instskip(NEXT) | instid1(VALU_DEP_1)
	v_cndmask_b32_e32 v1, 0x7f800000, v46, vcc_lo
	v_dual_mul_f32 v12, v1, v12 :: v_dual_add_f32 v1, 1.0, v1
	s_delay_alu instid0(VALU_DEP_1) | instskip(NEXT) | instid1(VALU_DEP_1)
	v_div_scale_f32 v46, null, v1, v1, v12
	v_rcp_f32_e32 v48, v46
	v_nop
	s_delay_alu instid0(TRANS32_DEP_1) | instskip(NEXT) | instid1(VALU_DEP_1)
	v_fma_f32 v49, -v46, v48, 1.0
	v_fmac_f32_e32 v48, v49, v48
	v_div_scale_f32 v49, vcc_lo, v12, v1, v12
	s_delay_alu instid0(VALU_DEP_1) | instskip(NEXT) | instid1(VALU_DEP_1)
	v_mul_f32_e32 v50, v49, v48
	v_fma_f32 v51, -v46, v50, v49
	s_delay_alu instid0(VALU_DEP_1) | instskip(NEXT) | instid1(VALU_DEP_1)
	v_fmac_f32_e32 v50, v51, v48
	v_fma_f32 v46, -v46, v50, v49
	s_delay_alu instid0(VALU_DEP_1) | instskip(NEXT) | instid1(VALU_DEP_1)
	v_div_fmas_f32 v46, v46, v48, v50
	v_div_fixup_f32 v12, v46, v1, v12
.LBB56_17:
	s_or_b32 exec_lo, exec_lo, s11
	v_mul_f32_e32 v1, s13, v13
	v_and_b32_e32 v13, 0xffff0000, v47
	s_mov_b32 s11, exec_lo
	s_delay_alu instid0(VALU_DEP_2)
	v_cmpx_nlt_f32_e32 s14, v1
	s_cbranch_execz .LBB56_19
; %bb.18:
	v_mul_f32_e32 v46, 0x3fb8aa3b, v1
	v_cmp_ngt_f32_e32 vcc_lo, 0xc2ce8ed0, v1
	s_delay_alu instid0(VALU_DEP_2) | instskip(SKIP_1) | instid1(VALU_DEP_2)
	v_rndne_f32_e32 v47, v46
	v_fma_f32 v48, 0x3fb8aa3b, v1, -v46
	v_sub_f32_e32 v46, v46, v47
	s_delay_alu instid0(VALU_DEP_2) | instskip(SKIP_1) | instid1(VALU_DEP_2)
	v_fmamk_f32 v48, v1, 0x32a5705f, v48
	v_cvt_i32_f32_e32 v47, v47
	v_add_f32_e32 v46, v46, v48
	s_delay_alu instid0(VALU_DEP_1) | instskip(SKIP_1) | instid1(TRANS32_DEP_1)
	v_exp_f32_e32 v46, v46
	v_nop
	v_ldexp_f32 v46, v46, v47
	s_delay_alu instid0(VALU_DEP_1) | instskip(SKIP_1) | instid1(VALU_DEP_2)
	v_cndmask_b32_e32 v46, 0, v46, vcc_lo
	v_cmp_nlt_f32_e32 vcc_lo, 0x42b17218, v1
	v_cndmask_b32_e32 v1, 0x7f800000, v46, vcc_lo
	s_delay_alu instid0(VALU_DEP_1) | instskip(SKIP_1) | instid1(VALU_DEP_1)
	v_mul_f32_e32 v13, v1, v13
	v_add_f32_e32 v1, 1.0, v1
	v_div_scale_f32 v46, null, v1, v1, v13
	s_delay_alu instid0(VALU_DEP_1) | instskip(SKIP_1) | instid1(TRANS32_DEP_1)
	v_rcp_f32_e32 v47, v46
	v_nop
	v_fma_f32 v48, -v46, v47, 1.0
	s_delay_alu instid0(VALU_DEP_1) | instskip(SKIP_1) | instid1(VALU_DEP_1)
	v_fmac_f32_e32 v47, v48, v47
	v_div_scale_f32 v48, vcc_lo, v13, v1, v13
	v_mul_f32_e32 v49, v48, v47
	s_delay_alu instid0(VALU_DEP_1) | instskip(NEXT) | instid1(VALU_DEP_1)
	v_fma_f32 v50, -v46, v49, v48
	v_fmac_f32_e32 v49, v50, v47
	s_delay_alu instid0(VALU_DEP_1) | instskip(NEXT) | instid1(VALU_DEP_1)
	v_fma_f32 v46, -v46, v49, v48
	v_div_fmas_f32 v46, v46, v47, v49
	s_delay_alu instid0(VALU_DEP_1)
	v_div_fixup_f32 v13, v46, v1, v13
.LBB56_19:
	s_or_b32 exec_lo, exec_lo, s11
	s_wait_loadcnt 0x5
	v_dual_mul_f32 v1, s13, v18 :: v_dual_lshlrev_b32 v18, 16, v44
	s_mov_b32 s11, exec_lo
	s_delay_alu instid0(VALU_DEP_1)
	v_cmpx_nlt_f32_e32 s14, v1
	s_cbranch_execz .LBB56_21
; %bb.20:
	v_mul_f32_e32 v46, 0x3fb8aa3b, v1
	v_cmp_ngt_f32_e32 vcc_lo, 0xc2ce8ed0, v1
	s_delay_alu instid0(VALU_DEP_2) | instskip(SKIP_1) | instid1(VALU_DEP_2)
	v_rndne_f32_e32 v47, v46
	v_fma_f32 v48, 0x3fb8aa3b, v1, -v46
	v_sub_f32_e32 v46, v46, v47
	s_delay_alu instid0(VALU_DEP_2) | instskip(SKIP_1) | instid1(VALU_DEP_2)
	v_fmamk_f32 v48, v1, 0x32a5705f, v48
	v_cvt_i32_f32_e32 v47, v47
	v_add_f32_e32 v46, v46, v48
	s_delay_alu instid0(VALU_DEP_1) | instskip(SKIP_1) | instid1(TRANS32_DEP_1)
	v_exp_f32_e32 v46, v46
	v_nop
	v_ldexp_f32 v46, v46, v47
	s_delay_alu instid0(VALU_DEP_1) | instskip(SKIP_1) | instid1(VALU_DEP_2)
	v_cndmask_b32_e32 v46, 0, v46, vcc_lo
	v_cmp_nlt_f32_e32 vcc_lo, 0x42b17218, v1
	v_cndmask_b32_e32 v1, 0x7f800000, v46, vcc_lo
	s_delay_alu instid0(VALU_DEP_1) | instskip(NEXT) | instid1(VALU_DEP_1)
	v_dual_mul_f32 v18, v1, v18 :: v_dual_add_f32 v1, 1.0, v1
	v_div_scale_f32 v46, null, v1, v1, v18
	s_delay_alu instid0(VALU_DEP_1) | instskip(SKIP_1) | instid1(TRANS32_DEP_1)
	v_rcp_f32_e32 v47, v46
	v_nop
	v_fma_f32 v48, -v46, v47, 1.0
	s_delay_alu instid0(VALU_DEP_1) | instskip(SKIP_1) | instid1(VALU_DEP_1)
	v_fmac_f32_e32 v47, v48, v47
	v_div_scale_f32 v48, vcc_lo, v18, v1, v18
	v_mul_f32_e32 v49, v48, v47
	s_delay_alu instid0(VALU_DEP_1) | instskip(NEXT) | instid1(VALU_DEP_1)
	v_fma_f32 v50, -v46, v49, v48
	v_fmac_f32_e32 v49, v50, v47
	s_delay_alu instid0(VALU_DEP_1) | instskip(NEXT) | instid1(VALU_DEP_1)
	v_fma_f32 v46, -v46, v49, v48
	v_div_fmas_f32 v46, v46, v47, v49
	s_delay_alu instid0(VALU_DEP_1)
	v_div_fixup_f32 v18, v46, v1, v18
.LBB56_21:
	s_or_b32 exec_lo, exec_lo, s11
	v_mul_f32_e32 v1, s13, v19
	v_and_b32_e32 v19, 0xffff0000, v44
	s_mov_b32 s11, exec_lo
	s_delay_alu instid0(VALU_DEP_2)
	v_cmpx_nlt_f32_e32 s14, v1
	s_cbranch_execz .LBB56_23
; %bb.22:
	v_mul_f32_e32 v44, 0x3fb8aa3b, v1
	v_cmp_ngt_f32_e32 vcc_lo, 0xc2ce8ed0, v1
	s_delay_alu instid0(VALU_DEP_2) | instskip(SKIP_1) | instid1(VALU_DEP_1)
	v_rndne_f32_e32 v46, v44
	v_fma_f32 v47, 0x3fb8aa3b, v1, -v44
	v_dual_sub_f32 v44, v44, v46 :: v_dual_fmamk_f32 v47, v1, 0x32a5705f, v47
	v_cvt_i32_f32_e32 v46, v46
	s_delay_alu instid0(VALU_DEP_2) | instskip(NEXT) | instid1(VALU_DEP_1)
	v_add_f32_e32 v44, v44, v47
	v_exp_f32_e32 v44, v44
	v_nop
	s_delay_alu instid0(TRANS32_DEP_1) | instskip(NEXT) | instid1(VALU_DEP_1)
	v_ldexp_f32 v44, v44, v46
	v_cndmask_b32_e32 v44, 0, v44, vcc_lo
	v_cmp_nlt_f32_e32 vcc_lo, 0x42b17218, v1
	s_delay_alu instid0(VALU_DEP_2) | instskip(NEXT) | instid1(VALU_DEP_1)
	v_cndmask_b32_e32 v1, 0x7f800000, v44, vcc_lo
	v_dual_mul_f32 v19, v1, v19 :: v_dual_add_f32 v1, 1.0, v1
	s_delay_alu instid0(VALU_DEP_1) | instskip(NEXT) | instid1(VALU_DEP_1)
	v_div_scale_f32 v44, null, v1, v1, v19
	v_rcp_f32_e32 v46, v44
	v_nop
	s_delay_alu instid0(TRANS32_DEP_1) | instskip(NEXT) | instid1(VALU_DEP_1)
	v_fma_f32 v47, -v44, v46, 1.0
	v_fmac_f32_e32 v46, v47, v46
	v_div_scale_f32 v47, vcc_lo, v19, v1, v19
	s_delay_alu instid0(VALU_DEP_1) | instskip(NEXT) | instid1(VALU_DEP_1)
	v_mul_f32_e32 v48, v47, v46
	v_fma_f32 v49, -v44, v48, v47
	s_delay_alu instid0(VALU_DEP_1) | instskip(NEXT) | instid1(VALU_DEP_1)
	v_fmac_f32_e32 v48, v49, v46
	v_fma_f32 v44, -v44, v48, v47
	s_delay_alu instid0(VALU_DEP_1) | instskip(NEXT) | instid1(VALU_DEP_1)
	v_div_fmas_f32 v44, v44, v46, v48
	v_div_fixup_f32 v19, v44, v1, v19
.LBB56_23:
	s_or_b32 exec_lo, exec_lo, s11
	v_dual_mul_f32 v1, s13, v20 :: v_dual_lshlrev_b32 v20, 16, v45
	s_mov_b32 s11, exec_lo
	s_delay_alu instid0(VALU_DEP_1)
	v_cmpx_nlt_f32_e32 s14, v1
	s_cbranch_execz .LBB56_25
; %bb.24:
	v_mul_f32_e32 v44, 0x3fb8aa3b, v1
	v_cmp_ngt_f32_e32 vcc_lo, 0xc2ce8ed0, v1
	s_delay_alu instid0(VALU_DEP_2) | instskip(SKIP_1) | instid1(VALU_DEP_1)
	v_rndne_f32_e32 v46, v44
	v_fma_f32 v47, 0x3fb8aa3b, v1, -v44
	v_dual_sub_f32 v44, v44, v46 :: v_dual_fmamk_f32 v47, v1, 0x32a5705f, v47
	v_cvt_i32_f32_e32 v46, v46
	s_delay_alu instid0(VALU_DEP_2) | instskip(NEXT) | instid1(VALU_DEP_1)
	v_add_f32_e32 v44, v44, v47
	v_exp_f32_e32 v44, v44
	v_nop
	s_delay_alu instid0(TRANS32_DEP_1) | instskip(NEXT) | instid1(VALU_DEP_1)
	v_ldexp_f32 v44, v44, v46
	v_cndmask_b32_e32 v44, 0, v44, vcc_lo
	v_cmp_nlt_f32_e32 vcc_lo, 0x42b17218, v1
	s_delay_alu instid0(VALU_DEP_2) | instskip(NEXT) | instid1(VALU_DEP_1)
	v_cndmask_b32_e32 v1, 0x7f800000, v44, vcc_lo
	v_dual_mul_f32 v20, v1, v20 :: v_dual_add_f32 v1, 1.0, v1
	s_delay_alu instid0(VALU_DEP_1) | instskip(NEXT) | instid1(VALU_DEP_1)
	v_div_scale_f32 v44, null, v1, v1, v20
	v_rcp_f32_e32 v46, v44
	v_nop
	s_delay_alu instid0(TRANS32_DEP_1) | instskip(NEXT) | instid1(VALU_DEP_1)
	v_fma_f32 v47, -v44, v46, 1.0
	v_fmac_f32_e32 v46, v47, v46
	v_div_scale_f32 v47, vcc_lo, v20, v1, v20
	s_delay_alu instid0(VALU_DEP_1) | instskip(NEXT) | instid1(VALU_DEP_1)
	v_mul_f32_e32 v48, v47, v46
	v_fma_f32 v49, -v44, v48, v47
	s_delay_alu instid0(VALU_DEP_1) | instskip(NEXT) | instid1(VALU_DEP_1)
	v_fmac_f32_e32 v48, v49, v46
	v_fma_f32 v44, -v44, v48, v47
	s_delay_alu instid0(VALU_DEP_1) | instskip(NEXT) | instid1(VALU_DEP_1)
	v_div_fmas_f32 v44, v44, v46, v48
	v_div_fixup_f32 v20, v44, v1, v20
.LBB56_25:
	s_or_b32 exec_lo, exec_lo, s11
	v_mul_f32_e32 v1, s13, v21
	v_and_b32_e32 v21, 0xffff0000, v45
	s_mov_b32 s11, exec_lo
	s_delay_alu instid0(VALU_DEP_2)
	v_cmpx_nlt_f32_e32 s14, v1
	s_cbranch_execz .LBB56_27
; %bb.26:
	v_mul_f32_e32 v44, 0x3fb8aa3b, v1
	v_cmp_ngt_f32_e32 vcc_lo, 0xc2ce8ed0, v1
	s_delay_alu instid0(VALU_DEP_2) | instskip(SKIP_1) | instid1(VALU_DEP_2)
	v_rndne_f32_e32 v45, v44
	v_fma_f32 v46, 0x3fb8aa3b, v1, -v44
	v_sub_f32_e32 v44, v44, v45
	s_delay_alu instid0(VALU_DEP_2) | instskip(SKIP_1) | instid1(VALU_DEP_2)
	v_fmamk_f32 v46, v1, 0x32a5705f, v46
	v_cvt_i32_f32_e32 v45, v45
	v_add_f32_e32 v44, v44, v46
	s_delay_alu instid0(VALU_DEP_1) | instskip(SKIP_1) | instid1(TRANS32_DEP_1)
	v_exp_f32_e32 v44, v44
	v_nop
	v_ldexp_f32 v44, v44, v45
	s_delay_alu instid0(VALU_DEP_1) | instskip(SKIP_1) | instid1(VALU_DEP_2)
	v_cndmask_b32_e32 v44, 0, v44, vcc_lo
	v_cmp_nlt_f32_e32 vcc_lo, 0x42b17218, v1
	v_cndmask_b32_e32 v1, 0x7f800000, v44, vcc_lo
	s_delay_alu instid0(VALU_DEP_1) | instskip(SKIP_1) | instid1(VALU_DEP_1)
	v_mul_f32_e32 v21, v1, v21
	v_add_f32_e32 v1, 1.0, v1
	v_div_scale_f32 v44, null, v1, v1, v21
	s_delay_alu instid0(VALU_DEP_1) | instskip(SKIP_1) | instid1(TRANS32_DEP_1)
	v_rcp_f32_e32 v45, v44
	v_nop
	v_fma_f32 v46, -v44, v45, 1.0
	s_delay_alu instid0(VALU_DEP_1) | instskip(SKIP_1) | instid1(VALU_DEP_1)
	v_fmac_f32_e32 v45, v46, v45
	v_div_scale_f32 v46, vcc_lo, v21, v1, v21
	v_mul_f32_e32 v47, v46, v45
	s_delay_alu instid0(VALU_DEP_1) | instskip(NEXT) | instid1(VALU_DEP_1)
	v_fma_f32 v48, -v44, v47, v46
	v_fmac_f32_e32 v47, v48, v45
	s_delay_alu instid0(VALU_DEP_1) | instskip(NEXT) | instid1(VALU_DEP_1)
	v_fma_f32 v44, -v44, v47, v46
	v_div_fmas_f32 v44, v44, v45, v47
	s_delay_alu instid0(VALU_DEP_1)
	v_div_fixup_f32 v21, v44, v1, v21
.LBB56_27:
	s_or_b32 exec_lo, exec_lo, s11
	s_wait_loadcnt 0x4
	v_mul_f32_e32 v1, s13, v26
	v_lshlrev_b32_e32 v26, 16, v42
	s_mov_b32 s11, exec_lo
	s_delay_alu instid0(VALU_DEP_2)
	v_cmpx_nlt_f32_e32 s14, v1
	s_cbranch_execz .LBB56_29
; %bb.28:
	v_mul_f32_e32 v44, 0x3fb8aa3b, v1
	v_cmp_ngt_f32_e32 vcc_lo, 0xc2ce8ed0, v1
	s_delay_alu instid0(VALU_DEP_2) | instskip(SKIP_1) | instid1(VALU_DEP_2)
	v_rndne_f32_e32 v45, v44
	v_fma_f32 v46, 0x3fb8aa3b, v1, -v44
	v_sub_f32_e32 v44, v44, v45
	s_delay_alu instid0(VALU_DEP_2) | instskip(SKIP_1) | instid1(VALU_DEP_2)
	v_fmamk_f32 v46, v1, 0x32a5705f, v46
	v_cvt_i32_f32_e32 v45, v45
	v_add_f32_e32 v44, v44, v46
	s_delay_alu instid0(VALU_DEP_1) | instskip(SKIP_1) | instid1(TRANS32_DEP_1)
	v_exp_f32_e32 v44, v44
	v_nop
	v_ldexp_f32 v44, v44, v45
	s_delay_alu instid0(VALU_DEP_1) | instskip(SKIP_1) | instid1(VALU_DEP_2)
	v_cndmask_b32_e32 v44, 0, v44, vcc_lo
	v_cmp_nlt_f32_e32 vcc_lo, 0x42b17218, v1
	v_cndmask_b32_e32 v1, 0x7f800000, v44, vcc_lo
	s_delay_alu instid0(VALU_DEP_1) | instskip(NEXT) | instid1(VALU_DEP_1)
	v_dual_mul_f32 v26, v1, v26 :: v_dual_add_f32 v1, 1.0, v1
	v_div_scale_f32 v44, null, v1, v1, v26
	s_delay_alu instid0(VALU_DEP_1) | instskip(SKIP_1) | instid1(TRANS32_DEP_1)
	v_rcp_f32_e32 v45, v44
	v_nop
	v_fma_f32 v46, -v44, v45, 1.0
	s_delay_alu instid0(VALU_DEP_1) | instskip(SKIP_1) | instid1(VALU_DEP_1)
	v_fmac_f32_e32 v45, v46, v45
	v_div_scale_f32 v46, vcc_lo, v26, v1, v26
	v_mul_f32_e32 v47, v46, v45
	s_delay_alu instid0(VALU_DEP_1) | instskip(NEXT) | instid1(VALU_DEP_1)
	v_fma_f32 v48, -v44, v47, v46
	v_fmac_f32_e32 v47, v48, v45
	s_delay_alu instid0(VALU_DEP_1) | instskip(NEXT) | instid1(VALU_DEP_1)
	v_fma_f32 v44, -v44, v47, v46
	v_div_fmas_f32 v44, v44, v45, v47
	s_delay_alu instid0(VALU_DEP_1)
	v_div_fixup_f32 v26, v44, v1, v26
.LBB56_29:
	s_or_b32 exec_lo, exec_lo, s11
	v_mul_f32_e32 v1, s13, v27
	v_and_b32_e32 v27, 0xffff0000, v42
	s_mov_b32 s11, exec_lo
	s_delay_alu instid0(VALU_DEP_2)
	v_cmpx_nlt_f32_e32 s14, v1
	s_cbranch_execz .LBB56_31
; %bb.30:
	v_mul_f32_e32 v42, 0x3fb8aa3b, v1
	v_cmp_ngt_f32_e32 vcc_lo, 0xc2ce8ed0, v1
	s_delay_alu instid0(VALU_DEP_2) | instskip(SKIP_1) | instid1(VALU_DEP_1)
	v_rndne_f32_e32 v44, v42
	v_fma_f32 v45, 0x3fb8aa3b, v1, -v42
	v_dual_sub_f32 v42, v42, v44 :: v_dual_fmamk_f32 v45, v1, 0x32a5705f, v45
	v_cvt_i32_f32_e32 v44, v44
	s_delay_alu instid0(VALU_DEP_2) | instskip(NEXT) | instid1(VALU_DEP_1)
	v_add_f32_e32 v42, v42, v45
	v_exp_f32_e32 v42, v42
	v_nop
	s_delay_alu instid0(TRANS32_DEP_1) | instskip(NEXT) | instid1(VALU_DEP_1)
	v_ldexp_f32 v42, v42, v44
	v_cndmask_b32_e32 v42, 0, v42, vcc_lo
	v_cmp_nlt_f32_e32 vcc_lo, 0x42b17218, v1
	s_delay_alu instid0(VALU_DEP_2) | instskip(NEXT) | instid1(VALU_DEP_1)
	v_cndmask_b32_e32 v1, 0x7f800000, v42, vcc_lo
	v_dual_mul_f32 v27, v1, v27 :: v_dual_add_f32 v1, 1.0, v1
	s_delay_alu instid0(VALU_DEP_1) | instskip(NEXT) | instid1(VALU_DEP_1)
	v_div_scale_f32 v42, null, v1, v1, v27
	v_rcp_f32_e32 v44, v42
	v_nop
	s_delay_alu instid0(TRANS32_DEP_1) | instskip(NEXT) | instid1(VALU_DEP_1)
	v_fma_f32 v45, -v42, v44, 1.0
	v_fmac_f32_e32 v44, v45, v44
	v_div_scale_f32 v45, vcc_lo, v27, v1, v27
	s_delay_alu instid0(VALU_DEP_1) | instskip(NEXT) | instid1(VALU_DEP_1)
	v_mul_f32_e32 v46, v45, v44
	v_fma_f32 v47, -v42, v46, v45
	s_delay_alu instid0(VALU_DEP_1) | instskip(NEXT) | instid1(VALU_DEP_1)
	v_fmac_f32_e32 v46, v47, v44
	v_fma_f32 v42, -v42, v46, v45
	s_delay_alu instid0(VALU_DEP_1) | instskip(NEXT) | instid1(VALU_DEP_1)
	v_div_fmas_f32 v42, v42, v44, v46
	v_div_fixup_f32 v27, v42, v1, v27
.LBB56_31:
	s_or_b32 exec_lo, exec_lo, s11
	v_dual_mul_f32 v1, s13, v28 :: v_dual_lshlrev_b32 v28, 16, v43
	s_mov_b32 s11, exec_lo
	s_delay_alu instid0(VALU_DEP_1)
	v_cmpx_nlt_f32_e32 s14, v1
	s_cbranch_execz .LBB56_33
; %bb.32:
	v_mul_f32_e32 v42, 0x3fb8aa3b, v1
	v_cmp_ngt_f32_e32 vcc_lo, 0xc2ce8ed0, v1
	s_delay_alu instid0(VALU_DEP_2) | instskip(SKIP_1) | instid1(VALU_DEP_1)
	v_rndne_f32_e32 v44, v42
	v_fma_f32 v45, 0x3fb8aa3b, v1, -v42
	v_dual_sub_f32 v42, v42, v44 :: v_dual_fmamk_f32 v45, v1, 0x32a5705f, v45
	v_cvt_i32_f32_e32 v44, v44
	s_delay_alu instid0(VALU_DEP_2) | instskip(NEXT) | instid1(VALU_DEP_1)
	v_add_f32_e32 v42, v42, v45
	v_exp_f32_e32 v42, v42
	v_nop
	s_delay_alu instid0(TRANS32_DEP_1) | instskip(NEXT) | instid1(VALU_DEP_1)
	v_ldexp_f32 v42, v42, v44
	v_cndmask_b32_e32 v42, 0, v42, vcc_lo
	v_cmp_nlt_f32_e32 vcc_lo, 0x42b17218, v1
	s_delay_alu instid0(VALU_DEP_2) | instskip(NEXT) | instid1(VALU_DEP_1)
	v_cndmask_b32_e32 v1, 0x7f800000, v42, vcc_lo
	v_dual_mul_f32 v28, v1, v28 :: v_dual_add_f32 v1, 1.0, v1
	s_delay_alu instid0(VALU_DEP_1) | instskip(NEXT) | instid1(VALU_DEP_1)
	v_div_scale_f32 v42, null, v1, v1, v28
	v_rcp_f32_e32 v44, v42
	v_nop
	s_delay_alu instid0(TRANS32_DEP_1) | instskip(NEXT) | instid1(VALU_DEP_1)
	v_fma_f32 v45, -v42, v44, 1.0
	v_fmac_f32_e32 v44, v45, v44
	v_div_scale_f32 v45, vcc_lo, v28, v1, v28
	s_delay_alu instid0(VALU_DEP_1) | instskip(NEXT) | instid1(VALU_DEP_1)
	v_mul_f32_e32 v46, v45, v44
	v_fma_f32 v47, -v42, v46, v45
	s_delay_alu instid0(VALU_DEP_1) | instskip(NEXT) | instid1(VALU_DEP_1)
	v_fmac_f32_e32 v46, v47, v44
	v_fma_f32 v42, -v42, v46, v45
	s_delay_alu instid0(VALU_DEP_1) | instskip(NEXT) | instid1(VALU_DEP_1)
	v_div_fmas_f32 v42, v42, v44, v46
	v_div_fixup_f32 v28, v42, v1, v28
.LBB56_33:
	s_or_b32 exec_lo, exec_lo, s11
	v_mul_f32_e32 v1, s13, v29
	v_and_b32_e32 v29, 0xffff0000, v43
	s_mov_b32 s11, exec_lo
	s_delay_alu instid0(VALU_DEP_2)
	v_cmpx_nlt_f32_e32 s14, v1
	s_cbranch_execz .LBB56_35
; %bb.34:
	v_mul_f32_e32 v42, 0x3fb8aa3b, v1
	v_cmp_ngt_f32_e32 vcc_lo, 0xc2ce8ed0, v1
	s_delay_alu instid0(VALU_DEP_2) | instskip(SKIP_1) | instid1(VALU_DEP_2)
	v_rndne_f32_e32 v43, v42
	v_fma_f32 v44, 0x3fb8aa3b, v1, -v42
	v_sub_f32_e32 v42, v42, v43
	s_delay_alu instid0(VALU_DEP_2) | instskip(SKIP_1) | instid1(VALU_DEP_2)
	v_fmamk_f32 v44, v1, 0x32a5705f, v44
	v_cvt_i32_f32_e32 v43, v43
	v_add_f32_e32 v42, v42, v44
	s_delay_alu instid0(VALU_DEP_1) | instskip(SKIP_1) | instid1(TRANS32_DEP_1)
	v_exp_f32_e32 v42, v42
	v_nop
	v_ldexp_f32 v42, v42, v43
	s_delay_alu instid0(VALU_DEP_1) | instskip(SKIP_1) | instid1(VALU_DEP_2)
	v_cndmask_b32_e32 v42, 0, v42, vcc_lo
	v_cmp_nlt_f32_e32 vcc_lo, 0x42b17218, v1
	v_cndmask_b32_e32 v1, 0x7f800000, v42, vcc_lo
	s_delay_alu instid0(VALU_DEP_1) | instskip(SKIP_1) | instid1(VALU_DEP_1)
	v_mul_f32_e32 v29, v1, v29
	v_add_f32_e32 v1, 1.0, v1
	v_div_scale_f32 v42, null, v1, v1, v29
	s_delay_alu instid0(VALU_DEP_1) | instskip(SKIP_1) | instid1(TRANS32_DEP_1)
	v_rcp_f32_e32 v43, v42
	v_nop
	v_fma_f32 v44, -v42, v43, 1.0
	s_delay_alu instid0(VALU_DEP_1) | instskip(SKIP_1) | instid1(VALU_DEP_1)
	v_fmac_f32_e32 v43, v44, v43
	v_div_scale_f32 v44, vcc_lo, v29, v1, v29
	v_mul_f32_e32 v45, v44, v43
	s_delay_alu instid0(VALU_DEP_1) | instskip(NEXT) | instid1(VALU_DEP_1)
	v_fma_f32 v46, -v42, v45, v44
	v_fmac_f32_e32 v45, v46, v43
	s_delay_alu instid0(VALU_DEP_1) | instskip(NEXT) | instid1(VALU_DEP_1)
	v_fma_f32 v42, -v42, v45, v44
	v_div_fmas_f32 v42, v42, v43, v45
	s_delay_alu instid0(VALU_DEP_1)
	v_div_fixup_f32 v29, v42, v1, v29
.LBB56_35:
	s_or_b32 exec_lo, exec_lo, s11
	s_wait_loadcnt 0x3
	v_dual_mul_f32 v1, s13, v30 :: v_dual_lshlrev_b32 v30, 16, v40
	s_mov_b32 s11, exec_lo
	s_delay_alu instid0(VALU_DEP_1)
	v_cmpx_nlt_f32_e32 s14, v1
	s_cbranch_execz .LBB56_37
; %bb.36:
	v_mul_f32_e32 v42, 0x3fb8aa3b, v1
	v_cmp_ngt_f32_e32 vcc_lo, 0xc2ce8ed0, v1
	s_delay_alu instid0(VALU_DEP_2) | instskip(SKIP_1) | instid1(VALU_DEP_2)
	v_rndne_f32_e32 v43, v42
	v_fma_f32 v44, 0x3fb8aa3b, v1, -v42
	v_sub_f32_e32 v42, v42, v43
	s_delay_alu instid0(VALU_DEP_2) | instskip(SKIP_1) | instid1(VALU_DEP_2)
	v_fmamk_f32 v44, v1, 0x32a5705f, v44
	v_cvt_i32_f32_e32 v43, v43
	v_add_f32_e32 v42, v42, v44
	s_delay_alu instid0(VALU_DEP_1) | instskip(SKIP_1) | instid1(TRANS32_DEP_1)
	v_exp_f32_e32 v42, v42
	v_nop
	v_ldexp_f32 v42, v42, v43
	s_delay_alu instid0(VALU_DEP_1) | instskip(SKIP_1) | instid1(VALU_DEP_2)
	v_cndmask_b32_e32 v42, 0, v42, vcc_lo
	v_cmp_nlt_f32_e32 vcc_lo, 0x42b17218, v1
	v_cndmask_b32_e32 v1, 0x7f800000, v42, vcc_lo
	s_delay_alu instid0(VALU_DEP_1) | instskip(NEXT) | instid1(VALU_DEP_1)
	v_dual_mul_f32 v30, v1, v30 :: v_dual_add_f32 v1, 1.0, v1
	v_div_scale_f32 v42, null, v1, v1, v30
	s_delay_alu instid0(VALU_DEP_1) | instskip(SKIP_1) | instid1(TRANS32_DEP_1)
	v_rcp_f32_e32 v43, v42
	v_nop
	v_fma_f32 v44, -v42, v43, 1.0
	s_delay_alu instid0(VALU_DEP_1) | instskip(SKIP_1) | instid1(VALU_DEP_1)
	v_fmac_f32_e32 v43, v44, v43
	v_div_scale_f32 v44, vcc_lo, v30, v1, v30
	v_mul_f32_e32 v45, v44, v43
	s_delay_alu instid0(VALU_DEP_1) | instskip(NEXT) | instid1(VALU_DEP_1)
	v_fma_f32 v46, -v42, v45, v44
	v_fmac_f32_e32 v45, v46, v43
	s_delay_alu instid0(VALU_DEP_1) | instskip(NEXT) | instid1(VALU_DEP_1)
	v_fma_f32 v42, -v42, v45, v44
	v_div_fmas_f32 v42, v42, v43, v45
	s_delay_alu instid0(VALU_DEP_1)
	v_div_fixup_f32 v30, v42, v1, v30
.LBB56_37:
	s_or_b32 exec_lo, exec_lo, s11
	v_mul_f32_e32 v1, s13, v31
	v_and_b32_e32 v31, 0xffff0000, v40
	s_mov_b32 s11, exec_lo
	s_delay_alu instid0(VALU_DEP_2)
	v_cmpx_nlt_f32_e32 s14, v1
	s_cbranch_execz .LBB56_39
; %bb.38:
	v_mul_f32_e32 v40, 0x3fb8aa3b, v1
	v_cmp_ngt_f32_e32 vcc_lo, 0xc2ce8ed0, v1
	s_delay_alu instid0(VALU_DEP_2) | instskip(SKIP_1) | instid1(VALU_DEP_1)
	v_rndne_f32_e32 v42, v40
	v_fma_f32 v43, 0x3fb8aa3b, v1, -v40
	v_dual_sub_f32 v40, v40, v42 :: v_dual_fmamk_f32 v43, v1, 0x32a5705f, v43
	v_cvt_i32_f32_e32 v42, v42
	s_delay_alu instid0(VALU_DEP_2) | instskip(NEXT) | instid1(VALU_DEP_1)
	v_add_f32_e32 v40, v40, v43
	v_exp_f32_e32 v40, v40
	v_nop
	s_delay_alu instid0(TRANS32_DEP_1) | instskip(NEXT) | instid1(VALU_DEP_1)
	v_ldexp_f32 v40, v40, v42
	v_cndmask_b32_e32 v40, 0, v40, vcc_lo
	v_cmp_nlt_f32_e32 vcc_lo, 0x42b17218, v1
	s_delay_alu instid0(VALU_DEP_2) | instskip(NEXT) | instid1(VALU_DEP_1)
	v_cndmask_b32_e32 v1, 0x7f800000, v40, vcc_lo
	v_dual_mul_f32 v31, v1, v31 :: v_dual_add_f32 v1, 1.0, v1
	s_delay_alu instid0(VALU_DEP_1) | instskip(NEXT) | instid1(VALU_DEP_1)
	v_div_scale_f32 v40, null, v1, v1, v31
	v_rcp_f32_e32 v42, v40
	v_nop
	s_delay_alu instid0(TRANS32_DEP_1) | instskip(NEXT) | instid1(VALU_DEP_1)
	v_fma_f32 v43, -v40, v42, 1.0
	v_fmac_f32_e32 v42, v43, v42
	v_div_scale_f32 v43, vcc_lo, v31, v1, v31
	s_delay_alu instid0(VALU_DEP_1) | instskip(NEXT) | instid1(VALU_DEP_1)
	v_mul_f32_e32 v44, v43, v42
	v_fma_f32 v45, -v40, v44, v43
	s_delay_alu instid0(VALU_DEP_1) | instskip(NEXT) | instid1(VALU_DEP_1)
	v_fmac_f32_e32 v44, v45, v42
	v_fma_f32 v40, -v40, v44, v43
	s_delay_alu instid0(VALU_DEP_1) | instskip(NEXT) | instid1(VALU_DEP_1)
	v_div_fmas_f32 v40, v40, v42, v44
	v_div_fixup_f32 v31, v40, v1, v31
.LBB56_39:
	s_or_b32 exec_lo, exec_lo, s11
	v_dual_mul_f32 v1, s13, v32 :: v_dual_lshlrev_b32 v32, 16, v41
	s_mov_b32 s11, exec_lo
	s_delay_alu instid0(VALU_DEP_1)
	v_cmpx_nlt_f32_e32 s14, v1
	s_cbranch_execz .LBB56_41
; %bb.40:
	v_mul_f32_e32 v40, 0x3fb8aa3b, v1
	v_cmp_ngt_f32_e32 vcc_lo, 0xc2ce8ed0, v1
	s_delay_alu instid0(VALU_DEP_2) | instskip(SKIP_1) | instid1(VALU_DEP_1)
	v_rndne_f32_e32 v42, v40
	v_fma_f32 v43, 0x3fb8aa3b, v1, -v40
	v_dual_sub_f32 v40, v40, v42 :: v_dual_fmamk_f32 v43, v1, 0x32a5705f, v43
	v_cvt_i32_f32_e32 v42, v42
	s_delay_alu instid0(VALU_DEP_2) | instskip(NEXT) | instid1(VALU_DEP_1)
	v_add_f32_e32 v40, v40, v43
	v_exp_f32_e32 v40, v40
	v_nop
	s_delay_alu instid0(TRANS32_DEP_1) | instskip(NEXT) | instid1(VALU_DEP_1)
	v_ldexp_f32 v40, v40, v42
	v_cndmask_b32_e32 v40, 0, v40, vcc_lo
	v_cmp_nlt_f32_e32 vcc_lo, 0x42b17218, v1
	s_delay_alu instid0(VALU_DEP_2) | instskip(NEXT) | instid1(VALU_DEP_1)
	v_cndmask_b32_e32 v1, 0x7f800000, v40, vcc_lo
	v_dual_mul_f32 v32, v1, v32 :: v_dual_add_f32 v1, 1.0, v1
	s_delay_alu instid0(VALU_DEP_1) | instskip(NEXT) | instid1(VALU_DEP_1)
	v_div_scale_f32 v40, null, v1, v1, v32
	v_rcp_f32_e32 v42, v40
	v_nop
	s_delay_alu instid0(TRANS32_DEP_1) | instskip(NEXT) | instid1(VALU_DEP_1)
	v_fma_f32 v43, -v40, v42, 1.0
	v_fmac_f32_e32 v42, v43, v42
	v_div_scale_f32 v43, vcc_lo, v32, v1, v32
	s_delay_alu instid0(VALU_DEP_1) | instskip(NEXT) | instid1(VALU_DEP_1)
	v_mul_f32_e32 v44, v43, v42
	v_fma_f32 v45, -v40, v44, v43
	s_delay_alu instid0(VALU_DEP_1) | instskip(NEXT) | instid1(VALU_DEP_1)
	v_fmac_f32_e32 v44, v45, v42
	v_fma_f32 v40, -v40, v44, v43
	s_delay_alu instid0(VALU_DEP_1) | instskip(NEXT) | instid1(VALU_DEP_1)
	v_div_fmas_f32 v40, v40, v42, v44
	v_div_fixup_f32 v32, v40, v1, v32
.LBB56_41:
	s_or_b32 exec_lo, exec_lo, s11
	v_mul_f32_e32 v1, s13, v33
	v_and_b32_e32 v33, 0xffff0000, v41
	s_mov_b32 s11, exec_lo
	s_delay_alu instid0(VALU_DEP_2)
	v_cmpx_nlt_f32_e32 s14, v1
	s_cbranch_execz .LBB56_43
; %bb.42:
	v_mul_f32_e32 v40, 0x3fb8aa3b, v1
	v_cmp_ngt_f32_e32 vcc_lo, 0xc2ce8ed0, v1
	s_delay_alu instid0(VALU_DEP_2) | instskip(SKIP_1) | instid1(VALU_DEP_2)
	v_rndne_f32_e32 v41, v40
	v_fma_f32 v42, 0x3fb8aa3b, v1, -v40
	v_sub_f32_e32 v40, v40, v41
	s_delay_alu instid0(VALU_DEP_2) | instskip(SKIP_1) | instid1(VALU_DEP_2)
	v_fmamk_f32 v42, v1, 0x32a5705f, v42
	v_cvt_i32_f32_e32 v41, v41
	v_add_f32_e32 v40, v40, v42
	s_delay_alu instid0(VALU_DEP_1) | instskip(SKIP_1) | instid1(TRANS32_DEP_1)
	v_exp_f32_e32 v40, v40
	v_nop
	v_ldexp_f32 v40, v40, v41
	s_delay_alu instid0(VALU_DEP_1) | instskip(SKIP_1) | instid1(VALU_DEP_2)
	v_cndmask_b32_e32 v40, 0, v40, vcc_lo
	v_cmp_nlt_f32_e32 vcc_lo, 0x42b17218, v1
	v_cndmask_b32_e32 v1, 0x7f800000, v40, vcc_lo
	s_delay_alu instid0(VALU_DEP_1) | instskip(SKIP_1) | instid1(VALU_DEP_1)
	v_mul_f32_e32 v33, v1, v33
	v_add_f32_e32 v1, 1.0, v1
	v_div_scale_f32 v40, null, v1, v1, v33
	s_delay_alu instid0(VALU_DEP_1) | instskip(SKIP_1) | instid1(TRANS32_DEP_1)
	v_rcp_f32_e32 v41, v40
	v_nop
	v_fma_f32 v42, -v40, v41, 1.0
	s_delay_alu instid0(VALU_DEP_1) | instskip(SKIP_1) | instid1(VALU_DEP_1)
	v_fmac_f32_e32 v41, v42, v41
	v_div_scale_f32 v42, vcc_lo, v33, v1, v33
	v_mul_f32_e32 v43, v42, v41
	s_delay_alu instid0(VALU_DEP_1) | instskip(NEXT) | instid1(VALU_DEP_1)
	v_fma_f32 v44, -v40, v43, v42
	v_fmac_f32_e32 v43, v44, v41
	s_delay_alu instid0(VALU_DEP_1) | instskip(NEXT) | instid1(VALU_DEP_1)
	v_fma_f32 v40, -v40, v43, v42
	v_div_fmas_f32 v40, v40, v41, v43
	s_delay_alu instid0(VALU_DEP_1)
	v_div_fixup_f32 v33, v40, v1, v33
.LBB56_43:
	s_or_b32 exec_lo, exec_lo, s11
	s_wait_loadcnt 0x2
	v_mul_f32_e32 v1, s13, v22
	v_lshlrev_b32_e32 v22, 16, v38
	s_mov_b32 s11, exec_lo
	s_delay_alu instid0(VALU_DEP_2)
	v_cmpx_nlt_f32_e32 s14, v1
	s_cbranch_execz .LBB56_45
; %bb.44:
	v_mul_f32_e32 v40, 0x3fb8aa3b, v1
	v_cmp_ngt_f32_e32 vcc_lo, 0xc2ce8ed0, v1
	s_delay_alu instid0(VALU_DEP_2) | instskip(SKIP_1) | instid1(VALU_DEP_2)
	v_rndne_f32_e32 v41, v40
	v_fma_f32 v42, 0x3fb8aa3b, v1, -v40
	v_sub_f32_e32 v40, v40, v41
	s_delay_alu instid0(VALU_DEP_2) | instskip(SKIP_1) | instid1(VALU_DEP_2)
	v_fmamk_f32 v42, v1, 0x32a5705f, v42
	v_cvt_i32_f32_e32 v41, v41
	v_add_f32_e32 v40, v40, v42
	s_delay_alu instid0(VALU_DEP_1) | instskip(SKIP_1) | instid1(TRANS32_DEP_1)
	v_exp_f32_e32 v40, v40
	v_nop
	v_ldexp_f32 v40, v40, v41
	s_delay_alu instid0(VALU_DEP_1) | instskip(SKIP_1) | instid1(VALU_DEP_2)
	v_cndmask_b32_e32 v40, 0, v40, vcc_lo
	v_cmp_nlt_f32_e32 vcc_lo, 0x42b17218, v1
	v_cndmask_b32_e32 v1, 0x7f800000, v40, vcc_lo
	s_delay_alu instid0(VALU_DEP_1) | instskip(NEXT) | instid1(VALU_DEP_1)
	v_dual_mul_f32 v22, v1, v22 :: v_dual_add_f32 v1, 1.0, v1
	v_div_scale_f32 v40, null, v1, v1, v22
	s_delay_alu instid0(VALU_DEP_1) | instskip(SKIP_1) | instid1(TRANS32_DEP_1)
	v_rcp_f32_e32 v41, v40
	v_nop
	v_fma_f32 v42, -v40, v41, 1.0
	s_delay_alu instid0(VALU_DEP_1) | instskip(SKIP_1) | instid1(VALU_DEP_1)
	v_fmac_f32_e32 v41, v42, v41
	v_div_scale_f32 v42, vcc_lo, v22, v1, v22
	v_mul_f32_e32 v43, v42, v41
	s_delay_alu instid0(VALU_DEP_1) | instskip(NEXT) | instid1(VALU_DEP_1)
	v_fma_f32 v44, -v40, v43, v42
	v_fmac_f32_e32 v43, v44, v41
	s_delay_alu instid0(VALU_DEP_1) | instskip(NEXT) | instid1(VALU_DEP_1)
	v_fma_f32 v40, -v40, v43, v42
	v_div_fmas_f32 v40, v40, v41, v43
	s_delay_alu instid0(VALU_DEP_1)
	v_div_fixup_f32 v22, v40, v1, v22
.LBB56_45:
	s_or_b32 exec_lo, exec_lo, s11
	v_mul_f32_e32 v1, s13, v23
	v_and_b32_e32 v23, 0xffff0000, v38
	s_mov_b32 s11, exec_lo
	s_delay_alu instid0(VALU_DEP_2)
	v_cmpx_nlt_f32_e32 s14, v1
	s_cbranch_execz .LBB56_47
; %bb.46:
	v_mul_f32_e32 v38, 0x3fb8aa3b, v1
	v_cmp_ngt_f32_e32 vcc_lo, 0xc2ce8ed0, v1
	s_delay_alu instid0(VALU_DEP_2) | instskip(SKIP_1) | instid1(VALU_DEP_1)
	v_rndne_f32_e32 v40, v38
	v_fma_f32 v41, 0x3fb8aa3b, v1, -v38
	v_dual_sub_f32 v38, v38, v40 :: v_dual_fmamk_f32 v41, v1, 0x32a5705f, v41
	v_cvt_i32_f32_e32 v40, v40
	s_delay_alu instid0(VALU_DEP_2) | instskip(NEXT) | instid1(VALU_DEP_1)
	v_add_f32_e32 v38, v38, v41
	v_exp_f32_e32 v38, v38
	v_nop
	s_delay_alu instid0(TRANS32_DEP_1) | instskip(NEXT) | instid1(VALU_DEP_1)
	v_ldexp_f32 v38, v38, v40
	v_cndmask_b32_e32 v38, 0, v38, vcc_lo
	v_cmp_nlt_f32_e32 vcc_lo, 0x42b17218, v1
	s_delay_alu instid0(VALU_DEP_2) | instskip(NEXT) | instid1(VALU_DEP_1)
	v_cndmask_b32_e32 v1, 0x7f800000, v38, vcc_lo
	v_dual_mul_f32 v23, v1, v23 :: v_dual_add_f32 v1, 1.0, v1
	s_delay_alu instid0(VALU_DEP_1) | instskip(NEXT) | instid1(VALU_DEP_1)
	v_div_scale_f32 v38, null, v1, v1, v23
	v_rcp_f32_e32 v40, v38
	v_nop
	s_delay_alu instid0(TRANS32_DEP_1) | instskip(NEXT) | instid1(VALU_DEP_1)
	v_fma_f32 v41, -v38, v40, 1.0
	v_fmac_f32_e32 v40, v41, v40
	v_div_scale_f32 v41, vcc_lo, v23, v1, v23
	s_delay_alu instid0(VALU_DEP_1) | instskip(NEXT) | instid1(VALU_DEP_1)
	v_mul_f32_e32 v42, v41, v40
	v_fma_f32 v43, -v38, v42, v41
	s_delay_alu instid0(VALU_DEP_1) | instskip(NEXT) | instid1(VALU_DEP_1)
	v_fmac_f32_e32 v42, v43, v40
	v_fma_f32 v38, -v38, v42, v41
	s_delay_alu instid0(VALU_DEP_1) | instskip(NEXT) | instid1(VALU_DEP_1)
	v_div_fmas_f32 v38, v38, v40, v42
	v_div_fixup_f32 v23, v38, v1, v23
.LBB56_47:
	s_or_b32 exec_lo, exec_lo, s11
	v_dual_mul_f32 v1, s13, v24 :: v_dual_lshlrev_b32 v24, 16, v39
	s_mov_b32 s11, exec_lo
	s_delay_alu instid0(VALU_DEP_1)
	v_cmpx_nlt_f32_e32 s14, v1
	s_cbranch_execz .LBB56_49
; %bb.48:
	v_mul_f32_e32 v38, 0x3fb8aa3b, v1
	v_cmp_ngt_f32_e32 vcc_lo, 0xc2ce8ed0, v1
	s_delay_alu instid0(VALU_DEP_2) | instskip(SKIP_1) | instid1(VALU_DEP_1)
	v_rndne_f32_e32 v40, v38
	v_fma_f32 v41, 0x3fb8aa3b, v1, -v38
	v_dual_sub_f32 v38, v38, v40 :: v_dual_fmamk_f32 v41, v1, 0x32a5705f, v41
	v_cvt_i32_f32_e32 v40, v40
	s_delay_alu instid0(VALU_DEP_2) | instskip(NEXT) | instid1(VALU_DEP_1)
	v_add_f32_e32 v38, v38, v41
	v_exp_f32_e32 v38, v38
	v_nop
	s_delay_alu instid0(TRANS32_DEP_1) | instskip(NEXT) | instid1(VALU_DEP_1)
	v_ldexp_f32 v38, v38, v40
	v_cndmask_b32_e32 v38, 0, v38, vcc_lo
	v_cmp_nlt_f32_e32 vcc_lo, 0x42b17218, v1
	s_delay_alu instid0(VALU_DEP_2) | instskip(NEXT) | instid1(VALU_DEP_1)
	v_cndmask_b32_e32 v1, 0x7f800000, v38, vcc_lo
	v_dual_mul_f32 v24, v1, v24 :: v_dual_add_f32 v1, 1.0, v1
	s_delay_alu instid0(VALU_DEP_1) | instskip(NEXT) | instid1(VALU_DEP_1)
	v_div_scale_f32 v38, null, v1, v1, v24
	v_rcp_f32_e32 v40, v38
	v_nop
	s_delay_alu instid0(TRANS32_DEP_1) | instskip(NEXT) | instid1(VALU_DEP_1)
	v_fma_f32 v41, -v38, v40, 1.0
	v_fmac_f32_e32 v40, v41, v40
	v_div_scale_f32 v41, vcc_lo, v24, v1, v24
	s_delay_alu instid0(VALU_DEP_1) | instskip(NEXT) | instid1(VALU_DEP_1)
	v_mul_f32_e32 v42, v41, v40
	v_fma_f32 v43, -v38, v42, v41
	s_delay_alu instid0(VALU_DEP_1) | instskip(NEXT) | instid1(VALU_DEP_1)
	v_fmac_f32_e32 v42, v43, v40
	v_fma_f32 v38, -v38, v42, v41
	s_delay_alu instid0(VALU_DEP_1) | instskip(NEXT) | instid1(VALU_DEP_1)
	v_div_fmas_f32 v38, v38, v40, v42
	v_div_fixup_f32 v24, v38, v1, v24
.LBB56_49:
	s_or_b32 exec_lo, exec_lo, s11
	v_mul_f32_e32 v1, s13, v25
	v_and_b32_e32 v25, 0xffff0000, v39
	s_mov_b32 s11, exec_lo
	s_delay_alu instid0(VALU_DEP_2)
	v_cmpx_nlt_f32_e32 s14, v1
	s_cbranch_execz .LBB56_51
; %bb.50:
	v_mul_f32_e32 v38, 0x3fb8aa3b, v1
	v_cmp_ngt_f32_e32 vcc_lo, 0xc2ce8ed0, v1
	s_delay_alu instid0(VALU_DEP_2) | instskip(SKIP_1) | instid1(VALU_DEP_2)
	v_rndne_f32_e32 v39, v38
	v_fma_f32 v40, 0x3fb8aa3b, v1, -v38
	v_sub_f32_e32 v38, v38, v39
	s_delay_alu instid0(VALU_DEP_2) | instskip(SKIP_1) | instid1(VALU_DEP_2)
	v_fmamk_f32 v40, v1, 0x32a5705f, v40
	v_cvt_i32_f32_e32 v39, v39
	v_add_f32_e32 v38, v38, v40
	s_delay_alu instid0(VALU_DEP_1) | instskip(SKIP_1) | instid1(TRANS32_DEP_1)
	v_exp_f32_e32 v38, v38
	v_nop
	v_ldexp_f32 v38, v38, v39
	s_delay_alu instid0(VALU_DEP_1) | instskip(SKIP_1) | instid1(VALU_DEP_2)
	v_cndmask_b32_e32 v38, 0, v38, vcc_lo
	v_cmp_nlt_f32_e32 vcc_lo, 0x42b17218, v1
	v_cndmask_b32_e32 v1, 0x7f800000, v38, vcc_lo
	s_delay_alu instid0(VALU_DEP_1) | instskip(SKIP_1) | instid1(VALU_DEP_1)
	v_mul_f32_e32 v25, v1, v25
	v_add_f32_e32 v1, 1.0, v1
	v_div_scale_f32 v38, null, v1, v1, v25
	s_delay_alu instid0(VALU_DEP_1) | instskip(SKIP_1) | instid1(TRANS32_DEP_1)
	v_rcp_f32_e32 v39, v38
	v_nop
	v_fma_f32 v40, -v38, v39, 1.0
	s_delay_alu instid0(VALU_DEP_1) | instskip(SKIP_1) | instid1(VALU_DEP_1)
	v_fmac_f32_e32 v39, v40, v39
	v_div_scale_f32 v40, vcc_lo, v25, v1, v25
	v_mul_f32_e32 v41, v40, v39
	s_delay_alu instid0(VALU_DEP_1) | instskip(NEXT) | instid1(VALU_DEP_1)
	v_fma_f32 v42, -v38, v41, v40
	v_fmac_f32_e32 v41, v42, v39
	s_delay_alu instid0(VALU_DEP_1) | instskip(NEXT) | instid1(VALU_DEP_1)
	v_fma_f32 v38, -v38, v41, v40
	v_div_fmas_f32 v38, v38, v39, v41
	s_delay_alu instid0(VALU_DEP_1)
	v_div_fixup_f32 v25, v38, v1, v25
.LBB56_51:
	s_or_b32 exec_lo, exec_lo, s11
	s_wait_loadcnt 0x1
	v_dual_mul_f32 v1, s13, v14 :: v_dual_lshlrev_b32 v14, 16, v36
	s_mov_b32 s11, exec_lo
	s_delay_alu instid0(VALU_DEP_1)
	v_cmpx_nlt_f32_e32 s14, v1
	s_cbranch_execz .LBB56_53
; %bb.52:
	v_mul_f32_e32 v38, 0x3fb8aa3b, v1
	v_cmp_ngt_f32_e32 vcc_lo, 0xc2ce8ed0, v1
	s_delay_alu instid0(VALU_DEP_2) | instskip(SKIP_1) | instid1(VALU_DEP_2)
	v_rndne_f32_e32 v39, v38
	v_fma_f32 v40, 0x3fb8aa3b, v1, -v38
	v_sub_f32_e32 v38, v38, v39
	s_delay_alu instid0(VALU_DEP_2) | instskip(SKIP_1) | instid1(VALU_DEP_2)
	v_fmamk_f32 v40, v1, 0x32a5705f, v40
	v_cvt_i32_f32_e32 v39, v39
	v_add_f32_e32 v38, v38, v40
	s_delay_alu instid0(VALU_DEP_1) | instskip(SKIP_1) | instid1(TRANS32_DEP_1)
	v_exp_f32_e32 v38, v38
	v_nop
	v_ldexp_f32 v38, v38, v39
	s_delay_alu instid0(VALU_DEP_1) | instskip(SKIP_1) | instid1(VALU_DEP_2)
	v_cndmask_b32_e32 v38, 0, v38, vcc_lo
	v_cmp_nlt_f32_e32 vcc_lo, 0x42b17218, v1
	v_cndmask_b32_e32 v1, 0x7f800000, v38, vcc_lo
	s_delay_alu instid0(VALU_DEP_1) | instskip(NEXT) | instid1(VALU_DEP_1)
	v_dual_mul_f32 v14, v1, v14 :: v_dual_add_f32 v1, 1.0, v1
	v_div_scale_f32 v38, null, v1, v1, v14
	s_delay_alu instid0(VALU_DEP_1) | instskip(SKIP_1) | instid1(TRANS32_DEP_1)
	v_rcp_f32_e32 v39, v38
	v_nop
	v_fma_f32 v40, -v38, v39, 1.0
	s_delay_alu instid0(VALU_DEP_1) | instskip(SKIP_1) | instid1(VALU_DEP_1)
	v_fmac_f32_e32 v39, v40, v39
	v_div_scale_f32 v40, vcc_lo, v14, v1, v14
	v_mul_f32_e32 v41, v40, v39
	s_delay_alu instid0(VALU_DEP_1) | instskip(NEXT) | instid1(VALU_DEP_1)
	v_fma_f32 v42, -v38, v41, v40
	v_fmac_f32_e32 v41, v42, v39
	s_delay_alu instid0(VALU_DEP_1) | instskip(NEXT) | instid1(VALU_DEP_1)
	v_fma_f32 v38, -v38, v41, v40
	v_div_fmas_f32 v38, v38, v39, v41
	s_delay_alu instid0(VALU_DEP_1)
	v_div_fixup_f32 v14, v38, v1, v14
.LBB56_53:
	s_or_b32 exec_lo, exec_lo, s11
	v_mul_f32_e32 v1, s13, v15
	v_and_b32_e32 v15, 0xffff0000, v36
	s_mov_b32 s11, exec_lo
	s_delay_alu instid0(VALU_DEP_2)
	v_cmpx_nlt_f32_e32 s14, v1
	s_cbranch_execz .LBB56_55
; %bb.54:
	v_mul_f32_e32 v36, 0x3fb8aa3b, v1
	v_cmp_ngt_f32_e32 vcc_lo, 0xc2ce8ed0, v1
	s_delay_alu instid0(VALU_DEP_2) | instskip(SKIP_1) | instid1(VALU_DEP_1)
	v_rndne_f32_e32 v38, v36
	v_fma_f32 v39, 0x3fb8aa3b, v1, -v36
	v_dual_sub_f32 v36, v36, v38 :: v_dual_fmamk_f32 v39, v1, 0x32a5705f, v39
	v_cvt_i32_f32_e32 v38, v38
	s_delay_alu instid0(VALU_DEP_2) | instskip(NEXT) | instid1(VALU_DEP_1)
	v_add_f32_e32 v36, v36, v39
	v_exp_f32_e32 v36, v36
	v_nop
	s_delay_alu instid0(TRANS32_DEP_1) | instskip(NEXT) | instid1(VALU_DEP_1)
	v_ldexp_f32 v36, v36, v38
	v_cndmask_b32_e32 v36, 0, v36, vcc_lo
	v_cmp_nlt_f32_e32 vcc_lo, 0x42b17218, v1
	s_delay_alu instid0(VALU_DEP_2) | instskip(NEXT) | instid1(VALU_DEP_1)
	v_cndmask_b32_e32 v1, 0x7f800000, v36, vcc_lo
	v_dual_mul_f32 v15, v1, v15 :: v_dual_add_f32 v1, 1.0, v1
	s_delay_alu instid0(VALU_DEP_1) | instskip(NEXT) | instid1(VALU_DEP_1)
	v_div_scale_f32 v36, null, v1, v1, v15
	v_rcp_f32_e32 v38, v36
	v_nop
	s_delay_alu instid0(TRANS32_DEP_1) | instskip(NEXT) | instid1(VALU_DEP_1)
	v_fma_f32 v39, -v36, v38, 1.0
	v_fmac_f32_e32 v38, v39, v38
	v_div_scale_f32 v39, vcc_lo, v15, v1, v15
	s_delay_alu instid0(VALU_DEP_1) | instskip(NEXT) | instid1(VALU_DEP_1)
	v_mul_f32_e32 v40, v39, v38
	v_fma_f32 v41, -v36, v40, v39
	s_delay_alu instid0(VALU_DEP_1) | instskip(NEXT) | instid1(VALU_DEP_1)
	v_fmac_f32_e32 v40, v41, v38
	v_fma_f32 v36, -v36, v40, v39
	s_delay_alu instid0(VALU_DEP_1) | instskip(NEXT) | instid1(VALU_DEP_1)
	v_div_fmas_f32 v36, v36, v38, v40
	v_div_fixup_f32 v15, v36, v1, v15
.LBB56_55:
	s_or_b32 exec_lo, exec_lo, s11
	v_dual_mul_f32 v1, s13, v16 :: v_dual_lshlrev_b32 v16, 16, v37
	s_mov_b32 s11, exec_lo
	s_delay_alu instid0(VALU_DEP_1)
	v_cmpx_nlt_f32_e32 s14, v1
	s_cbranch_execz .LBB56_57
; %bb.56:
	v_mul_f32_e32 v36, 0x3fb8aa3b, v1
	v_cmp_ngt_f32_e32 vcc_lo, 0xc2ce8ed0, v1
	s_delay_alu instid0(VALU_DEP_2) | instskip(SKIP_1) | instid1(VALU_DEP_1)
	v_rndne_f32_e32 v38, v36
	v_fma_f32 v39, 0x3fb8aa3b, v1, -v36
	v_dual_sub_f32 v36, v36, v38 :: v_dual_fmamk_f32 v39, v1, 0x32a5705f, v39
	v_cvt_i32_f32_e32 v38, v38
	s_delay_alu instid0(VALU_DEP_2) | instskip(NEXT) | instid1(VALU_DEP_1)
	v_add_f32_e32 v36, v36, v39
	v_exp_f32_e32 v36, v36
	v_nop
	s_delay_alu instid0(TRANS32_DEP_1) | instskip(NEXT) | instid1(VALU_DEP_1)
	v_ldexp_f32 v36, v36, v38
	v_cndmask_b32_e32 v36, 0, v36, vcc_lo
	v_cmp_nlt_f32_e32 vcc_lo, 0x42b17218, v1
	s_delay_alu instid0(VALU_DEP_2) | instskip(NEXT) | instid1(VALU_DEP_1)
	v_cndmask_b32_e32 v1, 0x7f800000, v36, vcc_lo
	v_dual_mul_f32 v16, v1, v16 :: v_dual_add_f32 v1, 1.0, v1
	s_delay_alu instid0(VALU_DEP_1) | instskip(NEXT) | instid1(VALU_DEP_1)
	v_div_scale_f32 v36, null, v1, v1, v16
	v_rcp_f32_e32 v38, v36
	v_nop
	s_delay_alu instid0(TRANS32_DEP_1) | instskip(NEXT) | instid1(VALU_DEP_1)
	v_fma_f32 v39, -v36, v38, 1.0
	v_fmac_f32_e32 v38, v39, v38
	v_div_scale_f32 v39, vcc_lo, v16, v1, v16
	s_delay_alu instid0(VALU_DEP_1) | instskip(NEXT) | instid1(VALU_DEP_1)
	v_mul_f32_e32 v40, v39, v38
	v_fma_f32 v41, -v36, v40, v39
	s_delay_alu instid0(VALU_DEP_1) | instskip(NEXT) | instid1(VALU_DEP_1)
	v_fmac_f32_e32 v40, v41, v38
	v_fma_f32 v36, -v36, v40, v39
	s_delay_alu instid0(VALU_DEP_1) | instskip(NEXT) | instid1(VALU_DEP_1)
	v_div_fmas_f32 v36, v36, v38, v40
	v_div_fixup_f32 v16, v36, v1, v16
.LBB56_57:
	s_or_b32 exec_lo, exec_lo, s11
	v_mul_f32_e32 v1, s13, v17
	v_and_b32_e32 v17, 0xffff0000, v37
	s_mov_b32 s11, exec_lo
	s_delay_alu instid0(VALU_DEP_2)
	v_cmpx_nlt_f32_e32 s14, v1
	s_cbranch_execz .LBB56_59
; %bb.58:
	v_mul_f32_e32 v36, 0x3fb8aa3b, v1
	v_cmp_ngt_f32_e32 vcc_lo, 0xc2ce8ed0, v1
	s_delay_alu instid0(VALU_DEP_2) | instskip(SKIP_1) | instid1(VALU_DEP_2)
	v_rndne_f32_e32 v37, v36
	v_fma_f32 v38, 0x3fb8aa3b, v1, -v36
	v_sub_f32_e32 v36, v36, v37
	s_delay_alu instid0(VALU_DEP_2) | instskip(SKIP_1) | instid1(VALU_DEP_2)
	v_fmamk_f32 v38, v1, 0x32a5705f, v38
	v_cvt_i32_f32_e32 v37, v37
	v_add_f32_e32 v36, v36, v38
	s_delay_alu instid0(VALU_DEP_1) | instskip(SKIP_1) | instid1(TRANS32_DEP_1)
	v_exp_f32_e32 v36, v36
	v_nop
	v_ldexp_f32 v36, v36, v37
	s_delay_alu instid0(VALU_DEP_1) | instskip(SKIP_1) | instid1(VALU_DEP_2)
	v_cndmask_b32_e32 v36, 0, v36, vcc_lo
	v_cmp_nlt_f32_e32 vcc_lo, 0x42b17218, v1
	v_cndmask_b32_e32 v1, 0x7f800000, v36, vcc_lo
	s_delay_alu instid0(VALU_DEP_1) | instskip(SKIP_1) | instid1(VALU_DEP_1)
	v_mul_f32_e32 v17, v1, v17
	v_add_f32_e32 v1, 1.0, v1
	v_div_scale_f32 v36, null, v1, v1, v17
	s_delay_alu instid0(VALU_DEP_1) | instskip(SKIP_1) | instid1(TRANS32_DEP_1)
	v_rcp_f32_e32 v37, v36
	v_nop
	v_fma_f32 v38, -v36, v37, 1.0
	s_delay_alu instid0(VALU_DEP_1) | instskip(SKIP_1) | instid1(VALU_DEP_1)
	v_fmac_f32_e32 v37, v38, v37
	v_div_scale_f32 v38, vcc_lo, v17, v1, v17
	v_mul_f32_e32 v39, v38, v37
	s_delay_alu instid0(VALU_DEP_1) | instskip(NEXT) | instid1(VALU_DEP_1)
	v_fma_f32 v40, -v36, v39, v38
	v_fmac_f32_e32 v39, v40, v37
	s_delay_alu instid0(VALU_DEP_1) | instskip(NEXT) | instid1(VALU_DEP_1)
	v_fma_f32 v36, -v36, v39, v38
	v_div_fmas_f32 v36, v36, v37, v39
	s_delay_alu instid0(VALU_DEP_1)
	v_div_fixup_f32 v17, v36, v1, v17
.LBB56_59:
	s_or_b32 exec_lo, exec_lo, s11
	s_wait_loadcnt 0x0
	v_mul_f32_e32 v1, s13, v6
	v_lshlrev_b32_e32 v6, 16, v34
	s_mov_b32 s11, exec_lo
	s_delay_alu instid0(VALU_DEP_2)
	v_cmpx_nlt_f32_e32 s14, v1
	s_cbranch_execz .LBB56_61
; %bb.60:
	v_mul_f32_e32 v36, 0x3fb8aa3b, v1
	v_cmp_ngt_f32_e32 vcc_lo, 0xc2ce8ed0, v1
	s_delay_alu instid0(VALU_DEP_2) | instskip(SKIP_1) | instid1(VALU_DEP_2)
	v_rndne_f32_e32 v37, v36
	v_fma_f32 v38, 0x3fb8aa3b, v1, -v36
	v_sub_f32_e32 v36, v36, v37
	s_delay_alu instid0(VALU_DEP_2) | instskip(SKIP_1) | instid1(VALU_DEP_2)
	v_fmamk_f32 v38, v1, 0x32a5705f, v38
	v_cvt_i32_f32_e32 v37, v37
	v_add_f32_e32 v36, v36, v38
	s_delay_alu instid0(VALU_DEP_1) | instskip(SKIP_1) | instid1(TRANS32_DEP_1)
	v_exp_f32_e32 v36, v36
	v_nop
	v_ldexp_f32 v36, v36, v37
	s_delay_alu instid0(VALU_DEP_1) | instskip(SKIP_1) | instid1(VALU_DEP_2)
	v_cndmask_b32_e32 v36, 0, v36, vcc_lo
	v_cmp_nlt_f32_e32 vcc_lo, 0x42b17218, v1
	v_cndmask_b32_e32 v1, 0x7f800000, v36, vcc_lo
	s_delay_alu instid0(VALU_DEP_1) | instskip(NEXT) | instid1(VALU_DEP_1)
	v_dual_mul_f32 v6, v1, v6 :: v_dual_add_f32 v1, 1.0, v1
	v_div_scale_f32 v36, null, v1, v1, v6
	s_delay_alu instid0(VALU_DEP_1) | instskip(SKIP_1) | instid1(TRANS32_DEP_1)
	v_rcp_f32_e32 v37, v36
	v_nop
	v_fma_f32 v38, -v36, v37, 1.0
	s_delay_alu instid0(VALU_DEP_1) | instskip(SKIP_1) | instid1(VALU_DEP_1)
	v_fmac_f32_e32 v37, v38, v37
	v_div_scale_f32 v38, vcc_lo, v6, v1, v6
	v_mul_f32_e32 v39, v38, v37
	s_delay_alu instid0(VALU_DEP_1) | instskip(NEXT) | instid1(VALU_DEP_1)
	v_fma_f32 v40, -v36, v39, v38
	v_fmac_f32_e32 v39, v40, v37
	s_delay_alu instid0(VALU_DEP_1) | instskip(NEXT) | instid1(VALU_DEP_1)
	v_fma_f32 v36, -v36, v39, v38
	v_div_fmas_f32 v36, v36, v37, v39
	s_delay_alu instid0(VALU_DEP_1)
	v_div_fixup_f32 v6, v36, v1, v6
.LBB56_61:
	s_or_b32 exec_lo, exec_lo, s11
	v_mul_f32_e32 v1, s13, v7
	v_and_b32_e32 v7, 0xffff0000, v34
	s_mov_b32 s11, exec_lo
	s_delay_alu instid0(VALU_DEP_2)
	v_cmpx_nlt_f32_e32 s14, v1
	s_cbranch_execz .LBB56_63
; %bb.62:
	v_mul_f32_e32 v34, 0x3fb8aa3b, v1
	v_cmp_ngt_f32_e32 vcc_lo, 0xc2ce8ed0, v1
	s_delay_alu instid0(VALU_DEP_2) | instskip(SKIP_1) | instid1(VALU_DEP_1)
	v_rndne_f32_e32 v36, v34
	v_fma_f32 v37, 0x3fb8aa3b, v1, -v34
	v_dual_sub_f32 v34, v34, v36 :: v_dual_fmamk_f32 v37, v1, 0x32a5705f, v37
	v_cvt_i32_f32_e32 v36, v36
	s_delay_alu instid0(VALU_DEP_2) | instskip(NEXT) | instid1(VALU_DEP_1)
	v_add_f32_e32 v34, v34, v37
	v_exp_f32_e32 v34, v34
	v_nop
	s_delay_alu instid0(TRANS32_DEP_1) | instskip(NEXT) | instid1(VALU_DEP_1)
	v_ldexp_f32 v34, v34, v36
	v_cndmask_b32_e32 v34, 0, v34, vcc_lo
	v_cmp_nlt_f32_e32 vcc_lo, 0x42b17218, v1
	s_delay_alu instid0(VALU_DEP_2) | instskip(NEXT) | instid1(VALU_DEP_1)
	v_cndmask_b32_e32 v1, 0x7f800000, v34, vcc_lo
	v_dual_mul_f32 v7, v1, v7 :: v_dual_add_f32 v1, 1.0, v1
	s_delay_alu instid0(VALU_DEP_1) | instskip(NEXT) | instid1(VALU_DEP_1)
	v_div_scale_f32 v34, null, v1, v1, v7
	v_rcp_f32_e32 v36, v34
	v_nop
	s_delay_alu instid0(TRANS32_DEP_1) | instskip(NEXT) | instid1(VALU_DEP_1)
	v_fma_f32 v37, -v34, v36, 1.0
	v_fmac_f32_e32 v36, v37, v36
	v_div_scale_f32 v37, vcc_lo, v7, v1, v7
	s_delay_alu instid0(VALU_DEP_1) | instskip(NEXT) | instid1(VALU_DEP_1)
	v_mul_f32_e32 v38, v37, v36
	v_fma_f32 v39, -v34, v38, v37
	s_delay_alu instid0(VALU_DEP_1) | instskip(NEXT) | instid1(VALU_DEP_1)
	v_fmac_f32_e32 v38, v39, v36
	v_fma_f32 v34, -v34, v38, v37
	s_delay_alu instid0(VALU_DEP_1) | instskip(NEXT) | instid1(VALU_DEP_1)
	v_div_fmas_f32 v34, v34, v36, v38
	v_div_fixup_f32 v7, v34, v1, v7
.LBB56_63:
	s_or_b32 exec_lo, exec_lo, s11
	v_dual_mul_f32 v1, s13, v8 :: v_dual_lshlrev_b32 v8, 16, v35
	s_mov_b32 s11, exec_lo
	s_delay_alu instid0(VALU_DEP_1)
	v_cmpx_nlt_f32_e32 s14, v1
	s_cbranch_execz .LBB56_65
; %bb.64:
	v_mul_f32_e32 v34, 0x3fb8aa3b, v1
	v_cmp_ngt_f32_e32 vcc_lo, 0xc2ce8ed0, v1
	s_delay_alu instid0(VALU_DEP_2) | instskip(SKIP_1) | instid1(VALU_DEP_1)
	v_rndne_f32_e32 v36, v34
	v_fma_f32 v37, 0x3fb8aa3b, v1, -v34
	v_dual_sub_f32 v34, v34, v36 :: v_dual_fmamk_f32 v37, v1, 0x32a5705f, v37
	v_cvt_i32_f32_e32 v36, v36
	s_delay_alu instid0(VALU_DEP_2) | instskip(NEXT) | instid1(VALU_DEP_1)
	v_add_f32_e32 v34, v34, v37
	v_exp_f32_e32 v34, v34
	v_nop
	s_delay_alu instid0(TRANS32_DEP_1) | instskip(NEXT) | instid1(VALU_DEP_1)
	v_ldexp_f32 v34, v34, v36
	v_cndmask_b32_e32 v34, 0, v34, vcc_lo
	v_cmp_nlt_f32_e32 vcc_lo, 0x42b17218, v1
	s_delay_alu instid0(VALU_DEP_2) | instskip(NEXT) | instid1(VALU_DEP_1)
	v_cndmask_b32_e32 v1, 0x7f800000, v34, vcc_lo
	v_dual_mul_f32 v8, v1, v8 :: v_dual_add_f32 v1, 1.0, v1
	s_delay_alu instid0(VALU_DEP_1) | instskip(NEXT) | instid1(VALU_DEP_1)
	v_div_scale_f32 v34, null, v1, v1, v8
	v_rcp_f32_e32 v36, v34
	v_nop
	s_delay_alu instid0(TRANS32_DEP_1) | instskip(NEXT) | instid1(VALU_DEP_1)
	v_fma_f32 v37, -v34, v36, 1.0
	v_fmac_f32_e32 v36, v37, v36
	v_div_scale_f32 v37, vcc_lo, v8, v1, v8
	s_delay_alu instid0(VALU_DEP_1) | instskip(NEXT) | instid1(VALU_DEP_1)
	v_mul_f32_e32 v38, v37, v36
	v_fma_f32 v39, -v34, v38, v37
	s_delay_alu instid0(VALU_DEP_1) | instskip(NEXT) | instid1(VALU_DEP_1)
	v_fmac_f32_e32 v38, v39, v36
	v_fma_f32 v34, -v34, v38, v37
	s_delay_alu instid0(VALU_DEP_1) | instskip(NEXT) | instid1(VALU_DEP_1)
	v_div_fmas_f32 v34, v34, v36, v38
	v_div_fixup_f32 v8, v34, v1, v8
.LBB56_65:
	s_or_b32 exec_lo, exec_lo, s11
	v_mul_f32_e32 v1, s13, v9
	v_and_b32_e32 v9, 0xffff0000, v35
	s_mov_b32 s11, exec_lo
	s_delay_alu instid0(VALU_DEP_2)
	v_cmpx_nlt_f32_e32 s14, v1
	s_cbranch_execz .LBB56_67
; %bb.66:
	v_mul_f32_e32 v34, 0x3fb8aa3b, v1
	v_cmp_ngt_f32_e32 vcc_lo, 0xc2ce8ed0, v1
	s_delay_alu instid0(VALU_DEP_2) | instskip(SKIP_1) | instid1(VALU_DEP_2)
	v_rndne_f32_e32 v35, v34
	v_fma_f32 v36, 0x3fb8aa3b, v1, -v34
	v_sub_f32_e32 v34, v34, v35
	s_delay_alu instid0(VALU_DEP_2) | instskip(SKIP_1) | instid1(VALU_DEP_2)
	v_fmamk_f32 v36, v1, 0x32a5705f, v36
	v_cvt_i32_f32_e32 v35, v35
	v_add_f32_e32 v34, v34, v36
	s_delay_alu instid0(VALU_DEP_1) | instskip(SKIP_1) | instid1(TRANS32_DEP_1)
	v_exp_f32_e32 v34, v34
	v_nop
	v_ldexp_f32 v34, v34, v35
	s_delay_alu instid0(VALU_DEP_1) | instskip(SKIP_1) | instid1(VALU_DEP_2)
	v_cndmask_b32_e32 v34, 0, v34, vcc_lo
	v_cmp_nlt_f32_e32 vcc_lo, 0x42b17218, v1
	v_cndmask_b32_e32 v1, 0x7f800000, v34, vcc_lo
	s_delay_alu instid0(VALU_DEP_1) | instskip(SKIP_1) | instid1(VALU_DEP_1)
	v_mul_f32_e32 v9, v1, v9
	v_add_f32_e32 v1, 1.0, v1
	v_div_scale_f32 v34, null, v1, v1, v9
	s_delay_alu instid0(VALU_DEP_1) | instskip(SKIP_1) | instid1(TRANS32_DEP_1)
	v_rcp_f32_e32 v35, v34
	v_nop
	v_fma_f32 v36, -v34, v35, 1.0
	s_delay_alu instid0(VALU_DEP_1) | instskip(SKIP_1) | instid1(VALU_DEP_1)
	v_fmac_f32_e32 v35, v36, v35
	v_div_scale_f32 v36, vcc_lo, v9, v1, v9
	v_mul_f32_e32 v37, v36, v35
	s_delay_alu instid0(VALU_DEP_1) | instskip(NEXT) | instid1(VALU_DEP_1)
	v_fma_f32 v38, -v34, v37, v36
	v_fmac_f32_e32 v37, v38, v35
	s_delay_alu instid0(VALU_DEP_1) | instskip(NEXT) | instid1(VALU_DEP_1)
	v_fma_f32 v34, -v34, v37, v36
	v_div_fmas_f32 v34, v34, v35, v37
	s_delay_alu instid0(VALU_DEP_1)
	v_div_fixup_f32 v9, v34, v1, v9
.LBB56_67:
	s_or_b32 exec_lo, exec_lo, s11
	s_add_nc_u64 s[16:17], s[4:5], s[8:9]
	s_clause 0x7
	global_store_b128 v0, v[2:5], s[16:17] scale_offset
	global_store_b128 v0, v[10:13], s[16:17] offset:8192 scale_offset
	global_store_b128 v0, v[18:21], s[16:17] offset:16384 scale_offset
	global_store_b128 v0, v[26:29], s[16:17] offset:24576 scale_offset
	global_store_b128 v0, v[30:33], s[16:17] offset:32768 scale_offset
	global_store_b128 v0, v[22:25], s[16:17] offset:40960 scale_offset
	global_store_b128 v0, v[14:17], s[16:17] offset:49152 scale_offset
	global_store_b128 v0, v[6:9], s[16:17] offset:57344 scale_offset
	s_branch .LBB56_2
.LBB56_68:
	s_clause 0x1
	s_load_b32 s11, s[0:1], 0x2c
	s_load_b128 s[16:19], s[0:1], 0x30
	v_dual_mov_b32 v31, v0 :: v_dual_mov_b32 v0, s13
	v_dual_mov_b32 v1, s14 :: v_dual_mov_b32 v2, s4
	;; [unrolled: 1-line block ×5, first 2 shown]
	s_add_nc_u64 s[8:9], s[0:1], 64
	s_wait_xcnt 0x0
	s_get_pc_i64 s[0:1]
	s_add_nc_u64 s[0:1], s[0:1], _ZN2at6native25elementwise_kernel_helperILb1EZZZNS0_12_GLOBAL__N_124softplus_backward_kernelERNS_18TensorIteratorBaseERKN3c106ScalarES8_ENKUlvE_clEvENKUlvE0_clEvEUlffE_NS0_6memory8policies11unroll_baseILi512ESt5arrayIPcLm3EE23TrivialOffsetCalculatorILi2EjESI_ILi1EjENSC_12LoadWithCastILi2EEENSC_13StoreWithCastILi1EEELi32ELi1EEEEEvT0_T1_@rel64+4
	s_wait_kmcnt 0x0
	s_bfe_u32 s12, s11, 0x80008
	v_dual_mov_b32 v9, s11 :: v_dual_mov_b32 v11, s16
	v_dual_mov_b32 v12, s17 :: v_dual_mov_b32 v13, s18
	;; [unrolled: 1-line block ×3, first 2 shown]
	s_swap_pc_i64 s[30:31], s[0:1]
	s_endpgm
	.section	.rodata,"a",@progbits
	.p2align	6, 0x0
	.amdhsa_kernel _ZN2at6native39vectorized_templated_elementwise_kernelILi4EZZZNS0_12_GLOBAL__N_124softplus_backward_kernelERNS_18TensorIteratorBaseERKN3c106ScalarES8_ENKUlvE_clEvENKUlvE0_clEvEUlffE_St5arrayIPcLm3EE23TrivialOffsetCalculatorILi2EjESF_ILi1EjENS0_6memory12LoadWithCastILi2EEENSI_13StoreWithCastILi1EEEfJNS5_8BFloat16EfEEEviT0_T1_T2_T3_T4_T5_
		.amdhsa_group_segment_fixed_size 0
		.amdhsa_private_segment_fixed_size 272
		.amdhsa_kernarg_size 320
		.amdhsa_user_sgpr_count 2
		.amdhsa_user_sgpr_dispatch_ptr 0
		.amdhsa_user_sgpr_queue_ptr 0
		.amdhsa_user_sgpr_kernarg_segment_ptr 1
		.amdhsa_user_sgpr_dispatch_id 0
		.amdhsa_user_sgpr_kernarg_preload_length 0
		.amdhsa_user_sgpr_kernarg_preload_offset 0
		.amdhsa_user_sgpr_private_segment_size 0
		.amdhsa_wavefront_size32 1
		.amdhsa_uses_dynamic_stack 0
		.amdhsa_enable_private_segment 1
		.amdhsa_system_sgpr_workgroup_id_x 1
		.amdhsa_system_sgpr_workgroup_id_y 0
		.amdhsa_system_sgpr_workgroup_id_z 0
		.amdhsa_system_sgpr_workgroup_info 0
		.amdhsa_system_vgpr_workitem_id 0
		.amdhsa_next_free_vgpr 132
		.amdhsa_next_free_sgpr 96
		.amdhsa_named_barrier_count 0
		.amdhsa_reserve_vcc 1
		.amdhsa_float_round_mode_32 0
		.amdhsa_float_round_mode_16_64 0
		.amdhsa_float_denorm_mode_32 3
		.amdhsa_float_denorm_mode_16_64 3
		.amdhsa_fp16_overflow 0
		.amdhsa_memory_ordered 1
		.amdhsa_forward_progress 1
		.amdhsa_inst_pref_size 66
		.amdhsa_round_robin_scheduling 0
		.amdhsa_exception_fp_ieee_invalid_op 0
		.amdhsa_exception_fp_denorm_src 0
		.amdhsa_exception_fp_ieee_div_zero 0
		.amdhsa_exception_fp_ieee_overflow 0
		.amdhsa_exception_fp_ieee_underflow 0
		.amdhsa_exception_fp_ieee_inexact 0
		.amdhsa_exception_int_div_zero 0
	.end_amdhsa_kernel
	.section	.text._ZN2at6native39vectorized_templated_elementwise_kernelILi4EZZZNS0_12_GLOBAL__N_124softplus_backward_kernelERNS_18TensorIteratorBaseERKN3c106ScalarES8_ENKUlvE_clEvENKUlvE0_clEvEUlffE_St5arrayIPcLm3EE23TrivialOffsetCalculatorILi2EjESF_ILi1EjENS0_6memory12LoadWithCastILi2EEENSI_13StoreWithCastILi1EEEfJNS5_8BFloat16EfEEEviT0_T1_T2_T3_T4_T5_,"axG",@progbits,_ZN2at6native39vectorized_templated_elementwise_kernelILi4EZZZNS0_12_GLOBAL__N_124softplus_backward_kernelERNS_18TensorIteratorBaseERKN3c106ScalarES8_ENKUlvE_clEvENKUlvE0_clEvEUlffE_St5arrayIPcLm3EE23TrivialOffsetCalculatorILi2EjESF_ILi1EjENS0_6memory12LoadWithCastILi2EEENSI_13StoreWithCastILi1EEEfJNS5_8BFloat16EfEEEviT0_T1_T2_T3_T4_T5_,comdat
.Lfunc_end56:
	.size	_ZN2at6native39vectorized_templated_elementwise_kernelILi4EZZZNS0_12_GLOBAL__N_124softplus_backward_kernelERNS_18TensorIteratorBaseERKN3c106ScalarES8_ENKUlvE_clEvENKUlvE0_clEvEUlffE_St5arrayIPcLm3EE23TrivialOffsetCalculatorILi2EjESF_ILi1EjENS0_6memory12LoadWithCastILi2EEENSI_13StoreWithCastILi1EEEfJNS5_8BFloat16EfEEEviT0_T1_T2_T3_T4_T5_, .Lfunc_end56-_ZN2at6native39vectorized_templated_elementwise_kernelILi4EZZZNS0_12_GLOBAL__N_124softplus_backward_kernelERNS_18TensorIteratorBaseERKN3c106ScalarES8_ENKUlvE_clEvENKUlvE0_clEvEUlffE_St5arrayIPcLm3EE23TrivialOffsetCalculatorILi2EjESF_ILi1EjENS0_6memory12LoadWithCastILi2EEENSI_13StoreWithCastILi1EEEfJNS5_8BFloat16EfEEEviT0_T1_T2_T3_T4_T5_
                                        ; -- End function
	.set _ZN2at6native39vectorized_templated_elementwise_kernelILi4EZZZNS0_12_GLOBAL__N_124softplus_backward_kernelERNS_18TensorIteratorBaseERKN3c106ScalarES8_ENKUlvE_clEvENKUlvE0_clEvEUlffE_St5arrayIPcLm3EE23TrivialOffsetCalculatorILi2EjESF_ILi1EjENS0_6memory12LoadWithCastILi2EEENSI_13StoreWithCastILi1EEEfJNS5_8BFloat16EfEEEviT0_T1_T2_T3_T4_T5_.num_vgpr, max(55, .L_ZN2at6native25elementwise_kernel_helperILb1EZZZNS0_12_GLOBAL__N_124softplus_backward_kernelERNS_18TensorIteratorBaseERKN3c106ScalarES8_ENKUlvE_clEvENKUlvE0_clEvEUlffE_NS0_6memory8policies11unroll_baseILi512ESt5arrayIPcLm3EE23TrivialOffsetCalculatorILi2EjESI_ILi1EjENSC_12LoadWithCastILi2EEENSC_13StoreWithCastILi1EEELi32ELi1EEEEEvT0_T1_.num_vgpr)
	.set _ZN2at6native39vectorized_templated_elementwise_kernelILi4EZZZNS0_12_GLOBAL__N_124softplus_backward_kernelERNS_18TensorIteratorBaseERKN3c106ScalarES8_ENKUlvE_clEvENKUlvE0_clEvEUlffE_St5arrayIPcLm3EE23TrivialOffsetCalculatorILi2EjESF_ILi1EjENS0_6memory12LoadWithCastILi2EEENSI_13StoreWithCastILi1EEEfJNS5_8BFloat16EfEEEviT0_T1_T2_T3_T4_T5_.num_agpr, max(0, .L_ZN2at6native25elementwise_kernel_helperILb1EZZZNS0_12_GLOBAL__N_124softplus_backward_kernelERNS_18TensorIteratorBaseERKN3c106ScalarES8_ENKUlvE_clEvENKUlvE0_clEvEUlffE_NS0_6memory8policies11unroll_baseILi512ESt5arrayIPcLm3EE23TrivialOffsetCalculatorILi2EjESI_ILi1EjENSC_12LoadWithCastILi2EEENSC_13StoreWithCastILi1EEELi32ELi1EEEEEvT0_T1_.num_agpr)
	.set _ZN2at6native39vectorized_templated_elementwise_kernelILi4EZZZNS0_12_GLOBAL__N_124softplus_backward_kernelERNS_18TensorIteratorBaseERKN3c106ScalarES8_ENKUlvE_clEvENKUlvE0_clEvEUlffE_St5arrayIPcLm3EE23TrivialOffsetCalculatorILi2EjESF_ILi1EjENS0_6memory12LoadWithCastILi2EEENSI_13StoreWithCastILi1EEEfJNS5_8BFloat16EfEEEviT0_T1_T2_T3_T4_T5_.numbered_sgpr, max(33, .L_ZN2at6native25elementwise_kernel_helperILb1EZZZNS0_12_GLOBAL__N_124softplus_backward_kernelERNS_18TensorIteratorBaseERKN3c106ScalarES8_ENKUlvE_clEvENKUlvE0_clEvEUlffE_NS0_6memory8policies11unroll_baseILi512ESt5arrayIPcLm3EE23TrivialOffsetCalculatorILi2EjESI_ILi1EjENSC_12LoadWithCastILi2EEENSC_13StoreWithCastILi1EEELi32ELi1EEEEEvT0_T1_.numbered_sgpr)
	.set _ZN2at6native39vectorized_templated_elementwise_kernelILi4EZZZNS0_12_GLOBAL__N_124softplus_backward_kernelERNS_18TensorIteratorBaseERKN3c106ScalarES8_ENKUlvE_clEvENKUlvE0_clEvEUlffE_St5arrayIPcLm3EE23TrivialOffsetCalculatorILi2EjESF_ILi1EjENS0_6memory12LoadWithCastILi2EEENSI_13StoreWithCastILi1EEEfJNS5_8BFloat16EfEEEviT0_T1_T2_T3_T4_T5_.num_named_barrier, max(0, .L_ZN2at6native25elementwise_kernel_helperILb1EZZZNS0_12_GLOBAL__N_124softplus_backward_kernelERNS_18TensorIteratorBaseERKN3c106ScalarES8_ENKUlvE_clEvENKUlvE0_clEvEUlffE_NS0_6memory8policies11unroll_baseILi512ESt5arrayIPcLm3EE23TrivialOffsetCalculatorILi2EjESI_ILi1EjENSC_12LoadWithCastILi2EEENSC_13StoreWithCastILi1EEELi32ELi1EEEEEvT0_T1_.num_named_barrier)
	.set _ZN2at6native39vectorized_templated_elementwise_kernelILi4EZZZNS0_12_GLOBAL__N_124softplus_backward_kernelERNS_18TensorIteratorBaseERKN3c106ScalarES8_ENKUlvE_clEvENKUlvE0_clEvEUlffE_St5arrayIPcLm3EE23TrivialOffsetCalculatorILi2EjESF_ILi1EjENS0_6memory12LoadWithCastILi2EEENSI_13StoreWithCastILi1EEEfJNS5_8BFloat16EfEEEviT0_T1_T2_T3_T4_T5_.private_seg_size, 0+max(.L_ZN2at6native25elementwise_kernel_helperILb1EZZZNS0_12_GLOBAL__N_124softplus_backward_kernelERNS_18TensorIteratorBaseERKN3c106ScalarES8_ENKUlvE_clEvENKUlvE0_clEvEUlffE_NS0_6memory8policies11unroll_baseILi512ESt5arrayIPcLm3EE23TrivialOffsetCalculatorILi2EjESI_ILi1EjENSC_12LoadWithCastILi2EEENSC_13StoreWithCastILi1EEELi32ELi1EEEEEvT0_T1_.private_seg_size)
	.set _ZN2at6native39vectorized_templated_elementwise_kernelILi4EZZZNS0_12_GLOBAL__N_124softplus_backward_kernelERNS_18TensorIteratorBaseERKN3c106ScalarES8_ENKUlvE_clEvENKUlvE0_clEvEUlffE_St5arrayIPcLm3EE23TrivialOffsetCalculatorILi2EjESF_ILi1EjENS0_6memory12LoadWithCastILi2EEENSI_13StoreWithCastILi1EEEfJNS5_8BFloat16EfEEEviT0_T1_T2_T3_T4_T5_.uses_vcc, or(1, .L_ZN2at6native25elementwise_kernel_helperILb1EZZZNS0_12_GLOBAL__N_124softplus_backward_kernelERNS_18TensorIteratorBaseERKN3c106ScalarES8_ENKUlvE_clEvENKUlvE0_clEvEUlffE_NS0_6memory8policies11unroll_baseILi512ESt5arrayIPcLm3EE23TrivialOffsetCalculatorILi2EjESI_ILi1EjENSC_12LoadWithCastILi2EEENSC_13StoreWithCastILi1EEELi32ELi1EEEEEvT0_T1_.uses_vcc)
	.set _ZN2at6native39vectorized_templated_elementwise_kernelILi4EZZZNS0_12_GLOBAL__N_124softplus_backward_kernelERNS_18TensorIteratorBaseERKN3c106ScalarES8_ENKUlvE_clEvENKUlvE0_clEvEUlffE_St5arrayIPcLm3EE23TrivialOffsetCalculatorILi2EjESF_ILi1EjENS0_6memory12LoadWithCastILi2EEENSI_13StoreWithCastILi1EEEfJNS5_8BFloat16EfEEEviT0_T1_T2_T3_T4_T5_.uses_flat_scratch, or(0, .L_ZN2at6native25elementwise_kernel_helperILb1EZZZNS0_12_GLOBAL__N_124softplus_backward_kernelERNS_18TensorIteratorBaseERKN3c106ScalarES8_ENKUlvE_clEvENKUlvE0_clEvEUlffE_NS0_6memory8policies11unroll_baseILi512ESt5arrayIPcLm3EE23TrivialOffsetCalculatorILi2EjESI_ILi1EjENSC_12LoadWithCastILi2EEENSC_13StoreWithCastILi1EEELi32ELi1EEEEEvT0_T1_.uses_flat_scratch)
	.set _ZN2at6native39vectorized_templated_elementwise_kernelILi4EZZZNS0_12_GLOBAL__N_124softplus_backward_kernelERNS_18TensorIteratorBaseERKN3c106ScalarES8_ENKUlvE_clEvENKUlvE0_clEvEUlffE_St5arrayIPcLm3EE23TrivialOffsetCalculatorILi2EjESF_ILi1EjENS0_6memory12LoadWithCastILi2EEENSI_13StoreWithCastILi1EEEfJNS5_8BFloat16EfEEEviT0_T1_T2_T3_T4_T5_.has_dyn_sized_stack, or(0, .L_ZN2at6native25elementwise_kernel_helperILb1EZZZNS0_12_GLOBAL__N_124softplus_backward_kernelERNS_18TensorIteratorBaseERKN3c106ScalarES8_ENKUlvE_clEvENKUlvE0_clEvEUlffE_NS0_6memory8policies11unroll_baseILi512ESt5arrayIPcLm3EE23TrivialOffsetCalculatorILi2EjESI_ILi1EjENSC_12LoadWithCastILi2EEENSC_13StoreWithCastILi1EEELi32ELi1EEEEEvT0_T1_.has_dyn_sized_stack)
	.set _ZN2at6native39vectorized_templated_elementwise_kernelILi4EZZZNS0_12_GLOBAL__N_124softplus_backward_kernelERNS_18TensorIteratorBaseERKN3c106ScalarES8_ENKUlvE_clEvENKUlvE0_clEvEUlffE_St5arrayIPcLm3EE23TrivialOffsetCalculatorILi2EjESF_ILi1EjENS0_6memory12LoadWithCastILi2EEENSI_13StoreWithCastILi1EEEfJNS5_8BFloat16EfEEEviT0_T1_T2_T3_T4_T5_.has_recursion, or(0, .L_ZN2at6native25elementwise_kernel_helperILb1EZZZNS0_12_GLOBAL__N_124softplus_backward_kernelERNS_18TensorIteratorBaseERKN3c106ScalarES8_ENKUlvE_clEvENKUlvE0_clEvEUlffE_NS0_6memory8policies11unroll_baseILi512ESt5arrayIPcLm3EE23TrivialOffsetCalculatorILi2EjESI_ILi1EjENSC_12LoadWithCastILi2EEENSC_13StoreWithCastILi1EEELi32ELi1EEEEEvT0_T1_.has_recursion)
	.set _ZN2at6native39vectorized_templated_elementwise_kernelILi4EZZZNS0_12_GLOBAL__N_124softplus_backward_kernelERNS_18TensorIteratorBaseERKN3c106ScalarES8_ENKUlvE_clEvENKUlvE0_clEvEUlffE_St5arrayIPcLm3EE23TrivialOffsetCalculatorILi2EjESF_ILi1EjENS0_6memory12LoadWithCastILi2EEENSI_13StoreWithCastILi1EEEfJNS5_8BFloat16EfEEEviT0_T1_T2_T3_T4_T5_.has_indirect_call, or(0, .L_ZN2at6native25elementwise_kernel_helperILb1EZZZNS0_12_GLOBAL__N_124softplus_backward_kernelERNS_18TensorIteratorBaseERKN3c106ScalarES8_ENKUlvE_clEvENKUlvE0_clEvEUlffE_NS0_6memory8policies11unroll_baseILi512ESt5arrayIPcLm3EE23TrivialOffsetCalculatorILi2EjESI_ILi1EjENSC_12LoadWithCastILi2EEENSC_13StoreWithCastILi1EEELi32ELi1EEEEEvT0_T1_.has_indirect_call)
	.section	.AMDGPU.csdata,"",@progbits
; Kernel info:
; codeLenInByte = 8344
; TotalNumSgprs: 98
; NumVgprs: 132
; ScratchSize: 272
; MemoryBound: 0
; FloatMode: 240
; IeeeMode: 1
; LDSByteSize: 0 bytes/workgroup (compile time only)
; SGPRBlocks: 0
; VGPRBlocks: 8
; NumSGPRsForWavesPerEU: 98
; NumVGPRsForWavesPerEU: 132
; NamedBarCnt: 0
; Occupancy: 7
; WaveLimiterHint : 1
; COMPUTE_PGM_RSRC2:SCRATCH_EN: 1
; COMPUTE_PGM_RSRC2:USER_SGPR: 2
; COMPUTE_PGM_RSRC2:TRAP_HANDLER: 0
; COMPUTE_PGM_RSRC2:TGID_X_EN: 1
; COMPUTE_PGM_RSRC2:TGID_Y_EN: 0
; COMPUTE_PGM_RSRC2:TGID_Z_EN: 0
; COMPUTE_PGM_RSRC2:TIDIG_COMP_CNT: 0
	.section	.text._ZN2at6native39vectorized_templated_elementwise_kernelILi2EZZZNS0_12_GLOBAL__N_124softplus_backward_kernelERNS_18TensorIteratorBaseERKN3c106ScalarES8_ENKUlvE_clEvENKUlvE0_clEvEUlffE_St5arrayIPcLm3EE23TrivialOffsetCalculatorILi2EjESF_ILi1EjENS0_6memory12LoadWithCastILi2EEENSI_13StoreWithCastILi1EEEfJNS5_8BFloat16EfEEEviT0_T1_T2_T3_T4_T5_,"axG",@progbits,_ZN2at6native39vectorized_templated_elementwise_kernelILi2EZZZNS0_12_GLOBAL__N_124softplus_backward_kernelERNS_18TensorIteratorBaseERKN3c106ScalarES8_ENKUlvE_clEvENKUlvE0_clEvEUlffE_St5arrayIPcLm3EE23TrivialOffsetCalculatorILi2EjESF_ILi1EjENS0_6memory12LoadWithCastILi2EEENSI_13StoreWithCastILi1EEEfJNS5_8BFloat16EfEEEviT0_T1_T2_T3_T4_T5_,comdat
	.globl	_ZN2at6native39vectorized_templated_elementwise_kernelILi2EZZZNS0_12_GLOBAL__N_124softplus_backward_kernelERNS_18TensorIteratorBaseERKN3c106ScalarES8_ENKUlvE_clEvENKUlvE0_clEvEUlffE_St5arrayIPcLm3EE23TrivialOffsetCalculatorILi2EjESF_ILi1EjENS0_6memory12LoadWithCastILi2EEENSI_13StoreWithCastILi1EEEfJNS5_8BFloat16EfEEEviT0_T1_T2_T3_T4_T5_ ; -- Begin function _ZN2at6native39vectorized_templated_elementwise_kernelILi2EZZZNS0_12_GLOBAL__N_124softplus_backward_kernelERNS_18TensorIteratorBaseERKN3c106ScalarES8_ENKUlvE_clEvENKUlvE0_clEvEUlffE_St5arrayIPcLm3EE23TrivialOffsetCalculatorILi2EjESF_ILi1EjENS0_6memory12LoadWithCastILi2EEENSI_13StoreWithCastILi1EEEfJNS5_8BFloat16EfEEEviT0_T1_T2_T3_T4_T5_
	.p2align	8
	.type	_ZN2at6native39vectorized_templated_elementwise_kernelILi2EZZZNS0_12_GLOBAL__N_124softplus_backward_kernelERNS_18TensorIteratorBaseERKN3c106ScalarES8_ENKUlvE_clEvENKUlvE0_clEvEUlffE_St5arrayIPcLm3EE23TrivialOffsetCalculatorILi2EjESF_ILi1EjENS0_6memory12LoadWithCastILi2EEENSI_13StoreWithCastILi1EEEfJNS5_8BFloat16EfEEEviT0_T1_T2_T3_T4_T5_,@function
_ZN2at6native39vectorized_templated_elementwise_kernelILi2EZZZNS0_12_GLOBAL__N_124softplus_backward_kernelERNS_18TensorIteratorBaseERKN3c106ScalarES8_ENKUlvE_clEvENKUlvE0_clEvEUlffE_St5arrayIPcLm3EE23TrivialOffsetCalculatorILi2EjESF_ILi1EjENS0_6memory12LoadWithCastILi2EEENSI_13StoreWithCastILi1EEEfJNS5_8BFloat16EfEEEviT0_T1_T2_T3_T4_T5_: ; @_ZN2at6native39vectorized_templated_elementwise_kernelILi2EZZZNS0_12_GLOBAL__N_124softplus_backward_kernelERNS_18TensorIteratorBaseERKN3c106ScalarES8_ENKUlvE_clEvENKUlvE0_clEvEUlffE_St5arrayIPcLm3EE23TrivialOffsetCalculatorILi2EjESF_ILi1EjENS0_6memory12LoadWithCastILi2EEENSI_13StoreWithCastILi1EEEfJNS5_8BFloat16EfEEEviT0_T1_T2_T3_T4_T5_
; %bb.0:
	s_clause 0x2
	s_load_b32 s8, s[0:1], 0x40
	s_load_b96 s[12:14], s[0:1], 0x0
	s_load_b64 s[2:3], s[0:1], 0x20
	s_bfe_u32 s9, ttmp6, 0x4000c
	s_load_b128 s[4:7], s[0:1], 0x10
	s_add_co_i32 s9, s9, 1
	s_and_b32 s10, ttmp6, 15
	s_mul_i32 s9, ttmp9, s9
	s_getreg_b32 s11, hwreg(HW_REG_IB_STS2, 6, 4)
	s_add_co_i32 s10, s10, s9
	s_cmp_eq_u32 s11, 0
	s_mov_b32 s32, 0
	s_cselect_b32 s9, ttmp9, s10
	s_delay_alu instid0(SALU_CYCLE_1) | instskip(SKIP_4) | instid1(SALU_CYCLE_1)
	s_not_b32 s9, s9
	s_wait_kmcnt 0x0
	s_add_co_i32 s8, s8, s9
	s_mov_b32 s9, -1
	s_lshl_b32 s8, s8, 14
	s_sub_co_i32 s10, s12, s8
	s_delay_alu instid0(SALU_CYCLE_1)
	s_cmp_gt_i32 s10, 0x3fff
	s_cbranch_scc1 .LBB57_3
; %bb.1:
	s_and_b32 vcc_lo, exec_lo, s9
	s_cbranch_vccnz .LBB57_68
.LBB57_2:
	s_sendmsg sendmsg(MSG_DEALLOC_VGPRS)
	s_endpgm
.LBB57_3:
	s_ashr_i32 s9, s8, 31
	s_mov_b32 s11, exec_lo
	s_lshl_b64 s[16:17], s[8:9], 1
	s_lshl_b64 s[8:9], s[8:9], 2
	s_add_nc_u64 s[16:17], s[6:7], s[16:17]
	s_add_nc_u64 s[18:19], s[2:3], s[8:9]
	s_clause 0x1f
	global_load_b32 v48, v0, s[16:17] scale_offset
	global_load_b32 v47, v0, s[16:17] offset:2048 scale_offset
	global_load_b32 v46, v0, s[16:17] offset:4096 scale_offset
	;; [unrolled: 1-line block ×15, first 2 shown]
	global_load_b64 v[2:3], v0, s[18:19] scale_offset
	global_load_b64 v[6:7], v0, s[18:19] offset:4096 scale_offset
	global_load_b64 v[10:11], v0, s[18:19] offset:8192 scale_offset
	;; [unrolled: 1-line block ×6, first 2 shown]
	; meta instruction
	global_load_b64 v[30:31], v0, s[18:19] offset:28672 scale_offset
	global_load_b64 v[32:33], v0, s[18:19] offset:32768 scale_offset
	;; [unrolled: 1-line block ×9, first 2 shown]
	s_wait_loadcnt 0xf
	v_dual_mul_f32 v49, s13, v2 :: v_dual_lshlrev_b32 v2, 16, v48
	s_wait_xcnt 0x0
	s_delay_alu instid0(VALU_DEP_1)
	v_cmpx_nlt_f32_e32 s14, v49
	s_cbranch_execz .LBB57_5
; %bb.4:
	v_mul_f32_e32 v50, 0x3fb8aa3b, v49
	v_cmp_ngt_f32_e32 vcc_lo, 0xc2ce8ed0, v49
	s_delay_alu instid0(VALU_DEP_2) | instskip(SKIP_1) | instid1(VALU_DEP_2)
	v_rndne_f32_e32 v51, v50
	v_fma_f32 v52, 0x3fb8aa3b, v49, -v50
	v_sub_f32_e32 v50, v50, v51
	s_delay_alu instid0(VALU_DEP_2) | instskip(SKIP_1) | instid1(VALU_DEP_2)
	v_fmamk_f32 v52, v49, 0x32a5705f, v52
	v_cvt_i32_f32_e32 v51, v51
	v_add_f32_e32 v50, v50, v52
	s_delay_alu instid0(VALU_DEP_1) | instskip(SKIP_1) | instid1(TRANS32_DEP_1)
	v_exp_f32_e32 v50, v50
	v_nop
	v_ldexp_f32 v50, v50, v51
	s_delay_alu instid0(VALU_DEP_1) | instskip(SKIP_1) | instid1(VALU_DEP_2)
	v_cndmask_b32_e32 v50, 0, v50, vcc_lo
	v_cmp_nlt_f32_e32 vcc_lo, 0x42b17218, v49
	v_cndmask_b32_e32 v49, 0x7f800000, v50, vcc_lo
	s_delay_alu instid0(VALU_DEP_1) | instskip(NEXT) | instid1(VALU_DEP_1)
	v_dual_mul_f32 v2, v49, v2 :: v_dual_add_f32 v49, 1.0, v49
	v_div_scale_f32 v50, null, v49, v49, v2
	s_delay_alu instid0(VALU_DEP_1) | instskip(SKIP_1) | instid1(TRANS32_DEP_1)
	v_rcp_f32_e32 v51, v50
	v_nop
	v_fma_f32 v52, -v50, v51, 1.0
	s_delay_alu instid0(VALU_DEP_1) | instskip(SKIP_1) | instid1(VALU_DEP_1)
	v_fmac_f32_e32 v51, v52, v51
	v_div_scale_f32 v52, vcc_lo, v2, v49, v2
	v_mul_f32_e32 v53, v52, v51
	s_delay_alu instid0(VALU_DEP_1) | instskip(NEXT) | instid1(VALU_DEP_1)
	v_fma_f32 v54, -v50, v53, v52
	v_fmac_f32_e32 v53, v54, v51
	s_delay_alu instid0(VALU_DEP_1) | instskip(NEXT) | instid1(VALU_DEP_1)
	v_fma_f32 v50, -v50, v53, v52
	v_div_fmas_f32 v50, v50, v51, v53
	s_delay_alu instid0(VALU_DEP_1)
	v_div_fixup_f32 v2, v50, v49, v2
.LBB57_5:
	s_or_b32 exec_lo, exec_lo, s11
	v_mul_f32_e32 v49, s13, v3
	v_and_b32_e32 v3, 0xffff0000, v48
	s_mov_b32 s11, exec_lo
	s_delay_alu instid0(VALU_DEP_2)
	v_cmpx_nlt_f32_e32 s14, v49
	s_cbranch_execz .LBB57_7
; %bb.6:
	v_mul_f32_e32 v48, 0x3fb8aa3b, v49
	v_cmp_ngt_f32_e32 vcc_lo, 0xc2ce8ed0, v49
	s_delay_alu instid0(VALU_DEP_2) | instskip(SKIP_1) | instid1(VALU_DEP_1)
	v_rndne_f32_e32 v50, v48
	v_fma_f32 v51, 0x3fb8aa3b, v49, -v48
	v_dual_sub_f32 v48, v48, v50 :: v_dual_fmamk_f32 v51, v49, 0x32a5705f, v51
	v_cvt_i32_f32_e32 v50, v50
	s_delay_alu instid0(VALU_DEP_2) | instskip(NEXT) | instid1(VALU_DEP_1)
	v_add_f32_e32 v48, v48, v51
	v_exp_f32_e32 v48, v48
	v_nop
	s_delay_alu instid0(TRANS32_DEP_1) | instskip(NEXT) | instid1(VALU_DEP_1)
	v_ldexp_f32 v48, v48, v50
	v_cndmask_b32_e32 v48, 0, v48, vcc_lo
	v_cmp_nlt_f32_e32 vcc_lo, 0x42b17218, v49
	s_delay_alu instid0(VALU_DEP_2) | instskip(NEXT) | instid1(VALU_DEP_1)
	v_cndmask_b32_e32 v48, 0x7f800000, v48, vcc_lo
	v_dual_mul_f32 v3, v48, v3 :: v_dual_add_f32 v48, 1.0, v48
	s_delay_alu instid0(VALU_DEP_1) | instskip(NEXT) | instid1(VALU_DEP_1)
	v_div_scale_f32 v49, null, v48, v48, v3
	v_rcp_f32_e32 v50, v49
	v_nop
	s_delay_alu instid0(TRANS32_DEP_1) | instskip(NEXT) | instid1(VALU_DEP_1)
	v_fma_f32 v51, -v49, v50, 1.0
	v_fmac_f32_e32 v50, v51, v50
	v_div_scale_f32 v51, vcc_lo, v3, v48, v3
	s_delay_alu instid0(VALU_DEP_1) | instskip(NEXT) | instid1(VALU_DEP_1)
	v_mul_f32_e32 v52, v51, v50
	v_fma_f32 v53, -v49, v52, v51
	s_delay_alu instid0(VALU_DEP_1) | instskip(NEXT) | instid1(VALU_DEP_1)
	v_fmac_f32_e32 v52, v53, v50
	v_fma_f32 v49, -v49, v52, v51
	s_delay_alu instid0(VALU_DEP_1) | instskip(NEXT) | instid1(VALU_DEP_1)
	v_div_fmas_f32 v49, v49, v50, v52
	v_div_fixup_f32 v3, v49, v48, v3
.LBB57_7:
	s_or_b32 exec_lo, exec_lo, s11
	s_wait_loadcnt 0xe
	v_dual_mul_f32 v48, s13, v6 :: v_dual_lshlrev_b32 v6, 16, v47
	s_mov_b32 s11, exec_lo
	s_delay_alu instid0(VALU_DEP_1)
	v_cmpx_nlt_f32_e32 s14, v48
	s_cbranch_execz .LBB57_9
; %bb.8:
	v_mul_f32_e32 v49, 0x3fb8aa3b, v48
	v_cmp_ngt_f32_e32 vcc_lo, 0xc2ce8ed0, v48
	s_delay_alu instid0(VALU_DEP_2) | instskip(SKIP_1) | instid1(VALU_DEP_2)
	v_rndne_f32_e32 v50, v49
	v_fma_f32 v51, 0x3fb8aa3b, v48, -v49
	v_sub_f32_e32 v49, v49, v50
	s_delay_alu instid0(VALU_DEP_2) | instskip(SKIP_1) | instid1(VALU_DEP_2)
	v_fmamk_f32 v51, v48, 0x32a5705f, v51
	v_cvt_i32_f32_e32 v50, v50
	v_add_f32_e32 v49, v49, v51
	s_delay_alu instid0(VALU_DEP_1) | instskip(SKIP_1) | instid1(TRANS32_DEP_1)
	v_exp_f32_e32 v49, v49
	v_nop
	v_ldexp_f32 v49, v49, v50
	s_delay_alu instid0(VALU_DEP_1) | instskip(SKIP_1) | instid1(VALU_DEP_2)
	v_cndmask_b32_e32 v49, 0, v49, vcc_lo
	v_cmp_nlt_f32_e32 vcc_lo, 0x42b17218, v48
	v_cndmask_b32_e32 v48, 0x7f800000, v49, vcc_lo
	s_delay_alu instid0(VALU_DEP_1) | instskip(NEXT) | instid1(VALU_DEP_1)
	v_dual_mul_f32 v6, v48, v6 :: v_dual_add_f32 v48, 1.0, v48
	v_div_scale_f32 v49, null, v48, v48, v6
	s_delay_alu instid0(VALU_DEP_1) | instskip(SKIP_1) | instid1(TRANS32_DEP_1)
	v_rcp_f32_e32 v50, v49
	v_nop
	v_fma_f32 v51, -v49, v50, 1.0
	s_delay_alu instid0(VALU_DEP_1) | instskip(SKIP_1) | instid1(VALU_DEP_1)
	v_fmac_f32_e32 v50, v51, v50
	v_div_scale_f32 v51, vcc_lo, v6, v48, v6
	v_mul_f32_e32 v52, v51, v50
	s_delay_alu instid0(VALU_DEP_1) | instskip(NEXT) | instid1(VALU_DEP_1)
	v_fma_f32 v53, -v49, v52, v51
	v_fmac_f32_e32 v52, v53, v50
	s_delay_alu instid0(VALU_DEP_1) | instskip(NEXT) | instid1(VALU_DEP_1)
	v_fma_f32 v49, -v49, v52, v51
	v_div_fmas_f32 v49, v49, v50, v52
	s_delay_alu instid0(VALU_DEP_1)
	v_div_fixup_f32 v6, v49, v48, v6
.LBB57_9:
	s_or_b32 exec_lo, exec_lo, s11
	v_mul_f32_e32 v48, s13, v7
	v_and_b32_e32 v7, 0xffff0000, v47
	s_mov_b32 s11, exec_lo
	s_delay_alu instid0(VALU_DEP_2)
	v_cmpx_nlt_f32_e32 s14, v48
	s_cbranch_execz .LBB57_11
; %bb.10:
	v_mul_f32_e32 v47, 0x3fb8aa3b, v48
	v_cmp_ngt_f32_e32 vcc_lo, 0xc2ce8ed0, v48
	s_delay_alu instid0(VALU_DEP_2) | instskip(SKIP_1) | instid1(VALU_DEP_1)
	v_rndne_f32_e32 v49, v47
	v_fma_f32 v50, 0x3fb8aa3b, v48, -v47
	v_dual_sub_f32 v47, v47, v49 :: v_dual_fmamk_f32 v50, v48, 0x32a5705f, v50
	v_cvt_i32_f32_e32 v49, v49
	s_delay_alu instid0(VALU_DEP_2) | instskip(NEXT) | instid1(VALU_DEP_1)
	v_add_f32_e32 v47, v47, v50
	v_exp_f32_e32 v47, v47
	v_nop
	s_delay_alu instid0(TRANS32_DEP_1) | instskip(NEXT) | instid1(VALU_DEP_1)
	v_ldexp_f32 v47, v47, v49
	v_cndmask_b32_e32 v47, 0, v47, vcc_lo
	v_cmp_nlt_f32_e32 vcc_lo, 0x42b17218, v48
	s_delay_alu instid0(VALU_DEP_2) | instskip(NEXT) | instid1(VALU_DEP_1)
	v_cndmask_b32_e32 v47, 0x7f800000, v47, vcc_lo
	v_mul_f32_e32 v7, v47, v7
	v_add_f32_e32 v47, 1.0, v47
	s_delay_alu instid0(VALU_DEP_1) | instskip(NEXT) | instid1(VALU_DEP_1)
	v_div_scale_f32 v48, null, v47, v47, v7
	v_rcp_f32_e32 v49, v48
	v_nop
	s_delay_alu instid0(TRANS32_DEP_1) | instskip(NEXT) | instid1(VALU_DEP_1)
	v_fma_f32 v50, -v48, v49, 1.0
	v_fmac_f32_e32 v49, v50, v49
	v_div_scale_f32 v50, vcc_lo, v7, v47, v7
	s_delay_alu instid0(VALU_DEP_1) | instskip(NEXT) | instid1(VALU_DEP_1)
	v_mul_f32_e32 v51, v50, v49
	v_fma_f32 v52, -v48, v51, v50
	s_delay_alu instid0(VALU_DEP_1) | instskip(NEXT) | instid1(VALU_DEP_1)
	v_fmac_f32_e32 v51, v52, v49
	v_fma_f32 v48, -v48, v51, v50
	s_delay_alu instid0(VALU_DEP_1) | instskip(NEXT) | instid1(VALU_DEP_1)
	v_div_fmas_f32 v48, v48, v49, v51
	v_div_fixup_f32 v7, v48, v47, v7
.LBB57_11:
	s_or_b32 exec_lo, exec_lo, s11
	s_wait_loadcnt 0xd
	v_mul_f32_e32 v47, s13, v10
	v_lshlrev_b32_e32 v10, 16, v46
	s_mov_b32 s11, exec_lo
	s_delay_alu instid0(VALU_DEP_2)
	v_cmpx_nlt_f32_e32 s14, v47
	s_cbranch_execz .LBB57_13
; %bb.12:
	v_mul_f32_e32 v48, 0x3fb8aa3b, v47
	v_cmp_ngt_f32_e32 vcc_lo, 0xc2ce8ed0, v47
	s_delay_alu instid0(VALU_DEP_2) | instskip(SKIP_1) | instid1(VALU_DEP_2)
	v_rndne_f32_e32 v49, v48
	v_fma_f32 v50, 0x3fb8aa3b, v47, -v48
	v_sub_f32_e32 v48, v48, v49
	s_delay_alu instid0(VALU_DEP_2) | instskip(SKIP_1) | instid1(VALU_DEP_2)
	v_fmamk_f32 v50, v47, 0x32a5705f, v50
	v_cvt_i32_f32_e32 v49, v49
	v_add_f32_e32 v48, v48, v50
	s_delay_alu instid0(VALU_DEP_1) | instskip(SKIP_1) | instid1(TRANS32_DEP_1)
	v_exp_f32_e32 v48, v48
	v_nop
	v_ldexp_f32 v48, v48, v49
	s_delay_alu instid0(VALU_DEP_1) | instskip(SKIP_1) | instid1(VALU_DEP_2)
	v_cndmask_b32_e32 v48, 0, v48, vcc_lo
	v_cmp_nlt_f32_e32 vcc_lo, 0x42b17218, v47
	v_cndmask_b32_e32 v47, 0x7f800000, v48, vcc_lo
	s_delay_alu instid0(VALU_DEP_1) | instskip(NEXT) | instid1(VALU_DEP_1)
	v_dual_mul_f32 v10, v47, v10 :: v_dual_add_f32 v47, 1.0, v47
	v_div_scale_f32 v48, null, v47, v47, v10
	s_delay_alu instid0(VALU_DEP_1) | instskip(SKIP_1) | instid1(TRANS32_DEP_1)
	v_rcp_f32_e32 v49, v48
	v_nop
	v_fma_f32 v50, -v48, v49, 1.0
	s_delay_alu instid0(VALU_DEP_1) | instskip(SKIP_1) | instid1(VALU_DEP_1)
	v_fmac_f32_e32 v49, v50, v49
	v_div_scale_f32 v50, vcc_lo, v10, v47, v10
	v_mul_f32_e32 v51, v50, v49
	s_delay_alu instid0(VALU_DEP_1) | instskip(NEXT) | instid1(VALU_DEP_1)
	v_fma_f32 v52, -v48, v51, v50
	v_fmac_f32_e32 v51, v52, v49
	s_delay_alu instid0(VALU_DEP_1) | instskip(NEXT) | instid1(VALU_DEP_1)
	v_fma_f32 v48, -v48, v51, v50
	v_div_fmas_f32 v48, v48, v49, v51
	s_delay_alu instid0(VALU_DEP_1)
	v_div_fixup_f32 v10, v48, v47, v10
.LBB57_13:
	s_or_b32 exec_lo, exec_lo, s11
	v_mul_f32_e32 v47, s13, v11
	v_and_b32_e32 v11, 0xffff0000, v46
	s_mov_b32 s11, exec_lo
	s_delay_alu instid0(VALU_DEP_2)
	v_cmpx_nlt_f32_e32 s14, v47
	s_cbranch_execz .LBB57_15
; %bb.14:
	v_mul_f32_e32 v46, 0x3fb8aa3b, v47
	v_cmp_ngt_f32_e32 vcc_lo, 0xc2ce8ed0, v47
	s_delay_alu instid0(VALU_DEP_2) | instskip(SKIP_1) | instid1(VALU_DEP_1)
	v_rndne_f32_e32 v48, v46
	v_fma_f32 v49, 0x3fb8aa3b, v47, -v46
	v_dual_sub_f32 v46, v46, v48 :: v_dual_fmamk_f32 v49, v47, 0x32a5705f, v49
	v_cvt_i32_f32_e32 v48, v48
	s_delay_alu instid0(VALU_DEP_2) | instskip(NEXT) | instid1(VALU_DEP_1)
	v_add_f32_e32 v46, v46, v49
	v_exp_f32_e32 v46, v46
	v_nop
	s_delay_alu instid0(TRANS32_DEP_1) | instskip(NEXT) | instid1(VALU_DEP_1)
	v_ldexp_f32 v46, v46, v48
	v_cndmask_b32_e32 v46, 0, v46, vcc_lo
	v_cmp_nlt_f32_e32 vcc_lo, 0x42b17218, v47
	s_delay_alu instid0(VALU_DEP_2) | instskip(NEXT) | instid1(VALU_DEP_1)
	v_cndmask_b32_e32 v46, 0x7f800000, v46, vcc_lo
	v_dual_mul_f32 v11, v46, v11 :: v_dual_add_f32 v46, 1.0, v46
	s_delay_alu instid0(VALU_DEP_1) | instskip(NEXT) | instid1(VALU_DEP_1)
	v_div_scale_f32 v47, null, v46, v46, v11
	v_rcp_f32_e32 v48, v47
	v_nop
	s_delay_alu instid0(TRANS32_DEP_1) | instskip(NEXT) | instid1(VALU_DEP_1)
	v_fma_f32 v49, -v47, v48, 1.0
	v_fmac_f32_e32 v48, v49, v48
	v_div_scale_f32 v49, vcc_lo, v11, v46, v11
	s_delay_alu instid0(VALU_DEP_1) | instskip(NEXT) | instid1(VALU_DEP_1)
	v_mul_f32_e32 v50, v49, v48
	v_fma_f32 v51, -v47, v50, v49
	s_delay_alu instid0(VALU_DEP_1) | instskip(NEXT) | instid1(VALU_DEP_1)
	v_fmac_f32_e32 v50, v51, v48
	v_fma_f32 v47, -v47, v50, v49
	s_delay_alu instid0(VALU_DEP_1) | instskip(NEXT) | instid1(VALU_DEP_1)
	v_div_fmas_f32 v47, v47, v48, v50
	v_div_fixup_f32 v11, v47, v46, v11
.LBB57_15:
	s_or_b32 exec_lo, exec_lo, s11
	s_wait_loadcnt 0xc
	v_dual_mul_f32 v46, s13, v14 :: v_dual_lshlrev_b32 v14, 16, v45
	s_mov_b32 s11, exec_lo
	s_delay_alu instid0(VALU_DEP_1)
	v_cmpx_nlt_f32_e32 s14, v46
	s_cbranch_execz .LBB57_17
; %bb.16:
	v_mul_f32_e32 v47, 0x3fb8aa3b, v46
	v_cmp_ngt_f32_e32 vcc_lo, 0xc2ce8ed0, v46
	s_delay_alu instid0(VALU_DEP_2) | instskip(SKIP_1) | instid1(VALU_DEP_2)
	v_rndne_f32_e32 v48, v47
	v_fma_f32 v49, 0x3fb8aa3b, v46, -v47
	v_sub_f32_e32 v47, v47, v48
	s_delay_alu instid0(VALU_DEP_2) | instskip(SKIP_1) | instid1(VALU_DEP_2)
	v_fmamk_f32 v49, v46, 0x32a5705f, v49
	v_cvt_i32_f32_e32 v48, v48
	v_add_f32_e32 v47, v47, v49
	s_delay_alu instid0(VALU_DEP_1) | instskip(SKIP_1) | instid1(TRANS32_DEP_1)
	v_exp_f32_e32 v47, v47
	v_nop
	v_ldexp_f32 v47, v47, v48
	s_delay_alu instid0(VALU_DEP_1) | instskip(SKIP_1) | instid1(VALU_DEP_2)
	v_cndmask_b32_e32 v47, 0, v47, vcc_lo
	v_cmp_nlt_f32_e32 vcc_lo, 0x42b17218, v46
	v_cndmask_b32_e32 v46, 0x7f800000, v47, vcc_lo
	s_delay_alu instid0(VALU_DEP_1) | instskip(SKIP_1) | instid1(VALU_DEP_1)
	v_mul_f32_e32 v14, v46, v14
	v_add_f32_e32 v46, 1.0, v46
	v_div_scale_f32 v47, null, v46, v46, v14
	s_delay_alu instid0(VALU_DEP_1) | instskip(SKIP_1) | instid1(TRANS32_DEP_1)
	v_rcp_f32_e32 v48, v47
	v_nop
	v_fma_f32 v49, -v47, v48, 1.0
	s_delay_alu instid0(VALU_DEP_1) | instskip(SKIP_1) | instid1(VALU_DEP_1)
	v_fmac_f32_e32 v48, v49, v48
	v_div_scale_f32 v49, vcc_lo, v14, v46, v14
	v_mul_f32_e32 v50, v49, v48
	s_delay_alu instid0(VALU_DEP_1) | instskip(NEXT) | instid1(VALU_DEP_1)
	v_fma_f32 v51, -v47, v50, v49
	v_fmac_f32_e32 v50, v51, v48
	s_delay_alu instid0(VALU_DEP_1) | instskip(NEXT) | instid1(VALU_DEP_1)
	v_fma_f32 v47, -v47, v50, v49
	v_div_fmas_f32 v47, v47, v48, v50
	s_delay_alu instid0(VALU_DEP_1)
	v_div_fixup_f32 v14, v47, v46, v14
.LBB57_17:
	s_or_b32 exec_lo, exec_lo, s11
	v_mul_f32_e32 v46, s13, v15
	v_and_b32_e32 v15, 0xffff0000, v45
	s_mov_b32 s11, exec_lo
	s_delay_alu instid0(VALU_DEP_2)
	v_cmpx_nlt_f32_e32 s14, v46
	s_cbranch_execz .LBB57_19
; %bb.18:
	v_mul_f32_e32 v45, 0x3fb8aa3b, v46
	v_cmp_ngt_f32_e32 vcc_lo, 0xc2ce8ed0, v46
	s_delay_alu instid0(VALU_DEP_2) | instskip(SKIP_1) | instid1(VALU_DEP_1)
	v_rndne_f32_e32 v47, v45
	v_fma_f32 v48, 0x3fb8aa3b, v46, -v45
	v_dual_sub_f32 v45, v45, v47 :: v_dual_fmamk_f32 v48, v46, 0x32a5705f, v48
	v_cvt_i32_f32_e32 v47, v47
	s_delay_alu instid0(VALU_DEP_2) | instskip(NEXT) | instid1(VALU_DEP_1)
	v_add_f32_e32 v45, v45, v48
	v_exp_f32_e32 v45, v45
	v_nop
	s_delay_alu instid0(TRANS32_DEP_1) | instskip(NEXT) | instid1(VALU_DEP_1)
	v_ldexp_f32 v45, v45, v47
	v_cndmask_b32_e32 v45, 0, v45, vcc_lo
	v_cmp_nlt_f32_e32 vcc_lo, 0x42b17218, v46
	s_delay_alu instid0(VALU_DEP_2) | instskip(NEXT) | instid1(VALU_DEP_1)
	v_cndmask_b32_e32 v45, 0x7f800000, v45, vcc_lo
	v_dual_mul_f32 v15, v45, v15 :: v_dual_add_f32 v45, 1.0, v45
	s_delay_alu instid0(VALU_DEP_1) | instskip(NEXT) | instid1(VALU_DEP_1)
	v_div_scale_f32 v46, null, v45, v45, v15
	v_rcp_f32_e32 v47, v46
	v_nop
	s_delay_alu instid0(TRANS32_DEP_1) | instskip(NEXT) | instid1(VALU_DEP_1)
	v_fma_f32 v48, -v46, v47, 1.0
	v_fmac_f32_e32 v47, v48, v47
	v_div_scale_f32 v48, vcc_lo, v15, v45, v15
	s_delay_alu instid0(VALU_DEP_1) | instskip(NEXT) | instid1(VALU_DEP_1)
	v_mul_f32_e32 v49, v48, v47
	v_fma_f32 v50, -v46, v49, v48
	s_delay_alu instid0(VALU_DEP_1) | instskip(NEXT) | instid1(VALU_DEP_1)
	v_fmac_f32_e32 v49, v50, v47
	v_fma_f32 v46, -v46, v49, v48
	s_delay_alu instid0(VALU_DEP_1) | instskip(NEXT) | instid1(VALU_DEP_1)
	v_div_fmas_f32 v46, v46, v47, v49
	v_div_fixup_f32 v15, v46, v45, v15
.LBB57_19:
	s_or_b32 exec_lo, exec_lo, s11
	s_wait_loadcnt 0xb
	v_dual_mul_f32 v45, s13, v18 :: v_dual_lshlrev_b32 v18, 16, v44
	s_mov_b32 s11, exec_lo
	s_delay_alu instid0(VALU_DEP_1)
	v_cmpx_nlt_f32_e32 s14, v45
	s_cbranch_execz .LBB57_21
; %bb.20:
	v_mul_f32_e32 v46, 0x3fb8aa3b, v45
	v_cmp_ngt_f32_e32 vcc_lo, 0xc2ce8ed0, v45
	s_delay_alu instid0(VALU_DEP_2) | instskip(SKIP_1) | instid1(VALU_DEP_2)
	v_rndne_f32_e32 v47, v46
	v_fma_f32 v48, 0x3fb8aa3b, v45, -v46
	v_sub_f32_e32 v46, v46, v47
	s_delay_alu instid0(VALU_DEP_2) | instskip(SKIP_1) | instid1(VALU_DEP_2)
	v_fmamk_f32 v48, v45, 0x32a5705f, v48
	v_cvt_i32_f32_e32 v47, v47
	v_add_f32_e32 v46, v46, v48
	s_delay_alu instid0(VALU_DEP_1) | instskip(SKIP_1) | instid1(TRANS32_DEP_1)
	v_exp_f32_e32 v46, v46
	v_nop
	v_ldexp_f32 v46, v46, v47
	s_delay_alu instid0(VALU_DEP_1) | instskip(SKIP_1) | instid1(VALU_DEP_2)
	v_cndmask_b32_e32 v46, 0, v46, vcc_lo
	v_cmp_nlt_f32_e32 vcc_lo, 0x42b17218, v45
	v_cndmask_b32_e32 v45, 0x7f800000, v46, vcc_lo
	s_delay_alu instid0(VALU_DEP_1) | instskip(NEXT) | instid1(VALU_DEP_1)
	v_dual_mul_f32 v18, v45, v18 :: v_dual_add_f32 v45, 1.0, v45
	v_div_scale_f32 v46, null, v45, v45, v18
	s_delay_alu instid0(VALU_DEP_1) | instskip(SKIP_1) | instid1(TRANS32_DEP_1)
	v_rcp_f32_e32 v47, v46
	v_nop
	v_fma_f32 v48, -v46, v47, 1.0
	s_delay_alu instid0(VALU_DEP_1) | instskip(SKIP_1) | instid1(VALU_DEP_1)
	v_fmac_f32_e32 v47, v48, v47
	v_div_scale_f32 v48, vcc_lo, v18, v45, v18
	v_mul_f32_e32 v49, v48, v47
	s_delay_alu instid0(VALU_DEP_1) | instskip(NEXT) | instid1(VALU_DEP_1)
	v_fma_f32 v50, -v46, v49, v48
	v_fmac_f32_e32 v49, v50, v47
	s_delay_alu instid0(VALU_DEP_1) | instskip(NEXT) | instid1(VALU_DEP_1)
	v_fma_f32 v46, -v46, v49, v48
	v_div_fmas_f32 v46, v46, v47, v49
	s_delay_alu instid0(VALU_DEP_1)
	v_div_fixup_f32 v18, v46, v45, v18
.LBB57_21:
	s_or_b32 exec_lo, exec_lo, s11
	v_mul_f32_e32 v45, s13, v19
	v_and_b32_e32 v19, 0xffff0000, v44
	s_mov_b32 s11, exec_lo
	s_delay_alu instid0(VALU_DEP_2)
	v_cmpx_nlt_f32_e32 s14, v45
	s_cbranch_execz .LBB57_23
; %bb.22:
	v_mul_f32_e32 v44, 0x3fb8aa3b, v45
	v_cmp_ngt_f32_e32 vcc_lo, 0xc2ce8ed0, v45
	s_delay_alu instid0(VALU_DEP_2) | instskip(SKIP_1) | instid1(VALU_DEP_1)
	v_rndne_f32_e32 v46, v44
	v_fma_f32 v47, 0x3fb8aa3b, v45, -v44
	v_dual_sub_f32 v44, v44, v46 :: v_dual_fmamk_f32 v47, v45, 0x32a5705f, v47
	v_cvt_i32_f32_e32 v46, v46
	s_delay_alu instid0(VALU_DEP_2) | instskip(NEXT) | instid1(VALU_DEP_1)
	v_add_f32_e32 v44, v44, v47
	v_exp_f32_e32 v44, v44
	v_nop
	s_delay_alu instid0(TRANS32_DEP_1) | instskip(NEXT) | instid1(VALU_DEP_1)
	v_ldexp_f32 v44, v44, v46
	v_cndmask_b32_e32 v44, 0, v44, vcc_lo
	v_cmp_nlt_f32_e32 vcc_lo, 0x42b17218, v45
	s_delay_alu instid0(VALU_DEP_2) | instskip(NEXT) | instid1(VALU_DEP_1)
	v_cndmask_b32_e32 v44, 0x7f800000, v44, vcc_lo
	v_dual_mul_f32 v19, v44, v19 :: v_dual_add_f32 v44, 1.0, v44
	s_delay_alu instid0(VALU_DEP_1) | instskip(NEXT) | instid1(VALU_DEP_1)
	v_div_scale_f32 v45, null, v44, v44, v19
	v_rcp_f32_e32 v46, v45
	v_nop
	s_delay_alu instid0(TRANS32_DEP_1) | instskip(NEXT) | instid1(VALU_DEP_1)
	v_fma_f32 v47, -v45, v46, 1.0
	v_fmac_f32_e32 v46, v47, v46
	v_div_scale_f32 v47, vcc_lo, v19, v44, v19
	s_delay_alu instid0(VALU_DEP_1) | instskip(NEXT) | instid1(VALU_DEP_1)
	v_mul_f32_e32 v48, v47, v46
	v_fma_f32 v49, -v45, v48, v47
	s_delay_alu instid0(VALU_DEP_1) | instskip(NEXT) | instid1(VALU_DEP_1)
	v_fmac_f32_e32 v48, v49, v46
	v_fma_f32 v45, -v45, v48, v47
	s_delay_alu instid0(VALU_DEP_1) | instskip(NEXT) | instid1(VALU_DEP_1)
	v_div_fmas_f32 v45, v45, v46, v48
	v_div_fixup_f32 v19, v45, v44, v19
.LBB57_23:
	s_or_b32 exec_lo, exec_lo, s11
	s_wait_loadcnt 0xa
	v_dual_mul_f32 v44, s13, v22 :: v_dual_lshlrev_b32 v22, 16, v43
	s_mov_b32 s11, exec_lo
	s_delay_alu instid0(VALU_DEP_1)
	v_cmpx_nlt_f32_e32 s14, v44
	s_cbranch_execz .LBB57_25
; %bb.24:
	v_mul_f32_e32 v45, 0x3fb8aa3b, v44
	v_cmp_ngt_f32_e32 vcc_lo, 0xc2ce8ed0, v44
	s_delay_alu instid0(VALU_DEP_2) | instskip(SKIP_1) | instid1(VALU_DEP_2)
	v_rndne_f32_e32 v46, v45
	v_fma_f32 v47, 0x3fb8aa3b, v44, -v45
	v_sub_f32_e32 v45, v45, v46
	s_delay_alu instid0(VALU_DEP_2) | instskip(SKIP_1) | instid1(VALU_DEP_2)
	v_fmamk_f32 v47, v44, 0x32a5705f, v47
	v_cvt_i32_f32_e32 v46, v46
	v_add_f32_e32 v45, v45, v47
	s_delay_alu instid0(VALU_DEP_1) | instskip(SKIP_1) | instid1(TRANS32_DEP_1)
	v_exp_f32_e32 v45, v45
	v_nop
	v_ldexp_f32 v45, v45, v46
	s_delay_alu instid0(VALU_DEP_1) | instskip(SKIP_1) | instid1(VALU_DEP_2)
	v_cndmask_b32_e32 v45, 0, v45, vcc_lo
	v_cmp_nlt_f32_e32 vcc_lo, 0x42b17218, v44
	v_cndmask_b32_e32 v44, 0x7f800000, v45, vcc_lo
	s_delay_alu instid0(VALU_DEP_1) | instskip(NEXT) | instid1(VALU_DEP_1)
	v_dual_mul_f32 v22, v44, v22 :: v_dual_add_f32 v44, 1.0, v44
	v_div_scale_f32 v45, null, v44, v44, v22
	s_delay_alu instid0(VALU_DEP_1) | instskip(SKIP_1) | instid1(TRANS32_DEP_1)
	v_rcp_f32_e32 v46, v45
	v_nop
	v_fma_f32 v47, -v45, v46, 1.0
	s_delay_alu instid0(VALU_DEP_1) | instskip(SKIP_1) | instid1(VALU_DEP_1)
	v_fmac_f32_e32 v46, v47, v46
	v_div_scale_f32 v47, vcc_lo, v22, v44, v22
	v_mul_f32_e32 v48, v47, v46
	s_delay_alu instid0(VALU_DEP_1) | instskip(NEXT) | instid1(VALU_DEP_1)
	v_fma_f32 v49, -v45, v48, v47
	v_fmac_f32_e32 v48, v49, v46
	s_delay_alu instid0(VALU_DEP_1) | instskip(NEXT) | instid1(VALU_DEP_1)
	v_fma_f32 v45, -v45, v48, v47
	v_div_fmas_f32 v45, v45, v46, v48
	s_delay_alu instid0(VALU_DEP_1)
	v_div_fixup_f32 v22, v45, v44, v22
.LBB57_25:
	s_or_b32 exec_lo, exec_lo, s11
	v_mul_f32_e32 v44, s13, v23
	v_and_b32_e32 v23, 0xffff0000, v43
	s_mov_b32 s11, exec_lo
	s_delay_alu instid0(VALU_DEP_2)
	v_cmpx_nlt_f32_e32 s14, v44
	s_cbranch_execz .LBB57_27
; %bb.26:
	v_mul_f32_e32 v43, 0x3fb8aa3b, v44
	v_cmp_ngt_f32_e32 vcc_lo, 0xc2ce8ed0, v44
	s_delay_alu instid0(VALU_DEP_2) | instskip(SKIP_1) | instid1(VALU_DEP_1)
	v_rndne_f32_e32 v45, v43
	v_fma_f32 v46, 0x3fb8aa3b, v44, -v43
	v_dual_sub_f32 v43, v43, v45 :: v_dual_fmamk_f32 v46, v44, 0x32a5705f, v46
	v_cvt_i32_f32_e32 v45, v45
	s_delay_alu instid0(VALU_DEP_2) | instskip(NEXT) | instid1(VALU_DEP_1)
	v_add_f32_e32 v43, v43, v46
	v_exp_f32_e32 v43, v43
	v_nop
	s_delay_alu instid0(TRANS32_DEP_1) | instskip(NEXT) | instid1(VALU_DEP_1)
	v_ldexp_f32 v43, v43, v45
	v_cndmask_b32_e32 v43, 0, v43, vcc_lo
	v_cmp_nlt_f32_e32 vcc_lo, 0x42b17218, v44
	s_delay_alu instid0(VALU_DEP_2) | instskip(NEXT) | instid1(VALU_DEP_1)
	v_cndmask_b32_e32 v43, 0x7f800000, v43, vcc_lo
	v_mul_f32_e32 v23, v43, v23
	v_add_f32_e32 v43, 1.0, v43
	s_delay_alu instid0(VALU_DEP_1) | instskip(NEXT) | instid1(VALU_DEP_1)
	v_div_scale_f32 v44, null, v43, v43, v23
	v_rcp_f32_e32 v45, v44
	v_nop
	s_delay_alu instid0(TRANS32_DEP_1) | instskip(NEXT) | instid1(VALU_DEP_1)
	v_fma_f32 v46, -v44, v45, 1.0
	v_fmac_f32_e32 v45, v46, v45
	v_div_scale_f32 v46, vcc_lo, v23, v43, v23
	s_delay_alu instid0(VALU_DEP_1) | instskip(NEXT) | instid1(VALU_DEP_1)
	v_mul_f32_e32 v47, v46, v45
	v_fma_f32 v48, -v44, v47, v46
	s_delay_alu instid0(VALU_DEP_1) | instskip(NEXT) | instid1(VALU_DEP_1)
	v_fmac_f32_e32 v47, v48, v45
	v_fma_f32 v44, -v44, v47, v46
	s_delay_alu instid0(VALU_DEP_1) | instskip(NEXT) | instid1(VALU_DEP_1)
	v_div_fmas_f32 v44, v44, v45, v47
	v_div_fixup_f32 v23, v44, v43, v23
.LBB57_27:
	s_or_b32 exec_lo, exec_lo, s11
	s_wait_loadcnt 0x9
	v_mul_f32_e32 v43, s13, v26
	v_lshlrev_b32_e32 v26, 16, v42
	s_mov_b32 s11, exec_lo
	s_delay_alu instid0(VALU_DEP_2)
	v_cmpx_nlt_f32_e32 s14, v43
	s_cbranch_execz .LBB57_29
; %bb.28:
	v_mul_f32_e32 v44, 0x3fb8aa3b, v43
	v_cmp_ngt_f32_e32 vcc_lo, 0xc2ce8ed0, v43
	s_delay_alu instid0(VALU_DEP_2) | instskip(SKIP_1) | instid1(VALU_DEP_2)
	v_rndne_f32_e32 v45, v44
	v_fma_f32 v46, 0x3fb8aa3b, v43, -v44
	v_sub_f32_e32 v44, v44, v45
	s_delay_alu instid0(VALU_DEP_2) | instskip(SKIP_1) | instid1(VALU_DEP_2)
	v_fmamk_f32 v46, v43, 0x32a5705f, v46
	v_cvt_i32_f32_e32 v45, v45
	v_add_f32_e32 v44, v44, v46
	s_delay_alu instid0(VALU_DEP_1) | instskip(SKIP_1) | instid1(TRANS32_DEP_1)
	v_exp_f32_e32 v44, v44
	v_nop
	v_ldexp_f32 v44, v44, v45
	s_delay_alu instid0(VALU_DEP_1) | instskip(SKIP_1) | instid1(VALU_DEP_2)
	v_cndmask_b32_e32 v44, 0, v44, vcc_lo
	v_cmp_nlt_f32_e32 vcc_lo, 0x42b17218, v43
	v_cndmask_b32_e32 v43, 0x7f800000, v44, vcc_lo
	s_delay_alu instid0(VALU_DEP_1) | instskip(NEXT) | instid1(VALU_DEP_1)
	v_dual_mul_f32 v26, v43, v26 :: v_dual_add_f32 v43, 1.0, v43
	v_div_scale_f32 v44, null, v43, v43, v26
	s_delay_alu instid0(VALU_DEP_1) | instskip(SKIP_1) | instid1(TRANS32_DEP_1)
	v_rcp_f32_e32 v45, v44
	v_nop
	v_fma_f32 v46, -v44, v45, 1.0
	s_delay_alu instid0(VALU_DEP_1) | instskip(SKIP_1) | instid1(VALU_DEP_1)
	v_fmac_f32_e32 v45, v46, v45
	v_div_scale_f32 v46, vcc_lo, v26, v43, v26
	v_mul_f32_e32 v47, v46, v45
	s_delay_alu instid0(VALU_DEP_1) | instskip(NEXT) | instid1(VALU_DEP_1)
	v_fma_f32 v48, -v44, v47, v46
	v_fmac_f32_e32 v47, v48, v45
	s_delay_alu instid0(VALU_DEP_1) | instskip(NEXT) | instid1(VALU_DEP_1)
	v_fma_f32 v44, -v44, v47, v46
	v_div_fmas_f32 v44, v44, v45, v47
	s_delay_alu instid0(VALU_DEP_1)
	v_div_fixup_f32 v26, v44, v43, v26
.LBB57_29:
	s_or_b32 exec_lo, exec_lo, s11
	v_mul_f32_e32 v43, s13, v27
	v_and_b32_e32 v27, 0xffff0000, v42
	s_mov_b32 s11, exec_lo
	s_delay_alu instid0(VALU_DEP_2)
	v_cmpx_nlt_f32_e32 s14, v43
	s_cbranch_execz .LBB57_31
; %bb.30:
	v_mul_f32_e32 v42, 0x3fb8aa3b, v43
	v_cmp_ngt_f32_e32 vcc_lo, 0xc2ce8ed0, v43
	s_delay_alu instid0(VALU_DEP_2) | instskip(SKIP_1) | instid1(VALU_DEP_1)
	v_rndne_f32_e32 v44, v42
	v_fma_f32 v45, 0x3fb8aa3b, v43, -v42
	v_dual_sub_f32 v42, v42, v44 :: v_dual_fmamk_f32 v45, v43, 0x32a5705f, v45
	v_cvt_i32_f32_e32 v44, v44
	s_delay_alu instid0(VALU_DEP_2) | instskip(NEXT) | instid1(VALU_DEP_1)
	v_add_f32_e32 v42, v42, v45
	v_exp_f32_e32 v42, v42
	v_nop
	s_delay_alu instid0(TRANS32_DEP_1) | instskip(NEXT) | instid1(VALU_DEP_1)
	v_ldexp_f32 v42, v42, v44
	v_cndmask_b32_e32 v42, 0, v42, vcc_lo
	v_cmp_nlt_f32_e32 vcc_lo, 0x42b17218, v43
	s_delay_alu instid0(VALU_DEP_2) | instskip(NEXT) | instid1(VALU_DEP_1)
	v_cndmask_b32_e32 v42, 0x7f800000, v42, vcc_lo
	v_dual_mul_f32 v27, v42, v27 :: v_dual_add_f32 v42, 1.0, v42
	s_delay_alu instid0(VALU_DEP_1) | instskip(NEXT) | instid1(VALU_DEP_1)
	v_div_scale_f32 v43, null, v42, v42, v27
	v_rcp_f32_e32 v44, v43
	v_nop
	s_delay_alu instid0(TRANS32_DEP_1) | instskip(NEXT) | instid1(VALU_DEP_1)
	v_fma_f32 v45, -v43, v44, 1.0
	v_fmac_f32_e32 v44, v45, v44
	v_div_scale_f32 v45, vcc_lo, v27, v42, v27
	s_delay_alu instid0(VALU_DEP_1) | instskip(NEXT) | instid1(VALU_DEP_1)
	v_mul_f32_e32 v46, v45, v44
	v_fma_f32 v47, -v43, v46, v45
	s_delay_alu instid0(VALU_DEP_1) | instskip(NEXT) | instid1(VALU_DEP_1)
	v_fmac_f32_e32 v46, v47, v44
	v_fma_f32 v43, -v43, v46, v45
	s_delay_alu instid0(VALU_DEP_1) | instskip(NEXT) | instid1(VALU_DEP_1)
	v_div_fmas_f32 v43, v43, v44, v46
	v_div_fixup_f32 v27, v43, v42, v27
.LBB57_31:
	s_or_b32 exec_lo, exec_lo, s11
	s_wait_loadcnt 0x8
	v_dual_mul_f32 v42, s13, v30 :: v_dual_lshlrev_b32 v30, 16, v41
	s_mov_b32 s11, exec_lo
	s_delay_alu instid0(VALU_DEP_1)
	v_cmpx_nlt_f32_e32 s14, v42
	s_cbranch_execz .LBB57_33
; %bb.32:
	v_mul_f32_e32 v43, 0x3fb8aa3b, v42
	v_cmp_ngt_f32_e32 vcc_lo, 0xc2ce8ed0, v42
	s_delay_alu instid0(VALU_DEP_2) | instskip(SKIP_1) | instid1(VALU_DEP_2)
	v_rndne_f32_e32 v44, v43
	v_fma_f32 v45, 0x3fb8aa3b, v42, -v43
	v_sub_f32_e32 v43, v43, v44
	s_delay_alu instid0(VALU_DEP_2) | instskip(SKIP_1) | instid1(VALU_DEP_2)
	v_fmamk_f32 v45, v42, 0x32a5705f, v45
	v_cvt_i32_f32_e32 v44, v44
	v_add_f32_e32 v43, v43, v45
	s_delay_alu instid0(VALU_DEP_1) | instskip(SKIP_1) | instid1(TRANS32_DEP_1)
	v_exp_f32_e32 v43, v43
	v_nop
	v_ldexp_f32 v43, v43, v44
	s_delay_alu instid0(VALU_DEP_1) | instskip(SKIP_1) | instid1(VALU_DEP_2)
	v_cndmask_b32_e32 v43, 0, v43, vcc_lo
	v_cmp_nlt_f32_e32 vcc_lo, 0x42b17218, v42
	v_cndmask_b32_e32 v42, 0x7f800000, v43, vcc_lo
	s_delay_alu instid0(VALU_DEP_1) | instskip(SKIP_1) | instid1(VALU_DEP_1)
	v_mul_f32_e32 v30, v42, v30
	v_add_f32_e32 v42, 1.0, v42
	v_div_scale_f32 v43, null, v42, v42, v30
	s_delay_alu instid0(VALU_DEP_1) | instskip(SKIP_1) | instid1(TRANS32_DEP_1)
	v_rcp_f32_e32 v44, v43
	v_nop
	v_fma_f32 v45, -v43, v44, 1.0
	s_delay_alu instid0(VALU_DEP_1) | instskip(SKIP_1) | instid1(VALU_DEP_1)
	v_fmac_f32_e32 v44, v45, v44
	v_div_scale_f32 v45, vcc_lo, v30, v42, v30
	v_mul_f32_e32 v46, v45, v44
	s_delay_alu instid0(VALU_DEP_1) | instskip(NEXT) | instid1(VALU_DEP_1)
	v_fma_f32 v47, -v43, v46, v45
	v_fmac_f32_e32 v46, v47, v44
	s_delay_alu instid0(VALU_DEP_1) | instskip(NEXT) | instid1(VALU_DEP_1)
	v_fma_f32 v43, -v43, v46, v45
	v_div_fmas_f32 v43, v43, v44, v46
	s_delay_alu instid0(VALU_DEP_1)
	v_div_fixup_f32 v30, v43, v42, v30
.LBB57_33:
	s_or_b32 exec_lo, exec_lo, s11
	v_mul_f32_e32 v42, s13, v31
	v_and_b32_e32 v31, 0xffff0000, v41
	s_mov_b32 s11, exec_lo
	s_delay_alu instid0(VALU_DEP_2)
	v_cmpx_nlt_f32_e32 s14, v42
	s_cbranch_execz .LBB57_35
; %bb.34:
	v_mul_f32_e32 v41, 0x3fb8aa3b, v42
	v_cmp_ngt_f32_e32 vcc_lo, 0xc2ce8ed0, v42
	s_delay_alu instid0(VALU_DEP_2) | instskip(SKIP_1) | instid1(VALU_DEP_1)
	v_rndne_f32_e32 v43, v41
	v_fma_f32 v44, 0x3fb8aa3b, v42, -v41
	v_dual_sub_f32 v41, v41, v43 :: v_dual_fmamk_f32 v44, v42, 0x32a5705f, v44
	v_cvt_i32_f32_e32 v43, v43
	s_delay_alu instid0(VALU_DEP_2) | instskip(NEXT) | instid1(VALU_DEP_1)
	v_add_f32_e32 v41, v41, v44
	v_exp_f32_e32 v41, v41
	v_nop
	s_delay_alu instid0(TRANS32_DEP_1) | instskip(NEXT) | instid1(VALU_DEP_1)
	v_ldexp_f32 v41, v41, v43
	v_cndmask_b32_e32 v41, 0, v41, vcc_lo
	v_cmp_nlt_f32_e32 vcc_lo, 0x42b17218, v42
	s_delay_alu instid0(VALU_DEP_2) | instskip(NEXT) | instid1(VALU_DEP_1)
	v_cndmask_b32_e32 v41, 0x7f800000, v41, vcc_lo
	v_dual_mul_f32 v31, v41, v31 :: v_dual_add_f32 v41, 1.0, v41
	s_delay_alu instid0(VALU_DEP_1) | instskip(NEXT) | instid1(VALU_DEP_1)
	v_div_scale_f32 v42, null, v41, v41, v31
	v_rcp_f32_e32 v43, v42
	v_nop
	s_delay_alu instid0(TRANS32_DEP_1) | instskip(NEXT) | instid1(VALU_DEP_1)
	v_fma_f32 v44, -v42, v43, 1.0
	v_fmac_f32_e32 v43, v44, v43
	v_div_scale_f32 v44, vcc_lo, v31, v41, v31
	s_delay_alu instid0(VALU_DEP_1) | instskip(NEXT) | instid1(VALU_DEP_1)
	v_mul_f32_e32 v45, v44, v43
	v_fma_f32 v46, -v42, v45, v44
	s_delay_alu instid0(VALU_DEP_1) | instskip(NEXT) | instid1(VALU_DEP_1)
	v_fmac_f32_e32 v45, v46, v43
	v_fma_f32 v42, -v42, v45, v44
	s_delay_alu instid0(VALU_DEP_1) | instskip(NEXT) | instid1(VALU_DEP_1)
	v_div_fmas_f32 v42, v42, v43, v45
	v_div_fixup_f32 v31, v42, v41, v31
.LBB57_35:
	s_or_b32 exec_lo, exec_lo, s11
	s_wait_loadcnt 0x7
	v_mul_f32_e32 v41, s13, v32
	v_lshlrev_b32_e32 v32, 16, v40
	s_mov_b32 s11, exec_lo
	s_delay_alu instid0(VALU_DEP_2)
	v_cmpx_nlt_f32_e32 s14, v41
	s_cbranch_execz .LBB57_37
; %bb.36:
	v_mul_f32_e32 v42, 0x3fb8aa3b, v41
	v_cmp_ngt_f32_e32 vcc_lo, 0xc2ce8ed0, v41
	s_delay_alu instid0(VALU_DEP_2) | instskip(SKIP_1) | instid1(VALU_DEP_2)
	v_rndne_f32_e32 v43, v42
	v_fma_f32 v44, 0x3fb8aa3b, v41, -v42
	v_sub_f32_e32 v42, v42, v43
	s_delay_alu instid0(VALU_DEP_2) | instskip(SKIP_1) | instid1(VALU_DEP_2)
	v_fmamk_f32 v44, v41, 0x32a5705f, v44
	v_cvt_i32_f32_e32 v43, v43
	v_add_f32_e32 v42, v42, v44
	s_delay_alu instid0(VALU_DEP_1) | instskip(SKIP_1) | instid1(TRANS32_DEP_1)
	v_exp_f32_e32 v42, v42
	v_nop
	v_ldexp_f32 v42, v42, v43
	s_delay_alu instid0(VALU_DEP_1) | instskip(SKIP_1) | instid1(VALU_DEP_2)
	v_cndmask_b32_e32 v42, 0, v42, vcc_lo
	v_cmp_nlt_f32_e32 vcc_lo, 0x42b17218, v41
	v_cndmask_b32_e32 v41, 0x7f800000, v42, vcc_lo
	s_delay_alu instid0(VALU_DEP_1) | instskip(NEXT) | instid1(VALU_DEP_1)
	v_dual_mul_f32 v32, v41, v32 :: v_dual_add_f32 v41, 1.0, v41
	v_div_scale_f32 v42, null, v41, v41, v32
	s_delay_alu instid0(VALU_DEP_1) | instskip(SKIP_1) | instid1(TRANS32_DEP_1)
	v_rcp_f32_e32 v43, v42
	v_nop
	v_fma_f32 v44, -v42, v43, 1.0
	s_delay_alu instid0(VALU_DEP_1) | instskip(SKIP_1) | instid1(VALU_DEP_1)
	v_fmac_f32_e32 v43, v44, v43
	v_div_scale_f32 v44, vcc_lo, v32, v41, v32
	v_mul_f32_e32 v45, v44, v43
	s_delay_alu instid0(VALU_DEP_1) | instskip(NEXT) | instid1(VALU_DEP_1)
	v_fma_f32 v46, -v42, v45, v44
	v_fmac_f32_e32 v45, v46, v43
	s_delay_alu instid0(VALU_DEP_1) | instskip(NEXT) | instid1(VALU_DEP_1)
	v_fma_f32 v42, -v42, v45, v44
	v_div_fmas_f32 v42, v42, v43, v45
	s_delay_alu instid0(VALU_DEP_1)
	v_div_fixup_f32 v32, v42, v41, v32
.LBB57_37:
	s_or_b32 exec_lo, exec_lo, s11
	v_mul_f32_e32 v41, s13, v33
	v_and_b32_e32 v33, 0xffff0000, v40
	s_mov_b32 s11, exec_lo
	s_delay_alu instid0(VALU_DEP_2)
	v_cmpx_nlt_f32_e32 s14, v41
	s_cbranch_execz .LBB57_39
; %bb.38:
	v_mul_f32_e32 v40, 0x3fb8aa3b, v41
	v_cmp_ngt_f32_e32 vcc_lo, 0xc2ce8ed0, v41
	s_delay_alu instid0(VALU_DEP_2) | instskip(SKIP_1) | instid1(VALU_DEP_1)
	v_rndne_f32_e32 v42, v40
	v_fma_f32 v43, 0x3fb8aa3b, v41, -v40
	v_dual_sub_f32 v40, v40, v42 :: v_dual_fmamk_f32 v43, v41, 0x32a5705f, v43
	v_cvt_i32_f32_e32 v42, v42
	s_delay_alu instid0(VALU_DEP_2) | instskip(NEXT) | instid1(VALU_DEP_1)
	v_add_f32_e32 v40, v40, v43
	v_exp_f32_e32 v40, v40
	v_nop
	s_delay_alu instid0(TRANS32_DEP_1) | instskip(NEXT) | instid1(VALU_DEP_1)
	v_ldexp_f32 v40, v40, v42
	v_cndmask_b32_e32 v40, 0, v40, vcc_lo
	v_cmp_nlt_f32_e32 vcc_lo, 0x42b17218, v41
	s_delay_alu instid0(VALU_DEP_2) | instskip(NEXT) | instid1(VALU_DEP_1)
	v_cndmask_b32_e32 v40, 0x7f800000, v40, vcc_lo
	v_dual_mul_f32 v33, v40, v33 :: v_dual_add_f32 v40, 1.0, v40
	s_delay_alu instid0(VALU_DEP_1) | instskip(NEXT) | instid1(VALU_DEP_1)
	v_div_scale_f32 v41, null, v40, v40, v33
	v_rcp_f32_e32 v42, v41
	v_nop
	s_delay_alu instid0(TRANS32_DEP_1) | instskip(NEXT) | instid1(VALU_DEP_1)
	v_fma_f32 v43, -v41, v42, 1.0
	v_fmac_f32_e32 v42, v43, v42
	v_div_scale_f32 v43, vcc_lo, v33, v40, v33
	s_delay_alu instid0(VALU_DEP_1) | instskip(NEXT) | instid1(VALU_DEP_1)
	v_mul_f32_e32 v44, v43, v42
	v_fma_f32 v45, -v41, v44, v43
	s_delay_alu instid0(VALU_DEP_1) | instskip(NEXT) | instid1(VALU_DEP_1)
	v_fmac_f32_e32 v44, v45, v42
	v_fma_f32 v41, -v41, v44, v43
	s_delay_alu instid0(VALU_DEP_1) | instskip(NEXT) | instid1(VALU_DEP_1)
	v_div_fmas_f32 v41, v41, v42, v44
	v_div_fixup_f32 v33, v41, v40, v33
.LBB57_39:
	s_or_b32 exec_lo, exec_lo, s11
	s_wait_loadcnt 0x6
	v_dual_mul_f32 v40, s13, v28 :: v_dual_lshlrev_b32 v28, 16, v39
	s_mov_b32 s11, exec_lo
	s_delay_alu instid0(VALU_DEP_1)
	v_cmpx_nlt_f32_e32 s14, v40
	s_cbranch_execz .LBB57_41
; %bb.40:
	v_mul_f32_e32 v41, 0x3fb8aa3b, v40
	v_cmp_ngt_f32_e32 vcc_lo, 0xc2ce8ed0, v40
	s_delay_alu instid0(VALU_DEP_2) | instskip(SKIP_1) | instid1(VALU_DEP_2)
	v_rndne_f32_e32 v42, v41
	v_fma_f32 v43, 0x3fb8aa3b, v40, -v41
	v_sub_f32_e32 v41, v41, v42
	s_delay_alu instid0(VALU_DEP_2) | instskip(SKIP_1) | instid1(VALU_DEP_2)
	v_fmamk_f32 v43, v40, 0x32a5705f, v43
	v_cvt_i32_f32_e32 v42, v42
	v_add_f32_e32 v41, v41, v43
	s_delay_alu instid0(VALU_DEP_1) | instskip(SKIP_1) | instid1(TRANS32_DEP_1)
	v_exp_f32_e32 v41, v41
	v_nop
	v_ldexp_f32 v41, v41, v42
	s_delay_alu instid0(VALU_DEP_1) | instskip(SKIP_1) | instid1(VALU_DEP_2)
	v_cndmask_b32_e32 v41, 0, v41, vcc_lo
	v_cmp_nlt_f32_e32 vcc_lo, 0x42b17218, v40
	v_cndmask_b32_e32 v40, 0x7f800000, v41, vcc_lo
	s_delay_alu instid0(VALU_DEP_1) | instskip(SKIP_1) | instid1(VALU_DEP_1)
	v_mul_f32_e32 v28, v40, v28
	v_add_f32_e32 v40, 1.0, v40
	v_div_scale_f32 v41, null, v40, v40, v28
	s_delay_alu instid0(VALU_DEP_1) | instskip(SKIP_1) | instid1(TRANS32_DEP_1)
	v_rcp_f32_e32 v42, v41
	v_nop
	v_fma_f32 v43, -v41, v42, 1.0
	s_delay_alu instid0(VALU_DEP_1) | instskip(SKIP_1) | instid1(VALU_DEP_1)
	v_fmac_f32_e32 v42, v43, v42
	v_div_scale_f32 v43, vcc_lo, v28, v40, v28
	v_mul_f32_e32 v44, v43, v42
	s_delay_alu instid0(VALU_DEP_1) | instskip(NEXT) | instid1(VALU_DEP_1)
	v_fma_f32 v45, -v41, v44, v43
	v_fmac_f32_e32 v44, v45, v42
	s_delay_alu instid0(VALU_DEP_1) | instskip(NEXT) | instid1(VALU_DEP_1)
	v_fma_f32 v41, -v41, v44, v43
	v_div_fmas_f32 v41, v41, v42, v44
	s_delay_alu instid0(VALU_DEP_1)
	v_div_fixup_f32 v28, v41, v40, v28
.LBB57_41:
	s_or_b32 exec_lo, exec_lo, s11
	v_mul_f32_e32 v40, s13, v29
	v_and_b32_e32 v29, 0xffff0000, v39
	s_mov_b32 s11, exec_lo
	s_delay_alu instid0(VALU_DEP_2)
	v_cmpx_nlt_f32_e32 s14, v40
	s_cbranch_execz .LBB57_43
; %bb.42:
	v_mul_f32_e32 v39, 0x3fb8aa3b, v40
	v_cmp_ngt_f32_e32 vcc_lo, 0xc2ce8ed0, v40
	s_delay_alu instid0(VALU_DEP_2) | instskip(SKIP_1) | instid1(VALU_DEP_1)
	v_rndne_f32_e32 v41, v39
	v_fma_f32 v42, 0x3fb8aa3b, v40, -v39
	v_dual_sub_f32 v39, v39, v41 :: v_dual_fmamk_f32 v42, v40, 0x32a5705f, v42
	v_cvt_i32_f32_e32 v41, v41
	s_delay_alu instid0(VALU_DEP_2) | instskip(NEXT) | instid1(VALU_DEP_1)
	v_add_f32_e32 v39, v39, v42
	v_exp_f32_e32 v39, v39
	v_nop
	s_delay_alu instid0(TRANS32_DEP_1) | instskip(NEXT) | instid1(VALU_DEP_1)
	v_ldexp_f32 v39, v39, v41
	v_cndmask_b32_e32 v39, 0, v39, vcc_lo
	v_cmp_nlt_f32_e32 vcc_lo, 0x42b17218, v40
	s_delay_alu instid0(VALU_DEP_2) | instskip(NEXT) | instid1(VALU_DEP_1)
	v_cndmask_b32_e32 v39, 0x7f800000, v39, vcc_lo
	v_dual_mul_f32 v29, v39, v29 :: v_dual_add_f32 v39, 1.0, v39
	s_delay_alu instid0(VALU_DEP_1) | instskip(NEXT) | instid1(VALU_DEP_1)
	v_div_scale_f32 v40, null, v39, v39, v29
	v_rcp_f32_e32 v41, v40
	v_nop
	s_delay_alu instid0(TRANS32_DEP_1) | instskip(NEXT) | instid1(VALU_DEP_1)
	v_fma_f32 v42, -v40, v41, 1.0
	v_fmac_f32_e32 v41, v42, v41
	v_div_scale_f32 v42, vcc_lo, v29, v39, v29
	s_delay_alu instid0(VALU_DEP_1) | instskip(NEXT) | instid1(VALU_DEP_1)
	v_mul_f32_e32 v43, v42, v41
	v_fma_f32 v44, -v40, v43, v42
	s_delay_alu instid0(VALU_DEP_1) | instskip(NEXT) | instid1(VALU_DEP_1)
	v_fmac_f32_e32 v43, v44, v41
	v_fma_f32 v40, -v40, v43, v42
	s_delay_alu instid0(VALU_DEP_1) | instskip(NEXT) | instid1(VALU_DEP_1)
	v_div_fmas_f32 v40, v40, v41, v43
	v_div_fixup_f32 v29, v40, v39, v29
.LBB57_43:
	s_or_b32 exec_lo, exec_lo, s11
	s_wait_loadcnt 0x5
	v_dual_mul_f32 v39, s13, v24 :: v_dual_lshlrev_b32 v24, 16, v38
	s_mov_b32 s11, exec_lo
	s_delay_alu instid0(VALU_DEP_1)
	v_cmpx_nlt_f32_e32 s14, v39
	s_cbranch_execz .LBB57_45
; %bb.44:
	v_mul_f32_e32 v40, 0x3fb8aa3b, v39
	v_cmp_ngt_f32_e32 vcc_lo, 0xc2ce8ed0, v39
	s_delay_alu instid0(VALU_DEP_2) | instskip(SKIP_1) | instid1(VALU_DEP_2)
	v_rndne_f32_e32 v41, v40
	v_fma_f32 v42, 0x3fb8aa3b, v39, -v40
	v_sub_f32_e32 v40, v40, v41
	s_delay_alu instid0(VALU_DEP_2) | instskip(SKIP_1) | instid1(VALU_DEP_2)
	v_fmamk_f32 v42, v39, 0x32a5705f, v42
	v_cvt_i32_f32_e32 v41, v41
	v_add_f32_e32 v40, v40, v42
	s_delay_alu instid0(VALU_DEP_1) | instskip(SKIP_1) | instid1(TRANS32_DEP_1)
	v_exp_f32_e32 v40, v40
	v_nop
	v_ldexp_f32 v40, v40, v41
	s_delay_alu instid0(VALU_DEP_1) | instskip(SKIP_1) | instid1(VALU_DEP_2)
	v_cndmask_b32_e32 v40, 0, v40, vcc_lo
	v_cmp_nlt_f32_e32 vcc_lo, 0x42b17218, v39
	v_cndmask_b32_e32 v39, 0x7f800000, v40, vcc_lo
	s_delay_alu instid0(VALU_DEP_1) | instskip(NEXT) | instid1(VALU_DEP_1)
	v_dual_mul_f32 v24, v39, v24 :: v_dual_add_f32 v39, 1.0, v39
	v_div_scale_f32 v40, null, v39, v39, v24
	s_delay_alu instid0(VALU_DEP_1) | instskip(SKIP_1) | instid1(TRANS32_DEP_1)
	v_rcp_f32_e32 v41, v40
	v_nop
	v_fma_f32 v42, -v40, v41, 1.0
	s_delay_alu instid0(VALU_DEP_1) | instskip(SKIP_1) | instid1(VALU_DEP_1)
	v_fmac_f32_e32 v41, v42, v41
	v_div_scale_f32 v42, vcc_lo, v24, v39, v24
	v_mul_f32_e32 v43, v42, v41
	s_delay_alu instid0(VALU_DEP_1) | instskip(NEXT) | instid1(VALU_DEP_1)
	v_fma_f32 v44, -v40, v43, v42
	v_fmac_f32_e32 v43, v44, v41
	s_delay_alu instid0(VALU_DEP_1) | instskip(NEXT) | instid1(VALU_DEP_1)
	v_fma_f32 v40, -v40, v43, v42
	v_div_fmas_f32 v40, v40, v41, v43
	s_delay_alu instid0(VALU_DEP_1)
	v_div_fixup_f32 v24, v40, v39, v24
.LBB57_45:
	s_or_b32 exec_lo, exec_lo, s11
	v_mul_f32_e32 v39, s13, v25
	v_and_b32_e32 v25, 0xffff0000, v38
	s_mov_b32 s11, exec_lo
	s_delay_alu instid0(VALU_DEP_2)
	v_cmpx_nlt_f32_e32 s14, v39
	s_cbranch_execz .LBB57_47
; %bb.46:
	v_mul_f32_e32 v38, 0x3fb8aa3b, v39
	v_cmp_ngt_f32_e32 vcc_lo, 0xc2ce8ed0, v39
	s_delay_alu instid0(VALU_DEP_2) | instskip(SKIP_1) | instid1(VALU_DEP_1)
	v_rndne_f32_e32 v40, v38
	v_fma_f32 v41, 0x3fb8aa3b, v39, -v38
	v_dual_sub_f32 v38, v38, v40 :: v_dual_fmamk_f32 v41, v39, 0x32a5705f, v41
	v_cvt_i32_f32_e32 v40, v40
	s_delay_alu instid0(VALU_DEP_2) | instskip(NEXT) | instid1(VALU_DEP_1)
	v_add_f32_e32 v38, v38, v41
	v_exp_f32_e32 v38, v38
	v_nop
	s_delay_alu instid0(TRANS32_DEP_1) | instskip(NEXT) | instid1(VALU_DEP_1)
	v_ldexp_f32 v38, v38, v40
	v_cndmask_b32_e32 v38, 0, v38, vcc_lo
	v_cmp_nlt_f32_e32 vcc_lo, 0x42b17218, v39
	s_delay_alu instid0(VALU_DEP_2) | instskip(NEXT) | instid1(VALU_DEP_1)
	v_cndmask_b32_e32 v38, 0x7f800000, v38, vcc_lo
	v_dual_mul_f32 v25, v38, v25 :: v_dual_add_f32 v38, 1.0, v38
	s_delay_alu instid0(VALU_DEP_1) | instskip(NEXT) | instid1(VALU_DEP_1)
	v_div_scale_f32 v39, null, v38, v38, v25
	v_rcp_f32_e32 v40, v39
	v_nop
	s_delay_alu instid0(TRANS32_DEP_1) | instskip(NEXT) | instid1(VALU_DEP_1)
	v_fma_f32 v41, -v39, v40, 1.0
	v_fmac_f32_e32 v40, v41, v40
	v_div_scale_f32 v41, vcc_lo, v25, v38, v25
	s_delay_alu instid0(VALU_DEP_1) | instskip(NEXT) | instid1(VALU_DEP_1)
	v_mul_f32_e32 v42, v41, v40
	v_fma_f32 v43, -v39, v42, v41
	s_delay_alu instid0(VALU_DEP_1) | instskip(NEXT) | instid1(VALU_DEP_1)
	v_fmac_f32_e32 v42, v43, v40
	v_fma_f32 v39, -v39, v42, v41
	s_delay_alu instid0(VALU_DEP_1) | instskip(NEXT) | instid1(VALU_DEP_1)
	v_div_fmas_f32 v39, v39, v40, v42
	v_div_fixup_f32 v25, v39, v38, v25
.LBB57_47:
	s_or_b32 exec_lo, exec_lo, s11
	s_wait_loadcnt 0x4
	v_dual_mul_f32 v38, s13, v20 :: v_dual_lshlrev_b32 v20, 16, v37
	s_mov_b32 s11, exec_lo
	s_delay_alu instid0(VALU_DEP_1)
	v_cmpx_nlt_f32_e32 s14, v38
	s_cbranch_execz .LBB57_49
; %bb.48:
	v_mul_f32_e32 v39, 0x3fb8aa3b, v38
	v_cmp_ngt_f32_e32 vcc_lo, 0xc2ce8ed0, v38
	s_delay_alu instid0(VALU_DEP_2) | instskip(SKIP_1) | instid1(VALU_DEP_2)
	v_rndne_f32_e32 v40, v39
	v_fma_f32 v41, 0x3fb8aa3b, v38, -v39
	v_sub_f32_e32 v39, v39, v40
	s_delay_alu instid0(VALU_DEP_2) | instskip(SKIP_1) | instid1(VALU_DEP_2)
	v_fmamk_f32 v41, v38, 0x32a5705f, v41
	v_cvt_i32_f32_e32 v40, v40
	v_add_f32_e32 v39, v39, v41
	s_delay_alu instid0(VALU_DEP_1) | instskip(SKIP_1) | instid1(TRANS32_DEP_1)
	v_exp_f32_e32 v39, v39
	v_nop
	v_ldexp_f32 v39, v39, v40
	s_delay_alu instid0(VALU_DEP_1) | instskip(SKIP_1) | instid1(VALU_DEP_2)
	v_cndmask_b32_e32 v39, 0, v39, vcc_lo
	v_cmp_nlt_f32_e32 vcc_lo, 0x42b17218, v38
	v_cndmask_b32_e32 v38, 0x7f800000, v39, vcc_lo
	s_delay_alu instid0(VALU_DEP_1) | instskip(NEXT) | instid1(VALU_DEP_1)
	v_dual_mul_f32 v20, v38, v20 :: v_dual_add_f32 v38, 1.0, v38
	v_div_scale_f32 v39, null, v38, v38, v20
	s_delay_alu instid0(VALU_DEP_1) | instskip(SKIP_1) | instid1(TRANS32_DEP_1)
	v_rcp_f32_e32 v40, v39
	v_nop
	v_fma_f32 v41, -v39, v40, 1.0
	s_delay_alu instid0(VALU_DEP_1) | instskip(SKIP_1) | instid1(VALU_DEP_1)
	v_fmac_f32_e32 v40, v41, v40
	v_div_scale_f32 v41, vcc_lo, v20, v38, v20
	v_mul_f32_e32 v42, v41, v40
	s_delay_alu instid0(VALU_DEP_1) | instskip(NEXT) | instid1(VALU_DEP_1)
	v_fma_f32 v43, -v39, v42, v41
	v_fmac_f32_e32 v42, v43, v40
	s_delay_alu instid0(VALU_DEP_1) | instskip(NEXT) | instid1(VALU_DEP_1)
	v_fma_f32 v39, -v39, v42, v41
	v_div_fmas_f32 v39, v39, v40, v42
	s_delay_alu instid0(VALU_DEP_1)
	v_div_fixup_f32 v20, v39, v38, v20
.LBB57_49:
	s_or_b32 exec_lo, exec_lo, s11
	v_mul_f32_e32 v38, s13, v21
	v_and_b32_e32 v21, 0xffff0000, v37
	s_mov_b32 s11, exec_lo
	s_delay_alu instid0(VALU_DEP_2)
	v_cmpx_nlt_f32_e32 s14, v38
	s_cbranch_execz .LBB57_51
; %bb.50:
	v_mul_f32_e32 v37, 0x3fb8aa3b, v38
	v_cmp_ngt_f32_e32 vcc_lo, 0xc2ce8ed0, v38
	s_delay_alu instid0(VALU_DEP_2) | instskip(SKIP_1) | instid1(VALU_DEP_1)
	v_rndne_f32_e32 v39, v37
	v_fma_f32 v40, 0x3fb8aa3b, v38, -v37
	v_dual_sub_f32 v37, v37, v39 :: v_dual_fmamk_f32 v40, v38, 0x32a5705f, v40
	v_cvt_i32_f32_e32 v39, v39
	s_delay_alu instid0(VALU_DEP_2) | instskip(NEXT) | instid1(VALU_DEP_1)
	v_add_f32_e32 v37, v37, v40
	v_exp_f32_e32 v37, v37
	v_nop
	s_delay_alu instid0(TRANS32_DEP_1) | instskip(NEXT) | instid1(VALU_DEP_1)
	v_ldexp_f32 v37, v37, v39
	v_cndmask_b32_e32 v37, 0, v37, vcc_lo
	v_cmp_nlt_f32_e32 vcc_lo, 0x42b17218, v38
	s_delay_alu instid0(VALU_DEP_2) | instskip(NEXT) | instid1(VALU_DEP_1)
	v_cndmask_b32_e32 v37, 0x7f800000, v37, vcc_lo
	v_mul_f32_e32 v21, v37, v21
	v_add_f32_e32 v37, 1.0, v37
	s_delay_alu instid0(VALU_DEP_1) | instskip(NEXT) | instid1(VALU_DEP_1)
	v_div_scale_f32 v38, null, v37, v37, v21
	v_rcp_f32_e32 v39, v38
	v_nop
	s_delay_alu instid0(TRANS32_DEP_1) | instskip(NEXT) | instid1(VALU_DEP_1)
	v_fma_f32 v40, -v38, v39, 1.0
	v_fmac_f32_e32 v39, v40, v39
	v_div_scale_f32 v40, vcc_lo, v21, v37, v21
	s_delay_alu instid0(VALU_DEP_1) | instskip(NEXT) | instid1(VALU_DEP_1)
	v_mul_f32_e32 v41, v40, v39
	v_fma_f32 v42, -v38, v41, v40
	s_delay_alu instid0(VALU_DEP_1) | instskip(NEXT) | instid1(VALU_DEP_1)
	v_fmac_f32_e32 v41, v42, v39
	v_fma_f32 v38, -v38, v41, v40
	s_delay_alu instid0(VALU_DEP_1) | instskip(NEXT) | instid1(VALU_DEP_1)
	v_div_fmas_f32 v38, v38, v39, v41
	v_div_fixup_f32 v21, v38, v37, v21
.LBB57_51:
	s_or_b32 exec_lo, exec_lo, s11
	s_wait_loadcnt 0x3
	v_mul_f32_e32 v37, s13, v16
	v_lshlrev_b32_e32 v16, 16, v36
	s_mov_b32 s11, exec_lo
	s_delay_alu instid0(VALU_DEP_2)
	v_cmpx_nlt_f32_e32 s14, v37
	s_cbranch_execz .LBB57_53
; %bb.52:
	v_mul_f32_e32 v38, 0x3fb8aa3b, v37
	v_cmp_ngt_f32_e32 vcc_lo, 0xc2ce8ed0, v37
	s_delay_alu instid0(VALU_DEP_2) | instskip(SKIP_1) | instid1(VALU_DEP_2)
	v_rndne_f32_e32 v39, v38
	v_fma_f32 v40, 0x3fb8aa3b, v37, -v38
	v_sub_f32_e32 v38, v38, v39
	s_delay_alu instid0(VALU_DEP_2) | instskip(SKIP_1) | instid1(VALU_DEP_2)
	v_fmamk_f32 v40, v37, 0x32a5705f, v40
	v_cvt_i32_f32_e32 v39, v39
	v_add_f32_e32 v38, v38, v40
	s_delay_alu instid0(VALU_DEP_1) | instskip(SKIP_1) | instid1(TRANS32_DEP_1)
	v_exp_f32_e32 v38, v38
	v_nop
	v_ldexp_f32 v38, v38, v39
	s_delay_alu instid0(VALU_DEP_1) | instskip(SKIP_1) | instid1(VALU_DEP_2)
	v_cndmask_b32_e32 v38, 0, v38, vcc_lo
	v_cmp_nlt_f32_e32 vcc_lo, 0x42b17218, v37
	v_cndmask_b32_e32 v37, 0x7f800000, v38, vcc_lo
	s_delay_alu instid0(VALU_DEP_1) | instskip(NEXT) | instid1(VALU_DEP_1)
	v_dual_mul_f32 v16, v37, v16 :: v_dual_add_f32 v37, 1.0, v37
	v_div_scale_f32 v38, null, v37, v37, v16
	s_delay_alu instid0(VALU_DEP_1) | instskip(SKIP_1) | instid1(TRANS32_DEP_1)
	v_rcp_f32_e32 v39, v38
	v_nop
	v_fma_f32 v40, -v38, v39, 1.0
	s_delay_alu instid0(VALU_DEP_1) | instskip(SKIP_1) | instid1(VALU_DEP_1)
	v_fmac_f32_e32 v39, v40, v39
	v_div_scale_f32 v40, vcc_lo, v16, v37, v16
	v_mul_f32_e32 v41, v40, v39
	s_delay_alu instid0(VALU_DEP_1) | instskip(NEXT) | instid1(VALU_DEP_1)
	v_fma_f32 v42, -v38, v41, v40
	v_fmac_f32_e32 v41, v42, v39
	s_delay_alu instid0(VALU_DEP_1) | instskip(NEXT) | instid1(VALU_DEP_1)
	v_fma_f32 v38, -v38, v41, v40
	v_div_fmas_f32 v38, v38, v39, v41
	s_delay_alu instid0(VALU_DEP_1)
	v_div_fixup_f32 v16, v38, v37, v16
.LBB57_53:
	s_or_b32 exec_lo, exec_lo, s11
	v_mul_f32_e32 v37, s13, v17
	v_and_b32_e32 v17, 0xffff0000, v36
	s_mov_b32 s11, exec_lo
	s_delay_alu instid0(VALU_DEP_2)
	v_cmpx_nlt_f32_e32 s14, v37
	s_cbranch_execz .LBB57_55
; %bb.54:
	v_mul_f32_e32 v36, 0x3fb8aa3b, v37
	v_cmp_ngt_f32_e32 vcc_lo, 0xc2ce8ed0, v37
	s_delay_alu instid0(VALU_DEP_2) | instskip(SKIP_1) | instid1(VALU_DEP_1)
	v_rndne_f32_e32 v38, v36
	v_fma_f32 v39, 0x3fb8aa3b, v37, -v36
	v_dual_sub_f32 v36, v36, v38 :: v_dual_fmamk_f32 v39, v37, 0x32a5705f, v39
	v_cvt_i32_f32_e32 v38, v38
	s_delay_alu instid0(VALU_DEP_2) | instskip(NEXT) | instid1(VALU_DEP_1)
	v_add_f32_e32 v36, v36, v39
	v_exp_f32_e32 v36, v36
	v_nop
	s_delay_alu instid0(TRANS32_DEP_1) | instskip(NEXT) | instid1(VALU_DEP_1)
	v_ldexp_f32 v36, v36, v38
	v_cndmask_b32_e32 v36, 0, v36, vcc_lo
	v_cmp_nlt_f32_e32 vcc_lo, 0x42b17218, v37
	s_delay_alu instid0(VALU_DEP_2) | instskip(NEXT) | instid1(VALU_DEP_1)
	v_cndmask_b32_e32 v36, 0x7f800000, v36, vcc_lo
	v_dual_mul_f32 v17, v36, v17 :: v_dual_add_f32 v36, 1.0, v36
	s_delay_alu instid0(VALU_DEP_1) | instskip(NEXT) | instid1(VALU_DEP_1)
	v_div_scale_f32 v37, null, v36, v36, v17
	v_rcp_f32_e32 v38, v37
	v_nop
	s_delay_alu instid0(TRANS32_DEP_1) | instskip(NEXT) | instid1(VALU_DEP_1)
	v_fma_f32 v39, -v37, v38, 1.0
	v_fmac_f32_e32 v38, v39, v38
	v_div_scale_f32 v39, vcc_lo, v17, v36, v17
	s_delay_alu instid0(VALU_DEP_1) | instskip(NEXT) | instid1(VALU_DEP_1)
	v_mul_f32_e32 v40, v39, v38
	v_fma_f32 v41, -v37, v40, v39
	s_delay_alu instid0(VALU_DEP_1) | instskip(NEXT) | instid1(VALU_DEP_1)
	v_fmac_f32_e32 v40, v41, v38
	v_fma_f32 v37, -v37, v40, v39
	s_delay_alu instid0(VALU_DEP_1) | instskip(NEXT) | instid1(VALU_DEP_1)
	v_div_fmas_f32 v37, v37, v38, v40
	v_div_fixup_f32 v17, v37, v36, v17
.LBB57_55:
	s_or_b32 exec_lo, exec_lo, s11
	s_wait_loadcnt 0x2
	v_dual_mul_f32 v36, s13, v12 :: v_dual_lshlrev_b32 v12, 16, v35
	s_mov_b32 s11, exec_lo
	s_delay_alu instid0(VALU_DEP_1)
	v_cmpx_nlt_f32_e32 s14, v36
	s_cbranch_execz .LBB57_57
; %bb.56:
	v_mul_f32_e32 v37, 0x3fb8aa3b, v36
	v_cmp_ngt_f32_e32 vcc_lo, 0xc2ce8ed0, v36
	s_delay_alu instid0(VALU_DEP_2) | instskip(SKIP_1) | instid1(VALU_DEP_2)
	v_rndne_f32_e32 v38, v37
	v_fma_f32 v39, 0x3fb8aa3b, v36, -v37
	v_sub_f32_e32 v37, v37, v38
	s_delay_alu instid0(VALU_DEP_2) | instskip(SKIP_1) | instid1(VALU_DEP_2)
	v_fmamk_f32 v39, v36, 0x32a5705f, v39
	v_cvt_i32_f32_e32 v38, v38
	v_add_f32_e32 v37, v37, v39
	s_delay_alu instid0(VALU_DEP_1) | instskip(SKIP_1) | instid1(TRANS32_DEP_1)
	v_exp_f32_e32 v37, v37
	v_nop
	v_ldexp_f32 v37, v37, v38
	s_delay_alu instid0(VALU_DEP_1) | instskip(SKIP_1) | instid1(VALU_DEP_2)
	v_cndmask_b32_e32 v37, 0, v37, vcc_lo
	v_cmp_nlt_f32_e32 vcc_lo, 0x42b17218, v36
	v_cndmask_b32_e32 v36, 0x7f800000, v37, vcc_lo
	s_delay_alu instid0(VALU_DEP_1) | instskip(SKIP_1) | instid1(VALU_DEP_1)
	v_mul_f32_e32 v12, v36, v12
	v_add_f32_e32 v36, 1.0, v36
	v_div_scale_f32 v37, null, v36, v36, v12
	s_delay_alu instid0(VALU_DEP_1) | instskip(SKIP_1) | instid1(TRANS32_DEP_1)
	v_rcp_f32_e32 v38, v37
	v_nop
	v_fma_f32 v39, -v37, v38, 1.0
	s_delay_alu instid0(VALU_DEP_1) | instskip(SKIP_1) | instid1(VALU_DEP_1)
	v_fmac_f32_e32 v38, v39, v38
	v_div_scale_f32 v39, vcc_lo, v12, v36, v12
	v_mul_f32_e32 v40, v39, v38
	s_delay_alu instid0(VALU_DEP_1) | instskip(NEXT) | instid1(VALU_DEP_1)
	v_fma_f32 v41, -v37, v40, v39
	v_fmac_f32_e32 v40, v41, v38
	s_delay_alu instid0(VALU_DEP_1) | instskip(NEXT) | instid1(VALU_DEP_1)
	v_fma_f32 v37, -v37, v40, v39
	v_div_fmas_f32 v37, v37, v38, v40
	s_delay_alu instid0(VALU_DEP_1)
	v_div_fixup_f32 v12, v37, v36, v12
.LBB57_57:
	s_or_b32 exec_lo, exec_lo, s11
	v_mul_f32_e32 v36, s13, v13
	v_and_b32_e32 v13, 0xffff0000, v35
	s_mov_b32 s11, exec_lo
	s_delay_alu instid0(VALU_DEP_2)
	v_cmpx_nlt_f32_e32 s14, v36
	s_cbranch_execz .LBB57_59
; %bb.58:
	v_mul_f32_e32 v35, 0x3fb8aa3b, v36
	v_cmp_ngt_f32_e32 vcc_lo, 0xc2ce8ed0, v36
	s_delay_alu instid0(VALU_DEP_2) | instskip(SKIP_1) | instid1(VALU_DEP_1)
	v_rndne_f32_e32 v37, v35
	v_fma_f32 v38, 0x3fb8aa3b, v36, -v35
	v_dual_sub_f32 v35, v35, v37 :: v_dual_fmamk_f32 v38, v36, 0x32a5705f, v38
	v_cvt_i32_f32_e32 v37, v37
	s_delay_alu instid0(VALU_DEP_2) | instskip(NEXT) | instid1(VALU_DEP_1)
	v_add_f32_e32 v35, v35, v38
	v_exp_f32_e32 v35, v35
	v_nop
	s_delay_alu instid0(TRANS32_DEP_1) | instskip(NEXT) | instid1(VALU_DEP_1)
	v_ldexp_f32 v35, v35, v37
	v_cndmask_b32_e32 v35, 0, v35, vcc_lo
	v_cmp_nlt_f32_e32 vcc_lo, 0x42b17218, v36
	s_delay_alu instid0(VALU_DEP_2) | instskip(NEXT) | instid1(VALU_DEP_1)
	v_cndmask_b32_e32 v35, 0x7f800000, v35, vcc_lo
	v_dual_mul_f32 v13, v35, v13 :: v_dual_add_f32 v35, 1.0, v35
	s_delay_alu instid0(VALU_DEP_1) | instskip(NEXT) | instid1(VALU_DEP_1)
	v_div_scale_f32 v36, null, v35, v35, v13
	v_rcp_f32_e32 v37, v36
	v_nop
	s_delay_alu instid0(TRANS32_DEP_1) | instskip(NEXT) | instid1(VALU_DEP_1)
	v_fma_f32 v38, -v36, v37, 1.0
	v_fmac_f32_e32 v37, v38, v37
	v_div_scale_f32 v38, vcc_lo, v13, v35, v13
	s_delay_alu instid0(VALU_DEP_1) | instskip(NEXT) | instid1(VALU_DEP_1)
	v_mul_f32_e32 v39, v38, v37
	v_fma_f32 v40, -v36, v39, v38
	s_delay_alu instid0(VALU_DEP_1) | instskip(NEXT) | instid1(VALU_DEP_1)
	v_fmac_f32_e32 v39, v40, v37
	v_fma_f32 v36, -v36, v39, v38
	s_delay_alu instid0(VALU_DEP_1) | instskip(NEXT) | instid1(VALU_DEP_1)
	v_div_fmas_f32 v36, v36, v37, v39
	v_div_fixup_f32 v13, v36, v35, v13
.LBB57_59:
	s_or_b32 exec_lo, exec_lo, s11
	s_wait_loadcnt 0x1
	v_dual_mul_f32 v35, s13, v8 :: v_dual_lshlrev_b32 v8, 16, v34
	s_mov_b32 s11, exec_lo
	s_delay_alu instid0(VALU_DEP_1)
	v_cmpx_nlt_f32_e32 s14, v35
	s_cbranch_execz .LBB57_61
; %bb.60:
	v_mul_f32_e32 v36, 0x3fb8aa3b, v35
	v_cmp_ngt_f32_e32 vcc_lo, 0xc2ce8ed0, v35
	s_delay_alu instid0(VALU_DEP_2) | instskip(SKIP_1) | instid1(VALU_DEP_2)
	v_rndne_f32_e32 v37, v36
	v_fma_f32 v38, 0x3fb8aa3b, v35, -v36
	v_sub_f32_e32 v36, v36, v37
	s_delay_alu instid0(VALU_DEP_2) | instskip(SKIP_1) | instid1(VALU_DEP_2)
	v_fmamk_f32 v38, v35, 0x32a5705f, v38
	v_cvt_i32_f32_e32 v37, v37
	v_add_f32_e32 v36, v36, v38
	s_delay_alu instid0(VALU_DEP_1) | instskip(SKIP_1) | instid1(TRANS32_DEP_1)
	v_exp_f32_e32 v36, v36
	v_nop
	v_ldexp_f32 v36, v36, v37
	s_delay_alu instid0(VALU_DEP_1) | instskip(SKIP_1) | instid1(VALU_DEP_2)
	v_cndmask_b32_e32 v36, 0, v36, vcc_lo
	v_cmp_nlt_f32_e32 vcc_lo, 0x42b17218, v35
	v_cndmask_b32_e32 v35, 0x7f800000, v36, vcc_lo
	s_delay_alu instid0(VALU_DEP_1) | instskip(NEXT) | instid1(VALU_DEP_1)
	v_dual_mul_f32 v8, v35, v8 :: v_dual_add_f32 v35, 1.0, v35
	v_div_scale_f32 v36, null, v35, v35, v8
	s_delay_alu instid0(VALU_DEP_1) | instskip(SKIP_1) | instid1(TRANS32_DEP_1)
	v_rcp_f32_e32 v37, v36
	v_nop
	v_fma_f32 v38, -v36, v37, 1.0
	s_delay_alu instid0(VALU_DEP_1) | instskip(SKIP_1) | instid1(VALU_DEP_1)
	v_fmac_f32_e32 v37, v38, v37
	v_div_scale_f32 v38, vcc_lo, v8, v35, v8
	v_mul_f32_e32 v39, v38, v37
	s_delay_alu instid0(VALU_DEP_1) | instskip(NEXT) | instid1(VALU_DEP_1)
	v_fma_f32 v40, -v36, v39, v38
	v_fmac_f32_e32 v39, v40, v37
	s_delay_alu instid0(VALU_DEP_1) | instskip(NEXT) | instid1(VALU_DEP_1)
	v_fma_f32 v36, -v36, v39, v38
	v_div_fmas_f32 v36, v36, v37, v39
	s_delay_alu instid0(VALU_DEP_1)
	v_div_fixup_f32 v8, v36, v35, v8
.LBB57_61:
	s_or_b32 exec_lo, exec_lo, s11
	v_mul_f32_e32 v35, s13, v9
	v_and_b32_e32 v9, 0xffff0000, v34
	s_mov_b32 s11, exec_lo
	s_delay_alu instid0(VALU_DEP_2)
	v_cmpx_nlt_f32_e32 s14, v35
	s_cbranch_execz .LBB57_63
; %bb.62:
	v_mul_f32_e32 v34, 0x3fb8aa3b, v35
	v_cmp_ngt_f32_e32 vcc_lo, 0xc2ce8ed0, v35
	s_delay_alu instid0(VALU_DEP_2) | instskip(SKIP_1) | instid1(VALU_DEP_1)
	v_rndne_f32_e32 v36, v34
	v_fma_f32 v37, 0x3fb8aa3b, v35, -v34
	v_dual_sub_f32 v34, v34, v36 :: v_dual_fmamk_f32 v37, v35, 0x32a5705f, v37
	v_cvt_i32_f32_e32 v36, v36
	s_delay_alu instid0(VALU_DEP_2) | instskip(NEXT) | instid1(VALU_DEP_1)
	v_add_f32_e32 v34, v34, v37
	v_exp_f32_e32 v34, v34
	v_nop
	s_delay_alu instid0(TRANS32_DEP_1) | instskip(NEXT) | instid1(VALU_DEP_1)
	v_ldexp_f32 v34, v34, v36
	v_cndmask_b32_e32 v34, 0, v34, vcc_lo
	v_cmp_nlt_f32_e32 vcc_lo, 0x42b17218, v35
	s_delay_alu instid0(VALU_DEP_2) | instskip(NEXT) | instid1(VALU_DEP_1)
	v_cndmask_b32_e32 v34, 0x7f800000, v34, vcc_lo
	v_dual_mul_f32 v9, v34, v9 :: v_dual_add_f32 v34, 1.0, v34
	s_delay_alu instid0(VALU_DEP_1) | instskip(NEXT) | instid1(VALU_DEP_1)
	v_div_scale_f32 v35, null, v34, v34, v9
	v_rcp_f32_e32 v36, v35
	v_nop
	s_delay_alu instid0(TRANS32_DEP_1) | instskip(NEXT) | instid1(VALU_DEP_1)
	v_fma_f32 v37, -v35, v36, 1.0
	v_fmac_f32_e32 v36, v37, v36
	v_div_scale_f32 v37, vcc_lo, v9, v34, v9
	s_delay_alu instid0(VALU_DEP_1) | instskip(NEXT) | instid1(VALU_DEP_1)
	v_mul_f32_e32 v38, v37, v36
	v_fma_f32 v39, -v35, v38, v37
	s_delay_alu instid0(VALU_DEP_1) | instskip(NEXT) | instid1(VALU_DEP_1)
	v_fmac_f32_e32 v38, v39, v36
	v_fma_f32 v35, -v35, v38, v37
	s_delay_alu instid0(VALU_DEP_1) | instskip(NEXT) | instid1(VALU_DEP_1)
	v_div_fmas_f32 v35, v35, v36, v38
	v_div_fixup_f32 v9, v35, v34, v9
.LBB57_63:
	s_or_b32 exec_lo, exec_lo, s11
	s_wait_loadcnt 0x0
	v_dual_mul_f32 v34, s13, v4 :: v_dual_lshlrev_b32 v4, 16, v1
	s_mov_b32 s11, exec_lo
	s_delay_alu instid0(VALU_DEP_1)
	v_cmpx_nlt_f32_e32 s14, v34
	s_cbranch_execz .LBB57_65
; %bb.64:
	v_mul_f32_e32 v35, 0x3fb8aa3b, v34
	v_cmp_ngt_f32_e32 vcc_lo, 0xc2ce8ed0, v34
	s_delay_alu instid0(VALU_DEP_2) | instskip(SKIP_1) | instid1(VALU_DEP_2)
	v_rndne_f32_e32 v36, v35
	v_fma_f32 v37, 0x3fb8aa3b, v34, -v35
	v_sub_f32_e32 v35, v35, v36
	s_delay_alu instid0(VALU_DEP_2) | instskip(SKIP_1) | instid1(VALU_DEP_2)
	v_fmamk_f32 v37, v34, 0x32a5705f, v37
	v_cvt_i32_f32_e32 v36, v36
	v_add_f32_e32 v35, v35, v37
	s_delay_alu instid0(VALU_DEP_1) | instskip(SKIP_1) | instid1(TRANS32_DEP_1)
	v_exp_f32_e32 v35, v35
	v_nop
	v_ldexp_f32 v35, v35, v36
	s_delay_alu instid0(VALU_DEP_1) | instskip(SKIP_1) | instid1(VALU_DEP_2)
	v_cndmask_b32_e32 v35, 0, v35, vcc_lo
	v_cmp_nlt_f32_e32 vcc_lo, 0x42b17218, v34
	v_cndmask_b32_e32 v34, 0x7f800000, v35, vcc_lo
	s_delay_alu instid0(VALU_DEP_1) | instskip(NEXT) | instid1(VALU_DEP_1)
	v_dual_mul_f32 v4, v34, v4 :: v_dual_add_f32 v34, 1.0, v34
	v_div_scale_f32 v35, null, v34, v34, v4
	s_delay_alu instid0(VALU_DEP_1) | instskip(SKIP_1) | instid1(TRANS32_DEP_1)
	v_rcp_f32_e32 v36, v35
	v_nop
	v_fma_f32 v37, -v35, v36, 1.0
	s_delay_alu instid0(VALU_DEP_1) | instskip(SKIP_1) | instid1(VALU_DEP_1)
	v_fmac_f32_e32 v36, v37, v36
	v_div_scale_f32 v37, vcc_lo, v4, v34, v4
	v_mul_f32_e32 v38, v37, v36
	s_delay_alu instid0(VALU_DEP_1) | instskip(NEXT) | instid1(VALU_DEP_1)
	v_fma_f32 v39, -v35, v38, v37
	v_fmac_f32_e32 v38, v39, v36
	s_delay_alu instid0(VALU_DEP_1) | instskip(NEXT) | instid1(VALU_DEP_1)
	v_fma_f32 v35, -v35, v38, v37
	v_div_fmas_f32 v35, v35, v36, v38
	s_delay_alu instid0(VALU_DEP_1)
	v_div_fixup_f32 v4, v35, v34, v4
.LBB57_65:
	s_or_b32 exec_lo, exec_lo, s11
	v_mul_f32_e32 v34, s13, v5
	v_and_b32_e32 v5, 0xffff0000, v1
	s_mov_b32 s11, exec_lo
	s_delay_alu instid0(VALU_DEP_2)
	v_cmpx_nlt_f32_e32 s14, v34
	s_cbranch_execz .LBB57_67
; %bb.66:
	v_mul_f32_e32 v1, 0x3fb8aa3b, v34
	v_cmp_ngt_f32_e32 vcc_lo, 0xc2ce8ed0, v34
	s_delay_alu instid0(VALU_DEP_2) | instskip(SKIP_1) | instid1(VALU_DEP_1)
	v_rndne_f32_e32 v35, v1
	v_fma_f32 v36, 0x3fb8aa3b, v34, -v1
	v_dual_sub_f32 v1, v1, v35 :: v_dual_fmamk_f32 v36, v34, 0x32a5705f, v36
	v_cvt_i32_f32_e32 v35, v35
	s_delay_alu instid0(VALU_DEP_2) | instskip(NEXT) | instid1(VALU_DEP_1)
	v_add_f32_e32 v1, v1, v36
	v_exp_f32_e32 v1, v1
	v_nop
	s_delay_alu instid0(TRANS32_DEP_1) | instskip(NEXT) | instid1(VALU_DEP_1)
	v_ldexp_f32 v1, v1, v35
	v_cndmask_b32_e32 v1, 0, v1, vcc_lo
	v_cmp_nlt_f32_e32 vcc_lo, 0x42b17218, v34
	s_delay_alu instid0(VALU_DEP_2) | instskip(NEXT) | instid1(VALU_DEP_1)
	v_cndmask_b32_e32 v1, 0x7f800000, v1, vcc_lo
	v_mul_f32_e32 v5, v1, v5
	v_add_f32_e32 v1, 1.0, v1
	s_delay_alu instid0(VALU_DEP_1) | instskip(NEXT) | instid1(VALU_DEP_1)
	v_div_scale_f32 v34, null, v1, v1, v5
	v_rcp_f32_e32 v35, v34
	v_nop
	s_delay_alu instid0(TRANS32_DEP_1) | instskip(NEXT) | instid1(VALU_DEP_1)
	v_fma_f32 v36, -v34, v35, 1.0
	v_fmac_f32_e32 v35, v36, v35
	v_div_scale_f32 v36, vcc_lo, v5, v1, v5
	s_delay_alu instid0(VALU_DEP_1) | instskip(NEXT) | instid1(VALU_DEP_1)
	v_mul_f32_e32 v37, v36, v35
	v_fma_f32 v38, -v34, v37, v36
	s_delay_alu instid0(VALU_DEP_1) | instskip(NEXT) | instid1(VALU_DEP_1)
	v_fmac_f32_e32 v37, v38, v35
	v_fma_f32 v34, -v34, v37, v36
	s_delay_alu instid0(VALU_DEP_1) | instskip(NEXT) | instid1(VALU_DEP_1)
	v_div_fmas_f32 v34, v34, v35, v37
	v_div_fixup_f32 v5, v34, v1, v5
.LBB57_67:
	s_or_b32 exec_lo, exec_lo, s11
	s_add_nc_u64 s[16:17], s[4:5], s[8:9]
	s_clause 0xf
	global_store_b64 v0, v[2:3], s[16:17] scale_offset
	global_store_b64 v0, v[6:7], s[16:17] offset:4096 scale_offset
	global_store_b64 v0, v[10:11], s[16:17] offset:8192 scale_offset
	global_store_b64 v0, v[14:15], s[16:17] offset:12288 scale_offset
	global_store_b64 v0, v[18:19], s[16:17] offset:16384 scale_offset
	global_store_b64 v0, v[22:23], s[16:17] offset:20480 scale_offset
	global_store_b64 v0, v[26:27], s[16:17] offset:24576 scale_offset
	global_store_b64 v0, v[30:31], s[16:17] offset:28672 scale_offset
	global_store_b64 v0, v[32:33], s[16:17] offset:32768 scale_offset
	global_store_b64 v0, v[28:29], s[16:17] offset:36864 scale_offset
	global_store_b64 v0, v[24:25], s[16:17] offset:40960 scale_offset
	global_store_b64 v0, v[20:21], s[16:17] offset:45056 scale_offset
	global_store_b64 v0, v[16:17], s[16:17] offset:49152 scale_offset
	global_store_b64 v0, v[12:13], s[16:17] offset:53248 scale_offset
	global_store_b64 v0, v[8:9], s[16:17] offset:57344 scale_offset
	global_store_b64 v0, v[4:5], s[16:17] offset:61440 scale_offset
	s_branch .LBB57_2
.LBB57_68:
	s_clause 0x1
	s_load_b32 s11, s[0:1], 0x2c
	s_load_b128 s[16:19], s[0:1], 0x30
	v_dual_mov_b32 v31, v0 :: v_dual_mov_b32 v0, s13
	v_dual_mov_b32 v1, s14 :: v_dual_mov_b32 v2, s4
	;; [unrolled: 1-line block ×5, first 2 shown]
	s_add_nc_u64 s[8:9], s[0:1], 64
	s_wait_xcnt 0x0
	s_get_pc_i64 s[0:1]
	s_add_nc_u64 s[0:1], s[0:1], _ZN2at6native25elementwise_kernel_helperILb1EZZZNS0_12_GLOBAL__N_124softplus_backward_kernelERNS_18TensorIteratorBaseERKN3c106ScalarES8_ENKUlvE_clEvENKUlvE0_clEvEUlffE_NS0_6memory8policies11unroll_baseILi512ESt5arrayIPcLm3EE23TrivialOffsetCalculatorILi2EjESI_ILi1EjENSC_12LoadWithCastILi2EEENSC_13StoreWithCastILi1EEELi32ELi1EEEEEvT0_T1_@rel64+4
	s_wait_kmcnt 0x0
	s_bfe_u32 s12, s11, 0x80008
	v_dual_mov_b32 v9, s11 :: v_dual_mov_b32 v11, s16
	v_dual_mov_b32 v12, s17 :: v_dual_mov_b32 v13, s18
	;; [unrolled: 1-line block ×3, first 2 shown]
	s_swap_pc_i64 s[30:31], s[0:1]
	s_endpgm
	.section	.rodata,"a",@progbits
	.p2align	6, 0x0
	.amdhsa_kernel _ZN2at6native39vectorized_templated_elementwise_kernelILi2EZZZNS0_12_GLOBAL__N_124softplus_backward_kernelERNS_18TensorIteratorBaseERKN3c106ScalarES8_ENKUlvE_clEvENKUlvE0_clEvEUlffE_St5arrayIPcLm3EE23TrivialOffsetCalculatorILi2EjESF_ILi1EjENS0_6memory12LoadWithCastILi2EEENSI_13StoreWithCastILi1EEEfJNS5_8BFloat16EfEEEviT0_T1_T2_T3_T4_T5_
		.amdhsa_group_segment_fixed_size 0
		.amdhsa_private_segment_fixed_size 272
		.amdhsa_kernarg_size 320
		.amdhsa_user_sgpr_count 2
		.amdhsa_user_sgpr_dispatch_ptr 0
		.amdhsa_user_sgpr_queue_ptr 0
		.amdhsa_user_sgpr_kernarg_segment_ptr 1
		.amdhsa_user_sgpr_dispatch_id 0
		.amdhsa_user_sgpr_kernarg_preload_length 0
		.amdhsa_user_sgpr_kernarg_preload_offset 0
		.amdhsa_user_sgpr_private_segment_size 0
		.amdhsa_wavefront_size32 1
		.amdhsa_uses_dynamic_stack 0
		.amdhsa_enable_private_segment 1
		.amdhsa_system_sgpr_workgroup_id_x 1
		.amdhsa_system_sgpr_workgroup_id_y 0
		.amdhsa_system_sgpr_workgroup_id_z 0
		.amdhsa_system_sgpr_workgroup_info 0
		.amdhsa_system_vgpr_workitem_id 0
		.amdhsa_next_free_vgpr 132
		.amdhsa_next_free_sgpr 96
		.amdhsa_named_barrier_count 0
		.amdhsa_reserve_vcc 1
		.amdhsa_float_round_mode_32 0
		.amdhsa_float_round_mode_16_64 0
		.amdhsa_float_denorm_mode_32 3
		.amdhsa_float_denorm_mode_16_64 3
		.amdhsa_fp16_overflow 0
		.amdhsa_memory_ordered 1
		.amdhsa_forward_progress 1
		.amdhsa_inst_pref_size 68
		.amdhsa_round_robin_scheduling 0
		.amdhsa_exception_fp_ieee_invalid_op 0
		.amdhsa_exception_fp_denorm_src 0
		.amdhsa_exception_fp_ieee_div_zero 0
		.amdhsa_exception_fp_ieee_overflow 0
		.amdhsa_exception_fp_ieee_underflow 0
		.amdhsa_exception_fp_ieee_inexact 0
		.amdhsa_exception_int_div_zero 0
	.end_amdhsa_kernel
	.section	.text._ZN2at6native39vectorized_templated_elementwise_kernelILi2EZZZNS0_12_GLOBAL__N_124softplus_backward_kernelERNS_18TensorIteratorBaseERKN3c106ScalarES8_ENKUlvE_clEvENKUlvE0_clEvEUlffE_St5arrayIPcLm3EE23TrivialOffsetCalculatorILi2EjESF_ILi1EjENS0_6memory12LoadWithCastILi2EEENSI_13StoreWithCastILi1EEEfJNS5_8BFloat16EfEEEviT0_T1_T2_T3_T4_T5_,"axG",@progbits,_ZN2at6native39vectorized_templated_elementwise_kernelILi2EZZZNS0_12_GLOBAL__N_124softplus_backward_kernelERNS_18TensorIteratorBaseERKN3c106ScalarES8_ENKUlvE_clEvENKUlvE0_clEvEUlffE_St5arrayIPcLm3EE23TrivialOffsetCalculatorILi2EjESF_ILi1EjENS0_6memory12LoadWithCastILi2EEENSI_13StoreWithCastILi1EEEfJNS5_8BFloat16EfEEEviT0_T1_T2_T3_T4_T5_,comdat
.Lfunc_end57:
	.size	_ZN2at6native39vectorized_templated_elementwise_kernelILi2EZZZNS0_12_GLOBAL__N_124softplus_backward_kernelERNS_18TensorIteratorBaseERKN3c106ScalarES8_ENKUlvE_clEvENKUlvE0_clEvEUlffE_St5arrayIPcLm3EE23TrivialOffsetCalculatorILi2EjESF_ILi1EjENS0_6memory12LoadWithCastILi2EEENSI_13StoreWithCastILi1EEEfJNS5_8BFloat16EfEEEviT0_T1_T2_T3_T4_T5_, .Lfunc_end57-_ZN2at6native39vectorized_templated_elementwise_kernelILi2EZZZNS0_12_GLOBAL__N_124softplus_backward_kernelERNS_18TensorIteratorBaseERKN3c106ScalarES8_ENKUlvE_clEvENKUlvE0_clEvEUlffE_St5arrayIPcLm3EE23TrivialOffsetCalculatorILi2EjESF_ILi1EjENS0_6memory12LoadWithCastILi2EEENSI_13StoreWithCastILi1EEEfJNS5_8BFloat16EfEEEviT0_T1_T2_T3_T4_T5_
                                        ; -- End function
	.set _ZN2at6native39vectorized_templated_elementwise_kernelILi2EZZZNS0_12_GLOBAL__N_124softplus_backward_kernelERNS_18TensorIteratorBaseERKN3c106ScalarES8_ENKUlvE_clEvENKUlvE0_clEvEUlffE_St5arrayIPcLm3EE23TrivialOffsetCalculatorILi2EjESF_ILi1EjENS0_6memory12LoadWithCastILi2EEENSI_13StoreWithCastILi1EEEfJNS5_8BFloat16EfEEEviT0_T1_T2_T3_T4_T5_.num_vgpr, max(55, .L_ZN2at6native25elementwise_kernel_helperILb1EZZZNS0_12_GLOBAL__N_124softplus_backward_kernelERNS_18TensorIteratorBaseERKN3c106ScalarES8_ENKUlvE_clEvENKUlvE0_clEvEUlffE_NS0_6memory8policies11unroll_baseILi512ESt5arrayIPcLm3EE23TrivialOffsetCalculatorILi2EjESI_ILi1EjENSC_12LoadWithCastILi2EEENSC_13StoreWithCastILi1EEELi32ELi1EEEEEvT0_T1_.num_vgpr)
	.set _ZN2at6native39vectorized_templated_elementwise_kernelILi2EZZZNS0_12_GLOBAL__N_124softplus_backward_kernelERNS_18TensorIteratorBaseERKN3c106ScalarES8_ENKUlvE_clEvENKUlvE0_clEvEUlffE_St5arrayIPcLm3EE23TrivialOffsetCalculatorILi2EjESF_ILi1EjENS0_6memory12LoadWithCastILi2EEENSI_13StoreWithCastILi1EEEfJNS5_8BFloat16EfEEEviT0_T1_T2_T3_T4_T5_.num_agpr, max(0, .L_ZN2at6native25elementwise_kernel_helperILb1EZZZNS0_12_GLOBAL__N_124softplus_backward_kernelERNS_18TensorIteratorBaseERKN3c106ScalarES8_ENKUlvE_clEvENKUlvE0_clEvEUlffE_NS0_6memory8policies11unroll_baseILi512ESt5arrayIPcLm3EE23TrivialOffsetCalculatorILi2EjESI_ILi1EjENSC_12LoadWithCastILi2EEENSC_13StoreWithCastILi1EEELi32ELi1EEEEEvT0_T1_.num_agpr)
	.set _ZN2at6native39vectorized_templated_elementwise_kernelILi2EZZZNS0_12_GLOBAL__N_124softplus_backward_kernelERNS_18TensorIteratorBaseERKN3c106ScalarES8_ENKUlvE_clEvENKUlvE0_clEvEUlffE_St5arrayIPcLm3EE23TrivialOffsetCalculatorILi2EjESF_ILi1EjENS0_6memory12LoadWithCastILi2EEENSI_13StoreWithCastILi1EEEfJNS5_8BFloat16EfEEEviT0_T1_T2_T3_T4_T5_.numbered_sgpr, max(33, .L_ZN2at6native25elementwise_kernel_helperILb1EZZZNS0_12_GLOBAL__N_124softplus_backward_kernelERNS_18TensorIteratorBaseERKN3c106ScalarES8_ENKUlvE_clEvENKUlvE0_clEvEUlffE_NS0_6memory8policies11unroll_baseILi512ESt5arrayIPcLm3EE23TrivialOffsetCalculatorILi2EjESI_ILi1EjENSC_12LoadWithCastILi2EEENSC_13StoreWithCastILi1EEELi32ELi1EEEEEvT0_T1_.numbered_sgpr)
	.set _ZN2at6native39vectorized_templated_elementwise_kernelILi2EZZZNS0_12_GLOBAL__N_124softplus_backward_kernelERNS_18TensorIteratorBaseERKN3c106ScalarES8_ENKUlvE_clEvENKUlvE0_clEvEUlffE_St5arrayIPcLm3EE23TrivialOffsetCalculatorILi2EjESF_ILi1EjENS0_6memory12LoadWithCastILi2EEENSI_13StoreWithCastILi1EEEfJNS5_8BFloat16EfEEEviT0_T1_T2_T3_T4_T5_.num_named_barrier, max(0, .L_ZN2at6native25elementwise_kernel_helperILb1EZZZNS0_12_GLOBAL__N_124softplus_backward_kernelERNS_18TensorIteratorBaseERKN3c106ScalarES8_ENKUlvE_clEvENKUlvE0_clEvEUlffE_NS0_6memory8policies11unroll_baseILi512ESt5arrayIPcLm3EE23TrivialOffsetCalculatorILi2EjESI_ILi1EjENSC_12LoadWithCastILi2EEENSC_13StoreWithCastILi1EEELi32ELi1EEEEEvT0_T1_.num_named_barrier)
	.set _ZN2at6native39vectorized_templated_elementwise_kernelILi2EZZZNS0_12_GLOBAL__N_124softplus_backward_kernelERNS_18TensorIteratorBaseERKN3c106ScalarES8_ENKUlvE_clEvENKUlvE0_clEvEUlffE_St5arrayIPcLm3EE23TrivialOffsetCalculatorILi2EjESF_ILi1EjENS0_6memory12LoadWithCastILi2EEENSI_13StoreWithCastILi1EEEfJNS5_8BFloat16EfEEEviT0_T1_T2_T3_T4_T5_.private_seg_size, 0+max(.L_ZN2at6native25elementwise_kernel_helperILb1EZZZNS0_12_GLOBAL__N_124softplus_backward_kernelERNS_18TensorIteratorBaseERKN3c106ScalarES8_ENKUlvE_clEvENKUlvE0_clEvEUlffE_NS0_6memory8policies11unroll_baseILi512ESt5arrayIPcLm3EE23TrivialOffsetCalculatorILi2EjESI_ILi1EjENSC_12LoadWithCastILi2EEENSC_13StoreWithCastILi1EEELi32ELi1EEEEEvT0_T1_.private_seg_size)
	.set _ZN2at6native39vectorized_templated_elementwise_kernelILi2EZZZNS0_12_GLOBAL__N_124softplus_backward_kernelERNS_18TensorIteratorBaseERKN3c106ScalarES8_ENKUlvE_clEvENKUlvE0_clEvEUlffE_St5arrayIPcLm3EE23TrivialOffsetCalculatorILi2EjESF_ILi1EjENS0_6memory12LoadWithCastILi2EEENSI_13StoreWithCastILi1EEEfJNS5_8BFloat16EfEEEviT0_T1_T2_T3_T4_T5_.uses_vcc, or(1, .L_ZN2at6native25elementwise_kernel_helperILb1EZZZNS0_12_GLOBAL__N_124softplus_backward_kernelERNS_18TensorIteratorBaseERKN3c106ScalarES8_ENKUlvE_clEvENKUlvE0_clEvEUlffE_NS0_6memory8policies11unroll_baseILi512ESt5arrayIPcLm3EE23TrivialOffsetCalculatorILi2EjESI_ILi1EjENSC_12LoadWithCastILi2EEENSC_13StoreWithCastILi1EEELi32ELi1EEEEEvT0_T1_.uses_vcc)
	.set _ZN2at6native39vectorized_templated_elementwise_kernelILi2EZZZNS0_12_GLOBAL__N_124softplus_backward_kernelERNS_18TensorIteratorBaseERKN3c106ScalarES8_ENKUlvE_clEvENKUlvE0_clEvEUlffE_St5arrayIPcLm3EE23TrivialOffsetCalculatorILi2EjESF_ILi1EjENS0_6memory12LoadWithCastILi2EEENSI_13StoreWithCastILi1EEEfJNS5_8BFloat16EfEEEviT0_T1_T2_T3_T4_T5_.uses_flat_scratch, or(0, .L_ZN2at6native25elementwise_kernel_helperILb1EZZZNS0_12_GLOBAL__N_124softplus_backward_kernelERNS_18TensorIteratorBaseERKN3c106ScalarES8_ENKUlvE_clEvENKUlvE0_clEvEUlffE_NS0_6memory8policies11unroll_baseILi512ESt5arrayIPcLm3EE23TrivialOffsetCalculatorILi2EjESI_ILi1EjENSC_12LoadWithCastILi2EEENSC_13StoreWithCastILi1EEELi32ELi1EEEEEvT0_T1_.uses_flat_scratch)
	.set _ZN2at6native39vectorized_templated_elementwise_kernelILi2EZZZNS0_12_GLOBAL__N_124softplus_backward_kernelERNS_18TensorIteratorBaseERKN3c106ScalarES8_ENKUlvE_clEvENKUlvE0_clEvEUlffE_St5arrayIPcLm3EE23TrivialOffsetCalculatorILi2EjESF_ILi1EjENS0_6memory12LoadWithCastILi2EEENSI_13StoreWithCastILi1EEEfJNS5_8BFloat16EfEEEviT0_T1_T2_T3_T4_T5_.has_dyn_sized_stack, or(0, .L_ZN2at6native25elementwise_kernel_helperILb1EZZZNS0_12_GLOBAL__N_124softplus_backward_kernelERNS_18TensorIteratorBaseERKN3c106ScalarES8_ENKUlvE_clEvENKUlvE0_clEvEUlffE_NS0_6memory8policies11unroll_baseILi512ESt5arrayIPcLm3EE23TrivialOffsetCalculatorILi2EjESI_ILi1EjENSC_12LoadWithCastILi2EEENSC_13StoreWithCastILi1EEELi32ELi1EEEEEvT0_T1_.has_dyn_sized_stack)
	.set _ZN2at6native39vectorized_templated_elementwise_kernelILi2EZZZNS0_12_GLOBAL__N_124softplus_backward_kernelERNS_18TensorIteratorBaseERKN3c106ScalarES8_ENKUlvE_clEvENKUlvE0_clEvEUlffE_St5arrayIPcLm3EE23TrivialOffsetCalculatorILi2EjESF_ILi1EjENS0_6memory12LoadWithCastILi2EEENSI_13StoreWithCastILi1EEEfJNS5_8BFloat16EfEEEviT0_T1_T2_T3_T4_T5_.has_recursion, or(0, .L_ZN2at6native25elementwise_kernel_helperILb1EZZZNS0_12_GLOBAL__N_124softplus_backward_kernelERNS_18TensorIteratorBaseERKN3c106ScalarES8_ENKUlvE_clEvENKUlvE0_clEvEUlffE_NS0_6memory8policies11unroll_baseILi512ESt5arrayIPcLm3EE23TrivialOffsetCalculatorILi2EjESI_ILi1EjENSC_12LoadWithCastILi2EEENSC_13StoreWithCastILi1EEELi32ELi1EEEEEvT0_T1_.has_recursion)
	.set _ZN2at6native39vectorized_templated_elementwise_kernelILi2EZZZNS0_12_GLOBAL__N_124softplus_backward_kernelERNS_18TensorIteratorBaseERKN3c106ScalarES8_ENKUlvE_clEvENKUlvE0_clEvEUlffE_St5arrayIPcLm3EE23TrivialOffsetCalculatorILi2EjESF_ILi1EjENS0_6memory12LoadWithCastILi2EEENSI_13StoreWithCastILi1EEEfJNS5_8BFloat16EfEEEviT0_T1_T2_T3_T4_T5_.has_indirect_call, or(0, .L_ZN2at6native25elementwise_kernel_helperILb1EZZZNS0_12_GLOBAL__N_124softplus_backward_kernelERNS_18TensorIteratorBaseERKN3c106ScalarES8_ENKUlvE_clEvENKUlvE0_clEvEUlffE_NS0_6memory8policies11unroll_baseILi512ESt5arrayIPcLm3EE23TrivialOffsetCalculatorILi2EjESI_ILi1EjENSC_12LoadWithCastILi2EEENSC_13StoreWithCastILi1EEELi32ELi1EEEEEvT0_T1_.has_indirect_call)
	.section	.AMDGPU.csdata,"",@progbits
; Kernel info:
; codeLenInByte = 8696
; TotalNumSgprs: 98
; NumVgprs: 132
; ScratchSize: 272
; MemoryBound: 0
; FloatMode: 240
; IeeeMode: 1
; LDSByteSize: 0 bytes/workgroup (compile time only)
; SGPRBlocks: 0
; VGPRBlocks: 8
; NumSGPRsForWavesPerEU: 98
; NumVGPRsForWavesPerEU: 132
; NamedBarCnt: 0
; Occupancy: 7
; WaveLimiterHint : 1
; COMPUTE_PGM_RSRC2:SCRATCH_EN: 1
; COMPUTE_PGM_RSRC2:USER_SGPR: 2
; COMPUTE_PGM_RSRC2:TRAP_HANDLER: 0
; COMPUTE_PGM_RSRC2:TGID_X_EN: 1
; COMPUTE_PGM_RSRC2:TGID_Y_EN: 0
; COMPUTE_PGM_RSRC2:TGID_Z_EN: 0
; COMPUTE_PGM_RSRC2:TIDIG_COMP_CNT: 0
	.section	.text._ZN2at6native39vectorized_templated_elementwise_kernelILi8EZZZNS0_12_GLOBAL__N_124softplus_backward_kernelERNS_18TensorIteratorBaseERKN3c106ScalarES8_ENKUlvE_clEvENKUlvE0_clEvEUlffE_St5arrayIPcLm3EE23TrivialOffsetCalculatorILi2EjESF_ILi1EjENS0_6memory12LoadWithCastILi2EEENSI_13StoreWithCastILi1EEENS5_8BFloat16EJSN_fEEEviT0_T1_T2_T3_T4_T5_,"axG",@progbits,_ZN2at6native39vectorized_templated_elementwise_kernelILi8EZZZNS0_12_GLOBAL__N_124softplus_backward_kernelERNS_18TensorIteratorBaseERKN3c106ScalarES8_ENKUlvE_clEvENKUlvE0_clEvEUlffE_St5arrayIPcLm3EE23TrivialOffsetCalculatorILi2EjESF_ILi1EjENS0_6memory12LoadWithCastILi2EEENSI_13StoreWithCastILi1EEENS5_8BFloat16EJSN_fEEEviT0_T1_T2_T3_T4_T5_,comdat
	.globl	_ZN2at6native39vectorized_templated_elementwise_kernelILi8EZZZNS0_12_GLOBAL__N_124softplus_backward_kernelERNS_18TensorIteratorBaseERKN3c106ScalarES8_ENKUlvE_clEvENKUlvE0_clEvEUlffE_St5arrayIPcLm3EE23TrivialOffsetCalculatorILi2EjESF_ILi1EjENS0_6memory12LoadWithCastILi2EEENSI_13StoreWithCastILi1EEENS5_8BFloat16EJSN_fEEEviT0_T1_T2_T3_T4_T5_ ; -- Begin function _ZN2at6native39vectorized_templated_elementwise_kernelILi8EZZZNS0_12_GLOBAL__N_124softplus_backward_kernelERNS_18TensorIteratorBaseERKN3c106ScalarES8_ENKUlvE_clEvENKUlvE0_clEvEUlffE_St5arrayIPcLm3EE23TrivialOffsetCalculatorILi2EjESF_ILi1EjENS0_6memory12LoadWithCastILi2EEENSI_13StoreWithCastILi1EEENS5_8BFloat16EJSN_fEEEviT0_T1_T2_T3_T4_T5_
	.p2align	8
	.type	_ZN2at6native39vectorized_templated_elementwise_kernelILi8EZZZNS0_12_GLOBAL__N_124softplus_backward_kernelERNS_18TensorIteratorBaseERKN3c106ScalarES8_ENKUlvE_clEvENKUlvE0_clEvEUlffE_St5arrayIPcLm3EE23TrivialOffsetCalculatorILi2EjESF_ILi1EjENS0_6memory12LoadWithCastILi2EEENSI_13StoreWithCastILi1EEENS5_8BFloat16EJSN_fEEEviT0_T1_T2_T3_T4_T5_,@function
_ZN2at6native39vectorized_templated_elementwise_kernelILi8EZZZNS0_12_GLOBAL__N_124softplus_backward_kernelERNS_18TensorIteratorBaseERKN3c106ScalarES8_ENKUlvE_clEvENKUlvE0_clEvEUlffE_St5arrayIPcLm3EE23TrivialOffsetCalculatorILi2EjESF_ILi1EjENS0_6memory12LoadWithCastILi2EEENSI_13StoreWithCastILi1EEENS5_8BFloat16EJSN_fEEEviT0_T1_T2_T3_T4_T5_: ; @_ZN2at6native39vectorized_templated_elementwise_kernelILi8EZZZNS0_12_GLOBAL__N_124softplus_backward_kernelERNS_18TensorIteratorBaseERKN3c106ScalarES8_ENKUlvE_clEvENKUlvE0_clEvEUlffE_St5arrayIPcLm3EE23TrivialOffsetCalculatorILi2EjESF_ILi1EjENS0_6memory12LoadWithCastILi2EEENSI_13StoreWithCastILi1EEENS5_8BFloat16EJSN_fEEEviT0_T1_T2_T3_T4_T5_
; %bb.0:
	s_clause 0x2
	s_load_b32 s8, s[0:1], 0x40
	s_load_b96 s[12:14], s[0:1], 0x0
	s_load_b64 s[2:3], s[0:1], 0x20
	s_bfe_u32 s9, ttmp6, 0x4000c
	s_load_b128 s[4:7], s[0:1], 0x10
	s_add_co_i32 s9, s9, 1
	s_and_b32 s10, ttmp6, 15
	s_mul_i32 s9, ttmp9, s9
	s_getreg_b32 s11, hwreg(HW_REG_IB_STS2, 6, 4)
	s_add_co_i32 s10, s10, s9
	s_cmp_eq_u32 s11, 0
	s_mov_b32 s11, -1
	s_cselect_b32 s9, ttmp9, s10
	s_mov_b32 s32, 0
	s_not_b32 s9, s9
	s_wait_kmcnt 0x0
	s_add_co_i32 s8, s8, s9
	s_delay_alu instid0(SALU_CYCLE_1) | instskip(NEXT) | instid1(SALU_CYCLE_1)
	s_lshl_b32 s8, s8, 14
	s_sub_co_i32 s10, s12, s8
	s_delay_alu instid0(SALU_CYCLE_1)
	s_cmp_gt_i32 s10, 0x3fff
	s_cbranch_scc1 .LBB58_3
; %bb.1:
	s_and_b32 vcc_lo, exec_lo, s11
	s_cbranch_vccnz .LBB58_68
.LBB58_2:
	s_sendmsg sendmsg(MSG_DEALLOC_VGPRS)
	s_endpgm
.LBB58_3:
	s_ashr_i32 s9, s8, 31
	v_lshlrev_b32_e32 v1, 5, v0
	s_lshl_b64 s[16:17], s[8:9], 2
	s_lshl_b64 s[8:9], s[8:9], 1
	s_add_nc_u64 s[16:17], s[2:3], s[16:17]
	s_add_nc_u64 s[18:19], s[6:7], s[8:9]
	s_clause 0x1
	global_load_b128 v[46:49], v1, s[16:17]
	global_load_b128 v[42:45], v1, s[16:17] offset:16
	s_clause 0x3
	global_load_b128 v[38:41], v0, s[18:19] scale_offset
	global_load_b128 v[26:29], v0, s[18:19] offset:8192 scale_offset
	global_load_b128 v[14:17], v0, s[18:19] offset:16384 scale_offset
	;; [unrolled: 1-line block ×3, first 2 shown]
	s_clause 0x5
	global_load_b128 v[30:33], v1, s[16:17] offset:16400
	global_load_b128 v[34:37], v1, s[16:17] offset:16384
	;; [unrolled: 1-line block ×6, first 2 shown]
	s_mov_b32 s11, exec_lo
	s_wait_loadcnt 0xb
	s_wait_xcnt 0x0
	v_bfe_u32 v1, v46, 16, 1
	v_cmp_o_f32_e32 vcc_lo, v46, v46
	s_delay_alu instid0(VALU_DEP_2) | instskip(NEXT) | instid1(VALU_DEP_1)
	v_add3_u32 v1, v46, v1, 0x7fff
	v_and_b32_e32 v1, 0xffff0000, v1
	s_delay_alu instid0(VALU_DEP_1) | instskip(SKIP_1) | instid1(VALU_DEP_1)
	v_cndmask_b32_e32 v1, 0x7fc00000, v1, vcc_lo
	s_wait_loadcnt 0x9
	v_dual_mul_f32 v46, s13, v1 :: v_dual_lshlrev_b32 v1, 16, v38
	s_delay_alu instid0(VALU_DEP_1)
	v_cmpx_nlt_f32_e32 s14, v46
	s_cbranch_execz .LBB58_5
; %bb.4:
	v_mul_f32_e32 v50, 0x3fb8aa3b, v46
	v_cmp_ngt_f32_e32 vcc_lo, 0xc2ce8ed0, v46
	s_delay_alu instid0(VALU_DEP_2) | instskip(SKIP_1) | instid1(VALU_DEP_2)
	v_rndne_f32_e32 v51, v50
	v_fma_f32 v52, 0x3fb8aa3b, v46, -v50
	v_sub_f32_e32 v50, v50, v51
	s_delay_alu instid0(VALU_DEP_2) | instskip(SKIP_1) | instid1(VALU_DEP_2)
	v_fmamk_f32 v52, v46, 0x32a5705f, v52
	v_cvt_i32_f32_e32 v51, v51
	v_add_f32_e32 v50, v50, v52
	s_delay_alu instid0(VALU_DEP_1) | instskip(SKIP_1) | instid1(TRANS32_DEP_1)
	v_exp_f32_e32 v50, v50
	v_nop
	v_ldexp_f32 v50, v50, v51
	s_delay_alu instid0(VALU_DEP_1) | instskip(SKIP_1) | instid1(VALU_DEP_2)
	v_cndmask_b32_e32 v50, 0, v50, vcc_lo
	v_cmp_nlt_f32_e32 vcc_lo, 0x42b17218, v46
	v_cndmask_b32_e32 v46, 0x7f800000, v50, vcc_lo
	s_delay_alu instid0(VALU_DEP_1) | instskip(NEXT) | instid1(VALU_DEP_1)
	v_dual_mul_f32 v1, v46, v1 :: v_dual_add_f32 v46, 1.0, v46
	v_div_scale_f32 v50, null, v46, v46, v1
	s_delay_alu instid0(VALU_DEP_1) | instskip(SKIP_1) | instid1(TRANS32_DEP_1)
	v_rcp_f32_e32 v51, v50
	v_nop
	v_fma_f32 v52, -v50, v51, 1.0
	s_delay_alu instid0(VALU_DEP_1) | instskip(SKIP_1) | instid1(VALU_DEP_1)
	v_fmac_f32_e32 v51, v52, v51
	v_div_scale_f32 v52, vcc_lo, v1, v46, v1
	v_mul_f32_e32 v53, v52, v51
	s_delay_alu instid0(VALU_DEP_1) | instskip(NEXT) | instid1(VALU_DEP_1)
	v_fma_f32 v54, -v50, v53, v52
	v_fmac_f32_e32 v53, v54, v51
	s_delay_alu instid0(VALU_DEP_1) | instskip(NEXT) | instid1(VALU_DEP_1)
	v_fma_f32 v50, -v50, v53, v52
	v_div_fmas_f32 v50, v50, v51, v53
	s_delay_alu instid0(VALU_DEP_1)
	v_div_fixup_f32 v1, v50, v46, v1
.LBB58_5:
	s_or_b32 exec_lo, exec_lo, s11
	v_bfe_u32 v46, v47, 16, 1
	v_cmp_o_f32_e32 vcc_lo, v47, v47
	v_and_b32_e32 v38, 0xffff0000, v38
	s_mov_b32 s11, exec_lo
	s_delay_alu instid0(VALU_DEP_3) | instskip(NEXT) | instid1(VALU_DEP_1)
	v_add3_u32 v46, v47, v46, 0x7fff
	v_and_b32_e32 v46, 0xffff0000, v46
	s_delay_alu instid0(VALU_DEP_1) | instskip(NEXT) | instid1(VALU_DEP_1)
	v_cndmask_b32_e32 v46, 0x7fc00000, v46, vcc_lo
	v_mul_f32_e32 v46, s13, v46
	s_delay_alu instid0(VALU_DEP_1)
	v_cmpx_nlt_f32_e32 s14, v46
	s_cbranch_execz .LBB58_7
; %bb.6:
	v_mul_f32_e32 v47, 0x3fb8aa3b, v46
	v_cmp_ngt_f32_e32 vcc_lo, 0xc2ce8ed0, v46
	s_delay_alu instid0(VALU_DEP_2) | instskip(SKIP_1) | instid1(VALU_DEP_2)
	v_rndne_f32_e32 v50, v47
	v_fma_f32 v51, 0x3fb8aa3b, v46, -v47
	v_sub_f32_e32 v47, v47, v50
	s_delay_alu instid0(VALU_DEP_2) | instskip(SKIP_1) | instid1(VALU_DEP_2)
	v_fmamk_f32 v51, v46, 0x32a5705f, v51
	v_cvt_i32_f32_e32 v50, v50
	v_add_f32_e32 v47, v47, v51
	s_delay_alu instid0(VALU_DEP_1) | instskip(SKIP_1) | instid1(TRANS32_DEP_1)
	v_exp_f32_e32 v47, v47
	v_nop
	v_ldexp_f32 v47, v47, v50
	s_delay_alu instid0(VALU_DEP_1) | instskip(SKIP_1) | instid1(VALU_DEP_2)
	v_cndmask_b32_e32 v47, 0, v47, vcc_lo
	v_cmp_nlt_f32_e32 vcc_lo, 0x42b17218, v46
	v_cndmask_b32_e32 v46, 0x7f800000, v47, vcc_lo
	s_delay_alu instid0(VALU_DEP_1) | instskip(SKIP_1) | instid1(VALU_DEP_1)
	v_mul_f32_e32 v38, v46, v38
	v_add_f32_e32 v46, 1.0, v46
	v_div_scale_f32 v47, null, v46, v46, v38
	s_delay_alu instid0(VALU_DEP_1) | instskip(SKIP_1) | instid1(TRANS32_DEP_1)
	v_rcp_f32_e32 v50, v47
	v_nop
	v_fma_f32 v51, -v47, v50, 1.0
	s_delay_alu instid0(VALU_DEP_1) | instskip(SKIP_1) | instid1(VALU_DEP_1)
	v_fmac_f32_e32 v50, v51, v50
	v_div_scale_f32 v51, vcc_lo, v38, v46, v38
	v_mul_f32_e32 v52, v51, v50
	s_delay_alu instid0(VALU_DEP_1) | instskip(NEXT) | instid1(VALU_DEP_1)
	v_fma_f32 v53, -v47, v52, v51
	v_fmac_f32_e32 v52, v53, v50
	s_delay_alu instid0(VALU_DEP_1) | instskip(NEXT) | instid1(VALU_DEP_1)
	v_fma_f32 v47, -v47, v52, v51
	v_div_fmas_f32 v47, v47, v50, v52
	s_delay_alu instid0(VALU_DEP_1)
	v_div_fixup_f32 v38, v47, v46, v38
.LBB58_7:
	s_or_b32 exec_lo, exec_lo, s11
	v_bfe_u32 v46, v48, 16, 1
	v_cmp_o_f32_e32 vcc_lo, v48, v48
	s_mov_b32 s11, exec_lo
	s_delay_alu instid0(VALU_DEP_2) | instskip(NEXT) | instid1(VALU_DEP_1)
	v_add3_u32 v46, v48, v46, 0x7fff
	v_and_b32_e32 v46, 0xffff0000, v46
	s_delay_alu instid0(VALU_DEP_1) | instskip(NEXT) | instid1(VALU_DEP_1)
	v_cndmask_b32_e32 v46, 0x7fc00000, v46, vcc_lo
	v_dual_mul_f32 v47, s13, v46 :: v_dual_lshlrev_b32 v46, 16, v39
	s_delay_alu instid0(VALU_DEP_1)
	v_cmpx_nlt_f32_e32 s14, v47
	s_cbranch_execz .LBB58_9
; %bb.8:
	v_mul_f32_e32 v48, 0x3fb8aa3b, v47
	v_cmp_ngt_f32_e32 vcc_lo, 0xc2ce8ed0, v47
	s_delay_alu instid0(VALU_DEP_2) | instskip(SKIP_1) | instid1(VALU_DEP_1)
	v_rndne_f32_e32 v50, v48
	v_fma_f32 v51, 0x3fb8aa3b, v47, -v48
	v_dual_sub_f32 v48, v48, v50 :: v_dual_fmamk_f32 v51, v47, 0x32a5705f, v51
	v_cvt_i32_f32_e32 v50, v50
	s_delay_alu instid0(VALU_DEP_2) | instskip(NEXT) | instid1(VALU_DEP_1)
	v_add_f32_e32 v48, v48, v51
	v_exp_f32_e32 v48, v48
	v_nop
	s_delay_alu instid0(TRANS32_DEP_1) | instskip(NEXT) | instid1(VALU_DEP_1)
	v_ldexp_f32 v48, v48, v50
	v_cndmask_b32_e32 v48, 0, v48, vcc_lo
	v_cmp_nlt_f32_e32 vcc_lo, 0x42b17218, v47
	s_delay_alu instid0(VALU_DEP_2) | instskip(NEXT) | instid1(VALU_DEP_1)
	v_cndmask_b32_e32 v47, 0x7f800000, v48, vcc_lo
	v_dual_mul_f32 v46, v47, v46 :: v_dual_add_f32 v47, 1.0, v47
	s_delay_alu instid0(VALU_DEP_1) | instskip(NEXT) | instid1(VALU_DEP_1)
	v_div_scale_f32 v48, null, v47, v47, v46
	v_rcp_f32_e32 v50, v48
	v_nop
	s_delay_alu instid0(TRANS32_DEP_1) | instskip(NEXT) | instid1(VALU_DEP_1)
	v_fma_f32 v51, -v48, v50, 1.0
	v_fmac_f32_e32 v50, v51, v50
	v_div_scale_f32 v51, vcc_lo, v46, v47, v46
	s_delay_alu instid0(VALU_DEP_1) | instskip(NEXT) | instid1(VALU_DEP_1)
	v_mul_f32_e32 v52, v51, v50
	v_fma_f32 v53, -v48, v52, v51
	s_delay_alu instid0(VALU_DEP_1) | instskip(NEXT) | instid1(VALU_DEP_1)
	v_fmac_f32_e32 v52, v53, v50
	v_fma_f32 v48, -v48, v52, v51
	s_delay_alu instid0(VALU_DEP_1) | instskip(NEXT) | instid1(VALU_DEP_1)
	v_div_fmas_f32 v48, v48, v50, v52
	v_div_fixup_f32 v46, v48, v47, v46
.LBB58_9:
	s_or_b32 exec_lo, exec_lo, s11
	v_bfe_u32 v47, v49, 16, 1
	v_cmp_o_f32_e32 vcc_lo, v49, v49
	v_and_b32_e32 v39, 0xffff0000, v39
	s_mov_b32 s11, exec_lo
	s_delay_alu instid0(VALU_DEP_3) | instskip(NEXT) | instid1(VALU_DEP_1)
	v_add3_u32 v47, v49, v47, 0x7fff
	v_and_b32_e32 v47, 0xffff0000, v47
	s_delay_alu instid0(VALU_DEP_1) | instskip(NEXT) | instid1(VALU_DEP_1)
	v_cndmask_b32_e32 v47, 0x7fc00000, v47, vcc_lo
	v_mul_f32_e32 v47, s13, v47
	s_delay_alu instid0(VALU_DEP_1)
	v_cmpx_nlt_f32_e32 s14, v47
	s_cbranch_execz .LBB58_11
; %bb.10:
	v_mul_f32_e32 v48, 0x3fb8aa3b, v47
	v_cmp_ngt_f32_e32 vcc_lo, 0xc2ce8ed0, v47
	s_delay_alu instid0(VALU_DEP_2) | instskip(SKIP_1) | instid1(VALU_DEP_2)
	v_rndne_f32_e32 v49, v48
	v_fma_f32 v50, 0x3fb8aa3b, v47, -v48
	v_sub_f32_e32 v48, v48, v49
	s_delay_alu instid0(VALU_DEP_2) | instskip(SKIP_1) | instid1(VALU_DEP_2)
	v_fmamk_f32 v50, v47, 0x32a5705f, v50
	v_cvt_i32_f32_e32 v49, v49
	v_add_f32_e32 v48, v48, v50
	s_delay_alu instid0(VALU_DEP_1) | instskip(SKIP_1) | instid1(TRANS32_DEP_1)
	v_exp_f32_e32 v48, v48
	v_nop
	v_ldexp_f32 v48, v48, v49
	s_delay_alu instid0(VALU_DEP_1) | instskip(SKIP_1) | instid1(VALU_DEP_2)
	v_cndmask_b32_e32 v48, 0, v48, vcc_lo
	v_cmp_nlt_f32_e32 vcc_lo, 0x42b17218, v47
	v_cndmask_b32_e32 v47, 0x7f800000, v48, vcc_lo
	s_delay_alu instid0(VALU_DEP_1) | instskip(SKIP_1) | instid1(VALU_DEP_1)
	v_mul_f32_e32 v39, v47, v39
	v_add_f32_e32 v47, 1.0, v47
	v_div_scale_f32 v48, null, v47, v47, v39
	s_delay_alu instid0(VALU_DEP_1) | instskip(SKIP_1) | instid1(TRANS32_DEP_1)
	v_rcp_f32_e32 v49, v48
	v_nop
	v_fma_f32 v50, -v48, v49, 1.0
	s_delay_alu instid0(VALU_DEP_1) | instskip(SKIP_1) | instid1(VALU_DEP_1)
	v_fmac_f32_e32 v49, v50, v49
	v_div_scale_f32 v50, vcc_lo, v39, v47, v39
	v_mul_f32_e32 v51, v50, v49
	s_delay_alu instid0(VALU_DEP_1) | instskip(NEXT) | instid1(VALU_DEP_1)
	v_fma_f32 v52, -v48, v51, v50
	v_fmac_f32_e32 v51, v52, v49
	s_delay_alu instid0(VALU_DEP_1) | instskip(NEXT) | instid1(VALU_DEP_1)
	v_fma_f32 v48, -v48, v51, v50
	v_div_fmas_f32 v48, v48, v49, v51
	s_delay_alu instid0(VALU_DEP_1)
	v_div_fixup_f32 v39, v48, v47, v39
.LBB58_11:
	s_or_b32 exec_lo, exec_lo, s11
	v_bfe_u32 v47, v42, 16, 1
	v_cmp_o_f32_e32 vcc_lo, v42, v42
	s_mov_b32 s11, exec_lo
	s_delay_alu instid0(VALU_DEP_2) | instskip(NEXT) | instid1(VALU_DEP_1)
	v_add3_u32 v47, v42, v47, 0x7fff
	v_and_b32_e32 v47, 0xffff0000, v47
	s_delay_alu instid0(VALU_DEP_1) | instskip(NEXT) | instid1(VALU_DEP_1)
	v_cndmask_b32_e32 v42, 0x7fc00000, v47, vcc_lo
	v_dual_mul_f32 v47, s13, v42 :: v_dual_lshlrev_b32 v42, 16, v40
	s_delay_alu instid0(VALU_DEP_1)
	v_cmpx_nlt_f32_e32 s14, v47
	s_cbranch_execz .LBB58_13
; %bb.12:
	v_mul_f32_e32 v48, 0x3fb8aa3b, v47
	v_cmp_ngt_f32_e32 vcc_lo, 0xc2ce8ed0, v47
	s_delay_alu instid0(VALU_DEP_2) | instskip(SKIP_1) | instid1(VALU_DEP_2)
	v_rndne_f32_e32 v49, v48
	v_fma_f32 v50, 0x3fb8aa3b, v47, -v48
	v_sub_f32_e32 v48, v48, v49
	s_delay_alu instid0(VALU_DEP_2) | instskip(SKIP_1) | instid1(VALU_DEP_2)
	v_fmamk_f32 v50, v47, 0x32a5705f, v50
	v_cvt_i32_f32_e32 v49, v49
	v_add_f32_e32 v48, v48, v50
	s_delay_alu instid0(VALU_DEP_1) | instskip(SKIP_1) | instid1(TRANS32_DEP_1)
	v_exp_f32_e32 v48, v48
	v_nop
	v_ldexp_f32 v48, v48, v49
	s_delay_alu instid0(VALU_DEP_1) | instskip(SKIP_1) | instid1(VALU_DEP_2)
	v_cndmask_b32_e32 v48, 0, v48, vcc_lo
	v_cmp_nlt_f32_e32 vcc_lo, 0x42b17218, v47
	v_cndmask_b32_e32 v47, 0x7f800000, v48, vcc_lo
	s_delay_alu instid0(VALU_DEP_1) | instskip(NEXT) | instid1(VALU_DEP_1)
	v_dual_mul_f32 v42, v47, v42 :: v_dual_add_f32 v47, 1.0, v47
	v_div_scale_f32 v48, null, v47, v47, v42
	s_delay_alu instid0(VALU_DEP_1) | instskip(SKIP_1) | instid1(TRANS32_DEP_1)
	v_rcp_f32_e32 v49, v48
	v_nop
	v_fma_f32 v50, -v48, v49, 1.0
	s_delay_alu instid0(VALU_DEP_1) | instskip(SKIP_1) | instid1(VALU_DEP_1)
	v_fmac_f32_e32 v49, v50, v49
	v_div_scale_f32 v50, vcc_lo, v42, v47, v42
	v_mul_f32_e32 v51, v50, v49
	s_delay_alu instid0(VALU_DEP_1) | instskip(NEXT) | instid1(VALU_DEP_1)
	v_fma_f32 v52, -v48, v51, v50
	v_fmac_f32_e32 v51, v52, v49
	s_delay_alu instid0(VALU_DEP_1) | instskip(NEXT) | instid1(VALU_DEP_1)
	v_fma_f32 v48, -v48, v51, v50
	v_div_fmas_f32 v48, v48, v49, v51
	s_delay_alu instid0(VALU_DEP_1)
	v_div_fixup_f32 v42, v48, v47, v42
.LBB58_13:
	s_or_b32 exec_lo, exec_lo, s11
	v_bfe_u32 v47, v43, 16, 1
	v_cmp_o_f32_e32 vcc_lo, v43, v43
	v_and_b32_e32 v40, 0xffff0000, v40
	s_mov_b32 s11, exec_lo
	s_delay_alu instid0(VALU_DEP_3) | instskip(NEXT) | instid1(VALU_DEP_1)
	v_add3_u32 v47, v43, v47, 0x7fff
	v_and_b32_e32 v47, 0xffff0000, v47
	s_delay_alu instid0(VALU_DEP_1) | instskip(NEXT) | instid1(VALU_DEP_1)
	v_cndmask_b32_e32 v43, 0x7fc00000, v47, vcc_lo
	v_mul_f32_e32 v43, s13, v43
	s_delay_alu instid0(VALU_DEP_1)
	v_cmpx_nlt_f32_e32 s14, v43
	s_cbranch_execz .LBB58_15
; %bb.14:
	v_mul_f32_e32 v47, 0x3fb8aa3b, v43
	v_cmp_ngt_f32_e32 vcc_lo, 0xc2ce8ed0, v43
	s_delay_alu instid0(VALU_DEP_2) | instskip(SKIP_1) | instid1(VALU_DEP_2)
	v_rndne_f32_e32 v48, v47
	v_fma_f32 v49, 0x3fb8aa3b, v43, -v47
	v_sub_f32_e32 v47, v47, v48
	s_delay_alu instid0(VALU_DEP_2) | instskip(SKIP_1) | instid1(VALU_DEP_2)
	v_fmamk_f32 v49, v43, 0x32a5705f, v49
	v_cvt_i32_f32_e32 v48, v48
	v_add_f32_e32 v47, v47, v49
	s_delay_alu instid0(VALU_DEP_1) | instskip(SKIP_1) | instid1(TRANS32_DEP_1)
	v_exp_f32_e32 v47, v47
	v_nop
	v_ldexp_f32 v47, v47, v48
	s_delay_alu instid0(VALU_DEP_1) | instskip(SKIP_1) | instid1(VALU_DEP_2)
	v_cndmask_b32_e32 v47, 0, v47, vcc_lo
	v_cmp_nlt_f32_e32 vcc_lo, 0x42b17218, v43
	v_cndmask_b32_e32 v43, 0x7f800000, v47, vcc_lo
	s_delay_alu instid0(VALU_DEP_1) | instskip(NEXT) | instid1(VALU_DEP_1)
	v_dual_mul_f32 v40, v43, v40 :: v_dual_add_f32 v43, 1.0, v43
	v_div_scale_f32 v47, null, v43, v43, v40
	s_delay_alu instid0(VALU_DEP_1) | instskip(SKIP_1) | instid1(TRANS32_DEP_1)
	v_rcp_f32_e32 v48, v47
	v_nop
	v_fma_f32 v49, -v47, v48, 1.0
	s_delay_alu instid0(VALU_DEP_1) | instskip(SKIP_1) | instid1(VALU_DEP_1)
	v_fmac_f32_e32 v48, v49, v48
	v_div_scale_f32 v49, vcc_lo, v40, v43, v40
	v_mul_f32_e32 v50, v49, v48
	s_delay_alu instid0(VALU_DEP_1) | instskip(NEXT) | instid1(VALU_DEP_1)
	v_fma_f32 v51, -v47, v50, v49
	v_fmac_f32_e32 v50, v51, v48
	s_delay_alu instid0(VALU_DEP_1) | instskip(NEXT) | instid1(VALU_DEP_1)
	v_fma_f32 v47, -v47, v50, v49
	v_div_fmas_f32 v47, v47, v48, v50
	s_delay_alu instid0(VALU_DEP_1)
	v_div_fixup_f32 v40, v47, v43, v40
.LBB58_15:
	s_or_b32 exec_lo, exec_lo, s11
	v_bfe_u32 v43, v44, 16, 1
	v_cmp_o_f32_e32 vcc_lo, v44, v44
	s_mov_b32 s11, exec_lo
	s_delay_alu instid0(VALU_DEP_2) | instskip(NEXT) | instid1(VALU_DEP_1)
	v_add3_u32 v43, v44, v43, 0x7fff
	v_and_b32_e32 v43, 0xffff0000, v43
	s_delay_alu instid0(VALU_DEP_1) | instskip(NEXT) | instid1(VALU_DEP_1)
	v_cndmask_b32_e32 v43, 0x7fc00000, v43, vcc_lo
	v_dual_mul_f32 v44, s13, v43 :: v_dual_lshlrev_b32 v43, 16, v41
	s_delay_alu instid0(VALU_DEP_1)
	v_cmpx_nlt_f32_e32 s14, v44
	s_cbranch_execz .LBB58_17
; %bb.16:
	v_mul_f32_e32 v47, 0x3fb8aa3b, v44
	v_cmp_ngt_f32_e32 vcc_lo, 0xc2ce8ed0, v44
	s_delay_alu instid0(VALU_DEP_2) | instskip(SKIP_1) | instid1(VALU_DEP_2)
	v_rndne_f32_e32 v48, v47
	v_fma_f32 v49, 0x3fb8aa3b, v44, -v47
	v_sub_f32_e32 v47, v47, v48
	s_delay_alu instid0(VALU_DEP_2) | instskip(SKIP_1) | instid1(VALU_DEP_2)
	v_fmamk_f32 v49, v44, 0x32a5705f, v49
	v_cvt_i32_f32_e32 v48, v48
	v_add_f32_e32 v47, v47, v49
	s_delay_alu instid0(VALU_DEP_1) | instskip(SKIP_1) | instid1(TRANS32_DEP_1)
	v_exp_f32_e32 v47, v47
	v_nop
	v_ldexp_f32 v47, v47, v48
	s_delay_alu instid0(VALU_DEP_1) | instskip(SKIP_1) | instid1(VALU_DEP_2)
	v_cndmask_b32_e32 v47, 0, v47, vcc_lo
	v_cmp_nlt_f32_e32 vcc_lo, 0x42b17218, v44
	v_cndmask_b32_e32 v44, 0x7f800000, v47, vcc_lo
	s_delay_alu instid0(VALU_DEP_1) | instskip(NEXT) | instid1(VALU_DEP_1)
	v_dual_mul_f32 v43, v44, v43 :: v_dual_add_f32 v44, 1.0, v44
	v_div_scale_f32 v47, null, v44, v44, v43
	s_delay_alu instid0(VALU_DEP_1) | instskip(SKIP_1) | instid1(TRANS32_DEP_1)
	v_rcp_f32_e32 v48, v47
	v_nop
	v_fma_f32 v49, -v47, v48, 1.0
	s_delay_alu instid0(VALU_DEP_1) | instskip(SKIP_1) | instid1(VALU_DEP_1)
	v_fmac_f32_e32 v48, v49, v48
	v_div_scale_f32 v49, vcc_lo, v43, v44, v43
	v_mul_f32_e32 v50, v49, v48
	s_delay_alu instid0(VALU_DEP_1) | instskip(NEXT) | instid1(VALU_DEP_1)
	v_fma_f32 v51, -v47, v50, v49
	v_fmac_f32_e32 v50, v51, v48
	s_delay_alu instid0(VALU_DEP_1) | instskip(NEXT) | instid1(VALU_DEP_1)
	v_fma_f32 v47, -v47, v50, v49
	v_div_fmas_f32 v47, v47, v48, v50
	s_delay_alu instid0(VALU_DEP_1)
	v_div_fixup_f32 v43, v47, v44, v43
.LBB58_17:
	s_or_b32 exec_lo, exec_lo, s11
	v_bfe_u32 v44, v45, 16, 1
	v_cmp_o_f32_e32 vcc_lo, v45, v45
	v_and_b32_e32 v41, 0xffff0000, v41
	s_mov_b32 s11, exec_lo
	s_delay_alu instid0(VALU_DEP_3) | instskip(NEXT) | instid1(VALU_DEP_1)
	v_add3_u32 v44, v45, v44, 0x7fff
	v_and_b32_e32 v44, 0xffff0000, v44
	s_delay_alu instid0(VALU_DEP_1) | instskip(NEXT) | instid1(VALU_DEP_1)
	v_cndmask_b32_e32 v44, 0x7fc00000, v44, vcc_lo
	v_mul_f32_e32 v44, s13, v44
	s_delay_alu instid0(VALU_DEP_1)
	v_cmpx_nlt_f32_e32 s14, v44
	s_cbranch_execz .LBB58_19
; %bb.18:
	v_mul_f32_e32 v45, 0x3fb8aa3b, v44
	v_cmp_ngt_f32_e32 vcc_lo, 0xc2ce8ed0, v44
	s_delay_alu instid0(VALU_DEP_2) | instskip(SKIP_1) | instid1(VALU_DEP_1)
	v_rndne_f32_e32 v47, v45
	v_fma_f32 v48, 0x3fb8aa3b, v44, -v45
	v_dual_sub_f32 v45, v45, v47 :: v_dual_fmamk_f32 v48, v44, 0x32a5705f, v48
	v_cvt_i32_f32_e32 v47, v47
	s_delay_alu instid0(VALU_DEP_2) | instskip(NEXT) | instid1(VALU_DEP_1)
	v_add_f32_e32 v45, v45, v48
	v_exp_f32_e32 v45, v45
	v_nop
	s_delay_alu instid0(TRANS32_DEP_1) | instskip(NEXT) | instid1(VALU_DEP_1)
	v_ldexp_f32 v45, v45, v47
	v_cndmask_b32_e32 v45, 0, v45, vcc_lo
	v_cmp_nlt_f32_e32 vcc_lo, 0x42b17218, v44
	s_delay_alu instid0(VALU_DEP_2) | instskip(NEXT) | instid1(VALU_DEP_1)
	v_cndmask_b32_e32 v44, 0x7f800000, v45, vcc_lo
	v_dual_mul_f32 v41, v44, v41 :: v_dual_add_f32 v44, 1.0, v44
	s_delay_alu instid0(VALU_DEP_1) | instskip(NEXT) | instid1(VALU_DEP_1)
	v_div_scale_f32 v45, null, v44, v44, v41
	v_rcp_f32_e32 v47, v45
	v_nop
	s_delay_alu instid0(TRANS32_DEP_1) | instskip(NEXT) | instid1(VALU_DEP_1)
	v_fma_f32 v48, -v45, v47, 1.0
	v_fmac_f32_e32 v47, v48, v47
	v_div_scale_f32 v48, vcc_lo, v41, v44, v41
	s_delay_alu instid0(VALU_DEP_1) | instskip(NEXT) | instid1(VALU_DEP_1)
	v_mul_f32_e32 v49, v48, v47
	v_fma_f32 v50, -v45, v49, v48
	s_delay_alu instid0(VALU_DEP_1) | instskip(NEXT) | instid1(VALU_DEP_1)
	v_fmac_f32_e32 v49, v50, v47
	v_fma_f32 v45, -v45, v49, v48
	s_delay_alu instid0(VALU_DEP_1) | instskip(NEXT) | instid1(VALU_DEP_1)
	v_div_fmas_f32 v45, v45, v47, v49
	v_div_fixup_f32 v41, v45, v44, v41
.LBB58_19:
	s_or_b32 exec_lo, exec_lo, s11
	s_wait_loadcnt 0x4
	v_bfe_u32 v44, v34, 16, 1
	v_cmp_o_f32_e32 vcc_lo, v34, v34
	s_mov_b32 s11, exec_lo
	s_delay_alu instid0(VALU_DEP_2) | instskip(NEXT) | instid1(VALU_DEP_1)
	v_add3_u32 v44, v34, v44, 0x7fff
	v_and_b32_e32 v44, 0xffff0000, v44
	s_delay_alu instid0(VALU_DEP_1) | instskip(NEXT) | instid1(VALU_DEP_1)
	v_cndmask_b32_e32 v34, 0x7fc00000, v44, vcc_lo
	v_mul_f32_e32 v44, s13, v34
	v_lshlrev_b32_e32 v34, 16, v26
	s_delay_alu instid0(VALU_DEP_2)
	v_cmpx_nlt_f32_e32 s14, v44
	s_cbranch_execz .LBB58_21
; %bb.20:
	v_mul_f32_e32 v45, 0x3fb8aa3b, v44
	v_cmp_ngt_f32_e32 vcc_lo, 0xc2ce8ed0, v44
	s_delay_alu instid0(VALU_DEP_2) | instskip(SKIP_1) | instid1(VALU_DEP_1)
	v_rndne_f32_e32 v47, v45
	v_fma_f32 v48, 0x3fb8aa3b, v44, -v45
	v_dual_sub_f32 v45, v45, v47 :: v_dual_fmamk_f32 v48, v44, 0x32a5705f, v48
	v_cvt_i32_f32_e32 v47, v47
	s_delay_alu instid0(VALU_DEP_2) | instskip(NEXT) | instid1(VALU_DEP_1)
	v_add_f32_e32 v45, v45, v48
	v_exp_f32_e32 v45, v45
	v_nop
	s_delay_alu instid0(TRANS32_DEP_1) | instskip(NEXT) | instid1(VALU_DEP_1)
	v_ldexp_f32 v45, v45, v47
	v_cndmask_b32_e32 v45, 0, v45, vcc_lo
	v_cmp_nlt_f32_e32 vcc_lo, 0x42b17218, v44
	s_delay_alu instid0(VALU_DEP_2) | instskip(NEXT) | instid1(VALU_DEP_1)
	v_cndmask_b32_e32 v44, 0x7f800000, v45, vcc_lo
	v_dual_mul_f32 v34, v44, v34 :: v_dual_add_f32 v44, 1.0, v44
	s_delay_alu instid0(VALU_DEP_1) | instskip(NEXT) | instid1(VALU_DEP_1)
	v_div_scale_f32 v45, null, v44, v44, v34
	v_rcp_f32_e32 v47, v45
	v_nop
	s_delay_alu instid0(TRANS32_DEP_1) | instskip(NEXT) | instid1(VALU_DEP_1)
	v_fma_f32 v48, -v45, v47, 1.0
	v_fmac_f32_e32 v47, v48, v47
	v_div_scale_f32 v48, vcc_lo, v34, v44, v34
	s_delay_alu instid0(VALU_DEP_1) | instskip(NEXT) | instid1(VALU_DEP_1)
	v_mul_f32_e32 v49, v48, v47
	v_fma_f32 v50, -v45, v49, v48
	s_delay_alu instid0(VALU_DEP_1) | instskip(NEXT) | instid1(VALU_DEP_1)
	v_fmac_f32_e32 v49, v50, v47
	v_fma_f32 v45, -v45, v49, v48
	s_delay_alu instid0(VALU_DEP_1) | instskip(NEXT) | instid1(VALU_DEP_1)
	v_div_fmas_f32 v45, v45, v47, v49
	v_div_fixup_f32 v34, v45, v44, v34
.LBB58_21:
	s_or_b32 exec_lo, exec_lo, s11
	v_bfe_u32 v44, v35, 16, 1
	v_cmp_o_f32_e32 vcc_lo, v35, v35
	v_and_b32_e32 v26, 0xffff0000, v26
	s_mov_b32 s11, exec_lo
	s_delay_alu instid0(VALU_DEP_3) | instskip(NEXT) | instid1(VALU_DEP_1)
	v_add3_u32 v44, v35, v44, 0x7fff
	v_and_b32_e32 v44, 0xffff0000, v44
	s_delay_alu instid0(VALU_DEP_1) | instskip(NEXT) | instid1(VALU_DEP_1)
	v_cndmask_b32_e32 v35, 0x7fc00000, v44, vcc_lo
	v_mul_f32_e32 v35, s13, v35
	s_delay_alu instid0(VALU_DEP_1)
	v_cmpx_nlt_f32_e32 s14, v35
	s_cbranch_execz .LBB58_23
; %bb.22:
	v_mul_f32_e32 v44, 0x3fb8aa3b, v35
	v_cmp_ngt_f32_e32 vcc_lo, 0xc2ce8ed0, v35
	s_delay_alu instid0(VALU_DEP_2) | instskip(SKIP_1) | instid1(VALU_DEP_1)
	v_rndne_f32_e32 v45, v44
	v_fma_f32 v47, 0x3fb8aa3b, v35, -v44
	v_dual_sub_f32 v44, v44, v45 :: v_dual_fmamk_f32 v47, v35, 0x32a5705f, v47
	v_cvt_i32_f32_e32 v45, v45
	s_delay_alu instid0(VALU_DEP_2) | instskip(NEXT) | instid1(VALU_DEP_1)
	v_add_f32_e32 v44, v44, v47
	v_exp_f32_e32 v44, v44
	v_nop
	s_delay_alu instid0(TRANS32_DEP_1) | instskip(NEXT) | instid1(VALU_DEP_1)
	v_ldexp_f32 v44, v44, v45
	v_cndmask_b32_e32 v44, 0, v44, vcc_lo
	v_cmp_nlt_f32_e32 vcc_lo, 0x42b17218, v35
	s_delay_alu instid0(VALU_DEP_2) | instskip(NEXT) | instid1(VALU_DEP_1)
	v_cndmask_b32_e32 v35, 0x7f800000, v44, vcc_lo
	v_dual_mul_f32 v26, v35, v26 :: v_dual_add_f32 v35, 1.0, v35
	s_delay_alu instid0(VALU_DEP_1) | instskip(NEXT) | instid1(VALU_DEP_1)
	v_div_scale_f32 v44, null, v35, v35, v26
	v_rcp_f32_e32 v45, v44
	v_nop
	s_delay_alu instid0(TRANS32_DEP_1) | instskip(NEXT) | instid1(VALU_DEP_1)
	v_fma_f32 v47, -v44, v45, 1.0
	v_fmac_f32_e32 v45, v47, v45
	v_div_scale_f32 v47, vcc_lo, v26, v35, v26
	s_delay_alu instid0(VALU_DEP_1) | instskip(NEXT) | instid1(VALU_DEP_1)
	v_mul_f32_e32 v48, v47, v45
	v_fma_f32 v49, -v44, v48, v47
	s_delay_alu instid0(VALU_DEP_1) | instskip(NEXT) | instid1(VALU_DEP_1)
	v_fmac_f32_e32 v48, v49, v45
	v_fma_f32 v44, -v44, v48, v47
	s_delay_alu instid0(VALU_DEP_1) | instskip(NEXT) | instid1(VALU_DEP_1)
	v_div_fmas_f32 v44, v44, v45, v48
	v_div_fixup_f32 v26, v44, v35, v26
.LBB58_23:
	s_or_b32 exec_lo, exec_lo, s11
	v_bfe_u32 v35, v36, 16, 1
	v_cmp_o_f32_e32 vcc_lo, v36, v36
	s_mov_b32 s11, exec_lo
	s_delay_alu instid0(VALU_DEP_2) | instskip(NEXT) | instid1(VALU_DEP_1)
	v_add3_u32 v35, v36, v35, 0x7fff
	v_and_b32_e32 v35, 0xffff0000, v35
	s_delay_alu instid0(VALU_DEP_1) | instskip(NEXT) | instid1(VALU_DEP_1)
	v_cndmask_b32_e32 v35, 0x7fc00000, v35, vcc_lo
	v_mul_f32_e32 v36, s13, v35
	v_lshlrev_b32_e32 v35, 16, v27
	s_delay_alu instid0(VALU_DEP_2)
	v_cmpx_nlt_f32_e32 s14, v36
	s_cbranch_execz .LBB58_25
; %bb.24:
	v_mul_f32_e32 v44, 0x3fb8aa3b, v36
	v_cmp_ngt_f32_e32 vcc_lo, 0xc2ce8ed0, v36
	s_delay_alu instid0(VALU_DEP_2) | instskip(SKIP_1) | instid1(VALU_DEP_2)
	v_rndne_f32_e32 v45, v44
	v_fma_f32 v47, 0x3fb8aa3b, v36, -v44
	v_sub_f32_e32 v44, v44, v45
	s_delay_alu instid0(VALU_DEP_2) | instskip(SKIP_1) | instid1(VALU_DEP_2)
	v_fmamk_f32 v47, v36, 0x32a5705f, v47
	v_cvt_i32_f32_e32 v45, v45
	v_add_f32_e32 v44, v44, v47
	s_delay_alu instid0(VALU_DEP_1) | instskip(SKIP_1) | instid1(TRANS32_DEP_1)
	v_exp_f32_e32 v44, v44
	v_nop
	v_ldexp_f32 v44, v44, v45
	s_delay_alu instid0(VALU_DEP_1) | instskip(SKIP_1) | instid1(VALU_DEP_2)
	v_cndmask_b32_e32 v44, 0, v44, vcc_lo
	v_cmp_nlt_f32_e32 vcc_lo, 0x42b17218, v36
	v_cndmask_b32_e32 v36, 0x7f800000, v44, vcc_lo
	s_delay_alu instid0(VALU_DEP_1) | instskip(NEXT) | instid1(VALU_DEP_1)
	v_dual_mul_f32 v35, v36, v35 :: v_dual_add_f32 v36, 1.0, v36
	v_div_scale_f32 v44, null, v36, v36, v35
	s_delay_alu instid0(VALU_DEP_1) | instskip(SKIP_1) | instid1(TRANS32_DEP_1)
	v_rcp_f32_e32 v45, v44
	v_nop
	v_fma_f32 v47, -v44, v45, 1.0
	s_delay_alu instid0(VALU_DEP_1) | instskip(SKIP_1) | instid1(VALU_DEP_1)
	v_fmac_f32_e32 v45, v47, v45
	v_div_scale_f32 v47, vcc_lo, v35, v36, v35
	v_mul_f32_e32 v48, v47, v45
	s_delay_alu instid0(VALU_DEP_1) | instskip(NEXT) | instid1(VALU_DEP_1)
	v_fma_f32 v49, -v44, v48, v47
	v_fmac_f32_e32 v48, v49, v45
	s_delay_alu instid0(VALU_DEP_1) | instskip(NEXT) | instid1(VALU_DEP_1)
	v_fma_f32 v44, -v44, v48, v47
	v_div_fmas_f32 v44, v44, v45, v48
	s_delay_alu instid0(VALU_DEP_1)
	v_div_fixup_f32 v35, v44, v36, v35
.LBB58_25:
	s_or_b32 exec_lo, exec_lo, s11
	v_bfe_u32 v36, v37, 16, 1
	v_cmp_o_f32_e32 vcc_lo, v37, v37
	v_and_b32_e32 v27, 0xffff0000, v27
	s_mov_b32 s11, exec_lo
	s_delay_alu instid0(VALU_DEP_3) | instskip(NEXT) | instid1(VALU_DEP_1)
	v_add3_u32 v36, v37, v36, 0x7fff
	v_and_b32_e32 v36, 0xffff0000, v36
	s_delay_alu instid0(VALU_DEP_1) | instskip(NEXT) | instid1(VALU_DEP_1)
	v_cndmask_b32_e32 v36, 0x7fc00000, v36, vcc_lo
	v_mul_f32_e32 v36, s13, v36
	s_delay_alu instid0(VALU_DEP_1)
	v_cmpx_nlt_f32_e32 s14, v36
	s_cbranch_execz .LBB58_27
; %bb.26:
	v_mul_f32_e32 v37, 0x3fb8aa3b, v36
	v_cmp_ngt_f32_e32 vcc_lo, 0xc2ce8ed0, v36
	s_delay_alu instid0(VALU_DEP_2) | instskip(SKIP_1) | instid1(VALU_DEP_2)
	v_rndne_f32_e32 v44, v37
	v_fma_f32 v45, 0x3fb8aa3b, v36, -v37
	v_sub_f32_e32 v37, v37, v44
	s_delay_alu instid0(VALU_DEP_2) | instskip(SKIP_1) | instid1(VALU_DEP_2)
	v_fmamk_f32 v45, v36, 0x32a5705f, v45
	v_cvt_i32_f32_e32 v44, v44
	v_add_f32_e32 v37, v37, v45
	s_delay_alu instid0(VALU_DEP_1) | instskip(SKIP_1) | instid1(TRANS32_DEP_1)
	v_exp_f32_e32 v37, v37
	v_nop
	v_ldexp_f32 v37, v37, v44
	s_delay_alu instid0(VALU_DEP_1) | instskip(SKIP_1) | instid1(VALU_DEP_2)
	v_cndmask_b32_e32 v37, 0, v37, vcc_lo
	v_cmp_nlt_f32_e32 vcc_lo, 0x42b17218, v36
	v_cndmask_b32_e32 v36, 0x7f800000, v37, vcc_lo
	s_delay_alu instid0(VALU_DEP_1) | instskip(NEXT) | instid1(VALU_DEP_1)
	v_dual_mul_f32 v27, v36, v27 :: v_dual_add_f32 v36, 1.0, v36
	v_div_scale_f32 v37, null, v36, v36, v27
	s_delay_alu instid0(VALU_DEP_1) | instskip(SKIP_1) | instid1(TRANS32_DEP_1)
	v_rcp_f32_e32 v44, v37
	v_nop
	v_fma_f32 v45, -v37, v44, 1.0
	s_delay_alu instid0(VALU_DEP_1) | instskip(SKIP_1) | instid1(VALU_DEP_1)
	v_fmac_f32_e32 v44, v45, v44
	v_div_scale_f32 v45, vcc_lo, v27, v36, v27
	v_mul_f32_e32 v47, v45, v44
	s_delay_alu instid0(VALU_DEP_1) | instskip(NEXT) | instid1(VALU_DEP_1)
	v_fma_f32 v48, -v37, v47, v45
	v_fmac_f32_e32 v47, v48, v44
	s_delay_alu instid0(VALU_DEP_1) | instskip(NEXT) | instid1(VALU_DEP_1)
	v_fma_f32 v37, -v37, v47, v45
	v_div_fmas_f32 v37, v37, v44, v47
	s_delay_alu instid0(VALU_DEP_1)
	v_div_fixup_f32 v27, v37, v36, v27
.LBB58_27:
	s_or_b32 exec_lo, exec_lo, s11
	v_bfe_u32 v36, v30, 16, 1
	v_cmp_o_f32_e32 vcc_lo, v30, v30
	s_mov_b32 s11, exec_lo
	s_delay_alu instid0(VALU_DEP_2) | instskip(NEXT) | instid1(VALU_DEP_1)
	v_add3_u32 v36, v30, v36, 0x7fff
	v_and_b32_e32 v36, 0xffff0000, v36
	s_delay_alu instid0(VALU_DEP_1) | instskip(NEXT) | instid1(VALU_DEP_1)
	v_cndmask_b32_e32 v30, 0x7fc00000, v36, vcc_lo
	v_dual_mul_f32 v36, s13, v30 :: v_dual_lshlrev_b32 v30, 16, v28
	s_delay_alu instid0(VALU_DEP_1)
	v_cmpx_nlt_f32_e32 s14, v36
	s_cbranch_execz .LBB58_29
; %bb.28:
	v_mul_f32_e32 v37, 0x3fb8aa3b, v36
	v_cmp_ngt_f32_e32 vcc_lo, 0xc2ce8ed0, v36
	s_delay_alu instid0(VALU_DEP_2) | instskip(SKIP_1) | instid1(VALU_DEP_2)
	v_rndne_f32_e32 v44, v37
	v_fma_f32 v45, 0x3fb8aa3b, v36, -v37
	v_sub_f32_e32 v37, v37, v44
	s_delay_alu instid0(VALU_DEP_2) | instskip(SKIP_1) | instid1(VALU_DEP_2)
	v_fmamk_f32 v45, v36, 0x32a5705f, v45
	v_cvt_i32_f32_e32 v44, v44
	v_add_f32_e32 v37, v37, v45
	s_delay_alu instid0(VALU_DEP_1) | instskip(SKIP_1) | instid1(TRANS32_DEP_1)
	v_exp_f32_e32 v37, v37
	v_nop
	v_ldexp_f32 v37, v37, v44
	s_delay_alu instid0(VALU_DEP_1) | instskip(SKIP_1) | instid1(VALU_DEP_2)
	v_cndmask_b32_e32 v37, 0, v37, vcc_lo
	v_cmp_nlt_f32_e32 vcc_lo, 0x42b17218, v36
	v_cndmask_b32_e32 v36, 0x7f800000, v37, vcc_lo
	s_delay_alu instid0(VALU_DEP_1) | instskip(NEXT) | instid1(VALU_DEP_1)
	v_dual_mul_f32 v30, v36, v30 :: v_dual_add_f32 v36, 1.0, v36
	v_div_scale_f32 v37, null, v36, v36, v30
	s_delay_alu instid0(VALU_DEP_1) | instskip(SKIP_1) | instid1(TRANS32_DEP_1)
	v_rcp_f32_e32 v44, v37
	v_nop
	v_fma_f32 v45, -v37, v44, 1.0
	s_delay_alu instid0(VALU_DEP_1) | instskip(SKIP_1) | instid1(VALU_DEP_1)
	v_fmac_f32_e32 v44, v45, v44
	v_div_scale_f32 v45, vcc_lo, v30, v36, v30
	v_mul_f32_e32 v47, v45, v44
	s_delay_alu instid0(VALU_DEP_1) | instskip(NEXT) | instid1(VALU_DEP_1)
	v_fma_f32 v48, -v37, v47, v45
	v_fmac_f32_e32 v47, v48, v44
	s_delay_alu instid0(VALU_DEP_1) | instskip(NEXT) | instid1(VALU_DEP_1)
	v_fma_f32 v37, -v37, v47, v45
	v_div_fmas_f32 v37, v37, v44, v47
	s_delay_alu instid0(VALU_DEP_1)
	v_div_fixup_f32 v30, v37, v36, v30
.LBB58_29:
	s_or_b32 exec_lo, exec_lo, s11
	v_bfe_u32 v36, v31, 16, 1
	v_cmp_o_f32_e32 vcc_lo, v31, v31
	v_and_b32_e32 v28, 0xffff0000, v28
	s_mov_b32 s11, exec_lo
	s_delay_alu instid0(VALU_DEP_3) | instskip(NEXT) | instid1(VALU_DEP_1)
	v_add3_u32 v36, v31, v36, 0x7fff
	v_and_b32_e32 v36, 0xffff0000, v36
	s_delay_alu instid0(VALU_DEP_1) | instskip(NEXT) | instid1(VALU_DEP_1)
	v_cndmask_b32_e32 v31, 0x7fc00000, v36, vcc_lo
	v_mul_f32_e32 v31, s13, v31
	s_delay_alu instid0(VALU_DEP_1)
	v_cmpx_nlt_f32_e32 s14, v31
	s_cbranch_execz .LBB58_31
; %bb.30:
	v_mul_f32_e32 v36, 0x3fb8aa3b, v31
	v_cmp_ngt_f32_e32 vcc_lo, 0xc2ce8ed0, v31
	s_delay_alu instid0(VALU_DEP_2) | instskip(SKIP_1) | instid1(VALU_DEP_2)
	v_rndne_f32_e32 v37, v36
	v_fma_f32 v44, 0x3fb8aa3b, v31, -v36
	v_sub_f32_e32 v36, v36, v37
	s_delay_alu instid0(VALU_DEP_2) | instskip(SKIP_1) | instid1(VALU_DEP_2)
	v_fmamk_f32 v44, v31, 0x32a5705f, v44
	v_cvt_i32_f32_e32 v37, v37
	v_add_f32_e32 v36, v36, v44
	s_delay_alu instid0(VALU_DEP_1) | instskip(SKIP_1) | instid1(TRANS32_DEP_1)
	v_exp_f32_e32 v36, v36
	v_nop
	v_ldexp_f32 v36, v36, v37
	s_delay_alu instid0(VALU_DEP_1) | instskip(SKIP_1) | instid1(VALU_DEP_2)
	v_cndmask_b32_e32 v36, 0, v36, vcc_lo
	v_cmp_nlt_f32_e32 vcc_lo, 0x42b17218, v31
	v_cndmask_b32_e32 v31, 0x7f800000, v36, vcc_lo
	s_delay_alu instid0(VALU_DEP_1) | instskip(NEXT) | instid1(VALU_DEP_1)
	v_dual_mul_f32 v28, v31, v28 :: v_dual_add_f32 v31, 1.0, v31
	v_div_scale_f32 v36, null, v31, v31, v28
	s_delay_alu instid0(VALU_DEP_1) | instskip(SKIP_1) | instid1(TRANS32_DEP_1)
	v_rcp_f32_e32 v37, v36
	v_nop
	v_fma_f32 v44, -v36, v37, 1.0
	s_delay_alu instid0(VALU_DEP_1) | instskip(SKIP_1) | instid1(VALU_DEP_1)
	v_fmac_f32_e32 v37, v44, v37
	v_div_scale_f32 v44, vcc_lo, v28, v31, v28
	v_mul_f32_e32 v45, v44, v37
	s_delay_alu instid0(VALU_DEP_1) | instskip(NEXT) | instid1(VALU_DEP_1)
	v_fma_f32 v47, -v36, v45, v44
	v_fmac_f32_e32 v45, v47, v37
	s_delay_alu instid0(VALU_DEP_1) | instskip(NEXT) | instid1(VALU_DEP_1)
	v_fma_f32 v36, -v36, v45, v44
	v_div_fmas_f32 v36, v36, v37, v45
	s_delay_alu instid0(VALU_DEP_1)
	v_div_fixup_f32 v28, v36, v31, v28
.LBB58_31:
	s_or_b32 exec_lo, exec_lo, s11
	v_bfe_u32 v31, v32, 16, 1
	v_cmp_o_f32_e32 vcc_lo, v32, v32
	s_mov_b32 s11, exec_lo
	s_delay_alu instid0(VALU_DEP_2) | instskip(NEXT) | instid1(VALU_DEP_1)
	v_add3_u32 v31, v32, v31, 0x7fff
	v_and_b32_e32 v31, 0xffff0000, v31
	s_delay_alu instid0(VALU_DEP_1) | instskip(NEXT) | instid1(VALU_DEP_1)
	v_cndmask_b32_e32 v31, 0x7fc00000, v31, vcc_lo
	v_dual_mul_f32 v32, s13, v31 :: v_dual_lshlrev_b32 v31, 16, v29
	s_delay_alu instid0(VALU_DEP_1)
	v_cmpx_nlt_f32_e32 s14, v32
	s_cbranch_execz .LBB58_33
; %bb.32:
	v_mul_f32_e32 v36, 0x3fb8aa3b, v32
	v_cmp_ngt_f32_e32 vcc_lo, 0xc2ce8ed0, v32
	s_delay_alu instid0(VALU_DEP_2) | instskip(SKIP_1) | instid1(VALU_DEP_2)
	v_rndne_f32_e32 v37, v36
	v_fma_f32 v44, 0x3fb8aa3b, v32, -v36
	v_sub_f32_e32 v36, v36, v37
	s_delay_alu instid0(VALU_DEP_2) | instskip(SKIP_1) | instid1(VALU_DEP_2)
	v_fmamk_f32 v44, v32, 0x32a5705f, v44
	v_cvt_i32_f32_e32 v37, v37
	v_add_f32_e32 v36, v36, v44
	s_delay_alu instid0(VALU_DEP_1) | instskip(SKIP_1) | instid1(TRANS32_DEP_1)
	v_exp_f32_e32 v36, v36
	v_nop
	v_ldexp_f32 v36, v36, v37
	s_delay_alu instid0(VALU_DEP_1) | instskip(SKIP_1) | instid1(VALU_DEP_2)
	v_cndmask_b32_e32 v36, 0, v36, vcc_lo
	v_cmp_nlt_f32_e32 vcc_lo, 0x42b17218, v32
	v_cndmask_b32_e32 v32, 0x7f800000, v36, vcc_lo
	s_delay_alu instid0(VALU_DEP_1) | instskip(NEXT) | instid1(VALU_DEP_1)
	v_dual_mul_f32 v31, v32, v31 :: v_dual_add_f32 v32, 1.0, v32
	v_div_scale_f32 v36, null, v32, v32, v31
	s_delay_alu instid0(VALU_DEP_1) | instskip(SKIP_1) | instid1(TRANS32_DEP_1)
	v_rcp_f32_e32 v37, v36
	v_nop
	v_fma_f32 v44, -v36, v37, 1.0
	s_delay_alu instid0(VALU_DEP_1) | instskip(SKIP_1) | instid1(VALU_DEP_1)
	v_fmac_f32_e32 v37, v44, v37
	v_div_scale_f32 v44, vcc_lo, v31, v32, v31
	v_mul_f32_e32 v45, v44, v37
	s_delay_alu instid0(VALU_DEP_1) | instskip(NEXT) | instid1(VALU_DEP_1)
	v_fma_f32 v47, -v36, v45, v44
	v_fmac_f32_e32 v45, v47, v37
	s_delay_alu instid0(VALU_DEP_1) | instskip(NEXT) | instid1(VALU_DEP_1)
	v_fma_f32 v36, -v36, v45, v44
	v_div_fmas_f32 v36, v36, v37, v45
	s_delay_alu instid0(VALU_DEP_1)
	v_div_fixup_f32 v31, v36, v32, v31
.LBB58_33:
	s_or_b32 exec_lo, exec_lo, s11
	v_bfe_u32 v32, v33, 16, 1
	v_cmp_o_f32_e32 vcc_lo, v33, v33
	v_and_b32_e32 v29, 0xffff0000, v29
	s_mov_b32 s11, exec_lo
	s_delay_alu instid0(VALU_DEP_3) | instskip(NEXT) | instid1(VALU_DEP_1)
	v_add3_u32 v32, v33, v32, 0x7fff
	v_and_b32_e32 v32, 0xffff0000, v32
	s_delay_alu instid0(VALU_DEP_1) | instskip(NEXT) | instid1(VALU_DEP_1)
	v_cndmask_b32_e32 v32, 0x7fc00000, v32, vcc_lo
	v_mul_f32_e32 v32, s13, v32
	s_delay_alu instid0(VALU_DEP_1)
	v_cmpx_nlt_f32_e32 s14, v32
	s_cbranch_execz .LBB58_35
; %bb.34:
	v_mul_f32_e32 v33, 0x3fb8aa3b, v32
	v_cmp_ngt_f32_e32 vcc_lo, 0xc2ce8ed0, v32
	s_delay_alu instid0(VALU_DEP_2) | instskip(SKIP_1) | instid1(VALU_DEP_2)
	v_rndne_f32_e32 v36, v33
	v_fma_f32 v37, 0x3fb8aa3b, v32, -v33
	v_sub_f32_e32 v33, v33, v36
	s_delay_alu instid0(VALU_DEP_2) | instskip(SKIP_1) | instid1(VALU_DEP_2)
	v_fmamk_f32 v37, v32, 0x32a5705f, v37
	v_cvt_i32_f32_e32 v36, v36
	v_add_f32_e32 v33, v33, v37
	s_delay_alu instid0(VALU_DEP_1) | instskip(SKIP_1) | instid1(TRANS32_DEP_1)
	v_exp_f32_e32 v33, v33
	v_nop
	v_ldexp_f32 v33, v33, v36
	s_delay_alu instid0(VALU_DEP_1) | instskip(SKIP_1) | instid1(VALU_DEP_2)
	v_cndmask_b32_e32 v33, 0, v33, vcc_lo
	v_cmp_nlt_f32_e32 vcc_lo, 0x42b17218, v32
	v_cndmask_b32_e32 v32, 0x7f800000, v33, vcc_lo
	s_delay_alu instid0(VALU_DEP_1) | instskip(NEXT) | instid1(VALU_DEP_1)
	v_dual_mul_f32 v29, v32, v29 :: v_dual_add_f32 v32, 1.0, v32
	v_div_scale_f32 v33, null, v32, v32, v29
	s_delay_alu instid0(VALU_DEP_1) | instskip(SKIP_1) | instid1(TRANS32_DEP_1)
	v_rcp_f32_e32 v36, v33
	v_nop
	v_fma_f32 v37, -v33, v36, 1.0
	s_delay_alu instid0(VALU_DEP_1) | instskip(SKIP_1) | instid1(VALU_DEP_1)
	v_fmac_f32_e32 v36, v37, v36
	v_div_scale_f32 v37, vcc_lo, v29, v32, v29
	v_mul_f32_e32 v44, v37, v36
	s_delay_alu instid0(VALU_DEP_1) | instskip(NEXT) | instid1(VALU_DEP_1)
	v_fma_f32 v45, -v33, v44, v37
	v_fmac_f32_e32 v44, v45, v36
	s_delay_alu instid0(VALU_DEP_1) | instskip(NEXT) | instid1(VALU_DEP_1)
	v_fma_f32 v33, -v33, v44, v37
	v_div_fmas_f32 v33, v33, v36, v44
	s_delay_alu instid0(VALU_DEP_1)
	v_div_fixup_f32 v29, v33, v32, v29
.LBB58_35:
	s_or_b32 exec_lo, exec_lo, s11
	s_wait_loadcnt 0x2
	v_bfe_u32 v32, v22, 16, 1
	v_cmp_o_f32_e32 vcc_lo, v22, v22
	s_mov_b32 s11, exec_lo
	s_delay_alu instid0(VALU_DEP_2) | instskip(NEXT) | instid1(VALU_DEP_1)
	v_add3_u32 v32, v22, v32, 0x7fff
	v_and_b32_e32 v32, 0xffff0000, v32
	s_delay_alu instid0(VALU_DEP_1) | instskip(NEXT) | instid1(VALU_DEP_1)
	v_cndmask_b32_e32 v22, 0x7fc00000, v32, vcc_lo
	v_mul_f32_e32 v32, s13, v22
	v_lshlrev_b32_e32 v22, 16, v14
	s_delay_alu instid0(VALU_DEP_2)
	v_cmpx_nlt_f32_e32 s14, v32
	s_cbranch_execz .LBB58_37
; %bb.36:
	v_mul_f32_e32 v33, 0x3fb8aa3b, v32
	v_cmp_ngt_f32_e32 vcc_lo, 0xc2ce8ed0, v32
	s_delay_alu instid0(VALU_DEP_2) | instskip(SKIP_1) | instid1(VALU_DEP_2)
	v_rndne_f32_e32 v36, v33
	v_fma_f32 v37, 0x3fb8aa3b, v32, -v33
	v_sub_f32_e32 v33, v33, v36
	s_delay_alu instid0(VALU_DEP_2) | instskip(SKIP_1) | instid1(VALU_DEP_2)
	v_fmamk_f32 v37, v32, 0x32a5705f, v37
	v_cvt_i32_f32_e32 v36, v36
	v_add_f32_e32 v33, v33, v37
	s_delay_alu instid0(VALU_DEP_1) | instskip(SKIP_1) | instid1(TRANS32_DEP_1)
	v_exp_f32_e32 v33, v33
	v_nop
	v_ldexp_f32 v33, v33, v36
	s_delay_alu instid0(VALU_DEP_1) | instskip(SKIP_1) | instid1(VALU_DEP_2)
	v_cndmask_b32_e32 v33, 0, v33, vcc_lo
	v_cmp_nlt_f32_e32 vcc_lo, 0x42b17218, v32
	v_cndmask_b32_e32 v32, 0x7f800000, v33, vcc_lo
	s_delay_alu instid0(VALU_DEP_1) | instskip(NEXT) | instid1(VALU_DEP_1)
	v_dual_mul_f32 v22, v32, v22 :: v_dual_add_f32 v32, 1.0, v32
	v_div_scale_f32 v33, null, v32, v32, v22
	s_delay_alu instid0(VALU_DEP_1) | instskip(SKIP_1) | instid1(TRANS32_DEP_1)
	v_rcp_f32_e32 v36, v33
	v_nop
	v_fma_f32 v37, -v33, v36, 1.0
	s_delay_alu instid0(VALU_DEP_1) | instskip(SKIP_1) | instid1(VALU_DEP_1)
	v_fmac_f32_e32 v36, v37, v36
	v_div_scale_f32 v37, vcc_lo, v22, v32, v22
	v_mul_f32_e32 v44, v37, v36
	s_delay_alu instid0(VALU_DEP_1) | instskip(NEXT) | instid1(VALU_DEP_1)
	v_fma_f32 v45, -v33, v44, v37
	v_fmac_f32_e32 v44, v45, v36
	s_delay_alu instid0(VALU_DEP_1) | instskip(NEXT) | instid1(VALU_DEP_1)
	v_fma_f32 v33, -v33, v44, v37
	v_div_fmas_f32 v33, v33, v36, v44
	s_delay_alu instid0(VALU_DEP_1)
	v_div_fixup_f32 v22, v33, v32, v22
.LBB58_37:
	s_or_b32 exec_lo, exec_lo, s11
	v_bfe_u32 v32, v23, 16, 1
	v_cmp_o_f32_e32 vcc_lo, v23, v23
	v_and_b32_e32 v14, 0xffff0000, v14
	s_mov_b32 s11, exec_lo
	s_delay_alu instid0(VALU_DEP_3) | instskip(NEXT) | instid1(VALU_DEP_1)
	v_add3_u32 v32, v23, v32, 0x7fff
	v_and_b32_e32 v32, 0xffff0000, v32
	s_delay_alu instid0(VALU_DEP_1) | instskip(NEXT) | instid1(VALU_DEP_1)
	v_cndmask_b32_e32 v23, 0x7fc00000, v32, vcc_lo
	v_mul_f32_e32 v23, s13, v23
	s_delay_alu instid0(VALU_DEP_1)
	v_cmpx_nlt_f32_e32 s14, v23
	s_cbranch_execz .LBB58_39
; %bb.38:
	v_mul_f32_e32 v32, 0x3fb8aa3b, v23
	v_cmp_ngt_f32_e32 vcc_lo, 0xc2ce8ed0, v23
	s_delay_alu instid0(VALU_DEP_2) | instskip(SKIP_1) | instid1(VALU_DEP_2)
	v_rndne_f32_e32 v33, v32
	v_fma_f32 v36, 0x3fb8aa3b, v23, -v32
	v_sub_f32_e32 v32, v32, v33
	s_delay_alu instid0(VALU_DEP_2) | instskip(SKIP_1) | instid1(VALU_DEP_2)
	v_fmamk_f32 v36, v23, 0x32a5705f, v36
	v_cvt_i32_f32_e32 v33, v33
	v_add_f32_e32 v32, v32, v36
	s_delay_alu instid0(VALU_DEP_1) | instskip(SKIP_1) | instid1(TRANS32_DEP_1)
	v_exp_f32_e32 v32, v32
	v_nop
	v_ldexp_f32 v32, v32, v33
	s_delay_alu instid0(VALU_DEP_1) | instskip(SKIP_1) | instid1(VALU_DEP_2)
	v_cndmask_b32_e32 v32, 0, v32, vcc_lo
	v_cmp_nlt_f32_e32 vcc_lo, 0x42b17218, v23
	v_cndmask_b32_e32 v23, 0x7f800000, v32, vcc_lo
	s_delay_alu instid0(VALU_DEP_1) | instskip(NEXT) | instid1(VALU_DEP_1)
	v_dual_mul_f32 v14, v23, v14 :: v_dual_add_f32 v23, 1.0, v23
	v_div_scale_f32 v32, null, v23, v23, v14
	s_delay_alu instid0(VALU_DEP_1) | instskip(SKIP_1) | instid1(TRANS32_DEP_1)
	v_rcp_f32_e32 v33, v32
	v_nop
	v_fma_f32 v36, -v32, v33, 1.0
	s_delay_alu instid0(VALU_DEP_1) | instskip(SKIP_1) | instid1(VALU_DEP_1)
	v_fmac_f32_e32 v33, v36, v33
	v_div_scale_f32 v36, vcc_lo, v14, v23, v14
	v_mul_f32_e32 v37, v36, v33
	s_delay_alu instid0(VALU_DEP_1) | instskip(NEXT) | instid1(VALU_DEP_1)
	v_fma_f32 v44, -v32, v37, v36
	v_fmac_f32_e32 v37, v44, v33
	s_delay_alu instid0(VALU_DEP_1) | instskip(NEXT) | instid1(VALU_DEP_1)
	v_fma_f32 v32, -v32, v37, v36
	v_div_fmas_f32 v32, v32, v33, v37
	s_delay_alu instid0(VALU_DEP_1)
	v_div_fixup_f32 v14, v32, v23, v14
.LBB58_39:
	s_or_b32 exec_lo, exec_lo, s11
	v_bfe_u32 v23, v24, 16, 1
	v_cmp_o_f32_e32 vcc_lo, v24, v24
	s_mov_b32 s11, exec_lo
	s_delay_alu instid0(VALU_DEP_2) | instskip(NEXT) | instid1(VALU_DEP_1)
	v_add3_u32 v23, v24, v23, 0x7fff
	v_and_b32_e32 v23, 0xffff0000, v23
	s_delay_alu instid0(VALU_DEP_1) | instskip(NEXT) | instid1(VALU_DEP_1)
	v_cndmask_b32_e32 v23, 0x7fc00000, v23, vcc_lo
	v_mul_f32_e32 v24, s13, v23
	v_lshlrev_b32_e32 v23, 16, v15
	s_delay_alu instid0(VALU_DEP_2)
	v_cmpx_nlt_f32_e32 s14, v24
	s_cbranch_execz .LBB58_41
; %bb.40:
	v_mul_f32_e32 v32, 0x3fb8aa3b, v24
	v_cmp_ngt_f32_e32 vcc_lo, 0xc2ce8ed0, v24
	s_delay_alu instid0(VALU_DEP_2) | instskip(SKIP_1) | instid1(VALU_DEP_2)
	v_rndne_f32_e32 v33, v32
	v_fma_f32 v36, 0x3fb8aa3b, v24, -v32
	v_sub_f32_e32 v32, v32, v33
	s_delay_alu instid0(VALU_DEP_2) | instskip(SKIP_1) | instid1(VALU_DEP_2)
	v_fmamk_f32 v36, v24, 0x32a5705f, v36
	v_cvt_i32_f32_e32 v33, v33
	v_add_f32_e32 v32, v32, v36
	s_delay_alu instid0(VALU_DEP_1) | instskip(SKIP_1) | instid1(TRANS32_DEP_1)
	v_exp_f32_e32 v32, v32
	v_nop
	v_ldexp_f32 v32, v32, v33
	s_delay_alu instid0(VALU_DEP_1) | instskip(SKIP_1) | instid1(VALU_DEP_2)
	v_cndmask_b32_e32 v32, 0, v32, vcc_lo
	v_cmp_nlt_f32_e32 vcc_lo, 0x42b17218, v24
	v_cndmask_b32_e32 v24, 0x7f800000, v32, vcc_lo
	s_delay_alu instid0(VALU_DEP_1) | instskip(NEXT) | instid1(VALU_DEP_1)
	v_dual_mul_f32 v23, v24, v23 :: v_dual_add_f32 v24, 1.0, v24
	v_div_scale_f32 v32, null, v24, v24, v23
	s_delay_alu instid0(VALU_DEP_1) | instskip(SKIP_1) | instid1(TRANS32_DEP_1)
	v_rcp_f32_e32 v33, v32
	v_nop
	v_fma_f32 v36, -v32, v33, 1.0
	s_delay_alu instid0(VALU_DEP_1) | instskip(SKIP_1) | instid1(VALU_DEP_1)
	v_fmac_f32_e32 v33, v36, v33
	v_div_scale_f32 v36, vcc_lo, v23, v24, v23
	v_mul_f32_e32 v37, v36, v33
	s_delay_alu instid0(VALU_DEP_1) | instskip(NEXT) | instid1(VALU_DEP_1)
	v_fma_f32 v44, -v32, v37, v36
	v_fmac_f32_e32 v37, v44, v33
	s_delay_alu instid0(VALU_DEP_1) | instskip(NEXT) | instid1(VALU_DEP_1)
	v_fma_f32 v32, -v32, v37, v36
	v_div_fmas_f32 v32, v32, v33, v37
	s_delay_alu instid0(VALU_DEP_1)
	v_div_fixup_f32 v23, v32, v24, v23
.LBB58_41:
	s_or_b32 exec_lo, exec_lo, s11
	v_bfe_u32 v24, v25, 16, 1
	v_cmp_o_f32_e32 vcc_lo, v25, v25
	v_and_b32_e32 v15, 0xffff0000, v15
	s_mov_b32 s11, exec_lo
	s_delay_alu instid0(VALU_DEP_3) | instskip(NEXT) | instid1(VALU_DEP_1)
	v_add3_u32 v24, v25, v24, 0x7fff
	v_and_b32_e32 v24, 0xffff0000, v24
	s_delay_alu instid0(VALU_DEP_1) | instskip(NEXT) | instid1(VALU_DEP_1)
	v_cndmask_b32_e32 v24, 0x7fc00000, v24, vcc_lo
	v_mul_f32_e32 v24, s13, v24
	s_delay_alu instid0(VALU_DEP_1)
	v_cmpx_nlt_f32_e32 s14, v24
	s_cbranch_execz .LBB58_43
; %bb.42:
	v_mul_f32_e32 v25, 0x3fb8aa3b, v24
	v_cmp_ngt_f32_e32 vcc_lo, 0xc2ce8ed0, v24
	s_delay_alu instid0(VALU_DEP_2) | instskip(SKIP_1) | instid1(VALU_DEP_2)
	v_rndne_f32_e32 v32, v25
	v_fma_f32 v33, 0x3fb8aa3b, v24, -v25
	v_sub_f32_e32 v25, v25, v32
	s_delay_alu instid0(VALU_DEP_2) | instskip(SKIP_1) | instid1(VALU_DEP_2)
	v_fmamk_f32 v33, v24, 0x32a5705f, v33
	v_cvt_i32_f32_e32 v32, v32
	v_add_f32_e32 v25, v25, v33
	s_delay_alu instid0(VALU_DEP_1) | instskip(SKIP_1) | instid1(TRANS32_DEP_1)
	v_exp_f32_e32 v25, v25
	v_nop
	v_ldexp_f32 v25, v25, v32
	s_delay_alu instid0(VALU_DEP_1) | instskip(SKIP_1) | instid1(VALU_DEP_2)
	v_cndmask_b32_e32 v25, 0, v25, vcc_lo
	v_cmp_nlt_f32_e32 vcc_lo, 0x42b17218, v24
	v_cndmask_b32_e32 v24, 0x7f800000, v25, vcc_lo
	s_delay_alu instid0(VALU_DEP_1) | instskip(NEXT) | instid1(VALU_DEP_1)
	v_dual_mul_f32 v15, v24, v15 :: v_dual_add_f32 v24, 1.0, v24
	v_div_scale_f32 v25, null, v24, v24, v15
	s_delay_alu instid0(VALU_DEP_1) | instskip(SKIP_1) | instid1(TRANS32_DEP_1)
	v_rcp_f32_e32 v32, v25
	v_nop
	v_fma_f32 v33, -v25, v32, 1.0
	s_delay_alu instid0(VALU_DEP_1) | instskip(SKIP_1) | instid1(VALU_DEP_1)
	v_fmac_f32_e32 v32, v33, v32
	v_div_scale_f32 v33, vcc_lo, v15, v24, v15
	v_mul_f32_e32 v36, v33, v32
	s_delay_alu instid0(VALU_DEP_1) | instskip(NEXT) | instid1(VALU_DEP_1)
	v_fma_f32 v37, -v25, v36, v33
	v_fmac_f32_e32 v36, v37, v32
	s_delay_alu instid0(VALU_DEP_1) | instskip(NEXT) | instid1(VALU_DEP_1)
	v_fma_f32 v25, -v25, v36, v33
	v_div_fmas_f32 v25, v25, v32, v36
	s_delay_alu instid0(VALU_DEP_1)
	v_div_fixup_f32 v15, v25, v24, v15
.LBB58_43:
	s_or_b32 exec_lo, exec_lo, s11
	v_bfe_u32 v24, v18, 16, 1
	v_cmp_o_f32_e32 vcc_lo, v18, v18
	s_mov_b32 s11, exec_lo
	s_delay_alu instid0(VALU_DEP_2) | instskip(NEXT) | instid1(VALU_DEP_1)
	v_add3_u32 v24, v18, v24, 0x7fff
	v_and_b32_e32 v24, 0xffff0000, v24
	s_delay_alu instid0(VALU_DEP_1) | instskip(NEXT) | instid1(VALU_DEP_1)
	v_cndmask_b32_e32 v18, 0x7fc00000, v24, vcc_lo
	v_dual_mul_f32 v24, s13, v18 :: v_dual_lshlrev_b32 v18, 16, v16
	s_delay_alu instid0(VALU_DEP_1)
	v_cmpx_nlt_f32_e32 s14, v24
	s_cbranch_execz .LBB58_45
; %bb.44:
	v_mul_f32_e32 v25, 0x3fb8aa3b, v24
	v_cmp_ngt_f32_e32 vcc_lo, 0xc2ce8ed0, v24
	s_delay_alu instid0(VALU_DEP_2) | instskip(SKIP_1) | instid1(VALU_DEP_2)
	v_rndne_f32_e32 v32, v25
	v_fma_f32 v33, 0x3fb8aa3b, v24, -v25
	v_sub_f32_e32 v25, v25, v32
	s_delay_alu instid0(VALU_DEP_2) | instskip(SKIP_1) | instid1(VALU_DEP_2)
	v_fmamk_f32 v33, v24, 0x32a5705f, v33
	v_cvt_i32_f32_e32 v32, v32
	v_add_f32_e32 v25, v25, v33
	s_delay_alu instid0(VALU_DEP_1) | instskip(SKIP_1) | instid1(TRANS32_DEP_1)
	v_exp_f32_e32 v25, v25
	v_nop
	v_ldexp_f32 v25, v25, v32
	s_delay_alu instid0(VALU_DEP_1) | instskip(SKIP_1) | instid1(VALU_DEP_2)
	v_cndmask_b32_e32 v25, 0, v25, vcc_lo
	v_cmp_nlt_f32_e32 vcc_lo, 0x42b17218, v24
	v_cndmask_b32_e32 v24, 0x7f800000, v25, vcc_lo
	s_delay_alu instid0(VALU_DEP_1) | instskip(NEXT) | instid1(VALU_DEP_1)
	v_dual_mul_f32 v18, v24, v18 :: v_dual_add_f32 v24, 1.0, v24
	v_div_scale_f32 v25, null, v24, v24, v18
	s_delay_alu instid0(VALU_DEP_1) | instskip(SKIP_1) | instid1(TRANS32_DEP_1)
	v_rcp_f32_e32 v32, v25
	v_nop
	v_fma_f32 v33, -v25, v32, 1.0
	s_delay_alu instid0(VALU_DEP_1) | instskip(SKIP_1) | instid1(VALU_DEP_1)
	v_fmac_f32_e32 v32, v33, v32
	v_div_scale_f32 v33, vcc_lo, v18, v24, v18
	v_mul_f32_e32 v36, v33, v32
	s_delay_alu instid0(VALU_DEP_1) | instskip(NEXT) | instid1(VALU_DEP_1)
	v_fma_f32 v37, -v25, v36, v33
	v_fmac_f32_e32 v36, v37, v32
	s_delay_alu instid0(VALU_DEP_1) | instskip(NEXT) | instid1(VALU_DEP_1)
	v_fma_f32 v25, -v25, v36, v33
	v_div_fmas_f32 v25, v25, v32, v36
	s_delay_alu instid0(VALU_DEP_1)
	v_div_fixup_f32 v18, v25, v24, v18
.LBB58_45:
	s_or_b32 exec_lo, exec_lo, s11
	v_bfe_u32 v24, v19, 16, 1
	v_cmp_o_f32_e32 vcc_lo, v19, v19
	v_and_b32_e32 v16, 0xffff0000, v16
	s_mov_b32 s11, exec_lo
	s_delay_alu instid0(VALU_DEP_3) | instskip(NEXT) | instid1(VALU_DEP_1)
	v_add3_u32 v24, v19, v24, 0x7fff
	v_and_b32_e32 v24, 0xffff0000, v24
	s_delay_alu instid0(VALU_DEP_1) | instskip(NEXT) | instid1(VALU_DEP_1)
	v_cndmask_b32_e32 v19, 0x7fc00000, v24, vcc_lo
	v_mul_f32_e32 v19, s13, v19
	s_delay_alu instid0(VALU_DEP_1)
	v_cmpx_nlt_f32_e32 s14, v19
	s_cbranch_execz .LBB58_47
; %bb.46:
	v_mul_f32_e32 v24, 0x3fb8aa3b, v19
	v_cmp_ngt_f32_e32 vcc_lo, 0xc2ce8ed0, v19
	s_delay_alu instid0(VALU_DEP_2) | instskip(SKIP_1) | instid1(VALU_DEP_2)
	v_rndne_f32_e32 v25, v24
	v_fma_f32 v32, 0x3fb8aa3b, v19, -v24
	v_sub_f32_e32 v24, v24, v25
	s_delay_alu instid0(VALU_DEP_2) | instskip(SKIP_1) | instid1(VALU_DEP_2)
	v_fmamk_f32 v32, v19, 0x32a5705f, v32
	v_cvt_i32_f32_e32 v25, v25
	v_add_f32_e32 v24, v24, v32
	s_delay_alu instid0(VALU_DEP_1) | instskip(SKIP_1) | instid1(TRANS32_DEP_1)
	v_exp_f32_e32 v24, v24
	v_nop
	v_ldexp_f32 v24, v24, v25
	s_delay_alu instid0(VALU_DEP_1) | instskip(SKIP_1) | instid1(VALU_DEP_2)
	v_cndmask_b32_e32 v24, 0, v24, vcc_lo
	v_cmp_nlt_f32_e32 vcc_lo, 0x42b17218, v19
	v_cndmask_b32_e32 v19, 0x7f800000, v24, vcc_lo
	s_delay_alu instid0(VALU_DEP_1) | instskip(NEXT) | instid1(VALU_DEP_1)
	v_dual_mul_f32 v16, v19, v16 :: v_dual_add_f32 v19, 1.0, v19
	v_div_scale_f32 v24, null, v19, v19, v16
	s_delay_alu instid0(VALU_DEP_1) | instskip(SKIP_1) | instid1(TRANS32_DEP_1)
	v_rcp_f32_e32 v25, v24
	v_nop
	v_fma_f32 v32, -v24, v25, 1.0
	s_delay_alu instid0(VALU_DEP_1) | instskip(SKIP_1) | instid1(VALU_DEP_1)
	v_fmac_f32_e32 v25, v32, v25
	v_div_scale_f32 v32, vcc_lo, v16, v19, v16
	v_mul_f32_e32 v33, v32, v25
	s_delay_alu instid0(VALU_DEP_1) | instskip(NEXT) | instid1(VALU_DEP_1)
	v_fma_f32 v36, -v24, v33, v32
	v_fmac_f32_e32 v33, v36, v25
	s_delay_alu instid0(VALU_DEP_1) | instskip(NEXT) | instid1(VALU_DEP_1)
	v_fma_f32 v24, -v24, v33, v32
	v_div_fmas_f32 v24, v24, v25, v33
	s_delay_alu instid0(VALU_DEP_1)
	v_div_fixup_f32 v16, v24, v19, v16
.LBB58_47:
	s_or_b32 exec_lo, exec_lo, s11
	v_bfe_u32 v19, v20, 16, 1
	v_cmp_o_f32_e32 vcc_lo, v20, v20
	s_mov_b32 s11, exec_lo
	s_delay_alu instid0(VALU_DEP_2) | instskip(NEXT) | instid1(VALU_DEP_1)
	v_add3_u32 v19, v20, v19, 0x7fff
	v_and_b32_e32 v19, 0xffff0000, v19
	s_delay_alu instid0(VALU_DEP_1) | instskip(NEXT) | instid1(VALU_DEP_1)
	v_cndmask_b32_e32 v19, 0x7fc00000, v19, vcc_lo
	v_dual_mul_f32 v20, s13, v19 :: v_dual_lshlrev_b32 v19, 16, v17
	s_delay_alu instid0(VALU_DEP_1)
	v_cmpx_nlt_f32_e32 s14, v20
	s_cbranch_execz .LBB58_49
; %bb.48:
	v_mul_f32_e32 v24, 0x3fb8aa3b, v20
	v_cmp_ngt_f32_e32 vcc_lo, 0xc2ce8ed0, v20
	s_delay_alu instid0(VALU_DEP_2) | instskip(SKIP_1) | instid1(VALU_DEP_2)
	v_rndne_f32_e32 v25, v24
	v_fma_f32 v32, 0x3fb8aa3b, v20, -v24
	v_sub_f32_e32 v24, v24, v25
	s_delay_alu instid0(VALU_DEP_2) | instskip(SKIP_1) | instid1(VALU_DEP_2)
	v_fmamk_f32 v32, v20, 0x32a5705f, v32
	v_cvt_i32_f32_e32 v25, v25
	v_add_f32_e32 v24, v24, v32
	s_delay_alu instid0(VALU_DEP_1) | instskip(SKIP_1) | instid1(TRANS32_DEP_1)
	v_exp_f32_e32 v24, v24
	v_nop
	v_ldexp_f32 v24, v24, v25
	s_delay_alu instid0(VALU_DEP_1) | instskip(SKIP_1) | instid1(VALU_DEP_2)
	v_cndmask_b32_e32 v24, 0, v24, vcc_lo
	v_cmp_nlt_f32_e32 vcc_lo, 0x42b17218, v20
	v_cndmask_b32_e32 v20, 0x7f800000, v24, vcc_lo
	s_delay_alu instid0(VALU_DEP_1) | instskip(NEXT) | instid1(VALU_DEP_1)
	v_dual_mul_f32 v19, v20, v19 :: v_dual_add_f32 v20, 1.0, v20
	v_div_scale_f32 v24, null, v20, v20, v19
	s_delay_alu instid0(VALU_DEP_1) | instskip(SKIP_1) | instid1(TRANS32_DEP_1)
	v_rcp_f32_e32 v25, v24
	v_nop
	v_fma_f32 v32, -v24, v25, 1.0
	s_delay_alu instid0(VALU_DEP_1) | instskip(SKIP_1) | instid1(VALU_DEP_1)
	v_fmac_f32_e32 v25, v32, v25
	v_div_scale_f32 v32, vcc_lo, v19, v20, v19
	v_mul_f32_e32 v33, v32, v25
	s_delay_alu instid0(VALU_DEP_1) | instskip(NEXT) | instid1(VALU_DEP_1)
	v_fma_f32 v36, -v24, v33, v32
	v_fmac_f32_e32 v33, v36, v25
	s_delay_alu instid0(VALU_DEP_1) | instskip(NEXT) | instid1(VALU_DEP_1)
	v_fma_f32 v24, -v24, v33, v32
	v_div_fmas_f32 v24, v24, v25, v33
	s_delay_alu instid0(VALU_DEP_1)
	v_div_fixup_f32 v19, v24, v20, v19
.LBB58_49:
	s_or_b32 exec_lo, exec_lo, s11
	v_bfe_u32 v20, v21, 16, 1
	v_cmp_o_f32_e32 vcc_lo, v21, v21
	v_and_b32_e32 v17, 0xffff0000, v17
	s_mov_b32 s11, exec_lo
	s_delay_alu instid0(VALU_DEP_3) | instskip(NEXT) | instid1(VALU_DEP_1)
	v_add3_u32 v20, v21, v20, 0x7fff
	v_and_b32_e32 v20, 0xffff0000, v20
	s_delay_alu instid0(VALU_DEP_1) | instskip(NEXT) | instid1(VALU_DEP_1)
	v_cndmask_b32_e32 v20, 0x7fc00000, v20, vcc_lo
	v_mul_f32_e32 v20, s13, v20
	s_delay_alu instid0(VALU_DEP_1)
	v_cmpx_nlt_f32_e32 s14, v20
	s_cbranch_execz .LBB58_51
; %bb.50:
	v_mul_f32_e32 v21, 0x3fb8aa3b, v20
	v_cmp_ngt_f32_e32 vcc_lo, 0xc2ce8ed0, v20
	s_delay_alu instid0(VALU_DEP_2) | instskip(SKIP_1) | instid1(VALU_DEP_2)
	v_rndne_f32_e32 v24, v21
	v_fma_f32 v25, 0x3fb8aa3b, v20, -v21
	v_sub_f32_e32 v21, v21, v24
	s_delay_alu instid0(VALU_DEP_2) | instskip(SKIP_1) | instid1(VALU_DEP_2)
	v_fmamk_f32 v25, v20, 0x32a5705f, v25
	v_cvt_i32_f32_e32 v24, v24
	v_add_f32_e32 v21, v21, v25
	s_delay_alu instid0(VALU_DEP_1) | instskip(SKIP_1) | instid1(TRANS32_DEP_1)
	v_exp_f32_e32 v21, v21
	v_nop
	v_ldexp_f32 v21, v21, v24
	s_delay_alu instid0(VALU_DEP_1) | instskip(SKIP_1) | instid1(VALU_DEP_2)
	v_cndmask_b32_e32 v21, 0, v21, vcc_lo
	v_cmp_nlt_f32_e32 vcc_lo, 0x42b17218, v20
	v_cndmask_b32_e32 v20, 0x7f800000, v21, vcc_lo
	s_delay_alu instid0(VALU_DEP_1) | instskip(NEXT) | instid1(VALU_DEP_1)
	v_dual_mul_f32 v17, v20, v17 :: v_dual_add_f32 v20, 1.0, v20
	v_div_scale_f32 v21, null, v20, v20, v17
	s_delay_alu instid0(VALU_DEP_1) | instskip(SKIP_1) | instid1(TRANS32_DEP_1)
	v_rcp_f32_e32 v24, v21
	v_nop
	v_fma_f32 v25, -v21, v24, 1.0
	s_delay_alu instid0(VALU_DEP_1) | instskip(SKIP_1) | instid1(VALU_DEP_1)
	v_fmac_f32_e32 v24, v25, v24
	v_div_scale_f32 v25, vcc_lo, v17, v20, v17
	v_mul_f32_e32 v32, v25, v24
	s_delay_alu instid0(VALU_DEP_1) | instskip(NEXT) | instid1(VALU_DEP_1)
	v_fma_f32 v33, -v21, v32, v25
	v_fmac_f32_e32 v32, v33, v24
	s_delay_alu instid0(VALU_DEP_1) | instskip(NEXT) | instid1(VALU_DEP_1)
	v_fma_f32 v21, -v21, v32, v25
	v_div_fmas_f32 v21, v21, v24, v32
	s_delay_alu instid0(VALU_DEP_1)
	v_div_fixup_f32 v17, v21, v20, v17
.LBB58_51:
	s_or_b32 exec_lo, exec_lo, s11
	s_wait_loadcnt 0x0
	v_bfe_u32 v20, v10, 16, 1
	v_cmp_o_f32_e32 vcc_lo, v10, v10
	s_mov_b32 s11, exec_lo
	s_delay_alu instid0(VALU_DEP_2) | instskip(NEXT) | instid1(VALU_DEP_1)
	v_add3_u32 v20, v10, v20, 0x7fff
	v_and_b32_e32 v20, 0xffff0000, v20
	s_delay_alu instid0(VALU_DEP_1) | instskip(NEXT) | instid1(VALU_DEP_1)
	v_cndmask_b32_e32 v10, 0x7fc00000, v20, vcc_lo
	v_mul_f32_e32 v20, s13, v10
	v_lshlrev_b32_e32 v10, 16, v2
	s_delay_alu instid0(VALU_DEP_2)
	v_cmpx_nlt_f32_e32 s14, v20
	s_cbranch_execz .LBB58_53
; %bb.52:
	v_mul_f32_e32 v21, 0x3fb8aa3b, v20
	v_cmp_ngt_f32_e32 vcc_lo, 0xc2ce8ed0, v20
	s_delay_alu instid0(VALU_DEP_2) | instskip(SKIP_1) | instid1(VALU_DEP_2)
	v_rndne_f32_e32 v24, v21
	v_fma_f32 v25, 0x3fb8aa3b, v20, -v21
	v_sub_f32_e32 v21, v21, v24
	s_delay_alu instid0(VALU_DEP_2) | instskip(SKIP_1) | instid1(VALU_DEP_2)
	v_fmamk_f32 v25, v20, 0x32a5705f, v25
	v_cvt_i32_f32_e32 v24, v24
	v_add_f32_e32 v21, v21, v25
	s_delay_alu instid0(VALU_DEP_1) | instskip(SKIP_1) | instid1(TRANS32_DEP_1)
	v_exp_f32_e32 v21, v21
	v_nop
	v_ldexp_f32 v21, v21, v24
	s_delay_alu instid0(VALU_DEP_1) | instskip(SKIP_1) | instid1(VALU_DEP_2)
	v_cndmask_b32_e32 v21, 0, v21, vcc_lo
	v_cmp_nlt_f32_e32 vcc_lo, 0x42b17218, v20
	v_cndmask_b32_e32 v20, 0x7f800000, v21, vcc_lo
	s_delay_alu instid0(VALU_DEP_1) | instskip(NEXT) | instid1(VALU_DEP_1)
	v_dual_mul_f32 v10, v20, v10 :: v_dual_add_f32 v20, 1.0, v20
	v_div_scale_f32 v21, null, v20, v20, v10
	s_delay_alu instid0(VALU_DEP_1) | instskip(SKIP_1) | instid1(TRANS32_DEP_1)
	v_rcp_f32_e32 v24, v21
	v_nop
	v_fma_f32 v25, -v21, v24, 1.0
	s_delay_alu instid0(VALU_DEP_1) | instskip(SKIP_1) | instid1(VALU_DEP_1)
	v_fmac_f32_e32 v24, v25, v24
	v_div_scale_f32 v25, vcc_lo, v10, v20, v10
	v_mul_f32_e32 v32, v25, v24
	s_delay_alu instid0(VALU_DEP_1) | instskip(NEXT) | instid1(VALU_DEP_1)
	v_fma_f32 v33, -v21, v32, v25
	v_fmac_f32_e32 v32, v33, v24
	s_delay_alu instid0(VALU_DEP_1) | instskip(NEXT) | instid1(VALU_DEP_1)
	v_fma_f32 v21, -v21, v32, v25
	v_div_fmas_f32 v21, v21, v24, v32
	s_delay_alu instid0(VALU_DEP_1)
	v_div_fixup_f32 v10, v21, v20, v10
.LBB58_53:
	s_or_b32 exec_lo, exec_lo, s11
	v_bfe_u32 v20, v11, 16, 1
	v_cmp_o_f32_e32 vcc_lo, v11, v11
	v_and_b32_e32 v2, 0xffff0000, v2
	s_mov_b32 s11, exec_lo
	s_delay_alu instid0(VALU_DEP_3) | instskip(NEXT) | instid1(VALU_DEP_1)
	v_add3_u32 v20, v11, v20, 0x7fff
	v_and_b32_e32 v20, 0xffff0000, v20
	s_delay_alu instid0(VALU_DEP_1) | instskip(NEXT) | instid1(VALU_DEP_1)
	v_cndmask_b32_e32 v11, 0x7fc00000, v20, vcc_lo
	v_mul_f32_e32 v11, s13, v11
	s_delay_alu instid0(VALU_DEP_1)
	v_cmpx_nlt_f32_e32 s14, v11
	s_cbranch_execz .LBB58_55
; %bb.54:
	v_mul_f32_e32 v20, 0x3fb8aa3b, v11
	v_cmp_ngt_f32_e32 vcc_lo, 0xc2ce8ed0, v11
	s_delay_alu instid0(VALU_DEP_2) | instskip(SKIP_1) | instid1(VALU_DEP_2)
	v_rndne_f32_e32 v21, v20
	v_fma_f32 v24, 0x3fb8aa3b, v11, -v20
	v_sub_f32_e32 v20, v20, v21
	s_delay_alu instid0(VALU_DEP_2) | instskip(SKIP_1) | instid1(VALU_DEP_2)
	v_fmamk_f32 v24, v11, 0x32a5705f, v24
	v_cvt_i32_f32_e32 v21, v21
	v_add_f32_e32 v20, v20, v24
	s_delay_alu instid0(VALU_DEP_1) | instskip(SKIP_1) | instid1(TRANS32_DEP_1)
	v_exp_f32_e32 v20, v20
	v_nop
	v_ldexp_f32 v20, v20, v21
	s_delay_alu instid0(VALU_DEP_1) | instskip(SKIP_1) | instid1(VALU_DEP_2)
	v_cndmask_b32_e32 v20, 0, v20, vcc_lo
	v_cmp_nlt_f32_e32 vcc_lo, 0x42b17218, v11
	v_cndmask_b32_e32 v11, 0x7f800000, v20, vcc_lo
	s_delay_alu instid0(VALU_DEP_1) | instskip(NEXT) | instid1(VALU_DEP_1)
	v_dual_mul_f32 v2, v11, v2 :: v_dual_add_f32 v11, 1.0, v11
	v_div_scale_f32 v20, null, v11, v11, v2
	s_delay_alu instid0(VALU_DEP_1) | instskip(SKIP_1) | instid1(TRANS32_DEP_1)
	v_rcp_f32_e32 v21, v20
	v_nop
	v_fma_f32 v24, -v20, v21, 1.0
	s_delay_alu instid0(VALU_DEP_1) | instskip(SKIP_1) | instid1(VALU_DEP_1)
	v_fmac_f32_e32 v21, v24, v21
	v_div_scale_f32 v24, vcc_lo, v2, v11, v2
	v_mul_f32_e32 v25, v24, v21
	s_delay_alu instid0(VALU_DEP_1) | instskip(NEXT) | instid1(VALU_DEP_1)
	v_fma_f32 v32, -v20, v25, v24
	v_fmac_f32_e32 v25, v32, v21
	s_delay_alu instid0(VALU_DEP_1) | instskip(NEXT) | instid1(VALU_DEP_1)
	v_fma_f32 v20, -v20, v25, v24
	v_div_fmas_f32 v20, v20, v21, v25
	s_delay_alu instid0(VALU_DEP_1)
	v_div_fixup_f32 v2, v20, v11, v2
.LBB58_55:
	s_or_b32 exec_lo, exec_lo, s11
	v_bfe_u32 v11, v12, 16, 1
	v_cmp_o_f32_e32 vcc_lo, v12, v12
	s_mov_b32 s11, exec_lo
	s_delay_alu instid0(VALU_DEP_2) | instskip(NEXT) | instid1(VALU_DEP_1)
	v_add3_u32 v11, v12, v11, 0x7fff
	v_and_b32_e32 v11, 0xffff0000, v11
	s_delay_alu instid0(VALU_DEP_1) | instskip(NEXT) | instid1(VALU_DEP_1)
	v_cndmask_b32_e32 v11, 0x7fc00000, v11, vcc_lo
	v_mul_f32_e32 v12, s13, v11
	v_lshlrev_b32_e32 v11, 16, v3
	s_delay_alu instid0(VALU_DEP_2)
	v_cmpx_nlt_f32_e32 s14, v12
	s_cbranch_execz .LBB58_57
; %bb.56:
	v_mul_f32_e32 v20, 0x3fb8aa3b, v12
	v_cmp_ngt_f32_e32 vcc_lo, 0xc2ce8ed0, v12
	s_delay_alu instid0(VALU_DEP_2) | instskip(SKIP_1) | instid1(VALU_DEP_2)
	v_rndne_f32_e32 v21, v20
	v_fma_f32 v24, 0x3fb8aa3b, v12, -v20
	v_sub_f32_e32 v20, v20, v21
	s_delay_alu instid0(VALU_DEP_2) | instskip(SKIP_1) | instid1(VALU_DEP_2)
	v_fmamk_f32 v24, v12, 0x32a5705f, v24
	v_cvt_i32_f32_e32 v21, v21
	v_add_f32_e32 v20, v20, v24
	s_delay_alu instid0(VALU_DEP_1) | instskip(SKIP_1) | instid1(TRANS32_DEP_1)
	v_exp_f32_e32 v20, v20
	v_nop
	v_ldexp_f32 v20, v20, v21
	s_delay_alu instid0(VALU_DEP_1) | instskip(SKIP_1) | instid1(VALU_DEP_2)
	v_cndmask_b32_e32 v20, 0, v20, vcc_lo
	v_cmp_nlt_f32_e32 vcc_lo, 0x42b17218, v12
	v_cndmask_b32_e32 v12, 0x7f800000, v20, vcc_lo
	s_delay_alu instid0(VALU_DEP_1) | instskip(NEXT) | instid1(VALU_DEP_1)
	v_dual_mul_f32 v11, v12, v11 :: v_dual_add_f32 v12, 1.0, v12
	v_div_scale_f32 v20, null, v12, v12, v11
	s_delay_alu instid0(VALU_DEP_1) | instskip(SKIP_1) | instid1(TRANS32_DEP_1)
	v_rcp_f32_e32 v21, v20
	v_nop
	v_fma_f32 v24, -v20, v21, 1.0
	s_delay_alu instid0(VALU_DEP_1) | instskip(SKIP_1) | instid1(VALU_DEP_1)
	v_fmac_f32_e32 v21, v24, v21
	v_div_scale_f32 v24, vcc_lo, v11, v12, v11
	v_mul_f32_e32 v25, v24, v21
	s_delay_alu instid0(VALU_DEP_1) | instskip(NEXT) | instid1(VALU_DEP_1)
	v_fma_f32 v32, -v20, v25, v24
	v_fmac_f32_e32 v25, v32, v21
	s_delay_alu instid0(VALU_DEP_1) | instskip(NEXT) | instid1(VALU_DEP_1)
	v_fma_f32 v20, -v20, v25, v24
	v_div_fmas_f32 v20, v20, v21, v25
	s_delay_alu instid0(VALU_DEP_1)
	v_div_fixup_f32 v11, v20, v12, v11
.LBB58_57:
	s_or_b32 exec_lo, exec_lo, s11
	v_bfe_u32 v12, v13, 16, 1
	v_cmp_o_f32_e32 vcc_lo, v13, v13
	v_and_b32_e32 v3, 0xffff0000, v3
	s_mov_b32 s11, exec_lo
	s_delay_alu instid0(VALU_DEP_3) | instskip(NEXT) | instid1(VALU_DEP_1)
	v_add3_u32 v12, v13, v12, 0x7fff
	v_and_b32_e32 v12, 0xffff0000, v12
	s_delay_alu instid0(VALU_DEP_1) | instskip(NEXT) | instid1(VALU_DEP_1)
	v_cndmask_b32_e32 v12, 0x7fc00000, v12, vcc_lo
	v_mul_f32_e32 v12, s13, v12
	s_delay_alu instid0(VALU_DEP_1)
	v_cmpx_nlt_f32_e32 s14, v12
	s_cbranch_execz .LBB58_59
; %bb.58:
	v_mul_f32_e32 v13, 0x3fb8aa3b, v12
	v_cmp_ngt_f32_e32 vcc_lo, 0xc2ce8ed0, v12
	s_delay_alu instid0(VALU_DEP_2) | instskip(SKIP_1) | instid1(VALU_DEP_2)
	v_rndne_f32_e32 v20, v13
	v_fma_f32 v21, 0x3fb8aa3b, v12, -v13
	v_sub_f32_e32 v13, v13, v20
	s_delay_alu instid0(VALU_DEP_2) | instskip(SKIP_1) | instid1(VALU_DEP_2)
	v_fmamk_f32 v21, v12, 0x32a5705f, v21
	v_cvt_i32_f32_e32 v20, v20
	v_add_f32_e32 v13, v13, v21
	s_delay_alu instid0(VALU_DEP_1) | instskip(SKIP_1) | instid1(TRANS32_DEP_1)
	v_exp_f32_e32 v13, v13
	v_nop
	v_ldexp_f32 v13, v13, v20
	s_delay_alu instid0(VALU_DEP_1) | instskip(SKIP_1) | instid1(VALU_DEP_2)
	v_cndmask_b32_e32 v13, 0, v13, vcc_lo
	v_cmp_nlt_f32_e32 vcc_lo, 0x42b17218, v12
	v_cndmask_b32_e32 v12, 0x7f800000, v13, vcc_lo
	s_delay_alu instid0(VALU_DEP_1) | instskip(NEXT) | instid1(VALU_DEP_1)
	v_dual_mul_f32 v3, v12, v3 :: v_dual_add_f32 v12, 1.0, v12
	v_div_scale_f32 v13, null, v12, v12, v3
	s_delay_alu instid0(VALU_DEP_1) | instskip(SKIP_1) | instid1(TRANS32_DEP_1)
	v_rcp_f32_e32 v20, v13
	v_nop
	v_fma_f32 v21, -v13, v20, 1.0
	s_delay_alu instid0(VALU_DEP_1) | instskip(SKIP_1) | instid1(VALU_DEP_1)
	v_fmac_f32_e32 v20, v21, v20
	v_div_scale_f32 v21, vcc_lo, v3, v12, v3
	v_mul_f32_e32 v24, v21, v20
	s_delay_alu instid0(VALU_DEP_1) | instskip(NEXT) | instid1(VALU_DEP_1)
	v_fma_f32 v25, -v13, v24, v21
	v_fmac_f32_e32 v24, v25, v20
	s_delay_alu instid0(VALU_DEP_1) | instskip(NEXT) | instid1(VALU_DEP_1)
	v_fma_f32 v13, -v13, v24, v21
	v_div_fmas_f32 v13, v13, v20, v24
	s_delay_alu instid0(VALU_DEP_1)
	v_div_fixup_f32 v3, v13, v12, v3
.LBB58_59:
	s_or_b32 exec_lo, exec_lo, s11
	v_bfe_u32 v12, v6, 16, 1
	v_cmp_o_f32_e32 vcc_lo, v6, v6
	s_mov_b32 s11, exec_lo
	s_delay_alu instid0(VALU_DEP_2) | instskip(NEXT) | instid1(VALU_DEP_1)
	v_add3_u32 v12, v6, v12, 0x7fff
	v_and_b32_e32 v12, 0xffff0000, v12
	s_delay_alu instid0(VALU_DEP_1) | instskip(NEXT) | instid1(VALU_DEP_1)
	v_cndmask_b32_e32 v6, 0x7fc00000, v12, vcc_lo
	v_dual_mul_f32 v12, s13, v6 :: v_dual_lshlrev_b32 v6, 16, v4
	s_delay_alu instid0(VALU_DEP_1)
	v_cmpx_nlt_f32_e32 s14, v12
	s_cbranch_execz .LBB58_61
; %bb.60:
	v_mul_f32_e32 v13, 0x3fb8aa3b, v12
	v_cmp_ngt_f32_e32 vcc_lo, 0xc2ce8ed0, v12
	s_delay_alu instid0(VALU_DEP_2) | instskip(SKIP_1) | instid1(VALU_DEP_2)
	v_rndne_f32_e32 v20, v13
	v_fma_f32 v21, 0x3fb8aa3b, v12, -v13
	v_sub_f32_e32 v13, v13, v20
	s_delay_alu instid0(VALU_DEP_2) | instskip(SKIP_1) | instid1(VALU_DEP_2)
	v_fmamk_f32 v21, v12, 0x32a5705f, v21
	v_cvt_i32_f32_e32 v20, v20
	v_add_f32_e32 v13, v13, v21
	s_delay_alu instid0(VALU_DEP_1) | instskip(SKIP_1) | instid1(TRANS32_DEP_1)
	v_exp_f32_e32 v13, v13
	v_nop
	v_ldexp_f32 v13, v13, v20
	s_delay_alu instid0(VALU_DEP_1) | instskip(SKIP_1) | instid1(VALU_DEP_2)
	v_cndmask_b32_e32 v13, 0, v13, vcc_lo
	v_cmp_nlt_f32_e32 vcc_lo, 0x42b17218, v12
	v_cndmask_b32_e32 v12, 0x7f800000, v13, vcc_lo
	s_delay_alu instid0(VALU_DEP_1) | instskip(NEXT) | instid1(VALU_DEP_1)
	v_dual_mul_f32 v6, v12, v6 :: v_dual_add_f32 v12, 1.0, v12
	v_div_scale_f32 v13, null, v12, v12, v6
	s_delay_alu instid0(VALU_DEP_1) | instskip(SKIP_1) | instid1(TRANS32_DEP_1)
	v_rcp_f32_e32 v20, v13
	v_nop
	v_fma_f32 v21, -v13, v20, 1.0
	s_delay_alu instid0(VALU_DEP_1) | instskip(SKIP_1) | instid1(VALU_DEP_1)
	v_fmac_f32_e32 v20, v21, v20
	v_div_scale_f32 v21, vcc_lo, v6, v12, v6
	v_mul_f32_e32 v24, v21, v20
	s_delay_alu instid0(VALU_DEP_1) | instskip(NEXT) | instid1(VALU_DEP_1)
	v_fma_f32 v25, -v13, v24, v21
	v_fmac_f32_e32 v24, v25, v20
	s_delay_alu instid0(VALU_DEP_1) | instskip(NEXT) | instid1(VALU_DEP_1)
	v_fma_f32 v13, -v13, v24, v21
	v_div_fmas_f32 v13, v13, v20, v24
	s_delay_alu instid0(VALU_DEP_1)
	v_div_fixup_f32 v6, v13, v12, v6
.LBB58_61:
	s_or_b32 exec_lo, exec_lo, s11
	v_bfe_u32 v12, v7, 16, 1
	v_cmp_o_f32_e32 vcc_lo, v7, v7
	v_and_b32_e32 v4, 0xffff0000, v4
	s_mov_b32 s11, exec_lo
	s_delay_alu instid0(VALU_DEP_3) | instskip(NEXT) | instid1(VALU_DEP_1)
	v_add3_u32 v12, v7, v12, 0x7fff
	v_and_b32_e32 v12, 0xffff0000, v12
	s_delay_alu instid0(VALU_DEP_1) | instskip(NEXT) | instid1(VALU_DEP_1)
	v_cndmask_b32_e32 v7, 0x7fc00000, v12, vcc_lo
	v_mul_f32_e32 v7, s13, v7
	s_delay_alu instid0(VALU_DEP_1)
	v_cmpx_nlt_f32_e32 s14, v7
	s_cbranch_execz .LBB58_63
; %bb.62:
	v_mul_f32_e32 v12, 0x3fb8aa3b, v7
	v_cmp_ngt_f32_e32 vcc_lo, 0xc2ce8ed0, v7
	s_delay_alu instid0(VALU_DEP_2) | instskip(SKIP_1) | instid1(VALU_DEP_2)
	v_rndne_f32_e32 v13, v12
	v_fma_f32 v20, 0x3fb8aa3b, v7, -v12
	v_sub_f32_e32 v12, v12, v13
	s_delay_alu instid0(VALU_DEP_2) | instskip(SKIP_1) | instid1(VALU_DEP_2)
	v_fmamk_f32 v20, v7, 0x32a5705f, v20
	v_cvt_i32_f32_e32 v13, v13
	v_add_f32_e32 v12, v12, v20
	s_delay_alu instid0(VALU_DEP_1) | instskip(SKIP_1) | instid1(TRANS32_DEP_1)
	v_exp_f32_e32 v12, v12
	v_nop
	v_ldexp_f32 v12, v12, v13
	s_delay_alu instid0(VALU_DEP_1) | instskip(SKIP_1) | instid1(VALU_DEP_2)
	v_cndmask_b32_e32 v12, 0, v12, vcc_lo
	v_cmp_nlt_f32_e32 vcc_lo, 0x42b17218, v7
	v_cndmask_b32_e32 v7, 0x7f800000, v12, vcc_lo
	s_delay_alu instid0(VALU_DEP_1) | instskip(NEXT) | instid1(VALU_DEP_1)
	v_dual_mul_f32 v4, v7, v4 :: v_dual_add_f32 v7, 1.0, v7
	v_div_scale_f32 v12, null, v7, v7, v4
	s_delay_alu instid0(VALU_DEP_1) | instskip(SKIP_1) | instid1(TRANS32_DEP_1)
	v_rcp_f32_e32 v13, v12
	v_nop
	v_fma_f32 v20, -v12, v13, 1.0
	s_delay_alu instid0(VALU_DEP_1) | instskip(SKIP_1) | instid1(VALU_DEP_1)
	v_fmac_f32_e32 v13, v20, v13
	v_div_scale_f32 v20, vcc_lo, v4, v7, v4
	v_mul_f32_e32 v21, v20, v13
	s_delay_alu instid0(VALU_DEP_1) | instskip(NEXT) | instid1(VALU_DEP_1)
	v_fma_f32 v24, -v12, v21, v20
	v_fmac_f32_e32 v21, v24, v13
	s_delay_alu instid0(VALU_DEP_1) | instskip(NEXT) | instid1(VALU_DEP_1)
	v_fma_f32 v12, -v12, v21, v20
	v_div_fmas_f32 v12, v12, v13, v21
	s_delay_alu instid0(VALU_DEP_1)
	v_div_fixup_f32 v4, v12, v7, v4
.LBB58_63:
	s_or_b32 exec_lo, exec_lo, s11
	v_bfe_u32 v7, v8, 16, 1
	v_cmp_o_f32_e32 vcc_lo, v8, v8
	s_mov_b32 s11, exec_lo
	s_delay_alu instid0(VALU_DEP_2) | instskip(NEXT) | instid1(VALU_DEP_1)
	v_add3_u32 v7, v8, v7, 0x7fff
	v_and_b32_e32 v7, 0xffff0000, v7
	s_delay_alu instid0(VALU_DEP_1) | instskip(NEXT) | instid1(VALU_DEP_1)
	v_cndmask_b32_e32 v7, 0x7fc00000, v7, vcc_lo
	v_dual_mul_f32 v8, s13, v7 :: v_dual_lshlrev_b32 v7, 16, v5
	s_delay_alu instid0(VALU_DEP_1)
	v_cmpx_nlt_f32_e32 s14, v8
	s_cbranch_execz .LBB58_65
; %bb.64:
	v_mul_f32_e32 v12, 0x3fb8aa3b, v8
	v_cmp_ngt_f32_e32 vcc_lo, 0xc2ce8ed0, v8
	s_delay_alu instid0(VALU_DEP_2) | instskip(SKIP_1) | instid1(VALU_DEP_2)
	v_rndne_f32_e32 v13, v12
	v_fma_f32 v20, 0x3fb8aa3b, v8, -v12
	v_sub_f32_e32 v12, v12, v13
	s_delay_alu instid0(VALU_DEP_2) | instskip(SKIP_1) | instid1(VALU_DEP_2)
	v_fmamk_f32 v20, v8, 0x32a5705f, v20
	v_cvt_i32_f32_e32 v13, v13
	v_add_f32_e32 v12, v12, v20
	s_delay_alu instid0(VALU_DEP_1) | instskip(SKIP_1) | instid1(TRANS32_DEP_1)
	v_exp_f32_e32 v12, v12
	v_nop
	v_ldexp_f32 v12, v12, v13
	s_delay_alu instid0(VALU_DEP_1) | instskip(SKIP_1) | instid1(VALU_DEP_2)
	v_cndmask_b32_e32 v12, 0, v12, vcc_lo
	v_cmp_nlt_f32_e32 vcc_lo, 0x42b17218, v8
	v_cndmask_b32_e32 v8, 0x7f800000, v12, vcc_lo
	s_delay_alu instid0(VALU_DEP_1) | instskip(NEXT) | instid1(VALU_DEP_1)
	v_dual_mul_f32 v7, v8, v7 :: v_dual_add_f32 v8, 1.0, v8
	v_div_scale_f32 v12, null, v8, v8, v7
	s_delay_alu instid0(VALU_DEP_1) | instskip(SKIP_1) | instid1(TRANS32_DEP_1)
	v_rcp_f32_e32 v13, v12
	v_nop
	v_fma_f32 v20, -v12, v13, 1.0
	s_delay_alu instid0(VALU_DEP_1) | instskip(SKIP_1) | instid1(VALU_DEP_1)
	v_fmac_f32_e32 v13, v20, v13
	v_div_scale_f32 v20, vcc_lo, v7, v8, v7
	v_mul_f32_e32 v21, v20, v13
	s_delay_alu instid0(VALU_DEP_1) | instskip(NEXT) | instid1(VALU_DEP_1)
	v_fma_f32 v24, -v12, v21, v20
	v_fmac_f32_e32 v21, v24, v13
	s_delay_alu instid0(VALU_DEP_1) | instskip(NEXT) | instid1(VALU_DEP_1)
	v_fma_f32 v12, -v12, v21, v20
	v_div_fmas_f32 v12, v12, v13, v21
	s_delay_alu instid0(VALU_DEP_1)
	v_div_fixup_f32 v7, v12, v8, v7
.LBB58_65:
	s_or_b32 exec_lo, exec_lo, s11
	v_bfe_u32 v8, v9, 16, 1
	v_cmp_o_f32_e32 vcc_lo, v9, v9
	v_and_b32_e32 v5, 0xffff0000, v5
	s_mov_b32 s11, exec_lo
	s_delay_alu instid0(VALU_DEP_3) | instskip(NEXT) | instid1(VALU_DEP_1)
	v_add3_u32 v8, v9, v8, 0x7fff
	v_and_b32_e32 v8, 0xffff0000, v8
	s_delay_alu instid0(VALU_DEP_1) | instskip(NEXT) | instid1(VALU_DEP_1)
	v_cndmask_b32_e32 v8, 0x7fc00000, v8, vcc_lo
	v_mul_f32_e32 v8, s13, v8
	s_delay_alu instid0(VALU_DEP_1)
	v_cmpx_nlt_f32_e32 s14, v8
	s_cbranch_execz .LBB58_67
; %bb.66:
	v_mul_f32_e32 v9, 0x3fb8aa3b, v8
	v_cmp_ngt_f32_e32 vcc_lo, 0xc2ce8ed0, v8
	s_delay_alu instid0(VALU_DEP_2) | instskip(SKIP_1) | instid1(VALU_DEP_2)
	v_rndne_f32_e32 v12, v9
	v_fma_f32 v13, 0x3fb8aa3b, v8, -v9
	v_sub_f32_e32 v9, v9, v12
	s_delay_alu instid0(VALU_DEP_2) | instskip(SKIP_1) | instid1(VALU_DEP_2)
	v_fmamk_f32 v13, v8, 0x32a5705f, v13
	v_cvt_i32_f32_e32 v12, v12
	v_add_f32_e32 v9, v9, v13
	s_delay_alu instid0(VALU_DEP_1) | instskip(SKIP_1) | instid1(TRANS32_DEP_1)
	v_exp_f32_e32 v9, v9
	v_nop
	v_ldexp_f32 v9, v9, v12
	s_delay_alu instid0(VALU_DEP_1) | instskip(SKIP_1) | instid1(VALU_DEP_2)
	v_cndmask_b32_e32 v9, 0, v9, vcc_lo
	v_cmp_nlt_f32_e32 vcc_lo, 0x42b17218, v8
	v_cndmask_b32_e32 v8, 0x7f800000, v9, vcc_lo
	s_delay_alu instid0(VALU_DEP_1) | instskip(NEXT) | instid1(VALU_DEP_1)
	v_dual_mul_f32 v5, v8, v5 :: v_dual_add_f32 v8, 1.0, v8
	v_div_scale_f32 v9, null, v8, v8, v5
	s_delay_alu instid0(VALU_DEP_1) | instskip(SKIP_1) | instid1(TRANS32_DEP_1)
	v_rcp_f32_e32 v12, v9
	v_nop
	v_fma_f32 v13, -v9, v12, 1.0
	s_delay_alu instid0(VALU_DEP_1) | instskip(SKIP_1) | instid1(VALU_DEP_1)
	v_fmac_f32_e32 v12, v13, v12
	v_div_scale_f32 v13, vcc_lo, v5, v8, v5
	v_mul_f32_e32 v20, v13, v12
	s_delay_alu instid0(VALU_DEP_1) | instskip(NEXT) | instid1(VALU_DEP_1)
	v_fma_f32 v21, -v9, v20, v13
	v_fmac_f32_e32 v20, v21, v12
	s_delay_alu instid0(VALU_DEP_1) | instskip(NEXT) | instid1(VALU_DEP_1)
	v_fma_f32 v9, -v9, v20, v13
	v_div_fmas_f32 v9, v9, v12, v20
	s_delay_alu instid0(VALU_DEP_1)
	v_div_fixup_f32 v5, v9, v8, v5
.LBB58_67:
	s_or_b32 exec_lo, exec_lo, s11
	v_bfe_u32 v8, v1, 16, 1
	v_bfe_u32 v9, v38, 16, 1
	;; [unrolled: 1-line block ×3, first 2 shown]
	v_cmp_o_f32_e32 vcc_lo, v1, v1
	v_bfe_u32 v21, v41, 16, 1
	v_add3_u32 v8, v1, v8, 0x7fff
	v_add3_u32 v9, v38, v9, 0x7fff
	v_bfe_u32 v24, v40, 16, 1
	v_add3_u32 v20, v42, v20, 0x7fff
	v_bfe_u32 v25, v43, 16, 1
	s_delay_alu instid0(VALU_DEP_4) | instskip(SKIP_3) | instid1(VALU_DEP_3)
	v_dual_lshrrev_b32 v8, 16, v8 :: v_dual_lshrrev_b32 v9, 16, v9
	v_bfe_u32 v12, v46, 16, 1
	v_bfe_u32 v13, v39, 16, 1
	s_add_nc_u64 s[8:9], s[4:5], s[8:9]
	v_cndmask_b32_e32 v1, 0x7fc0, v8, vcc_lo
	v_cmp_o_f32_e32 vcc_lo, v38, v38
	v_add3_u32 v8, v41, v21, 0x7fff
	v_add3_u32 v21, v40, v24, 0x7fff
	;; [unrolled: 1-line block ×3, first 2 shown]
	v_dual_cndmask_b32 v9, 0x7fc0, v9 :: v_dual_lshrrev_b32 v20, 16, v20
	v_cmp_o_f32_e32 vcc_lo, v42, v42
	s_delay_alu instid0(VALU_DEP_3)
	v_dual_lshrrev_b32 v21, 16, v21 :: v_dual_lshrrev_b32 v24, 16, v24
	v_add3_u32 v12, v46, v12, 0x7fff
	v_lshrrev_b32_e32 v8, 16, v8
	v_cndmask_b32_e32 v20, 0x7fc0, v20, vcc_lo
	v_cmp_o_f32_e32 vcc_lo, v40, v40
	v_add3_u32 v13, v39, v13, 0x7fff
	v_lshrrev_b32_e32 v12, 16, v12
	v_perm_b32 v36, v9, v1, 0x5040100
	v_cndmask_b32_e32 v21, 0x7fc0, v21, vcc_lo
	v_cmp_o_f32_e32 vcc_lo, v43, v43
	v_lshrrev_b32_e32 v13, 16, v13
	s_delay_alu instid0(VALU_DEP_3)
	v_perm_b32 v38, v21, v20, 0x5040100
	v_cndmask_b32_e32 v24, 0x7fc0, v24, vcc_lo
	v_cmp_o_f32_e32 vcc_lo, v41, v41
	v_bfe_u32 v21, v35, 16, 1
	v_bfe_u32 v20, v26, 16, 1
	v_cndmask_b32_e32 v8, 0x7fc0, v8, vcc_lo
	v_cmp_o_f32_e32 vcc_lo, v46, v46
	v_cndmask_b32_e32 v12, 0x7fc0, v12, vcc_lo
	v_cmp_o_f32_e32 vcc_lo, v39, v39
	;; [unrolled: 2-line block ×3, first 2 shown]
	s_delay_alu instid0(VALU_DEP_2) | instskip(SKIP_3) | instid1(VALU_DEP_3)
	v_perm_b32 v37, v13, v12, 0x5040100
	v_add3_u32 v13, v35, v21, 0x7fff
	v_bfe_u32 v21, v28, 16, 1
	v_add3_u32 v12, v26, v20, 0x7fff
	v_lshrrev_b32_e32 v9, 16, v13
	v_bfe_u32 v13, v30, 16, 1
	s_delay_alu instid0(VALU_DEP_4) | instskip(NEXT) | instid1(VALU_DEP_2)
	v_add3_u32 v21, v28, v21, 0x7fff
	v_add3_u32 v13, v30, v13, 0x7fff
	s_delay_alu instid0(VALU_DEP_2) | instskip(NEXT) | instid1(VALU_DEP_2)
	v_lshrrev_b32_e32 v21, 16, v21
	v_lshrrev_b32_e32 v13, 16, v13
	v_perm_b32 v39, v8, v24, 0x5040100
	v_bfe_u32 v8, v34, 16, 1
	v_bfe_u32 v24, v27, 16, 1
	s_delay_alu instid0(VALU_DEP_2) | instskip(NEXT) | instid1(VALU_DEP_2)
	v_add3_u32 v8, v34, v8, 0x7fff
	v_add3_u32 v20, v27, v24, 0x7fff
	v_bfe_u32 v24, v31, 16, 1
	s_delay_alu instid0(VALU_DEP_3) | instskip(SKIP_1) | instid1(VALU_DEP_4)
	v_lshrrev_b32_e32 v1, 16, v8
	v_lshrrev_b32_e32 v8, 16, v12
	;; [unrolled: 1-line block ×3, first 2 shown]
	v_bfe_u32 v20, v29, 16, 1
	v_add3_u32 v24, v31, v24, 0x7fff
	v_cndmask_b32_e32 v1, 0x7fc0, v1, vcc_lo
	v_cmp_o_f32_e32 vcc_lo, v26, v26
	s_delay_alu instid0(VALU_DEP_4) | instskip(NEXT) | instid1(VALU_DEP_4)
	v_add3_u32 v20, v29, v20, 0x7fff
	v_lshrrev_b32_e32 v24, 16, v24
	v_cndmask_b32_e32 v8, 0x7fc0, v8, vcc_lo
	v_cmp_o_f32_e32 vcc_lo, v30, v30
	s_delay_alu instid0(VALU_DEP_4)
	v_dual_cndmask_b32 v13, 0x7fc0, v13 :: v_dual_lshrrev_b32 v20, 16, v20
	v_cmp_o_f32_e32 vcc_lo, v28, v28
	v_cndmask_b32_e32 v21, 0x7fc0, v21, vcc_lo
	v_cmp_o_f32_e32 vcc_lo, v31, v31
	v_cndmask_b32_e32 v24, 0x7fc0, v24, vcc_lo
	;; [unrolled: 2-line block ×4, first 2 shown]
	v_cmp_o_f32_e32 vcc_lo, v27, v27
	s_delay_alu instid0(VALU_DEP_4) | instskip(SKIP_4) | instid1(VALU_DEP_2)
	v_perm_b32 v27, v20, v24, 0x5040100
	v_bfe_u32 v20, v14, 16, 1
	v_bfe_u32 v24, v15, 16, 1
	v_cndmask_b32_e32 v12, 0x7fc0, v12, vcc_lo
	v_cmp_o_f32_e32 vcc_lo, v22, v22
	v_perm_b32 v25, v12, v9, 0x5040100
	v_add3_u32 v12, v14, v20, 0x7fff
	v_add3_u32 v20, v15, v24, 0x7fff
	v_perm_b32 v24, v8, v1, 0x5040100
	s_delay_alu instid0(VALU_DEP_3)
	v_lshrrev_b32_e32 v8, 16, v12
	v_perm_b32 v26, v21, v13, 0x5040100
	v_bfe_u32 v13, v22, 16, 1
	v_bfe_u32 v21, v23, 16, 1
	v_lshrrev_b32_e32 v12, 16, v20
	v_bfe_u32 v20, v19, 16, 1
	s_clause 0x1
	global_store_b128 v0, v[36:39], s[8:9] scale_offset
	global_store_b128 v0, v[24:27], s[8:9] offset:8192 scale_offset
	v_add3_u32 v9, v22, v13, 0x7fff
	v_add3_u32 v13, v23, v21, 0x7fff
	v_bfe_u32 v21, v16, 16, 1
	v_add3_u32 v20, v19, v20, 0x7fff
	s_delay_alu instid0(VALU_DEP_4) | instskip(NEXT) | instid1(VALU_DEP_4)
	v_lshrrev_b32_e32 v1, 16, v9
	v_lshrrev_b32_e32 v9, 16, v13
	v_bfe_u32 v13, v18, 16, 1
	v_add3_u32 v21, v16, v21, 0x7fff
	s_delay_alu instid0(VALU_DEP_4)
	v_cndmask_b32_e32 v1, 0x7fc0, v1, vcc_lo
	v_cmp_o_f32_e32 vcc_lo, v14, v14
	v_bfe_u32 v14, v17, 16, 1
	v_add3_u32 v13, v18, v13, 0x7fff
	v_cndmask_b32_e32 v8, 0x7fc0, v8, vcc_lo
	v_cmp_o_f32_e32 vcc_lo, v23, v23
	s_delay_alu instid0(VALU_DEP_4) | instskip(NEXT) | instid1(VALU_DEP_4)
	v_add3_u32 v14, v17, v14, 0x7fff
	v_lshrrev_b32_e32 v13, 16, v13
	v_cndmask_b32_e32 v9, 0x7fc0, v9, vcc_lo
	v_cmp_o_f32_e32 vcc_lo, v15, v15
	v_dual_lshrrev_b32 v15, 16, v20 :: v_dual_lshrrev_b32 v20, 16, v21
	v_lshrrev_b32_e32 v14, 16, v14
	v_cndmask_b32_e32 v12, 0x7fc0, v12, vcc_lo
	v_cmp_o_f32_e32 vcc_lo, v19, v19
	v_bfe_u32 v19, v11, 16, 1
	v_cndmask_b32_e32 v15, 0x7fc0, v15, vcc_lo
	v_cmp_o_f32_e32 vcc_lo, v17, v17
	v_bfe_u32 v17, v10, 16, 1
	;; [unrolled: 3-line block ×3, first 2 shown]
	s_delay_alu instid0(VALU_DEP_3)
	v_perm_b32 v15, v14, v15, 0x5040100
	v_cndmask_b32_e32 v13, 0x7fc0, v13, vcc_lo
	v_cmp_o_f32_e32 vcc_lo, v16, v16
	v_cndmask_b32_e32 v16, 0x7fc0, v20, vcc_lo
	v_bfe_u32 v20, v3, 16, 1
	v_cmp_o_f32_e32 vcc_lo, v10, v10
	s_delay_alu instid0(VALU_DEP_3)
	v_perm_b32 v14, v16, v13, 0x5040100
	v_add3_u32 v16, v10, v17, 0x7fff
	v_add3_u32 v17, v2, v18, 0x7fff
	;; [unrolled: 1-line block ×3, first 2 shown]
	v_perm_b32 v13, v12, v9, 0x5040100
	v_add3_u32 v19, v3, v20, 0x7fff
	v_lshrrev_b32_e32 v9, 16, v16
	v_bfe_u32 v10, v6, 16, 1
	v_dual_lshrrev_b32 v16, 16, v18 :: v_dual_lshrrev_b32 v12, 16, v17
	s_delay_alu instid0(VALU_DEP_4) | instskip(NEXT) | instid1(VALU_DEP_4)
	v_lshrrev_b32_e32 v17, 16, v19
	v_cndmask_b32_e32 v9, 0x7fc0, v9, vcc_lo
	v_cmp_o_f32_e32 vcc_lo, v11, v11
	v_bfe_u32 v18, v5, 16, 1
	v_bfe_u32 v19, v4, 16, 1
	;; [unrolled: 1-line block ×3, first 2 shown]
	v_add3_u32 v10, v6, v10, 0x7fff
	v_cndmask_b32_e32 v11, 0x7fc0, v16, vcc_lo
	v_cmp_o_f32_e32 vcc_lo, v3, v3
	v_add3_u32 v16, v5, v18, 0x7fff
	v_add3_u32 v18, v4, v19, 0x7fff
	;; [unrolled: 1-line block ×3, first 2 shown]
	v_dual_cndmask_b32 v3, 0x7fc0, v17 :: v_dual_lshrrev_b32 v10, 16, v10
	v_cmp_o_f32_e32 vcc_lo, v6, v6
	s_delay_alu instid0(VALU_DEP_3) | instskip(SKIP_1) | instid1(VALU_DEP_4)
	v_dual_lshrrev_b32 v17, 16, v18 :: v_dual_lshrrev_b32 v18, 16, v19
	v_lshrrev_b32_e32 v16, 16, v16
	v_perm_b32 v3, v3, v11, 0x5040100
	v_cndmask_b32_e32 v6, 0x7fc0, v10, vcc_lo
	v_cmp_o_f32_e32 vcc_lo, v7, v7
	v_cndmask_b32_e32 v7, 0x7fc0, v18, vcc_lo
	v_cmp_o_f32_e32 vcc_lo, v5, v5
	;; [unrolled: 2-line block ×3, first 2 shown]
	s_delay_alu instid0(VALU_DEP_2) | instskip(SKIP_2) | instid1(VALU_DEP_2)
	v_perm_b32 v5, v5, v7, 0x5040100
	v_cndmask_b32_e32 v4, 0x7fc0, v17, vcc_lo
	v_cmp_o_f32_e32 vcc_lo, v2, v2
	v_perm_b32 v4, v4, v6, 0x5040100
	v_cndmask_b32_e32 v2, 0x7fc0, v12, vcc_lo
	v_perm_b32 v12, v8, v1, 0x5040100
	s_delay_alu instid0(VALU_DEP_2)
	v_perm_b32 v2, v2, v9, 0x5040100
	s_clause 0x1
	global_store_b128 v0, v[12:15], s[8:9] offset:16384 scale_offset
	global_store_b128 v0, v[2:5], s[8:9] offset:24576 scale_offset
	s_branch .LBB58_2
.LBB58_68:
	s_clause 0x1
	s_load_b32 s11, s[0:1], 0x2c
	s_load_b128 s[16:19], s[0:1], 0x30
	v_dual_mov_b32 v31, v0 :: v_dual_mov_b32 v0, s13
	v_dual_mov_b32 v1, s14 :: v_dual_mov_b32 v2, s4
	;; [unrolled: 1-line block ×5, first 2 shown]
	s_add_nc_u64 s[8:9], s[0:1], 64
	s_wait_xcnt 0x0
	s_get_pc_i64 s[0:1]
	s_add_nc_u64 s[0:1], s[0:1], _ZN2at6native25elementwise_kernel_helperILb1EZZZNS0_12_GLOBAL__N_124softplus_backward_kernelERNS_18TensorIteratorBaseERKN3c106ScalarES8_ENKUlvE_clEvENKUlvE0_clEvEUlffE_NS0_6memory8policies11unroll_baseILi512ESt5arrayIPcLm3EE23TrivialOffsetCalculatorILi2EjESI_ILi1EjENSC_12LoadWithCastILi2EEENSC_13StoreWithCastILi1EEELi32ELi1EEEEEvT0_T1_@rel64+4
	s_wait_kmcnt 0x0
	s_bfe_u32 s12, s11, 0x80008
	v_dual_mov_b32 v9, s11 :: v_dual_mov_b32 v11, s16
	v_dual_mov_b32 v12, s17 :: v_dual_mov_b32 v13, s18
	;; [unrolled: 1-line block ×3, first 2 shown]
	s_swap_pc_i64 s[30:31], s[0:1]
	s_endpgm
	.section	.rodata,"a",@progbits
	.p2align	6, 0x0
	.amdhsa_kernel _ZN2at6native39vectorized_templated_elementwise_kernelILi8EZZZNS0_12_GLOBAL__N_124softplus_backward_kernelERNS_18TensorIteratorBaseERKN3c106ScalarES8_ENKUlvE_clEvENKUlvE0_clEvEUlffE_St5arrayIPcLm3EE23TrivialOffsetCalculatorILi2EjESF_ILi1EjENS0_6memory12LoadWithCastILi2EEENSI_13StoreWithCastILi1EEENS5_8BFloat16EJSN_fEEEviT0_T1_T2_T3_T4_T5_
		.amdhsa_group_segment_fixed_size 0
		.amdhsa_private_segment_fixed_size 272
		.amdhsa_kernarg_size 320
		.amdhsa_user_sgpr_count 2
		.amdhsa_user_sgpr_dispatch_ptr 0
		.amdhsa_user_sgpr_queue_ptr 0
		.amdhsa_user_sgpr_kernarg_segment_ptr 1
		.amdhsa_user_sgpr_dispatch_id 0
		.amdhsa_user_sgpr_kernarg_preload_length 0
		.amdhsa_user_sgpr_kernarg_preload_offset 0
		.amdhsa_user_sgpr_private_segment_size 0
		.amdhsa_wavefront_size32 1
		.amdhsa_uses_dynamic_stack 0
		.amdhsa_enable_private_segment 1
		.amdhsa_system_sgpr_workgroup_id_x 1
		.amdhsa_system_sgpr_workgroup_id_y 0
		.amdhsa_system_sgpr_workgroup_id_z 0
		.amdhsa_system_sgpr_workgroup_info 0
		.amdhsa_system_vgpr_workitem_id 0
		.amdhsa_next_free_vgpr 132
		.amdhsa_next_free_sgpr 96
		.amdhsa_named_barrier_count 0
		.amdhsa_reserve_vcc 1
		.amdhsa_float_round_mode_32 0
		.amdhsa_float_round_mode_16_64 0
		.amdhsa_float_denorm_mode_32 3
		.amdhsa_float_denorm_mode_16_64 3
		.amdhsa_fp16_overflow 0
		.amdhsa_memory_ordered 1
		.amdhsa_forward_progress 1
		.amdhsa_inst_pref_size 89
		.amdhsa_round_robin_scheduling 0
		.amdhsa_exception_fp_ieee_invalid_op 0
		.amdhsa_exception_fp_denorm_src 0
		.amdhsa_exception_fp_ieee_div_zero 0
		.amdhsa_exception_fp_ieee_overflow 0
		.amdhsa_exception_fp_ieee_underflow 0
		.amdhsa_exception_fp_ieee_inexact 0
		.amdhsa_exception_int_div_zero 0
	.end_amdhsa_kernel
	.section	.text._ZN2at6native39vectorized_templated_elementwise_kernelILi8EZZZNS0_12_GLOBAL__N_124softplus_backward_kernelERNS_18TensorIteratorBaseERKN3c106ScalarES8_ENKUlvE_clEvENKUlvE0_clEvEUlffE_St5arrayIPcLm3EE23TrivialOffsetCalculatorILi2EjESF_ILi1EjENS0_6memory12LoadWithCastILi2EEENSI_13StoreWithCastILi1EEENS5_8BFloat16EJSN_fEEEviT0_T1_T2_T3_T4_T5_,"axG",@progbits,_ZN2at6native39vectorized_templated_elementwise_kernelILi8EZZZNS0_12_GLOBAL__N_124softplus_backward_kernelERNS_18TensorIteratorBaseERKN3c106ScalarES8_ENKUlvE_clEvENKUlvE0_clEvEUlffE_St5arrayIPcLm3EE23TrivialOffsetCalculatorILi2EjESF_ILi1EjENS0_6memory12LoadWithCastILi2EEENSI_13StoreWithCastILi1EEENS5_8BFloat16EJSN_fEEEviT0_T1_T2_T3_T4_T5_,comdat
.Lfunc_end58:
	.size	_ZN2at6native39vectorized_templated_elementwise_kernelILi8EZZZNS0_12_GLOBAL__N_124softplus_backward_kernelERNS_18TensorIteratorBaseERKN3c106ScalarES8_ENKUlvE_clEvENKUlvE0_clEvEUlffE_St5arrayIPcLm3EE23TrivialOffsetCalculatorILi2EjESF_ILi1EjENS0_6memory12LoadWithCastILi2EEENSI_13StoreWithCastILi1EEENS5_8BFloat16EJSN_fEEEviT0_T1_T2_T3_T4_T5_, .Lfunc_end58-_ZN2at6native39vectorized_templated_elementwise_kernelILi8EZZZNS0_12_GLOBAL__N_124softplus_backward_kernelERNS_18TensorIteratorBaseERKN3c106ScalarES8_ENKUlvE_clEvENKUlvE0_clEvEUlffE_St5arrayIPcLm3EE23TrivialOffsetCalculatorILi2EjESF_ILi1EjENS0_6memory12LoadWithCastILi2EEENSI_13StoreWithCastILi1EEENS5_8BFloat16EJSN_fEEEviT0_T1_T2_T3_T4_T5_
                                        ; -- End function
	.set _ZN2at6native39vectorized_templated_elementwise_kernelILi8EZZZNS0_12_GLOBAL__N_124softplus_backward_kernelERNS_18TensorIteratorBaseERKN3c106ScalarES8_ENKUlvE_clEvENKUlvE0_clEvEUlffE_St5arrayIPcLm3EE23TrivialOffsetCalculatorILi2EjESF_ILi1EjENS0_6memory12LoadWithCastILi2EEENSI_13StoreWithCastILi1EEENS5_8BFloat16EJSN_fEEEviT0_T1_T2_T3_T4_T5_.num_vgpr, max(55, .L_ZN2at6native25elementwise_kernel_helperILb1EZZZNS0_12_GLOBAL__N_124softplus_backward_kernelERNS_18TensorIteratorBaseERKN3c106ScalarES8_ENKUlvE_clEvENKUlvE0_clEvEUlffE_NS0_6memory8policies11unroll_baseILi512ESt5arrayIPcLm3EE23TrivialOffsetCalculatorILi2EjESI_ILi1EjENSC_12LoadWithCastILi2EEENSC_13StoreWithCastILi1EEELi32ELi1EEEEEvT0_T1_.num_vgpr)
	.set _ZN2at6native39vectorized_templated_elementwise_kernelILi8EZZZNS0_12_GLOBAL__N_124softplus_backward_kernelERNS_18TensorIteratorBaseERKN3c106ScalarES8_ENKUlvE_clEvENKUlvE0_clEvEUlffE_St5arrayIPcLm3EE23TrivialOffsetCalculatorILi2EjESF_ILi1EjENS0_6memory12LoadWithCastILi2EEENSI_13StoreWithCastILi1EEENS5_8BFloat16EJSN_fEEEviT0_T1_T2_T3_T4_T5_.num_agpr, max(0, .L_ZN2at6native25elementwise_kernel_helperILb1EZZZNS0_12_GLOBAL__N_124softplus_backward_kernelERNS_18TensorIteratorBaseERKN3c106ScalarES8_ENKUlvE_clEvENKUlvE0_clEvEUlffE_NS0_6memory8policies11unroll_baseILi512ESt5arrayIPcLm3EE23TrivialOffsetCalculatorILi2EjESI_ILi1EjENSC_12LoadWithCastILi2EEENSC_13StoreWithCastILi1EEELi32ELi1EEEEEvT0_T1_.num_agpr)
	.set _ZN2at6native39vectorized_templated_elementwise_kernelILi8EZZZNS0_12_GLOBAL__N_124softplus_backward_kernelERNS_18TensorIteratorBaseERKN3c106ScalarES8_ENKUlvE_clEvENKUlvE0_clEvEUlffE_St5arrayIPcLm3EE23TrivialOffsetCalculatorILi2EjESF_ILi1EjENS0_6memory12LoadWithCastILi2EEENSI_13StoreWithCastILi1EEENS5_8BFloat16EJSN_fEEEviT0_T1_T2_T3_T4_T5_.numbered_sgpr, max(33, .L_ZN2at6native25elementwise_kernel_helperILb1EZZZNS0_12_GLOBAL__N_124softplus_backward_kernelERNS_18TensorIteratorBaseERKN3c106ScalarES8_ENKUlvE_clEvENKUlvE0_clEvEUlffE_NS0_6memory8policies11unroll_baseILi512ESt5arrayIPcLm3EE23TrivialOffsetCalculatorILi2EjESI_ILi1EjENSC_12LoadWithCastILi2EEENSC_13StoreWithCastILi1EEELi32ELi1EEEEEvT0_T1_.numbered_sgpr)
	.set _ZN2at6native39vectorized_templated_elementwise_kernelILi8EZZZNS0_12_GLOBAL__N_124softplus_backward_kernelERNS_18TensorIteratorBaseERKN3c106ScalarES8_ENKUlvE_clEvENKUlvE0_clEvEUlffE_St5arrayIPcLm3EE23TrivialOffsetCalculatorILi2EjESF_ILi1EjENS0_6memory12LoadWithCastILi2EEENSI_13StoreWithCastILi1EEENS5_8BFloat16EJSN_fEEEviT0_T1_T2_T3_T4_T5_.num_named_barrier, max(0, .L_ZN2at6native25elementwise_kernel_helperILb1EZZZNS0_12_GLOBAL__N_124softplus_backward_kernelERNS_18TensorIteratorBaseERKN3c106ScalarES8_ENKUlvE_clEvENKUlvE0_clEvEUlffE_NS0_6memory8policies11unroll_baseILi512ESt5arrayIPcLm3EE23TrivialOffsetCalculatorILi2EjESI_ILi1EjENSC_12LoadWithCastILi2EEENSC_13StoreWithCastILi1EEELi32ELi1EEEEEvT0_T1_.num_named_barrier)
	.set _ZN2at6native39vectorized_templated_elementwise_kernelILi8EZZZNS0_12_GLOBAL__N_124softplus_backward_kernelERNS_18TensorIteratorBaseERKN3c106ScalarES8_ENKUlvE_clEvENKUlvE0_clEvEUlffE_St5arrayIPcLm3EE23TrivialOffsetCalculatorILi2EjESF_ILi1EjENS0_6memory12LoadWithCastILi2EEENSI_13StoreWithCastILi1EEENS5_8BFloat16EJSN_fEEEviT0_T1_T2_T3_T4_T5_.private_seg_size, 0+max(.L_ZN2at6native25elementwise_kernel_helperILb1EZZZNS0_12_GLOBAL__N_124softplus_backward_kernelERNS_18TensorIteratorBaseERKN3c106ScalarES8_ENKUlvE_clEvENKUlvE0_clEvEUlffE_NS0_6memory8policies11unroll_baseILi512ESt5arrayIPcLm3EE23TrivialOffsetCalculatorILi2EjESI_ILi1EjENSC_12LoadWithCastILi2EEENSC_13StoreWithCastILi1EEELi32ELi1EEEEEvT0_T1_.private_seg_size)
	.set _ZN2at6native39vectorized_templated_elementwise_kernelILi8EZZZNS0_12_GLOBAL__N_124softplus_backward_kernelERNS_18TensorIteratorBaseERKN3c106ScalarES8_ENKUlvE_clEvENKUlvE0_clEvEUlffE_St5arrayIPcLm3EE23TrivialOffsetCalculatorILi2EjESF_ILi1EjENS0_6memory12LoadWithCastILi2EEENSI_13StoreWithCastILi1EEENS5_8BFloat16EJSN_fEEEviT0_T1_T2_T3_T4_T5_.uses_vcc, or(1, .L_ZN2at6native25elementwise_kernel_helperILb1EZZZNS0_12_GLOBAL__N_124softplus_backward_kernelERNS_18TensorIteratorBaseERKN3c106ScalarES8_ENKUlvE_clEvENKUlvE0_clEvEUlffE_NS0_6memory8policies11unroll_baseILi512ESt5arrayIPcLm3EE23TrivialOffsetCalculatorILi2EjESI_ILi1EjENSC_12LoadWithCastILi2EEENSC_13StoreWithCastILi1EEELi32ELi1EEEEEvT0_T1_.uses_vcc)
	.set _ZN2at6native39vectorized_templated_elementwise_kernelILi8EZZZNS0_12_GLOBAL__N_124softplus_backward_kernelERNS_18TensorIteratorBaseERKN3c106ScalarES8_ENKUlvE_clEvENKUlvE0_clEvEUlffE_St5arrayIPcLm3EE23TrivialOffsetCalculatorILi2EjESF_ILi1EjENS0_6memory12LoadWithCastILi2EEENSI_13StoreWithCastILi1EEENS5_8BFloat16EJSN_fEEEviT0_T1_T2_T3_T4_T5_.uses_flat_scratch, or(0, .L_ZN2at6native25elementwise_kernel_helperILb1EZZZNS0_12_GLOBAL__N_124softplus_backward_kernelERNS_18TensorIteratorBaseERKN3c106ScalarES8_ENKUlvE_clEvENKUlvE0_clEvEUlffE_NS0_6memory8policies11unroll_baseILi512ESt5arrayIPcLm3EE23TrivialOffsetCalculatorILi2EjESI_ILi1EjENSC_12LoadWithCastILi2EEENSC_13StoreWithCastILi1EEELi32ELi1EEEEEvT0_T1_.uses_flat_scratch)
	.set _ZN2at6native39vectorized_templated_elementwise_kernelILi8EZZZNS0_12_GLOBAL__N_124softplus_backward_kernelERNS_18TensorIteratorBaseERKN3c106ScalarES8_ENKUlvE_clEvENKUlvE0_clEvEUlffE_St5arrayIPcLm3EE23TrivialOffsetCalculatorILi2EjESF_ILi1EjENS0_6memory12LoadWithCastILi2EEENSI_13StoreWithCastILi1EEENS5_8BFloat16EJSN_fEEEviT0_T1_T2_T3_T4_T5_.has_dyn_sized_stack, or(0, .L_ZN2at6native25elementwise_kernel_helperILb1EZZZNS0_12_GLOBAL__N_124softplus_backward_kernelERNS_18TensorIteratorBaseERKN3c106ScalarES8_ENKUlvE_clEvENKUlvE0_clEvEUlffE_NS0_6memory8policies11unroll_baseILi512ESt5arrayIPcLm3EE23TrivialOffsetCalculatorILi2EjESI_ILi1EjENSC_12LoadWithCastILi2EEENSC_13StoreWithCastILi1EEELi32ELi1EEEEEvT0_T1_.has_dyn_sized_stack)
	.set _ZN2at6native39vectorized_templated_elementwise_kernelILi8EZZZNS0_12_GLOBAL__N_124softplus_backward_kernelERNS_18TensorIteratorBaseERKN3c106ScalarES8_ENKUlvE_clEvENKUlvE0_clEvEUlffE_St5arrayIPcLm3EE23TrivialOffsetCalculatorILi2EjESF_ILi1EjENS0_6memory12LoadWithCastILi2EEENSI_13StoreWithCastILi1EEENS5_8BFloat16EJSN_fEEEviT0_T1_T2_T3_T4_T5_.has_recursion, or(0, .L_ZN2at6native25elementwise_kernel_helperILb1EZZZNS0_12_GLOBAL__N_124softplus_backward_kernelERNS_18TensorIteratorBaseERKN3c106ScalarES8_ENKUlvE_clEvENKUlvE0_clEvEUlffE_NS0_6memory8policies11unroll_baseILi512ESt5arrayIPcLm3EE23TrivialOffsetCalculatorILi2EjESI_ILi1EjENSC_12LoadWithCastILi2EEENSC_13StoreWithCastILi1EEELi32ELi1EEEEEvT0_T1_.has_recursion)
	.set _ZN2at6native39vectorized_templated_elementwise_kernelILi8EZZZNS0_12_GLOBAL__N_124softplus_backward_kernelERNS_18TensorIteratorBaseERKN3c106ScalarES8_ENKUlvE_clEvENKUlvE0_clEvEUlffE_St5arrayIPcLm3EE23TrivialOffsetCalculatorILi2EjESF_ILi1EjENS0_6memory12LoadWithCastILi2EEENSI_13StoreWithCastILi1EEENS5_8BFloat16EJSN_fEEEviT0_T1_T2_T3_T4_T5_.has_indirect_call, or(0, .L_ZN2at6native25elementwise_kernel_helperILb1EZZZNS0_12_GLOBAL__N_124softplus_backward_kernelERNS_18TensorIteratorBaseERKN3c106ScalarES8_ENKUlvE_clEvENKUlvE0_clEvEUlffE_NS0_6memory8policies11unroll_baseILi512ESt5arrayIPcLm3EE23TrivialOffsetCalculatorILi2EjESI_ILi1EjENSC_12LoadWithCastILi2EEENSC_13StoreWithCastILi1EEELi32ELi1EEEEEvT0_T1_.has_indirect_call)
	.section	.AMDGPU.csdata,"",@progbits
; Kernel info:
; codeLenInByte = 11288
; TotalNumSgprs: 98
; NumVgprs: 132
; ScratchSize: 272
; MemoryBound: 0
; FloatMode: 240
; IeeeMode: 1
; LDSByteSize: 0 bytes/workgroup (compile time only)
; SGPRBlocks: 0
; VGPRBlocks: 8
; NumSGPRsForWavesPerEU: 98
; NumVGPRsForWavesPerEU: 132
; NamedBarCnt: 0
; Occupancy: 7
; WaveLimiterHint : 1
; COMPUTE_PGM_RSRC2:SCRATCH_EN: 1
; COMPUTE_PGM_RSRC2:USER_SGPR: 2
; COMPUTE_PGM_RSRC2:TRAP_HANDLER: 0
; COMPUTE_PGM_RSRC2:TGID_X_EN: 1
; COMPUTE_PGM_RSRC2:TGID_Y_EN: 0
; COMPUTE_PGM_RSRC2:TGID_Z_EN: 0
; COMPUTE_PGM_RSRC2:TIDIG_COMP_CNT: 0
	.section	.text._ZN2at6native39vectorized_templated_elementwise_kernelILi4EZZZNS0_12_GLOBAL__N_124softplus_backward_kernelERNS_18TensorIteratorBaseERKN3c106ScalarES8_ENKUlvE_clEvENKUlvE0_clEvEUlffE_St5arrayIPcLm3EE23TrivialOffsetCalculatorILi2EjESF_ILi1EjENS0_6memory12LoadWithCastILi2EEENSI_13StoreWithCastILi1EEENS5_8BFloat16EJSN_fEEEviT0_T1_T2_T3_T4_T5_,"axG",@progbits,_ZN2at6native39vectorized_templated_elementwise_kernelILi4EZZZNS0_12_GLOBAL__N_124softplus_backward_kernelERNS_18TensorIteratorBaseERKN3c106ScalarES8_ENKUlvE_clEvENKUlvE0_clEvEUlffE_St5arrayIPcLm3EE23TrivialOffsetCalculatorILi2EjESF_ILi1EjENS0_6memory12LoadWithCastILi2EEENSI_13StoreWithCastILi1EEENS5_8BFloat16EJSN_fEEEviT0_T1_T2_T3_T4_T5_,comdat
	.globl	_ZN2at6native39vectorized_templated_elementwise_kernelILi4EZZZNS0_12_GLOBAL__N_124softplus_backward_kernelERNS_18TensorIteratorBaseERKN3c106ScalarES8_ENKUlvE_clEvENKUlvE0_clEvEUlffE_St5arrayIPcLm3EE23TrivialOffsetCalculatorILi2EjESF_ILi1EjENS0_6memory12LoadWithCastILi2EEENSI_13StoreWithCastILi1EEENS5_8BFloat16EJSN_fEEEviT0_T1_T2_T3_T4_T5_ ; -- Begin function _ZN2at6native39vectorized_templated_elementwise_kernelILi4EZZZNS0_12_GLOBAL__N_124softplus_backward_kernelERNS_18TensorIteratorBaseERKN3c106ScalarES8_ENKUlvE_clEvENKUlvE0_clEvEUlffE_St5arrayIPcLm3EE23TrivialOffsetCalculatorILi2EjESF_ILi1EjENS0_6memory12LoadWithCastILi2EEENSI_13StoreWithCastILi1EEENS5_8BFloat16EJSN_fEEEviT0_T1_T2_T3_T4_T5_
	.p2align	8
	.type	_ZN2at6native39vectorized_templated_elementwise_kernelILi4EZZZNS0_12_GLOBAL__N_124softplus_backward_kernelERNS_18TensorIteratorBaseERKN3c106ScalarES8_ENKUlvE_clEvENKUlvE0_clEvEUlffE_St5arrayIPcLm3EE23TrivialOffsetCalculatorILi2EjESF_ILi1EjENS0_6memory12LoadWithCastILi2EEENSI_13StoreWithCastILi1EEENS5_8BFloat16EJSN_fEEEviT0_T1_T2_T3_T4_T5_,@function
_ZN2at6native39vectorized_templated_elementwise_kernelILi4EZZZNS0_12_GLOBAL__N_124softplus_backward_kernelERNS_18TensorIteratorBaseERKN3c106ScalarES8_ENKUlvE_clEvENKUlvE0_clEvEUlffE_St5arrayIPcLm3EE23TrivialOffsetCalculatorILi2EjESF_ILi1EjENS0_6memory12LoadWithCastILi2EEENSI_13StoreWithCastILi1EEENS5_8BFloat16EJSN_fEEEviT0_T1_T2_T3_T4_T5_: ; @_ZN2at6native39vectorized_templated_elementwise_kernelILi4EZZZNS0_12_GLOBAL__N_124softplus_backward_kernelERNS_18TensorIteratorBaseERKN3c106ScalarES8_ENKUlvE_clEvENKUlvE0_clEvEUlffE_St5arrayIPcLm3EE23TrivialOffsetCalculatorILi2EjESF_ILi1EjENS0_6memory12LoadWithCastILi2EEENSI_13StoreWithCastILi1EEENS5_8BFloat16EJSN_fEEEviT0_T1_T2_T3_T4_T5_
; %bb.0:
	s_clause 0x2
	s_load_b32 s8, s[0:1], 0x40
	s_load_b96 s[12:14], s[0:1], 0x0
	s_load_b64 s[2:3], s[0:1], 0x20
	s_bfe_u32 s9, ttmp6, 0x4000c
	s_load_b128 s[4:7], s[0:1], 0x10
	s_add_co_i32 s9, s9, 1
	s_and_b32 s10, ttmp6, 15
	s_mul_i32 s9, ttmp9, s9
	s_getreg_b32 s11, hwreg(HW_REG_IB_STS2, 6, 4)
	s_add_co_i32 s10, s10, s9
	s_cmp_eq_u32 s11, 0
	s_mov_b32 s11, -1
	s_cselect_b32 s9, ttmp9, s10
	s_mov_b32 s32, 0
	s_not_b32 s9, s9
	s_wait_kmcnt 0x0
	s_add_co_i32 s8, s8, s9
	s_delay_alu instid0(SALU_CYCLE_1) | instskip(NEXT) | instid1(SALU_CYCLE_1)
	s_lshl_b32 s8, s8, 14
	s_sub_co_i32 s10, s12, s8
	s_delay_alu instid0(SALU_CYCLE_1)
	s_cmp_gt_i32 s10, 0x3fff
	s_cbranch_scc1 .LBB59_3
; %bb.1:
	s_and_b32 vcc_lo, exec_lo, s11
	s_cbranch_vccnz .LBB59_68
.LBB59_2:
	s_sendmsg sendmsg(MSG_DEALLOC_VGPRS)
	s_endpgm
.LBB59_3:
	s_ashr_i32 s9, s8, 31
	s_mov_b32 s11, exec_lo
	s_lshl_b64 s[16:17], s[8:9], 2
	s_lshl_b64 s[8:9], s[8:9], 1
	s_add_nc_u64 s[16:17], s[2:3], s[16:17]
	s_add_nc_u64 s[18:19], s[6:7], s[8:9]
	s_clause 0xf
	global_load_b128 v[30:33], v0, s[16:17] scale_offset
	global_load_b64 v[48:49], v0, s[18:19] scale_offset
	global_load_b64 v[46:47], v0, s[18:19] offset:4096 scale_offset
	global_load_b64 v[44:45], v0, s[18:19] offset:8192 scale_offset
	;; [unrolled: 1-line block ×7, first 2 shown]
	global_load_b128 v[26:29], v0, s[16:17] offset:8192 scale_offset
	global_load_b128 v[22:25], v0, s[16:17] offset:16384 scale_offset
	;; [unrolled: 1-line block ×7, first 2 shown]
	s_wait_loadcnt 0xf
	v_bfe_u32 v1, v30, 16, 1
	v_cmp_o_f32_e32 vcc_lo, v30, v30
	s_delay_alu instid0(VALU_DEP_2) | instskip(NEXT) | instid1(VALU_DEP_1)
	v_add3_u32 v1, v30, v1, 0x7fff
	v_and_b32_e32 v1, 0xffff0000, v1
	s_delay_alu instid0(VALU_DEP_1) | instskip(SKIP_1) | instid1(VALU_DEP_1)
	v_cndmask_b32_e32 v1, 0x7fc00000, v1, vcc_lo
	s_wait_loadcnt 0xe
	v_dual_mul_f32 v30, s13, v1 :: v_dual_lshlrev_b32 v1, 16, v48
	s_wait_xcnt 0x0
	s_delay_alu instid0(VALU_DEP_1)
	v_cmpx_nlt_f32_e32 s14, v30
	s_cbranch_execz .LBB59_5
; %bb.4:
	v_mul_f32_e32 v50, 0x3fb8aa3b, v30
	v_cmp_ngt_f32_e32 vcc_lo, 0xc2ce8ed0, v30
	s_delay_alu instid0(VALU_DEP_2) | instskip(SKIP_1) | instid1(VALU_DEP_2)
	v_rndne_f32_e32 v51, v50
	v_fma_f32 v52, 0x3fb8aa3b, v30, -v50
	v_sub_f32_e32 v50, v50, v51
	s_delay_alu instid0(VALU_DEP_2) | instskip(SKIP_1) | instid1(VALU_DEP_2)
	v_fmamk_f32 v52, v30, 0x32a5705f, v52
	v_cvt_i32_f32_e32 v51, v51
	v_add_f32_e32 v50, v50, v52
	s_delay_alu instid0(VALU_DEP_1) | instskip(SKIP_1) | instid1(TRANS32_DEP_1)
	v_exp_f32_e32 v50, v50
	v_nop
	v_ldexp_f32 v50, v50, v51
	s_delay_alu instid0(VALU_DEP_1) | instskip(SKIP_1) | instid1(VALU_DEP_2)
	v_cndmask_b32_e32 v50, 0, v50, vcc_lo
	v_cmp_nlt_f32_e32 vcc_lo, 0x42b17218, v30
	v_cndmask_b32_e32 v30, 0x7f800000, v50, vcc_lo
	s_delay_alu instid0(VALU_DEP_1) | instskip(NEXT) | instid1(VALU_DEP_1)
	v_dual_mul_f32 v1, v30, v1 :: v_dual_add_f32 v30, 1.0, v30
	v_div_scale_f32 v50, null, v30, v30, v1
	s_delay_alu instid0(VALU_DEP_1) | instskip(SKIP_1) | instid1(TRANS32_DEP_1)
	v_rcp_f32_e32 v51, v50
	v_nop
	v_fma_f32 v52, -v50, v51, 1.0
	s_delay_alu instid0(VALU_DEP_1) | instskip(SKIP_1) | instid1(VALU_DEP_1)
	v_fmac_f32_e32 v51, v52, v51
	v_div_scale_f32 v52, vcc_lo, v1, v30, v1
	v_mul_f32_e32 v53, v52, v51
	s_delay_alu instid0(VALU_DEP_1) | instskip(NEXT) | instid1(VALU_DEP_1)
	v_fma_f32 v54, -v50, v53, v52
	v_fmac_f32_e32 v53, v54, v51
	s_delay_alu instid0(VALU_DEP_1) | instskip(NEXT) | instid1(VALU_DEP_1)
	v_fma_f32 v50, -v50, v53, v52
	v_div_fmas_f32 v50, v50, v51, v53
	s_delay_alu instid0(VALU_DEP_1)
	v_div_fixup_f32 v1, v50, v30, v1
.LBB59_5:
	s_or_b32 exec_lo, exec_lo, s11
	v_bfe_u32 v30, v31, 16, 1
	v_cmp_o_f32_e32 vcc_lo, v31, v31
	s_mov_b32 s11, exec_lo
	s_delay_alu instid0(VALU_DEP_2) | instskip(NEXT) | instid1(VALU_DEP_1)
	v_add3_u32 v30, v31, v30, 0x7fff
	v_and_b32_e32 v30, 0xffff0000, v30
	s_delay_alu instid0(VALU_DEP_1) | instskip(NEXT) | instid1(VALU_DEP_1)
	v_cndmask_b32_e32 v30, 0x7fc00000, v30, vcc_lo
	v_mul_f32_e32 v31, s13, v30
	v_and_b32_e32 v30, 0xffff0000, v48
	s_delay_alu instid0(VALU_DEP_2)
	v_cmpx_nlt_f32_e32 s14, v31
	s_cbranch_execz .LBB59_7
; %bb.6:
	v_mul_f32_e32 v48, 0x3fb8aa3b, v31
	v_cmp_ngt_f32_e32 vcc_lo, 0xc2ce8ed0, v31
	s_delay_alu instid0(VALU_DEP_2) | instskip(SKIP_1) | instid1(VALU_DEP_1)
	v_rndne_f32_e32 v50, v48
	v_fma_f32 v51, 0x3fb8aa3b, v31, -v48
	v_dual_sub_f32 v48, v48, v50 :: v_dual_fmamk_f32 v51, v31, 0x32a5705f, v51
	v_cvt_i32_f32_e32 v50, v50
	s_delay_alu instid0(VALU_DEP_2) | instskip(NEXT) | instid1(VALU_DEP_1)
	v_add_f32_e32 v48, v48, v51
	v_exp_f32_e32 v48, v48
	v_nop
	s_delay_alu instid0(TRANS32_DEP_1) | instskip(NEXT) | instid1(VALU_DEP_1)
	v_ldexp_f32 v48, v48, v50
	v_cndmask_b32_e32 v48, 0, v48, vcc_lo
	v_cmp_nlt_f32_e32 vcc_lo, 0x42b17218, v31
	s_delay_alu instid0(VALU_DEP_2) | instskip(NEXT) | instid1(VALU_DEP_1)
	v_cndmask_b32_e32 v31, 0x7f800000, v48, vcc_lo
	v_dual_mul_f32 v30, v31, v30 :: v_dual_add_f32 v31, 1.0, v31
	s_delay_alu instid0(VALU_DEP_1) | instskip(NEXT) | instid1(VALU_DEP_1)
	v_div_scale_f32 v48, null, v31, v31, v30
	v_rcp_f32_e32 v50, v48
	v_nop
	s_delay_alu instid0(TRANS32_DEP_1) | instskip(NEXT) | instid1(VALU_DEP_1)
	v_fma_f32 v51, -v48, v50, 1.0
	v_fmac_f32_e32 v50, v51, v50
	v_div_scale_f32 v51, vcc_lo, v30, v31, v30
	s_delay_alu instid0(VALU_DEP_1) | instskip(NEXT) | instid1(VALU_DEP_1)
	v_mul_f32_e32 v52, v51, v50
	v_fma_f32 v53, -v48, v52, v51
	s_delay_alu instid0(VALU_DEP_1) | instskip(NEXT) | instid1(VALU_DEP_1)
	v_fmac_f32_e32 v52, v53, v50
	v_fma_f32 v48, -v48, v52, v51
	s_delay_alu instid0(VALU_DEP_1) | instskip(NEXT) | instid1(VALU_DEP_1)
	v_div_fmas_f32 v48, v48, v50, v52
	v_div_fixup_f32 v30, v48, v31, v30
.LBB59_7:
	s_or_b32 exec_lo, exec_lo, s11
	v_bfe_u32 v31, v32, 16, 1
	v_cmp_o_f32_e32 vcc_lo, v32, v32
	s_mov_b32 s11, exec_lo
	s_delay_alu instid0(VALU_DEP_2) | instskip(NEXT) | instid1(VALU_DEP_1)
	v_add3_u32 v31, v32, v31, 0x7fff
	v_and_b32_e32 v31, 0xffff0000, v31
	s_delay_alu instid0(VALU_DEP_1) | instskip(NEXT) | instid1(VALU_DEP_1)
	v_cndmask_b32_e32 v31, 0x7fc00000, v31, vcc_lo
	v_dual_mul_f32 v32, s13, v31 :: v_dual_lshlrev_b32 v31, 16, v49
	s_delay_alu instid0(VALU_DEP_1)
	v_cmpx_nlt_f32_e32 s14, v32
	s_cbranch_execz .LBB59_9
; %bb.8:
	v_mul_f32_e32 v48, 0x3fb8aa3b, v32
	v_cmp_ngt_f32_e32 vcc_lo, 0xc2ce8ed0, v32
	s_delay_alu instid0(VALU_DEP_2) | instskip(SKIP_1) | instid1(VALU_DEP_2)
	v_rndne_f32_e32 v50, v48
	v_fma_f32 v51, 0x3fb8aa3b, v32, -v48
	v_sub_f32_e32 v48, v48, v50
	s_delay_alu instid0(VALU_DEP_2) | instskip(SKIP_1) | instid1(VALU_DEP_2)
	v_fmamk_f32 v51, v32, 0x32a5705f, v51
	v_cvt_i32_f32_e32 v50, v50
	v_add_f32_e32 v48, v48, v51
	s_delay_alu instid0(VALU_DEP_1) | instskip(SKIP_1) | instid1(TRANS32_DEP_1)
	v_exp_f32_e32 v48, v48
	v_nop
	v_ldexp_f32 v48, v48, v50
	s_delay_alu instid0(VALU_DEP_1) | instskip(SKIP_1) | instid1(VALU_DEP_2)
	v_cndmask_b32_e32 v48, 0, v48, vcc_lo
	v_cmp_nlt_f32_e32 vcc_lo, 0x42b17218, v32
	v_cndmask_b32_e32 v32, 0x7f800000, v48, vcc_lo
	s_delay_alu instid0(VALU_DEP_1) | instskip(NEXT) | instid1(VALU_DEP_1)
	v_dual_mul_f32 v31, v32, v31 :: v_dual_add_f32 v32, 1.0, v32
	v_div_scale_f32 v48, null, v32, v32, v31
	s_delay_alu instid0(VALU_DEP_1) | instskip(SKIP_1) | instid1(TRANS32_DEP_1)
	v_rcp_f32_e32 v50, v48
	v_nop
	v_fma_f32 v51, -v48, v50, 1.0
	s_delay_alu instid0(VALU_DEP_1) | instskip(SKIP_1) | instid1(VALU_DEP_1)
	v_fmac_f32_e32 v50, v51, v50
	v_div_scale_f32 v51, vcc_lo, v31, v32, v31
	v_mul_f32_e32 v52, v51, v50
	s_delay_alu instid0(VALU_DEP_1) | instskip(NEXT) | instid1(VALU_DEP_1)
	v_fma_f32 v53, -v48, v52, v51
	v_fmac_f32_e32 v52, v53, v50
	s_delay_alu instid0(VALU_DEP_1) | instskip(NEXT) | instid1(VALU_DEP_1)
	v_fma_f32 v48, -v48, v52, v51
	v_div_fmas_f32 v48, v48, v50, v52
	s_delay_alu instid0(VALU_DEP_1)
	v_div_fixup_f32 v31, v48, v32, v31
.LBB59_9:
	s_or_b32 exec_lo, exec_lo, s11
	v_bfe_u32 v32, v33, 16, 1
	v_cmp_o_f32_e32 vcc_lo, v33, v33
	s_mov_b32 s11, exec_lo
	s_delay_alu instid0(VALU_DEP_2) | instskip(NEXT) | instid1(VALU_DEP_1)
	v_add3_u32 v32, v33, v32, 0x7fff
	v_and_b32_e32 v32, 0xffff0000, v32
	s_delay_alu instid0(VALU_DEP_1) | instskip(NEXT) | instid1(VALU_DEP_1)
	v_cndmask_b32_e32 v32, 0x7fc00000, v32, vcc_lo
	v_mul_f32_e32 v33, s13, v32
	v_and_b32_e32 v32, 0xffff0000, v49
	s_delay_alu instid0(VALU_DEP_2)
	v_cmpx_nlt_f32_e32 s14, v33
	s_cbranch_execz .LBB59_11
; %bb.10:
	v_mul_f32_e32 v48, 0x3fb8aa3b, v33
	v_cmp_ngt_f32_e32 vcc_lo, 0xc2ce8ed0, v33
	s_delay_alu instid0(VALU_DEP_2) | instskip(SKIP_1) | instid1(VALU_DEP_2)
	v_rndne_f32_e32 v49, v48
	v_fma_f32 v50, 0x3fb8aa3b, v33, -v48
	v_sub_f32_e32 v48, v48, v49
	s_delay_alu instid0(VALU_DEP_2) | instskip(SKIP_1) | instid1(VALU_DEP_2)
	v_fmamk_f32 v50, v33, 0x32a5705f, v50
	v_cvt_i32_f32_e32 v49, v49
	v_add_f32_e32 v48, v48, v50
	s_delay_alu instid0(VALU_DEP_1) | instskip(SKIP_1) | instid1(TRANS32_DEP_1)
	v_exp_f32_e32 v48, v48
	v_nop
	v_ldexp_f32 v48, v48, v49
	s_delay_alu instid0(VALU_DEP_1) | instskip(SKIP_1) | instid1(VALU_DEP_2)
	v_cndmask_b32_e32 v48, 0, v48, vcc_lo
	v_cmp_nlt_f32_e32 vcc_lo, 0x42b17218, v33
	v_cndmask_b32_e32 v33, 0x7f800000, v48, vcc_lo
	s_delay_alu instid0(VALU_DEP_1) | instskip(NEXT) | instid1(VALU_DEP_1)
	v_dual_mul_f32 v32, v33, v32 :: v_dual_add_f32 v33, 1.0, v33
	v_div_scale_f32 v48, null, v33, v33, v32
	s_delay_alu instid0(VALU_DEP_1) | instskip(SKIP_1) | instid1(TRANS32_DEP_1)
	v_rcp_f32_e32 v49, v48
	v_nop
	v_fma_f32 v50, -v48, v49, 1.0
	s_delay_alu instid0(VALU_DEP_1) | instskip(SKIP_1) | instid1(VALU_DEP_1)
	v_fmac_f32_e32 v49, v50, v49
	v_div_scale_f32 v50, vcc_lo, v32, v33, v32
	v_mul_f32_e32 v51, v50, v49
	s_delay_alu instid0(VALU_DEP_1) | instskip(NEXT) | instid1(VALU_DEP_1)
	v_fma_f32 v52, -v48, v51, v50
	v_fmac_f32_e32 v51, v52, v49
	s_delay_alu instid0(VALU_DEP_1) | instskip(NEXT) | instid1(VALU_DEP_1)
	v_fma_f32 v48, -v48, v51, v50
	v_div_fmas_f32 v48, v48, v49, v51
	s_delay_alu instid0(VALU_DEP_1)
	v_div_fixup_f32 v32, v48, v33, v32
.LBB59_11:
	s_or_b32 exec_lo, exec_lo, s11
	s_wait_loadcnt 0x6
	v_bfe_u32 v33, v26, 16, 1
	v_cmp_o_f32_e32 vcc_lo, v26, v26
	s_mov_b32 s11, exec_lo
	s_delay_alu instid0(VALU_DEP_2) | instskip(NEXT) | instid1(VALU_DEP_1)
	v_add3_u32 v33, v26, v33, 0x7fff
	v_and_b32_e32 v33, 0xffff0000, v33
	s_delay_alu instid0(VALU_DEP_1) | instskip(NEXT) | instid1(VALU_DEP_1)
	v_cndmask_b32_e32 v26, 0x7fc00000, v33, vcc_lo
	v_mul_f32_e32 v33, s13, v26
	v_lshlrev_b32_e32 v26, 16, v46
	s_delay_alu instid0(VALU_DEP_2)
	v_cmpx_nlt_f32_e32 s14, v33
	s_cbranch_execz .LBB59_13
; %bb.12:
	v_mul_f32_e32 v48, 0x3fb8aa3b, v33
	v_cmp_ngt_f32_e32 vcc_lo, 0xc2ce8ed0, v33
	s_delay_alu instid0(VALU_DEP_2) | instskip(SKIP_1) | instid1(VALU_DEP_2)
	v_rndne_f32_e32 v49, v48
	v_fma_f32 v50, 0x3fb8aa3b, v33, -v48
	v_sub_f32_e32 v48, v48, v49
	s_delay_alu instid0(VALU_DEP_2) | instskip(SKIP_1) | instid1(VALU_DEP_2)
	v_fmamk_f32 v50, v33, 0x32a5705f, v50
	v_cvt_i32_f32_e32 v49, v49
	v_add_f32_e32 v48, v48, v50
	s_delay_alu instid0(VALU_DEP_1) | instskip(SKIP_1) | instid1(TRANS32_DEP_1)
	v_exp_f32_e32 v48, v48
	v_nop
	v_ldexp_f32 v48, v48, v49
	s_delay_alu instid0(VALU_DEP_1) | instskip(SKIP_1) | instid1(VALU_DEP_2)
	v_cndmask_b32_e32 v48, 0, v48, vcc_lo
	v_cmp_nlt_f32_e32 vcc_lo, 0x42b17218, v33
	v_cndmask_b32_e32 v33, 0x7f800000, v48, vcc_lo
	s_delay_alu instid0(VALU_DEP_1) | instskip(NEXT) | instid1(VALU_DEP_1)
	v_dual_mul_f32 v26, v33, v26 :: v_dual_add_f32 v33, 1.0, v33
	v_div_scale_f32 v48, null, v33, v33, v26
	s_delay_alu instid0(VALU_DEP_1) | instskip(SKIP_1) | instid1(TRANS32_DEP_1)
	v_rcp_f32_e32 v49, v48
	v_nop
	v_fma_f32 v50, -v48, v49, 1.0
	s_delay_alu instid0(VALU_DEP_1) | instskip(SKIP_1) | instid1(VALU_DEP_1)
	v_fmac_f32_e32 v49, v50, v49
	v_div_scale_f32 v50, vcc_lo, v26, v33, v26
	v_mul_f32_e32 v51, v50, v49
	s_delay_alu instid0(VALU_DEP_1) | instskip(NEXT) | instid1(VALU_DEP_1)
	v_fma_f32 v52, -v48, v51, v50
	v_fmac_f32_e32 v51, v52, v49
	s_delay_alu instid0(VALU_DEP_1) | instskip(NEXT) | instid1(VALU_DEP_1)
	v_fma_f32 v48, -v48, v51, v50
	v_div_fmas_f32 v48, v48, v49, v51
	s_delay_alu instid0(VALU_DEP_1)
	v_div_fixup_f32 v26, v48, v33, v26
.LBB59_13:
	s_or_b32 exec_lo, exec_lo, s11
	v_bfe_u32 v33, v27, 16, 1
	v_cmp_o_f32_e32 vcc_lo, v27, v27
	s_mov_b32 s11, exec_lo
	s_delay_alu instid0(VALU_DEP_2) | instskip(NEXT) | instid1(VALU_DEP_1)
	v_add3_u32 v33, v27, v33, 0x7fff
	v_and_b32_e32 v33, 0xffff0000, v33
	s_delay_alu instid0(VALU_DEP_1) | instskip(NEXT) | instid1(VALU_DEP_1)
	v_cndmask_b32_e32 v27, 0x7fc00000, v33, vcc_lo
	v_mul_f32_e32 v33, s13, v27
	v_and_b32_e32 v27, 0xffff0000, v46
	s_delay_alu instid0(VALU_DEP_2)
	v_cmpx_nlt_f32_e32 s14, v33
	s_cbranch_execz .LBB59_15
; %bb.14:
	v_mul_f32_e32 v46, 0x3fb8aa3b, v33
	v_cmp_ngt_f32_e32 vcc_lo, 0xc2ce8ed0, v33
	s_delay_alu instid0(VALU_DEP_2) | instskip(SKIP_1) | instid1(VALU_DEP_1)
	v_rndne_f32_e32 v48, v46
	v_fma_f32 v49, 0x3fb8aa3b, v33, -v46
	v_dual_sub_f32 v46, v46, v48 :: v_dual_fmamk_f32 v49, v33, 0x32a5705f, v49
	v_cvt_i32_f32_e32 v48, v48
	s_delay_alu instid0(VALU_DEP_2) | instskip(NEXT) | instid1(VALU_DEP_1)
	v_add_f32_e32 v46, v46, v49
	v_exp_f32_e32 v46, v46
	v_nop
	s_delay_alu instid0(TRANS32_DEP_1) | instskip(NEXT) | instid1(VALU_DEP_1)
	v_ldexp_f32 v46, v46, v48
	v_cndmask_b32_e32 v46, 0, v46, vcc_lo
	v_cmp_nlt_f32_e32 vcc_lo, 0x42b17218, v33
	s_delay_alu instid0(VALU_DEP_2) | instskip(NEXT) | instid1(VALU_DEP_1)
	v_cndmask_b32_e32 v33, 0x7f800000, v46, vcc_lo
	v_dual_mul_f32 v27, v33, v27 :: v_dual_add_f32 v33, 1.0, v33
	s_delay_alu instid0(VALU_DEP_1) | instskip(NEXT) | instid1(VALU_DEP_1)
	v_div_scale_f32 v46, null, v33, v33, v27
	v_rcp_f32_e32 v48, v46
	v_nop
	s_delay_alu instid0(TRANS32_DEP_1) | instskip(NEXT) | instid1(VALU_DEP_1)
	v_fma_f32 v49, -v46, v48, 1.0
	v_fmac_f32_e32 v48, v49, v48
	v_div_scale_f32 v49, vcc_lo, v27, v33, v27
	s_delay_alu instid0(VALU_DEP_1) | instskip(NEXT) | instid1(VALU_DEP_1)
	v_mul_f32_e32 v50, v49, v48
	v_fma_f32 v51, -v46, v50, v49
	s_delay_alu instid0(VALU_DEP_1) | instskip(NEXT) | instid1(VALU_DEP_1)
	v_fmac_f32_e32 v50, v51, v48
	v_fma_f32 v46, -v46, v50, v49
	s_delay_alu instid0(VALU_DEP_1) | instskip(NEXT) | instid1(VALU_DEP_1)
	v_div_fmas_f32 v46, v46, v48, v50
	v_div_fixup_f32 v27, v46, v33, v27
.LBB59_15:
	s_or_b32 exec_lo, exec_lo, s11
	v_bfe_u32 v33, v28, 16, 1
	v_cmp_o_f32_e32 vcc_lo, v28, v28
	s_mov_b32 s11, exec_lo
	s_delay_alu instid0(VALU_DEP_2) | instskip(NEXT) | instid1(VALU_DEP_1)
	v_add3_u32 v33, v28, v33, 0x7fff
	v_and_b32_e32 v33, 0xffff0000, v33
	s_delay_alu instid0(VALU_DEP_1) | instskip(NEXT) | instid1(VALU_DEP_1)
	v_cndmask_b32_e32 v28, 0x7fc00000, v33, vcc_lo
	v_dual_mul_f32 v33, s13, v28 :: v_dual_lshlrev_b32 v28, 16, v47
	s_delay_alu instid0(VALU_DEP_1)
	v_cmpx_nlt_f32_e32 s14, v33
	s_cbranch_execz .LBB59_17
; %bb.16:
	v_mul_f32_e32 v46, 0x3fb8aa3b, v33
	v_cmp_ngt_f32_e32 vcc_lo, 0xc2ce8ed0, v33
	s_delay_alu instid0(VALU_DEP_2) | instskip(SKIP_1) | instid1(VALU_DEP_1)
	v_rndne_f32_e32 v48, v46
	v_fma_f32 v49, 0x3fb8aa3b, v33, -v46
	v_dual_sub_f32 v46, v46, v48 :: v_dual_fmamk_f32 v49, v33, 0x32a5705f, v49
	v_cvt_i32_f32_e32 v48, v48
	s_delay_alu instid0(VALU_DEP_2) | instskip(NEXT) | instid1(VALU_DEP_1)
	v_add_f32_e32 v46, v46, v49
	v_exp_f32_e32 v46, v46
	v_nop
	s_delay_alu instid0(TRANS32_DEP_1) | instskip(NEXT) | instid1(VALU_DEP_1)
	v_ldexp_f32 v46, v46, v48
	v_cndmask_b32_e32 v46, 0, v46, vcc_lo
	v_cmp_nlt_f32_e32 vcc_lo, 0x42b17218, v33
	s_delay_alu instid0(VALU_DEP_2) | instskip(NEXT) | instid1(VALU_DEP_1)
	v_cndmask_b32_e32 v33, 0x7f800000, v46, vcc_lo
	v_dual_mul_f32 v28, v33, v28 :: v_dual_add_f32 v33, 1.0, v33
	s_delay_alu instid0(VALU_DEP_1) | instskip(NEXT) | instid1(VALU_DEP_1)
	v_div_scale_f32 v46, null, v33, v33, v28
	v_rcp_f32_e32 v48, v46
	v_nop
	s_delay_alu instid0(TRANS32_DEP_1) | instskip(NEXT) | instid1(VALU_DEP_1)
	v_fma_f32 v49, -v46, v48, 1.0
	v_fmac_f32_e32 v48, v49, v48
	v_div_scale_f32 v49, vcc_lo, v28, v33, v28
	s_delay_alu instid0(VALU_DEP_1) | instskip(NEXT) | instid1(VALU_DEP_1)
	v_mul_f32_e32 v50, v49, v48
	v_fma_f32 v51, -v46, v50, v49
	s_delay_alu instid0(VALU_DEP_1) | instskip(NEXT) | instid1(VALU_DEP_1)
	v_fmac_f32_e32 v50, v51, v48
	v_fma_f32 v46, -v46, v50, v49
	s_delay_alu instid0(VALU_DEP_1) | instskip(NEXT) | instid1(VALU_DEP_1)
	v_div_fmas_f32 v46, v46, v48, v50
	v_div_fixup_f32 v28, v46, v33, v28
.LBB59_17:
	s_or_b32 exec_lo, exec_lo, s11
	v_bfe_u32 v33, v29, 16, 1
	v_cmp_o_f32_e32 vcc_lo, v29, v29
	s_mov_b32 s11, exec_lo
	s_delay_alu instid0(VALU_DEP_2) | instskip(NEXT) | instid1(VALU_DEP_1)
	v_add3_u32 v33, v29, v33, 0x7fff
	v_and_b32_e32 v33, 0xffff0000, v33
	s_delay_alu instid0(VALU_DEP_1) | instskip(NEXT) | instid1(VALU_DEP_1)
	v_cndmask_b32_e32 v29, 0x7fc00000, v33, vcc_lo
	v_mul_f32_e32 v33, s13, v29
	v_and_b32_e32 v29, 0xffff0000, v47
	s_delay_alu instid0(VALU_DEP_2)
	v_cmpx_nlt_f32_e32 s14, v33
	s_cbranch_execz .LBB59_19
; %bb.18:
	v_mul_f32_e32 v46, 0x3fb8aa3b, v33
	v_cmp_ngt_f32_e32 vcc_lo, 0xc2ce8ed0, v33
	s_delay_alu instid0(VALU_DEP_2) | instskip(SKIP_1) | instid1(VALU_DEP_2)
	v_rndne_f32_e32 v47, v46
	v_fma_f32 v48, 0x3fb8aa3b, v33, -v46
	v_sub_f32_e32 v46, v46, v47
	s_delay_alu instid0(VALU_DEP_2) | instskip(SKIP_1) | instid1(VALU_DEP_2)
	v_fmamk_f32 v48, v33, 0x32a5705f, v48
	v_cvt_i32_f32_e32 v47, v47
	v_add_f32_e32 v46, v46, v48
	s_delay_alu instid0(VALU_DEP_1) | instskip(SKIP_1) | instid1(TRANS32_DEP_1)
	v_exp_f32_e32 v46, v46
	v_nop
	v_ldexp_f32 v46, v46, v47
	s_delay_alu instid0(VALU_DEP_1) | instskip(SKIP_1) | instid1(VALU_DEP_2)
	v_cndmask_b32_e32 v46, 0, v46, vcc_lo
	v_cmp_nlt_f32_e32 vcc_lo, 0x42b17218, v33
	v_cndmask_b32_e32 v33, 0x7f800000, v46, vcc_lo
	s_delay_alu instid0(VALU_DEP_1) | instskip(SKIP_1) | instid1(VALU_DEP_1)
	v_mul_f32_e32 v29, v33, v29
	v_add_f32_e32 v33, 1.0, v33
	v_div_scale_f32 v46, null, v33, v33, v29
	s_delay_alu instid0(VALU_DEP_1) | instskip(SKIP_1) | instid1(TRANS32_DEP_1)
	v_rcp_f32_e32 v47, v46
	v_nop
	v_fma_f32 v48, -v46, v47, 1.0
	s_delay_alu instid0(VALU_DEP_1) | instskip(SKIP_1) | instid1(VALU_DEP_1)
	v_fmac_f32_e32 v47, v48, v47
	v_div_scale_f32 v48, vcc_lo, v29, v33, v29
	v_mul_f32_e32 v49, v48, v47
	s_delay_alu instid0(VALU_DEP_1) | instskip(NEXT) | instid1(VALU_DEP_1)
	v_fma_f32 v50, -v46, v49, v48
	v_fmac_f32_e32 v49, v50, v47
	s_delay_alu instid0(VALU_DEP_1) | instskip(NEXT) | instid1(VALU_DEP_1)
	v_fma_f32 v46, -v46, v49, v48
	v_div_fmas_f32 v46, v46, v47, v49
	s_delay_alu instid0(VALU_DEP_1)
	v_div_fixup_f32 v29, v46, v33, v29
.LBB59_19:
	s_or_b32 exec_lo, exec_lo, s11
	s_wait_loadcnt 0x5
	v_bfe_u32 v33, v22, 16, 1
	v_cmp_o_f32_e32 vcc_lo, v22, v22
	s_mov_b32 s11, exec_lo
	s_delay_alu instid0(VALU_DEP_2) | instskip(NEXT) | instid1(VALU_DEP_1)
	v_add3_u32 v33, v22, v33, 0x7fff
	v_and_b32_e32 v33, 0xffff0000, v33
	s_delay_alu instid0(VALU_DEP_1) | instskip(NEXT) | instid1(VALU_DEP_1)
	v_cndmask_b32_e32 v22, 0x7fc00000, v33, vcc_lo
	v_dual_mul_f32 v33, s13, v22 :: v_dual_lshlrev_b32 v22, 16, v44
	s_delay_alu instid0(VALU_DEP_1)
	v_cmpx_nlt_f32_e32 s14, v33
	s_cbranch_execz .LBB59_21
; %bb.20:
	v_mul_f32_e32 v46, 0x3fb8aa3b, v33
	v_cmp_ngt_f32_e32 vcc_lo, 0xc2ce8ed0, v33
	s_delay_alu instid0(VALU_DEP_2) | instskip(SKIP_1) | instid1(VALU_DEP_2)
	v_rndne_f32_e32 v47, v46
	v_fma_f32 v48, 0x3fb8aa3b, v33, -v46
	v_sub_f32_e32 v46, v46, v47
	s_delay_alu instid0(VALU_DEP_2) | instskip(SKIP_1) | instid1(VALU_DEP_2)
	v_fmamk_f32 v48, v33, 0x32a5705f, v48
	v_cvt_i32_f32_e32 v47, v47
	v_add_f32_e32 v46, v46, v48
	s_delay_alu instid0(VALU_DEP_1) | instskip(SKIP_1) | instid1(TRANS32_DEP_1)
	v_exp_f32_e32 v46, v46
	v_nop
	v_ldexp_f32 v46, v46, v47
	s_delay_alu instid0(VALU_DEP_1) | instskip(SKIP_1) | instid1(VALU_DEP_2)
	v_cndmask_b32_e32 v46, 0, v46, vcc_lo
	v_cmp_nlt_f32_e32 vcc_lo, 0x42b17218, v33
	v_cndmask_b32_e32 v33, 0x7f800000, v46, vcc_lo
	s_delay_alu instid0(VALU_DEP_1) | instskip(NEXT) | instid1(VALU_DEP_1)
	v_dual_mul_f32 v22, v33, v22 :: v_dual_add_f32 v33, 1.0, v33
	v_div_scale_f32 v46, null, v33, v33, v22
	s_delay_alu instid0(VALU_DEP_1) | instskip(SKIP_1) | instid1(TRANS32_DEP_1)
	v_rcp_f32_e32 v47, v46
	v_nop
	v_fma_f32 v48, -v46, v47, 1.0
	s_delay_alu instid0(VALU_DEP_1) | instskip(SKIP_1) | instid1(VALU_DEP_1)
	v_fmac_f32_e32 v47, v48, v47
	v_div_scale_f32 v48, vcc_lo, v22, v33, v22
	v_mul_f32_e32 v49, v48, v47
	s_delay_alu instid0(VALU_DEP_1) | instskip(NEXT) | instid1(VALU_DEP_1)
	v_fma_f32 v50, -v46, v49, v48
	v_fmac_f32_e32 v49, v50, v47
	s_delay_alu instid0(VALU_DEP_1) | instskip(NEXT) | instid1(VALU_DEP_1)
	v_fma_f32 v46, -v46, v49, v48
	v_div_fmas_f32 v46, v46, v47, v49
	s_delay_alu instid0(VALU_DEP_1)
	v_div_fixup_f32 v22, v46, v33, v22
.LBB59_21:
	s_or_b32 exec_lo, exec_lo, s11
	v_bfe_u32 v33, v23, 16, 1
	v_cmp_o_f32_e32 vcc_lo, v23, v23
	s_mov_b32 s11, exec_lo
	s_delay_alu instid0(VALU_DEP_2) | instskip(NEXT) | instid1(VALU_DEP_1)
	v_add3_u32 v33, v23, v33, 0x7fff
	v_and_b32_e32 v33, 0xffff0000, v33
	s_delay_alu instid0(VALU_DEP_1) | instskip(NEXT) | instid1(VALU_DEP_1)
	v_cndmask_b32_e32 v23, 0x7fc00000, v33, vcc_lo
	v_mul_f32_e32 v33, s13, v23
	v_and_b32_e32 v23, 0xffff0000, v44
	s_delay_alu instid0(VALU_DEP_2)
	v_cmpx_nlt_f32_e32 s14, v33
	s_cbranch_execz .LBB59_23
; %bb.22:
	v_mul_f32_e32 v44, 0x3fb8aa3b, v33
	v_cmp_ngt_f32_e32 vcc_lo, 0xc2ce8ed0, v33
	s_delay_alu instid0(VALU_DEP_2) | instskip(SKIP_1) | instid1(VALU_DEP_1)
	v_rndne_f32_e32 v46, v44
	v_fma_f32 v47, 0x3fb8aa3b, v33, -v44
	v_dual_sub_f32 v44, v44, v46 :: v_dual_fmamk_f32 v47, v33, 0x32a5705f, v47
	v_cvt_i32_f32_e32 v46, v46
	s_delay_alu instid0(VALU_DEP_2) | instskip(NEXT) | instid1(VALU_DEP_1)
	v_add_f32_e32 v44, v44, v47
	v_exp_f32_e32 v44, v44
	v_nop
	s_delay_alu instid0(TRANS32_DEP_1) | instskip(NEXT) | instid1(VALU_DEP_1)
	v_ldexp_f32 v44, v44, v46
	v_cndmask_b32_e32 v44, 0, v44, vcc_lo
	v_cmp_nlt_f32_e32 vcc_lo, 0x42b17218, v33
	s_delay_alu instid0(VALU_DEP_2) | instskip(NEXT) | instid1(VALU_DEP_1)
	v_cndmask_b32_e32 v33, 0x7f800000, v44, vcc_lo
	v_dual_mul_f32 v23, v33, v23 :: v_dual_add_f32 v33, 1.0, v33
	s_delay_alu instid0(VALU_DEP_1) | instskip(NEXT) | instid1(VALU_DEP_1)
	v_div_scale_f32 v44, null, v33, v33, v23
	v_rcp_f32_e32 v46, v44
	v_nop
	s_delay_alu instid0(TRANS32_DEP_1) | instskip(NEXT) | instid1(VALU_DEP_1)
	v_fma_f32 v47, -v44, v46, 1.0
	v_fmac_f32_e32 v46, v47, v46
	v_div_scale_f32 v47, vcc_lo, v23, v33, v23
	s_delay_alu instid0(VALU_DEP_1) | instskip(NEXT) | instid1(VALU_DEP_1)
	v_mul_f32_e32 v48, v47, v46
	v_fma_f32 v49, -v44, v48, v47
	s_delay_alu instid0(VALU_DEP_1) | instskip(NEXT) | instid1(VALU_DEP_1)
	v_fmac_f32_e32 v48, v49, v46
	v_fma_f32 v44, -v44, v48, v47
	s_delay_alu instid0(VALU_DEP_1) | instskip(NEXT) | instid1(VALU_DEP_1)
	v_div_fmas_f32 v44, v44, v46, v48
	v_div_fixup_f32 v23, v44, v33, v23
.LBB59_23:
	s_or_b32 exec_lo, exec_lo, s11
	v_bfe_u32 v33, v24, 16, 1
	v_cmp_o_f32_e32 vcc_lo, v24, v24
	s_mov_b32 s11, exec_lo
	s_delay_alu instid0(VALU_DEP_2) | instskip(NEXT) | instid1(VALU_DEP_1)
	v_add3_u32 v33, v24, v33, 0x7fff
	v_and_b32_e32 v33, 0xffff0000, v33
	s_delay_alu instid0(VALU_DEP_1) | instskip(NEXT) | instid1(VALU_DEP_1)
	v_cndmask_b32_e32 v24, 0x7fc00000, v33, vcc_lo
	v_dual_mul_f32 v33, s13, v24 :: v_dual_lshlrev_b32 v24, 16, v45
	s_delay_alu instid0(VALU_DEP_1)
	v_cmpx_nlt_f32_e32 s14, v33
	s_cbranch_execz .LBB59_25
; %bb.24:
	v_mul_f32_e32 v44, 0x3fb8aa3b, v33
	v_cmp_ngt_f32_e32 vcc_lo, 0xc2ce8ed0, v33
	s_delay_alu instid0(VALU_DEP_2) | instskip(SKIP_1) | instid1(VALU_DEP_1)
	v_rndne_f32_e32 v46, v44
	v_fma_f32 v47, 0x3fb8aa3b, v33, -v44
	v_dual_sub_f32 v44, v44, v46 :: v_dual_fmamk_f32 v47, v33, 0x32a5705f, v47
	v_cvt_i32_f32_e32 v46, v46
	s_delay_alu instid0(VALU_DEP_2) | instskip(NEXT) | instid1(VALU_DEP_1)
	v_add_f32_e32 v44, v44, v47
	v_exp_f32_e32 v44, v44
	v_nop
	s_delay_alu instid0(TRANS32_DEP_1) | instskip(NEXT) | instid1(VALU_DEP_1)
	v_ldexp_f32 v44, v44, v46
	v_cndmask_b32_e32 v44, 0, v44, vcc_lo
	v_cmp_nlt_f32_e32 vcc_lo, 0x42b17218, v33
	s_delay_alu instid0(VALU_DEP_2) | instskip(NEXT) | instid1(VALU_DEP_1)
	v_cndmask_b32_e32 v33, 0x7f800000, v44, vcc_lo
	v_dual_mul_f32 v24, v33, v24 :: v_dual_add_f32 v33, 1.0, v33
	s_delay_alu instid0(VALU_DEP_1) | instskip(NEXT) | instid1(VALU_DEP_1)
	v_div_scale_f32 v44, null, v33, v33, v24
	v_rcp_f32_e32 v46, v44
	v_nop
	s_delay_alu instid0(TRANS32_DEP_1) | instskip(NEXT) | instid1(VALU_DEP_1)
	v_fma_f32 v47, -v44, v46, 1.0
	v_fmac_f32_e32 v46, v47, v46
	v_div_scale_f32 v47, vcc_lo, v24, v33, v24
	s_delay_alu instid0(VALU_DEP_1) | instskip(NEXT) | instid1(VALU_DEP_1)
	v_mul_f32_e32 v48, v47, v46
	v_fma_f32 v49, -v44, v48, v47
	s_delay_alu instid0(VALU_DEP_1) | instskip(NEXT) | instid1(VALU_DEP_1)
	v_fmac_f32_e32 v48, v49, v46
	v_fma_f32 v44, -v44, v48, v47
	s_delay_alu instid0(VALU_DEP_1) | instskip(NEXT) | instid1(VALU_DEP_1)
	v_div_fmas_f32 v44, v44, v46, v48
	v_div_fixup_f32 v24, v44, v33, v24
.LBB59_25:
	s_or_b32 exec_lo, exec_lo, s11
	v_bfe_u32 v33, v25, 16, 1
	v_cmp_o_f32_e32 vcc_lo, v25, v25
	s_mov_b32 s11, exec_lo
	s_delay_alu instid0(VALU_DEP_2) | instskip(NEXT) | instid1(VALU_DEP_1)
	v_add3_u32 v33, v25, v33, 0x7fff
	v_and_b32_e32 v33, 0xffff0000, v33
	s_delay_alu instid0(VALU_DEP_1) | instskip(NEXT) | instid1(VALU_DEP_1)
	v_cndmask_b32_e32 v25, 0x7fc00000, v33, vcc_lo
	v_mul_f32_e32 v33, s13, v25
	v_and_b32_e32 v25, 0xffff0000, v45
	s_delay_alu instid0(VALU_DEP_2)
	v_cmpx_nlt_f32_e32 s14, v33
	s_cbranch_execz .LBB59_27
; %bb.26:
	v_mul_f32_e32 v44, 0x3fb8aa3b, v33
	v_cmp_ngt_f32_e32 vcc_lo, 0xc2ce8ed0, v33
	s_delay_alu instid0(VALU_DEP_2) | instskip(SKIP_1) | instid1(VALU_DEP_2)
	v_rndne_f32_e32 v45, v44
	v_fma_f32 v46, 0x3fb8aa3b, v33, -v44
	v_sub_f32_e32 v44, v44, v45
	s_delay_alu instid0(VALU_DEP_2) | instskip(SKIP_1) | instid1(VALU_DEP_2)
	v_fmamk_f32 v46, v33, 0x32a5705f, v46
	v_cvt_i32_f32_e32 v45, v45
	v_add_f32_e32 v44, v44, v46
	s_delay_alu instid0(VALU_DEP_1) | instskip(SKIP_1) | instid1(TRANS32_DEP_1)
	v_exp_f32_e32 v44, v44
	v_nop
	v_ldexp_f32 v44, v44, v45
	s_delay_alu instid0(VALU_DEP_1) | instskip(SKIP_1) | instid1(VALU_DEP_2)
	v_cndmask_b32_e32 v44, 0, v44, vcc_lo
	v_cmp_nlt_f32_e32 vcc_lo, 0x42b17218, v33
	v_cndmask_b32_e32 v33, 0x7f800000, v44, vcc_lo
	s_delay_alu instid0(VALU_DEP_1) | instskip(SKIP_1) | instid1(VALU_DEP_1)
	v_mul_f32_e32 v25, v33, v25
	v_add_f32_e32 v33, 1.0, v33
	v_div_scale_f32 v44, null, v33, v33, v25
	s_delay_alu instid0(VALU_DEP_1) | instskip(SKIP_1) | instid1(TRANS32_DEP_1)
	v_rcp_f32_e32 v45, v44
	v_nop
	v_fma_f32 v46, -v44, v45, 1.0
	s_delay_alu instid0(VALU_DEP_1) | instskip(SKIP_1) | instid1(VALU_DEP_1)
	v_fmac_f32_e32 v45, v46, v45
	v_div_scale_f32 v46, vcc_lo, v25, v33, v25
	v_mul_f32_e32 v47, v46, v45
	s_delay_alu instid0(VALU_DEP_1) | instskip(NEXT) | instid1(VALU_DEP_1)
	v_fma_f32 v48, -v44, v47, v46
	v_fmac_f32_e32 v47, v48, v45
	s_delay_alu instid0(VALU_DEP_1) | instskip(NEXT) | instid1(VALU_DEP_1)
	v_fma_f32 v44, -v44, v47, v46
	v_div_fmas_f32 v44, v44, v45, v47
	s_delay_alu instid0(VALU_DEP_1)
	v_div_fixup_f32 v25, v44, v33, v25
.LBB59_27:
	s_or_b32 exec_lo, exec_lo, s11
	s_wait_loadcnt 0x4
	v_bfe_u32 v33, v18, 16, 1
	v_cmp_o_f32_e32 vcc_lo, v18, v18
	s_mov_b32 s11, exec_lo
	s_delay_alu instid0(VALU_DEP_2) | instskip(NEXT) | instid1(VALU_DEP_1)
	v_add3_u32 v33, v18, v33, 0x7fff
	v_and_b32_e32 v33, 0xffff0000, v33
	s_delay_alu instid0(VALU_DEP_1) | instskip(NEXT) | instid1(VALU_DEP_1)
	v_cndmask_b32_e32 v18, 0x7fc00000, v33, vcc_lo
	v_mul_f32_e32 v33, s13, v18
	v_lshlrev_b32_e32 v18, 16, v42
	s_delay_alu instid0(VALU_DEP_2)
	v_cmpx_nlt_f32_e32 s14, v33
	s_cbranch_execz .LBB59_29
; %bb.28:
	v_mul_f32_e32 v44, 0x3fb8aa3b, v33
	v_cmp_ngt_f32_e32 vcc_lo, 0xc2ce8ed0, v33
	s_delay_alu instid0(VALU_DEP_2) | instskip(SKIP_1) | instid1(VALU_DEP_2)
	v_rndne_f32_e32 v45, v44
	v_fma_f32 v46, 0x3fb8aa3b, v33, -v44
	v_sub_f32_e32 v44, v44, v45
	s_delay_alu instid0(VALU_DEP_2) | instskip(SKIP_1) | instid1(VALU_DEP_2)
	v_fmamk_f32 v46, v33, 0x32a5705f, v46
	v_cvt_i32_f32_e32 v45, v45
	v_add_f32_e32 v44, v44, v46
	s_delay_alu instid0(VALU_DEP_1) | instskip(SKIP_1) | instid1(TRANS32_DEP_1)
	v_exp_f32_e32 v44, v44
	v_nop
	v_ldexp_f32 v44, v44, v45
	s_delay_alu instid0(VALU_DEP_1) | instskip(SKIP_1) | instid1(VALU_DEP_2)
	v_cndmask_b32_e32 v44, 0, v44, vcc_lo
	v_cmp_nlt_f32_e32 vcc_lo, 0x42b17218, v33
	v_cndmask_b32_e32 v33, 0x7f800000, v44, vcc_lo
	s_delay_alu instid0(VALU_DEP_1) | instskip(NEXT) | instid1(VALU_DEP_1)
	v_dual_mul_f32 v18, v33, v18 :: v_dual_add_f32 v33, 1.0, v33
	v_div_scale_f32 v44, null, v33, v33, v18
	s_delay_alu instid0(VALU_DEP_1) | instskip(SKIP_1) | instid1(TRANS32_DEP_1)
	v_rcp_f32_e32 v45, v44
	v_nop
	v_fma_f32 v46, -v44, v45, 1.0
	s_delay_alu instid0(VALU_DEP_1) | instskip(SKIP_1) | instid1(VALU_DEP_1)
	v_fmac_f32_e32 v45, v46, v45
	v_div_scale_f32 v46, vcc_lo, v18, v33, v18
	v_mul_f32_e32 v47, v46, v45
	s_delay_alu instid0(VALU_DEP_1) | instskip(NEXT) | instid1(VALU_DEP_1)
	v_fma_f32 v48, -v44, v47, v46
	v_fmac_f32_e32 v47, v48, v45
	s_delay_alu instid0(VALU_DEP_1) | instskip(NEXT) | instid1(VALU_DEP_1)
	v_fma_f32 v44, -v44, v47, v46
	v_div_fmas_f32 v44, v44, v45, v47
	s_delay_alu instid0(VALU_DEP_1)
	v_div_fixup_f32 v18, v44, v33, v18
.LBB59_29:
	s_or_b32 exec_lo, exec_lo, s11
	v_bfe_u32 v33, v19, 16, 1
	v_cmp_o_f32_e32 vcc_lo, v19, v19
	s_mov_b32 s11, exec_lo
	s_delay_alu instid0(VALU_DEP_2) | instskip(NEXT) | instid1(VALU_DEP_1)
	v_add3_u32 v33, v19, v33, 0x7fff
	v_and_b32_e32 v33, 0xffff0000, v33
	s_delay_alu instid0(VALU_DEP_1) | instskip(NEXT) | instid1(VALU_DEP_1)
	v_cndmask_b32_e32 v19, 0x7fc00000, v33, vcc_lo
	v_mul_f32_e32 v33, s13, v19
	v_and_b32_e32 v19, 0xffff0000, v42
	s_delay_alu instid0(VALU_DEP_2)
	v_cmpx_nlt_f32_e32 s14, v33
	s_cbranch_execz .LBB59_31
; %bb.30:
	v_mul_f32_e32 v42, 0x3fb8aa3b, v33
	v_cmp_ngt_f32_e32 vcc_lo, 0xc2ce8ed0, v33
	s_delay_alu instid0(VALU_DEP_2) | instskip(SKIP_1) | instid1(VALU_DEP_1)
	v_rndne_f32_e32 v44, v42
	v_fma_f32 v45, 0x3fb8aa3b, v33, -v42
	v_dual_sub_f32 v42, v42, v44 :: v_dual_fmamk_f32 v45, v33, 0x32a5705f, v45
	v_cvt_i32_f32_e32 v44, v44
	s_delay_alu instid0(VALU_DEP_2) | instskip(NEXT) | instid1(VALU_DEP_1)
	v_add_f32_e32 v42, v42, v45
	v_exp_f32_e32 v42, v42
	v_nop
	s_delay_alu instid0(TRANS32_DEP_1) | instskip(NEXT) | instid1(VALU_DEP_1)
	v_ldexp_f32 v42, v42, v44
	v_cndmask_b32_e32 v42, 0, v42, vcc_lo
	v_cmp_nlt_f32_e32 vcc_lo, 0x42b17218, v33
	s_delay_alu instid0(VALU_DEP_2) | instskip(NEXT) | instid1(VALU_DEP_1)
	v_cndmask_b32_e32 v33, 0x7f800000, v42, vcc_lo
	v_dual_mul_f32 v19, v33, v19 :: v_dual_add_f32 v33, 1.0, v33
	s_delay_alu instid0(VALU_DEP_1) | instskip(NEXT) | instid1(VALU_DEP_1)
	v_div_scale_f32 v42, null, v33, v33, v19
	v_rcp_f32_e32 v44, v42
	v_nop
	s_delay_alu instid0(TRANS32_DEP_1) | instskip(NEXT) | instid1(VALU_DEP_1)
	v_fma_f32 v45, -v42, v44, 1.0
	v_fmac_f32_e32 v44, v45, v44
	v_div_scale_f32 v45, vcc_lo, v19, v33, v19
	s_delay_alu instid0(VALU_DEP_1) | instskip(NEXT) | instid1(VALU_DEP_1)
	v_mul_f32_e32 v46, v45, v44
	v_fma_f32 v47, -v42, v46, v45
	s_delay_alu instid0(VALU_DEP_1) | instskip(NEXT) | instid1(VALU_DEP_1)
	v_fmac_f32_e32 v46, v47, v44
	v_fma_f32 v42, -v42, v46, v45
	s_delay_alu instid0(VALU_DEP_1) | instskip(NEXT) | instid1(VALU_DEP_1)
	v_div_fmas_f32 v42, v42, v44, v46
	v_div_fixup_f32 v19, v42, v33, v19
.LBB59_31:
	s_or_b32 exec_lo, exec_lo, s11
	v_bfe_u32 v33, v20, 16, 1
	v_cmp_o_f32_e32 vcc_lo, v20, v20
	s_mov_b32 s11, exec_lo
	s_delay_alu instid0(VALU_DEP_2) | instskip(NEXT) | instid1(VALU_DEP_1)
	v_add3_u32 v33, v20, v33, 0x7fff
	v_and_b32_e32 v33, 0xffff0000, v33
	s_delay_alu instid0(VALU_DEP_1) | instskip(NEXT) | instid1(VALU_DEP_1)
	v_cndmask_b32_e32 v20, 0x7fc00000, v33, vcc_lo
	v_dual_mul_f32 v33, s13, v20 :: v_dual_lshlrev_b32 v20, 16, v43
	s_delay_alu instid0(VALU_DEP_1)
	v_cmpx_nlt_f32_e32 s14, v33
	s_cbranch_execz .LBB59_33
; %bb.32:
	v_mul_f32_e32 v42, 0x3fb8aa3b, v33
	v_cmp_ngt_f32_e32 vcc_lo, 0xc2ce8ed0, v33
	s_delay_alu instid0(VALU_DEP_2) | instskip(SKIP_1) | instid1(VALU_DEP_1)
	v_rndne_f32_e32 v44, v42
	v_fma_f32 v45, 0x3fb8aa3b, v33, -v42
	v_dual_sub_f32 v42, v42, v44 :: v_dual_fmamk_f32 v45, v33, 0x32a5705f, v45
	v_cvt_i32_f32_e32 v44, v44
	s_delay_alu instid0(VALU_DEP_2) | instskip(NEXT) | instid1(VALU_DEP_1)
	v_add_f32_e32 v42, v42, v45
	v_exp_f32_e32 v42, v42
	v_nop
	s_delay_alu instid0(TRANS32_DEP_1) | instskip(NEXT) | instid1(VALU_DEP_1)
	v_ldexp_f32 v42, v42, v44
	v_cndmask_b32_e32 v42, 0, v42, vcc_lo
	v_cmp_nlt_f32_e32 vcc_lo, 0x42b17218, v33
	s_delay_alu instid0(VALU_DEP_2) | instskip(NEXT) | instid1(VALU_DEP_1)
	v_cndmask_b32_e32 v33, 0x7f800000, v42, vcc_lo
	v_dual_mul_f32 v20, v33, v20 :: v_dual_add_f32 v33, 1.0, v33
	s_delay_alu instid0(VALU_DEP_1) | instskip(NEXT) | instid1(VALU_DEP_1)
	v_div_scale_f32 v42, null, v33, v33, v20
	v_rcp_f32_e32 v44, v42
	v_nop
	s_delay_alu instid0(TRANS32_DEP_1) | instskip(NEXT) | instid1(VALU_DEP_1)
	v_fma_f32 v45, -v42, v44, 1.0
	v_fmac_f32_e32 v44, v45, v44
	v_div_scale_f32 v45, vcc_lo, v20, v33, v20
	s_delay_alu instid0(VALU_DEP_1) | instskip(NEXT) | instid1(VALU_DEP_1)
	v_mul_f32_e32 v46, v45, v44
	v_fma_f32 v47, -v42, v46, v45
	s_delay_alu instid0(VALU_DEP_1) | instskip(NEXT) | instid1(VALU_DEP_1)
	v_fmac_f32_e32 v46, v47, v44
	v_fma_f32 v42, -v42, v46, v45
	s_delay_alu instid0(VALU_DEP_1) | instskip(NEXT) | instid1(VALU_DEP_1)
	v_div_fmas_f32 v42, v42, v44, v46
	v_div_fixup_f32 v20, v42, v33, v20
.LBB59_33:
	s_or_b32 exec_lo, exec_lo, s11
	v_bfe_u32 v33, v21, 16, 1
	v_cmp_o_f32_e32 vcc_lo, v21, v21
	s_mov_b32 s11, exec_lo
	s_delay_alu instid0(VALU_DEP_2) | instskip(NEXT) | instid1(VALU_DEP_1)
	v_add3_u32 v33, v21, v33, 0x7fff
	v_and_b32_e32 v33, 0xffff0000, v33
	s_delay_alu instid0(VALU_DEP_1) | instskip(NEXT) | instid1(VALU_DEP_1)
	v_cndmask_b32_e32 v21, 0x7fc00000, v33, vcc_lo
	v_mul_f32_e32 v33, s13, v21
	v_and_b32_e32 v21, 0xffff0000, v43
	s_delay_alu instid0(VALU_DEP_2)
	v_cmpx_nlt_f32_e32 s14, v33
	s_cbranch_execz .LBB59_35
; %bb.34:
	v_mul_f32_e32 v42, 0x3fb8aa3b, v33
	v_cmp_ngt_f32_e32 vcc_lo, 0xc2ce8ed0, v33
	s_delay_alu instid0(VALU_DEP_2) | instskip(SKIP_1) | instid1(VALU_DEP_2)
	v_rndne_f32_e32 v43, v42
	v_fma_f32 v44, 0x3fb8aa3b, v33, -v42
	v_sub_f32_e32 v42, v42, v43
	s_delay_alu instid0(VALU_DEP_2) | instskip(SKIP_1) | instid1(VALU_DEP_2)
	v_fmamk_f32 v44, v33, 0x32a5705f, v44
	v_cvt_i32_f32_e32 v43, v43
	v_add_f32_e32 v42, v42, v44
	s_delay_alu instid0(VALU_DEP_1) | instskip(SKIP_1) | instid1(TRANS32_DEP_1)
	v_exp_f32_e32 v42, v42
	v_nop
	v_ldexp_f32 v42, v42, v43
	s_delay_alu instid0(VALU_DEP_1) | instskip(SKIP_1) | instid1(VALU_DEP_2)
	v_cndmask_b32_e32 v42, 0, v42, vcc_lo
	v_cmp_nlt_f32_e32 vcc_lo, 0x42b17218, v33
	v_cndmask_b32_e32 v33, 0x7f800000, v42, vcc_lo
	s_delay_alu instid0(VALU_DEP_1) | instskip(SKIP_1) | instid1(VALU_DEP_1)
	v_mul_f32_e32 v21, v33, v21
	v_add_f32_e32 v33, 1.0, v33
	v_div_scale_f32 v42, null, v33, v33, v21
	s_delay_alu instid0(VALU_DEP_1) | instskip(SKIP_1) | instid1(TRANS32_DEP_1)
	v_rcp_f32_e32 v43, v42
	v_nop
	v_fma_f32 v44, -v42, v43, 1.0
	s_delay_alu instid0(VALU_DEP_1) | instskip(SKIP_1) | instid1(VALU_DEP_1)
	v_fmac_f32_e32 v43, v44, v43
	v_div_scale_f32 v44, vcc_lo, v21, v33, v21
	v_mul_f32_e32 v45, v44, v43
	s_delay_alu instid0(VALU_DEP_1) | instskip(NEXT) | instid1(VALU_DEP_1)
	v_fma_f32 v46, -v42, v45, v44
	v_fmac_f32_e32 v45, v46, v43
	s_delay_alu instid0(VALU_DEP_1) | instskip(NEXT) | instid1(VALU_DEP_1)
	v_fma_f32 v42, -v42, v45, v44
	v_div_fmas_f32 v42, v42, v43, v45
	s_delay_alu instid0(VALU_DEP_1)
	v_div_fixup_f32 v21, v42, v33, v21
.LBB59_35:
	s_or_b32 exec_lo, exec_lo, s11
	s_wait_loadcnt 0x3
	v_bfe_u32 v33, v14, 16, 1
	v_cmp_o_f32_e32 vcc_lo, v14, v14
	s_mov_b32 s11, exec_lo
	s_delay_alu instid0(VALU_DEP_2) | instskip(NEXT) | instid1(VALU_DEP_1)
	v_add3_u32 v33, v14, v33, 0x7fff
	v_and_b32_e32 v33, 0xffff0000, v33
	s_delay_alu instid0(VALU_DEP_1) | instskip(NEXT) | instid1(VALU_DEP_1)
	v_cndmask_b32_e32 v14, 0x7fc00000, v33, vcc_lo
	v_dual_mul_f32 v33, s13, v14 :: v_dual_lshlrev_b32 v14, 16, v40
	s_delay_alu instid0(VALU_DEP_1)
	v_cmpx_nlt_f32_e32 s14, v33
	s_cbranch_execz .LBB59_37
; %bb.36:
	v_mul_f32_e32 v42, 0x3fb8aa3b, v33
	v_cmp_ngt_f32_e32 vcc_lo, 0xc2ce8ed0, v33
	s_delay_alu instid0(VALU_DEP_2) | instskip(SKIP_1) | instid1(VALU_DEP_2)
	v_rndne_f32_e32 v43, v42
	v_fma_f32 v44, 0x3fb8aa3b, v33, -v42
	v_sub_f32_e32 v42, v42, v43
	s_delay_alu instid0(VALU_DEP_2) | instskip(SKIP_1) | instid1(VALU_DEP_2)
	v_fmamk_f32 v44, v33, 0x32a5705f, v44
	v_cvt_i32_f32_e32 v43, v43
	v_add_f32_e32 v42, v42, v44
	s_delay_alu instid0(VALU_DEP_1) | instskip(SKIP_1) | instid1(TRANS32_DEP_1)
	v_exp_f32_e32 v42, v42
	v_nop
	v_ldexp_f32 v42, v42, v43
	s_delay_alu instid0(VALU_DEP_1) | instskip(SKIP_1) | instid1(VALU_DEP_2)
	v_cndmask_b32_e32 v42, 0, v42, vcc_lo
	v_cmp_nlt_f32_e32 vcc_lo, 0x42b17218, v33
	v_cndmask_b32_e32 v33, 0x7f800000, v42, vcc_lo
	s_delay_alu instid0(VALU_DEP_1) | instskip(NEXT) | instid1(VALU_DEP_1)
	v_dual_mul_f32 v14, v33, v14 :: v_dual_add_f32 v33, 1.0, v33
	v_div_scale_f32 v42, null, v33, v33, v14
	s_delay_alu instid0(VALU_DEP_1) | instskip(SKIP_1) | instid1(TRANS32_DEP_1)
	v_rcp_f32_e32 v43, v42
	v_nop
	v_fma_f32 v44, -v42, v43, 1.0
	s_delay_alu instid0(VALU_DEP_1) | instskip(SKIP_1) | instid1(VALU_DEP_1)
	v_fmac_f32_e32 v43, v44, v43
	v_div_scale_f32 v44, vcc_lo, v14, v33, v14
	v_mul_f32_e32 v45, v44, v43
	s_delay_alu instid0(VALU_DEP_1) | instskip(NEXT) | instid1(VALU_DEP_1)
	v_fma_f32 v46, -v42, v45, v44
	v_fmac_f32_e32 v45, v46, v43
	s_delay_alu instid0(VALU_DEP_1) | instskip(NEXT) | instid1(VALU_DEP_1)
	v_fma_f32 v42, -v42, v45, v44
	v_div_fmas_f32 v42, v42, v43, v45
	s_delay_alu instid0(VALU_DEP_1)
	v_div_fixup_f32 v14, v42, v33, v14
.LBB59_37:
	s_or_b32 exec_lo, exec_lo, s11
	v_bfe_u32 v33, v15, 16, 1
	v_cmp_o_f32_e32 vcc_lo, v15, v15
	s_mov_b32 s11, exec_lo
	s_delay_alu instid0(VALU_DEP_2) | instskip(NEXT) | instid1(VALU_DEP_1)
	v_add3_u32 v33, v15, v33, 0x7fff
	v_and_b32_e32 v33, 0xffff0000, v33
	s_delay_alu instid0(VALU_DEP_1) | instskip(NEXT) | instid1(VALU_DEP_1)
	v_cndmask_b32_e32 v15, 0x7fc00000, v33, vcc_lo
	v_mul_f32_e32 v33, s13, v15
	v_and_b32_e32 v15, 0xffff0000, v40
	s_delay_alu instid0(VALU_DEP_2)
	v_cmpx_nlt_f32_e32 s14, v33
	s_cbranch_execz .LBB59_39
; %bb.38:
	v_mul_f32_e32 v40, 0x3fb8aa3b, v33
	v_cmp_ngt_f32_e32 vcc_lo, 0xc2ce8ed0, v33
	s_delay_alu instid0(VALU_DEP_2) | instskip(SKIP_1) | instid1(VALU_DEP_1)
	v_rndne_f32_e32 v42, v40
	v_fma_f32 v43, 0x3fb8aa3b, v33, -v40
	v_dual_sub_f32 v40, v40, v42 :: v_dual_fmamk_f32 v43, v33, 0x32a5705f, v43
	v_cvt_i32_f32_e32 v42, v42
	s_delay_alu instid0(VALU_DEP_2) | instskip(NEXT) | instid1(VALU_DEP_1)
	v_add_f32_e32 v40, v40, v43
	v_exp_f32_e32 v40, v40
	v_nop
	s_delay_alu instid0(TRANS32_DEP_1) | instskip(NEXT) | instid1(VALU_DEP_1)
	v_ldexp_f32 v40, v40, v42
	v_cndmask_b32_e32 v40, 0, v40, vcc_lo
	v_cmp_nlt_f32_e32 vcc_lo, 0x42b17218, v33
	s_delay_alu instid0(VALU_DEP_2) | instskip(NEXT) | instid1(VALU_DEP_1)
	v_cndmask_b32_e32 v33, 0x7f800000, v40, vcc_lo
	v_dual_mul_f32 v15, v33, v15 :: v_dual_add_f32 v33, 1.0, v33
	s_delay_alu instid0(VALU_DEP_1) | instskip(NEXT) | instid1(VALU_DEP_1)
	v_div_scale_f32 v40, null, v33, v33, v15
	v_rcp_f32_e32 v42, v40
	v_nop
	s_delay_alu instid0(TRANS32_DEP_1) | instskip(NEXT) | instid1(VALU_DEP_1)
	v_fma_f32 v43, -v40, v42, 1.0
	v_fmac_f32_e32 v42, v43, v42
	v_div_scale_f32 v43, vcc_lo, v15, v33, v15
	s_delay_alu instid0(VALU_DEP_1) | instskip(NEXT) | instid1(VALU_DEP_1)
	v_mul_f32_e32 v44, v43, v42
	v_fma_f32 v45, -v40, v44, v43
	s_delay_alu instid0(VALU_DEP_1) | instskip(NEXT) | instid1(VALU_DEP_1)
	v_fmac_f32_e32 v44, v45, v42
	v_fma_f32 v40, -v40, v44, v43
	s_delay_alu instid0(VALU_DEP_1) | instskip(NEXT) | instid1(VALU_DEP_1)
	v_div_fmas_f32 v40, v40, v42, v44
	v_div_fixup_f32 v15, v40, v33, v15
.LBB59_39:
	s_or_b32 exec_lo, exec_lo, s11
	v_bfe_u32 v33, v16, 16, 1
	v_cmp_o_f32_e32 vcc_lo, v16, v16
	s_mov_b32 s11, exec_lo
	s_delay_alu instid0(VALU_DEP_2) | instskip(NEXT) | instid1(VALU_DEP_1)
	v_add3_u32 v33, v16, v33, 0x7fff
	v_and_b32_e32 v33, 0xffff0000, v33
	s_delay_alu instid0(VALU_DEP_1) | instskip(NEXT) | instid1(VALU_DEP_1)
	v_cndmask_b32_e32 v16, 0x7fc00000, v33, vcc_lo
	v_dual_mul_f32 v33, s13, v16 :: v_dual_lshlrev_b32 v16, 16, v41
	s_delay_alu instid0(VALU_DEP_1)
	v_cmpx_nlt_f32_e32 s14, v33
	s_cbranch_execz .LBB59_41
; %bb.40:
	v_mul_f32_e32 v40, 0x3fb8aa3b, v33
	v_cmp_ngt_f32_e32 vcc_lo, 0xc2ce8ed0, v33
	s_delay_alu instid0(VALU_DEP_2) | instskip(SKIP_1) | instid1(VALU_DEP_1)
	v_rndne_f32_e32 v42, v40
	v_fma_f32 v43, 0x3fb8aa3b, v33, -v40
	v_dual_sub_f32 v40, v40, v42 :: v_dual_fmamk_f32 v43, v33, 0x32a5705f, v43
	v_cvt_i32_f32_e32 v42, v42
	s_delay_alu instid0(VALU_DEP_2) | instskip(NEXT) | instid1(VALU_DEP_1)
	v_add_f32_e32 v40, v40, v43
	v_exp_f32_e32 v40, v40
	v_nop
	s_delay_alu instid0(TRANS32_DEP_1) | instskip(NEXT) | instid1(VALU_DEP_1)
	v_ldexp_f32 v40, v40, v42
	v_cndmask_b32_e32 v40, 0, v40, vcc_lo
	v_cmp_nlt_f32_e32 vcc_lo, 0x42b17218, v33
	s_delay_alu instid0(VALU_DEP_2) | instskip(NEXT) | instid1(VALU_DEP_1)
	v_cndmask_b32_e32 v33, 0x7f800000, v40, vcc_lo
	v_dual_mul_f32 v16, v33, v16 :: v_dual_add_f32 v33, 1.0, v33
	s_delay_alu instid0(VALU_DEP_1) | instskip(NEXT) | instid1(VALU_DEP_1)
	v_div_scale_f32 v40, null, v33, v33, v16
	v_rcp_f32_e32 v42, v40
	v_nop
	s_delay_alu instid0(TRANS32_DEP_1) | instskip(NEXT) | instid1(VALU_DEP_1)
	v_fma_f32 v43, -v40, v42, 1.0
	v_fmac_f32_e32 v42, v43, v42
	v_div_scale_f32 v43, vcc_lo, v16, v33, v16
	s_delay_alu instid0(VALU_DEP_1) | instskip(NEXT) | instid1(VALU_DEP_1)
	v_mul_f32_e32 v44, v43, v42
	v_fma_f32 v45, -v40, v44, v43
	s_delay_alu instid0(VALU_DEP_1) | instskip(NEXT) | instid1(VALU_DEP_1)
	v_fmac_f32_e32 v44, v45, v42
	v_fma_f32 v40, -v40, v44, v43
	s_delay_alu instid0(VALU_DEP_1) | instskip(NEXT) | instid1(VALU_DEP_1)
	v_div_fmas_f32 v40, v40, v42, v44
	v_div_fixup_f32 v16, v40, v33, v16
.LBB59_41:
	s_or_b32 exec_lo, exec_lo, s11
	v_bfe_u32 v33, v17, 16, 1
	v_cmp_o_f32_e32 vcc_lo, v17, v17
	s_mov_b32 s11, exec_lo
	s_delay_alu instid0(VALU_DEP_2) | instskip(NEXT) | instid1(VALU_DEP_1)
	v_add3_u32 v33, v17, v33, 0x7fff
	v_and_b32_e32 v33, 0xffff0000, v33
	s_delay_alu instid0(VALU_DEP_1) | instskip(NEXT) | instid1(VALU_DEP_1)
	v_cndmask_b32_e32 v17, 0x7fc00000, v33, vcc_lo
	v_mul_f32_e32 v33, s13, v17
	v_and_b32_e32 v17, 0xffff0000, v41
	s_delay_alu instid0(VALU_DEP_2)
	v_cmpx_nlt_f32_e32 s14, v33
	s_cbranch_execz .LBB59_43
; %bb.42:
	v_mul_f32_e32 v40, 0x3fb8aa3b, v33
	v_cmp_ngt_f32_e32 vcc_lo, 0xc2ce8ed0, v33
	s_delay_alu instid0(VALU_DEP_2) | instskip(SKIP_1) | instid1(VALU_DEP_2)
	v_rndne_f32_e32 v41, v40
	v_fma_f32 v42, 0x3fb8aa3b, v33, -v40
	v_sub_f32_e32 v40, v40, v41
	s_delay_alu instid0(VALU_DEP_2) | instskip(SKIP_1) | instid1(VALU_DEP_2)
	v_fmamk_f32 v42, v33, 0x32a5705f, v42
	v_cvt_i32_f32_e32 v41, v41
	v_add_f32_e32 v40, v40, v42
	s_delay_alu instid0(VALU_DEP_1) | instskip(SKIP_1) | instid1(TRANS32_DEP_1)
	v_exp_f32_e32 v40, v40
	v_nop
	v_ldexp_f32 v40, v40, v41
	s_delay_alu instid0(VALU_DEP_1) | instskip(SKIP_1) | instid1(VALU_DEP_2)
	v_cndmask_b32_e32 v40, 0, v40, vcc_lo
	v_cmp_nlt_f32_e32 vcc_lo, 0x42b17218, v33
	v_cndmask_b32_e32 v33, 0x7f800000, v40, vcc_lo
	s_delay_alu instid0(VALU_DEP_1) | instskip(SKIP_1) | instid1(VALU_DEP_1)
	v_mul_f32_e32 v17, v33, v17
	v_add_f32_e32 v33, 1.0, v33
	v_div_scale_f32 v40, null, v33, v33, v17
	s_delay_alu instid0(VALU_DEP_1) | instskip(SKIP_1) | instid1(TRANS32_DEP_1)
	v_rcp_f32_e32 v41, v40
	v_nop
	v_fma_f32 v42, -v40, v41, 1.0
	s_delay_alu instid0(VALU_DEP_1) | instskip(SKIP_1) | instid1(VALU_DEP_1)
	v_fmac_f32_e32 v41, v42, v41
	v_div_scale_f32 v42, vcc_lo, v17, v33, v17
	v_mul_f32_e32 v43, v42, v41
	s_delay_alu instid0(VALU_DEP_1) | instskip(NEXT) | instid1(VALU_DEP_1)
	v_fma_f32 v44, -v40, v43, v42
	v_fmac_f32_e32 v43, v44, v41
	s_delay_alu instid0(VALU_DEP_1) | instskip(NEXT) | instid1(VALU_DEP_1)
	v_fma_f32 v40, -v40, v43, v42
	v_div_fmas_f32 v40, v40, v41, v43
	s_delay_alu instid0(VALU_DEP_1)
	v_div_fixup_f32 v17, v40, v33, v17
.LBB59_43:
	s_or_b32 exec_lo, exec_lo, s11
	s_wait_loadcnt 0x2
	v_bfe_u32 v33, v10, 16, 1
	v_cmp_o_f32_e32 vcc_lo, v10, v10
	s_mov_b32 s11, exec_lo
	s_delay_alu instid0(VALU_DEP_2) | instskip(NEXT) | instid1(VALU_DEP_1)
	v_add3_u32 v33, v10, v33, 0x7fff
	v_and_b32_e32 v33, 0xffff0000, v33
	s_delay_alu instid0(VALU_DEP_1) | instskip(NEXT) | instid1(VALU_DEP_1)
	v_cndmask_b32_e32 v10, 0x7fc00000, v33, vcc_lo
	v_mul_f32_e32 v33, s13, v10
	v_lshlrev_b32_e32 v10, 16, v38
	s_delay_alu instid0(VALU_DEP_2)
	v_cmpx_nlt_f32_e32 s14, v33
	s_cbranch_execz .LBB59_45
; %bb.44:
	v_mul_f32_e32 v40, 0x3fb8aa3b, v33
	v_cmp_ngt_f32_e32 vcc_lo, 0xc2ce8ed0, v33
	s_delay_alu instid0(VALU_DEP_2) | instskip(SKIP_1) | instid1(VALU_DEP_2)
	v_rndne_f32_e32 v41, v40
	v_fma_f32 v42, 0x3fb8aa3b, v33, -v40
	v_sub_f32_e32 v40, v40, v41
	s_delay_alu instid0(VALU_DEP_2) | instskip(SKIP_1) | instid1(VALU_DEP_2)
	v_fmamk_f32 v42, v33, 0x32a5705f, v42
	v_cvt_i32_f32_e32 v41, v41
	v_add_f32_e32 v40, v40, v42
	s_delay_alu instid0(VALU_DEP_1) | instskip(SKIP_1) | instid1(TRANS32_DEP_1)
	v_exp_f32_e32 v40, v40
	v_nop
	v_ldexp_f32 v40, v40, v41
	s_delay_alu instid0(VALU_DEP_1) | instskip(SKIP_1) | instid1(VALU_DEP_2)
	v_cndmask_b32_e32 v40, 0, v40, vcc_lo
	v_cmp_nlt_f32_e32 vcc_lo, 0x42b17218, v33
	v_cndmask_b32_e32 v33, 0x7f800000, v40, vcc_lo
	s_delay_alu instid0(VALU_DEP_1) | instskip(NEXT) | instid1(VALU_DEP_1)
	v_dual_mul_f32 v10, v33, v10 :: v_dual_add_f32 v33, 1.0, v33
	v_div_scale_f32 v40, null, v33, v33, v10
	s_delay_alu instid0(VALU_DEP_1) | instskip(SKIP_1) | instid1(TRANS32_DEP_1)
	v_rcp_f32_e32 v41, v40
	v_nop
	v_fma_f32 v42, -v40, v41, 1.0
	s_delay_alu instid0(VALU_DEP_1) | instskip(SKIP_1) | instid1(VALU_DEP_1)
	v_fmac_f32_e32 v41, v42, v41
	v_div_scale_f32 v42, vcc_lo, v10, v33, v10
	v_mul_f32_e32 v43, v42, v41
	s_delay_alu instid0(VALU_DEP_1) | instskip(NEXT) | instid1(VALU_DEP_1)
	v_fma_f32 v44, -v40, v43, v42
	v_fmac_f32_e32 v43, v44, v41
	s_delay_alu instid0(VALU_DEP_1) | instskip(NEXT) | instid1(VALU_DEP_1)
	v_fma_f32 v40, -v40, v43, v42
	v_div_fmas_f32 v40, v40, v41, v43
	s_delay_alu instid0(VALU_DEP_1)
	v_div_fixup_f32 v10, v40, v33, v10
.LBB59_45:
	s_or_b32 exec_lo, exec_lo, s11
	v_bfe_u32 v33, v11, 16, 1
	v_cmp_o_f32_e32 vcc_lo, v11, v11
	s_mov_b32 s11, exec_lo
	s_delay_alu instid0(VALU_DEP_2) | instskip(NEXT) | instid1(VALU_DEP_1)
	v_add3_u32 v33, v11, v33, 0x7fff
	v_and_b32_e32 v33, 0xffff0000, v33
	s_delay_alu instid0(VALU_DEP_1) | instskip(NEXT) | instid1(VALU_DEP_1)
	v_cndmask_b32_e32 v11, 0x7fc00000, v33, vcc_lo
	v_mul_f32_e32 v33, s13, v11
	v_and_b32_e32 v11, 0xffff0000, v38
	s_delay_alu instid0(VALU_DEP_2)
	v_cmpx_nlt_f32_e32 s14, v33
	s_cbranch_execz .LBB59_47
; %bb.46:
	v_mul_f32_e32 v38, 0x3fb8aa3b, v33
	v_cmp_ngt_f32_e32 vcc_lo, 0xc2ce8ed0, v33
	s_delay_alu instid0(VALU_DEP_2) | instskip(SKIP_1) | instid1(VALU_DEP_1)
	v_rndne_f32_e32 v40, v38
	v_fma_f32 v41, 0x3fb8aa3b, v33, -v38
	v_dual_sub_f32 v38, v38, v40 :: v_dual_fmamk_f32 v41, v33, 0x32a5705f, v41
	v_cvt_i32_f32_e32 v40, v40
	s_delay_alu instid0(VALU_DEP_2) | instskip(NEXT) | instid1(VALU_DEP_1)
	v_add_f32_e32 v38, v38, v41
	v_exp_f32_e32 v38, v38
	v_nop
	s_delay_alu instid0(TRANS32_DEP_1) | instskip(NEXT) | instid1(VALU_DEP_1)
	v_ldexp_f32 v38, v38, v40
	v_cndmask_b32_e32 v38, 0, v38, vcc_lo
	v_cmp_nlt_f32_e32 vcc_lo, 0x42b17218, v33
	s_delay_alu instid0(VALU_DEP_2) | instskip(NEXT) | instid1(VALU_DEP_1)
	v_cndmask_b32_e32 v33, 0x7f800000, v38, vcc_lo
	v_dual_mul_f32 v11, v33, v11 :: v_dual_add_f32 v33, 1.0, v33
	s_delay_alu instid0(VALU_DEP_1) | instskip(NEXT) | instid1(VALU_DEP_1)
	v_div_scale_f32 v38, null, v33, v33, v11
	v_rcp_f32_e32 v40, v38
	v_nop
	s_delay_alu instid0(TRANS32_DEP_1) | instskip(NEXT) | instid1(VALU_DEP_1)
	v_fma_f32 v41, -v38, v40, 1.0
	v_fmac_f32_e32 v40, v41, v40
	v_div_scale_f32 v41, vcc_lo, v11, v33, v11
	s_delay_alu instid0(VALU_DEP_1) | instskip(NEXT) | instid1(VALU_DEP_1)
	v_mul_f32_e32 v42, v41, v40
	v_fma_f32 v43, -v38, v42, v41
	s_delay_alu instid0(VALU_DEP_1) | instskip(NEXT) | instid1(VALU_DEP_1)
	v_fmac_f32_e32 v42, v43, v40
	v_fma_f32 v38, -v38, v42, v41
	s_delay_alu instid0(VALU_DEP_1) | instskip(NEXT) | instid1(VALU_DEP_1)
	v_div_fmas_f32 v38, v38, v40, v42
	v_div_fixup_f32 v11, v38, v33, v11
.LBB59_47:
	s_or_b32 exec_lo, exec_lo, s11
	v_bfe_u32 v33, v12, 16, 1
	v_cmp_o_f32_e32 vcc_lo, v12, v12
	s_mov_b32 s11, exec_lo
	s_delay_alu instid0(VALU_DEP_2) | instskip(NEXT) | instid1(VALU_DEP_1)
	v_add3_u32 v33, v12, v33, 0x7fff
	v_and_b32_e32 v33, 0xffff0000, v33
	s_delay_alu instid0(VALU_DEP_1) | instskip(NEXT) | instid1(VALU_DEP_1)
	v_cndmask_b32_e32 v12, 0x7fc00000, v33, vcc_lo
	v_dual_mul_f32 v33, s13, v12 :: v_dual_lshlrev_b32 v12, 16, v39
	s_delay_alu instid0(VALU_DEP_1)
	v_cmpx_nlt_f32_e32 s14, v33
	s_cbranch_execz .LBB59_49
; %bb.48:
	v_mul_f32_e32 v38, 0x3fb8aa3b, v33
	v_cmp_ngt_f32_e32 vcc_lo, 0xc2ce8ed0, v33
	s_delay_alu instid0(VALU_DEP_2) | instskip(SKIP_1) | instid1(VALU_DEP_1)
	v_rndne_f32_e32 v40, v38
	v_fma_f32 v41, 0x3fb8aa3b, v33, -v38
	v_dual_sub_f32 v38, v38, v40 :: v_dual_fmamk_f32 v41, v33, 0x32a5705f, v41
	v_cvt_i32_f32_e32 v40, v40
	s_delay_alu instid0(VALU_DEP_2) | instskip(NEXT) | instid1(VALU_DEP_1)
	v_add_f32_e32 v38, v38, v41
	v_exp_f32_e32 v38, v38
	v_nop
	s_delay_alu instid0(TRANS32_DEP_1) | instskip(NEXT) | instid1(VALU_DEP_1)
	v_ldexp_f32 v38, v38, v40
	v_cndmask_b32_e32 v38, 0, v38, vcc_lo
	v_cmp_nlt_f32_e32 vcc_lo, 0x42b17218, v33
	s_delay_alu instid0(VALU_DEP_2) | instskip(NEXT) | instid1(VALU_DEP_1)
	v_cndmask_b32_e32 v33, 0x7f800000, v38, vcc_lo
	v_dual_mul_f32 v12, v33, v12 :: v_dual_add_f32 v33, 1.0, v33
	s_delay_alu instid0(VALU_DEP_1) | instskip(NEXT) | instid1(VALU_DEP_1)
	v_div_scale_f32 v38, null, v33, v33, v12
	v_rcp_f32_e32 v40, v38
	v_nop
	s_delay_alu instid0(TRANS32_DEP_1) | instskip(NEXT) | instid1(VALU_DEP_1)
	v_fma_f32 v41, -v38, v40, 1.0
	v_fmac_f32_e32 v40, v41, v40
	v_div_scale_f32 v41, vcc_lo, v12, v33, v12
	s_delay_alu instid0(VALU_DEP_1) | instskip(NEXT) | instid1(VALU_DEP_1)
	v_mul_f32_e32 v42, v41, v40
	v_fma_f32 v43, -v38, v42, v41
	s_delay_alu instid0(VALU_DEP_1) | instskip(NEXT) | instid1(VALU_DEP_1)
	v_fmac_f32_e32 v42, v43, v40
	v_fma_f32 v38, -v38, v42, v41
	s_delay_alu instid0(VALU_DEP_1) | instskip(NEXT) | instid1(VALU_DEP_1)
	v_div_fmas_f32 v38, v38, v40, v42
	v_div_fixup_f32 v12, v38, v33, v12
.LBB59_49:
	s_or_b32 exec_lo, exec_lo, s11
	v_bfe_u32 v33, v13, 16, 1
	v_cmp_o_f32_e32 vcc_lo, v13, v13
	s_mov_b32 s11, exec_lo
	s_delay_alu instid0(VALU_DEP_2) | instskip(NEXT) | instid1(VALU_DEP_1)
	v_add3_u32 v33, v13, v33, 0x7fff
	v_and_b32_e32 v33, 0xffff0000, v33
	s_delay_alu instid0(VALU_DEP_1) | instskip(NEXT) | instid1(VALU_DEP_1)
	v_cndmask_b32_e32 v13, 0x7fc00000, v33, vcc_lo
	v_mul_f32_e32 v33, s13, v13
	v_and_b32_e32 v13, 0xffff0000, v39
	s_delay_alu instid0(VALU_DEP_2)
	v_cmpx_nlt_f32_e32 s14, v33
	s_cbranch_execz .LBB59_51
; %bb.50:
	v_mul_f32_e32 v38, 0x3fb8aa3b, v33
	v_cmp_ngt_f32_e32 vcc_lo, 0xc2ce8ed0, v33
	s_delay_alu instid0(VALU_DEP_2) | instskip(SKIP_1) | instid1(VALU_DEP_2)
	v_rndne_f32_e32 v39, v38
	v_fma_f32 v40, 0x3fb8aa3b, v33, -v38
	v_sub_f32_e32 v38, v38, v39
	s_delay_alu instid0(VALU_DEP_2) | instskip(SKIP_1) | instid1(VALU_DEP_2)
	v_fmamk_f32 v40, v33, 0x32a5705f, v40
	v_cvt_i32_f32_e32 v39, v39
	v_add_f32_e32 v38, v38, v40
	s_delay_alu instid0(VALU_DEP_1) | instskip(SKIP_1) | instid1(TRANS32_DEP_1)
	v_exp_f32_e32 v38, v38
	v_nop
	v_ldexp_f32 v38, v38, v39
	s_delay_alu instid0(VALU_DEP_1) | instskip(SKIP_1) | instid1(VALU_DEP_2)
	v_cndmask_b32_e32 v38, 0, v38, vcc_lo
	v_cmp_nlt_f32_e32 vcc_lo, 0x42b17218, v33
	v_cndmask_b32_e32 v33, 0x7f800000, v38, vcc_lo
	s_delay_alu instid0(VALU_DEP_1) | instskip(SKIP_1) | instid1(VALU_DEP_1)
	v_mul_f32_e32 v13, v33, v13
	v_add_f32_e32 v33, 1.0, v33
	v_div_scale_f32 v38, null, v33, v33, v13
	s_delay_alu instid0(VALU_DEP_1) | instskip(SKIP_1) | instid1(TRANS32_DEP_1)
	v_rcp_f32_e32 v39, v38
	v_nop
	v_fma_f32 v40, -v38, v39, 1.0
	s_delay_alu instid0(VALU_DEP_1) | instskip(SKIP_1) | instid1(VALU_DEP_1)
	v_fmac_f32_e32 v39, v40, v39
	v_div_scale_f32 v40, vcc_lo, v13, v33, v13
	v_mul_f32_e32 v41, v40, v39
	s_delay_alu instid0(VALU_DEP_1) | instskip(NEXT) | instid1(VALU_DEP_1)
	v_fma_f32 v42, -v38, v41, v40
	v_fmac_f32_e32 v41, v42, v39
	s_delay_alu instid0(VALU_DEP_1) | instskip(NEXT) | instid1(VALU_DEP_1)
	v_fma_f32 v38, -v38, v41, v40
	v_div_fmas_f32 v38, v38, v39, v41
	s_delay_alu instid0(VALU_DEP_1)
	v_div_fixup_f32 v13, v38, v33, v13
.LBB59_51:
	s_or_b32 exec_lo, exec_lo, s11
	s_wait_loadcnt 0x1
	v_bfe_u32 v33, v6, 16, 1
	v_cmp_o_f32_e32 vcc_lo, v6, v6
	s_mov_b32 s11, exec_lo
	s_delay_alu instid0(VALU_DEP_2) | instskip(NEXT) | instid1(VALU_DEP_1)
	v_add3_u32 v33, v6, v33, 0x7fff
	v_and_b32_e32 v33, 0xffff0000, v33
	s_delay_alu instid0(VALU_DEP_1) | instskip(NEXT) | instid1(VALU_DEP_1)
	v_cndmask_b32_e32 v6, 0x7fc00000, v33, vcc_lo
	v_dual_mul_f32 v33, s13, v6 :: v_dual_lshlrev_b32 v6, 16, v36
	s_delay_alu instid0(VALU_DEP_1)
	v_cmpx_nlt_f32_e32 s14, v33
	s_cbranch_execz .LBB59_53
; %bb.52:
	v_mul_f32_e32 v38, 0x3fb8aa3b, v33
	v_cmp_ngt_f32_e32 vcc_lo, 0xc2ce8ed0, v33
	s_delay_alu instid0(VALU_DEP_2) | instskip(SKIP_1) | instid1(VALU_DEP_2)
	v_rndne_f32_e32 v39, v38
	v_fma_f32 v40, 0x3fb8aa3b, v33, -v38
	v_sub_f32_e32 v38, v38, v39
	s_delay_alu instid0(VALU_DEP_2) | instskip(SKIP_1) | instid1(VALU_DEP_2)
	v_fmamk_f32 v40, v33, 0x32a5705f, v40
	v_cvt_i32_f32_e32 v39, v39
	v_add_f32_e32 v38, v38, v40
	s_delay_alu instid0(VALU_DEP_1) | instskip(SKIP_1) | instid1(TRANS32_DEP_1)
	v_exp_f32_e32 v38, v38
	v_nop
	v_ldexp_f32 v38, v38, v39
	s_delay_alu instid0(VALU_DEP_1) | instskip(SKIP_1) | instid1(VALU_DEP_2)
	v_cndmask_b32_e32 v38, 0, v38, vcc_lo
	v_cmp_nlt_f32_e32 vcc_lo, 0x42b17218, v33
	v_cndmask_b32_e32 v33, 0x7f800000, v38, vcc_lo
	s_delay_alu instid0(VALU_DEP_1) | instskip(NEXT) | instid1(VALU_DEP_1)
	v_dual_mul_f32 v6, v33, v6 :: v_dual_add_f32 v33, 1.0, v33
	v_div_scale_f32 v38, null, v33, v33, v6
	s_delay_alu instid0(VALU_DEP_1) | instskip(SKIP_1) | instid1(TRANS32_DEP_1)
	v_rcp_f32_e32 v39, v38
	v_nop
	v_fma_f32 v40, -v38, v39, 1.0
	s_delay_alu instid0(VALU_DEP_1) | instskip(SKIP_1) | instid1(VALU_DEP_1)
	v_fmac_f32_e32 v39, v40, v39
	v_div_scale_f32 v40, vcc_lo, v6, v33, v6
	v_mul_f32_e32 v41, v40, v39
	s_delay_alu instid0(VALU_DEP_1) | instskip(NEXT) | instid1(VALU_DEP_1)
	v_fma_f32 v42, -v38, v41, v40
	v_fmac_f32_e32 v41, v42, v39
	s_delay_alu instid0(VALU_DEP_1) | instskip(NEXT) | instid1(VALU_DEP_1)
	v_fma_f32 v38, -v38, v41, v40
	v_div_fmas_f32 v38, v38, v39, v41
	s_delay_alu instid0(VALU_DEP_1)
	v_div_fixup_f32 v6, v38, v33, v6
.LBB59_53:
	s_or_b32 exec_lo, exec_lo, s11
	v_bfe_u32 v33, v7, 16, 1
	v_cmp_o_f32_e32 vcc_lo, v7, v7
	s_mov_b32 s11, exec_lo
	s_delay_alu instid0(VALU_DEP_2) | instskip(NEXT) | instid1(VALU_DEP_1)
	v_add3_u32 v33, v7, v33, 0x7fff
	v_and_b32_e32 v33, 0xffff0000, v33
	s_delay_alu instid0(VALU_DEP_1) | instskip(NEXT) | instid1(VALU_DEP_1)
	v_cndmask_b32_e32 v7, 0x7fc00000, v33, vcc_lo
	v_mul_f32_e32 v33, s13, v7
	v_and_b32_e32 v7, 0xffff0000, v36
	s_delay_alu instid0(VALU_DEP_2)
	v_cmpx_nlt_f32_e32 s14, v33
	s_cbranch_execz .LBB59_55
; %bb.54:
	v_mul_f32_e32 v36, 0x3fb8aa3b, v33
	v_cmp_ngt_f32_e32 vcc_lo, 0xc2ce8ed0, v33
	s_delay_alu instid0(VALU_DEP_2) | instskip(SKIP_1) | instid1(VALU_DEP_1)
	v_rndne_f32_e32 v38, v36
	v_fma_f32 v39, 0x3fb8aa3b, v33, -v36
	v_dual_sub_f32 v36, v36, v38 :: v_dual_fmamk_f32 v39, v33, 0x32a5705f, v39
	v_cvt_i32_f32_e32 v38, v38
	s_delay_alu instid0(VALU_DEP_2) | instskip(NEXT) | instid1(VALU_DEP_1)
	v_add_f32_e32 v36, v36, v39
	v_exp_f32_e32 v36, v36
	v_nop
	s_delay_alu instid0(TRANS32_DEP_1) | instskip(NEXT) | instid1(VALU_DEP_1)
	v_ldexp_f32 v36, v36, v38
	v_cndmask_b32_e32 v36, 0, v36, vcc_lo
	v_cmp_nlt_f32_e32 vcc_lo, 0x42b17218, v33
	s_delay_alu instid0(VALU_DEP_2) | instskip(NEXT) | instid1(VALU_DEP_1)
	v_cndmask_b32_e32 v33, 0x7f800000, v36, vcc_lo
	v_dual_mul_f32 v7, v33, v7 :: v_dual_add_f32 v33, 1.0, v33
	s_delay_alu instid0(VALU_DEP_1) | instskip(NEXT) | instid1(VALU_DEP_1)
	v_div_scale_f32 v36, null, v33, v33, v7
	v_rcp_f32_e32 v38, v36
	v_nop
	s_delay_alu instid0(TRANS32_DEP_1) | instskip(NEXT) | instid1(VALU_DEP_1)
	v_fma_f32 v39, -v36, v38, 1.0
	v_fmac_f32_e32 v38, v39, v38
	v_div_scale_f32 v39, vcc_lo, v7, v33, v7
	s_delay_alu instid0(VALU_DEP_1) | instskip(NEXT) | instid1(VALU_DEP_1)
	v_mul_f32_e32 v40, v39, v38
	v_fma_f32 v41, -v36, v40, v39
	s_delay_alu instid0(VALU_DEP_1) | instskip(NEXT) | instid1(VALU_DEP_1)
	v_fmac_f32_e32 v40, v41, v38
	v_fma_f32 v36, -v36, v40, v39
	s_delay_alu instid0(VALU_DEP_1) | instskip(NEXT) | instid1(VALU_DEP_1)
	v_div_fmas_f32 v36, v36, v38, v40
	v_div_fixup_f32 v7, v36, v33, v7
.LBB59_55:
	s_or_b32 exec_lo, exec_lo, s11
	v_bfe_u32 v33, v8, 16, 1
	v_cmp_o_f32_e32 vcc_lo, v8, v8
	s_mov_b32 s11, exec_lo
	s_delay_alu instid0(VALU_DEP_2) | instskip(NEXT) | instid1(VALU_DEP_1)
	v_add3_u32 v33, v8, v33, 0x7fff
	v_and_b32_e32 v33, 0xffff0000, v33
	s_delay_alu instid0(VALU_DEP_1) | instskip(NEXT) | instid1(VALU_DEP_1)
	v_cndmask_b32_e32 v8, 0x7fc00000, v33, vcc_lo
	v_dual_mul_f32 v33, s13, v8 :: v_dual_lshlrev_b32 v8, 16, v37
	s_delay_alu instid0(VALU_DEP_1)
	v_cmpx_nlt_f32_e32 s14, v33
	s_cbranch_execz .LBB59_57
; %bb.56:
	v_mul_f32_e32 v36, 0x3fb8aa3b, v33
	v_cmp_ngt_f32_e32 vcc_lo, 0xc2ce8ed0, v33
	s_delay_alu instid0(VALU_DEP_2) | instskip(SKIP_1) | instid1(VALU_DEP_1)
	v_rndne_f32_e32 v38, v36
	v_fma_f32 v39, 0x3fb8aa3b, v33, -v36
	v_dual_sub_f32 v36, v36, v38 :: v_dual_fmamk_f32 v39, v33, 0x32a5705f, v39
	v_cvt_i32_f32_e32 v38, v38
	s_delay_alu instid0(VALU_DEP_2) | instskip(NEXT) | instid1(VALU_DEP_1)
	v_add_f32_e32 v36, v36, v39
	v_exp_f32_e32 v36, v36
	v_nop
	s_delay_alu instid0(TRANS32_DEP_1) | instskip(NEXT) | instid1(VALU_DEP_1)
	v_ldexp_f32 v36, v36, v38
	v_cndmask_b32_e32 v36, 0, v36, vcc_lo
	v_cmp_nlt_f32_e32 vcc_lo, 0x42b17218, v33
	s_delay_alu instid0(VALU_DEP_2) | instskip(NEXT) | instid1(VALU_DEP_1)
	v_cndmask_b32_e32 v33, 0x7f800000, v36, vcc_lo
	v_dual_mul_f32 v8, v33, v8 :: v_dual_add_f32 v33, 1.0, v33
	s_delay_alu instid0(VALU_DEP_1) | instskip(NEXT) | instid1(VALU_DEP_1)
	v_div_scale_f32 v36, null, v33, v33, v8
	v_rcp_f32_e32 v38, v36
	v_nop
	s_delay_alu instid0(TRANS32_DEP_1) | instskip(NEXT) | instid1(VALU_DEP_1)
	v_fma_f32 v39, -v36, v38, 1.0
	v_fmac_f32_e32 v38, v39, v38
	v_div_scale_f32 v39, vcc_lo, v8, v33, v8
	s_delay_alu instid0(VALU_DEP_1) | instskip(NEXT) | instid1(VALU_DEP_1)
	v_mul_f32_e32 v40, v39, v38
	v_fma_f32 v41, -v36, v40, v39
	s_delay_alu instid0(VALU_DEP_1) | instskip(NEXT) | instid1(VALU_DEP_1)
	v_fmac_f32_e32 v40, v41, v38
	v_fma_f32 v36, -v36, v40, v39
	s_delay_alu instid0(VALU_DEP_1) | instskip(NEXT) | instid1(VALU_DEP_1)
	v_div_fmas_f32 v36, v36, v38, v40
	v_div_fixup_f32 v8, v36, v33, v8
.LBB59_57:
	s_or_b32 exec_lo, exec_lo, s11
	v_bfe_u32 v33, v9, 16, 1
	v_cmp_o_f32_e32 vcc_lo, v9, v9
	s_mov_b32 s11, exec_lo
	s_delay_alu instid0(VALU_DEP_2) | instskip(NEXT) | instid1(VALU_DEP_1)
	v_add3_u32 v33, v9, v33, 0x7fff
	v_and_b32_e32 v33, 0xffff0000, v33
	s_delay_alu instid0(VALU_DEP_1) | instskip(NEXT) | instid1(VALU_DEP_1)
	v_cndmask_b32_e32 v9, 0x7fc00000, v33, vcc_lo
	v_mul_f32_e32 v33, s13, v9
	v_and_b32_e32 v9, 0xffff0000, v37
	s_delay_alu instid0(VALU_DEP_2)
	v_cmpx_nlt_f32_e32 s14, v33
	s_cbranch_execz .LBB59_59
; %bb.58:
	v_mul_f32_e32 v36, 0x3fb8aa3b, v33
	v_cmp_ngt_f32_e32 vcc_lo, 0xc2ce8ed0, v33
	s_delay_alu instid0(VALU_DEP_2) | instskip(SKIP_1) | instid1(VALU_DEP_2)
	v_rndne_f32_e32 v37, v36
	v_fma_f32 v38, 0x3fb8aa3b, v33, -v36
	v_sub_f32_e32 v36, v36, v37
	s_delay_alu instid0(VALU_DEP_2) | instskip(SKIP_1) | instid1(VALU_DEP_2)
	v_fmamk_f32 v38, v33, 0x32a5705f, v38
	v_cvt_i32_f32_e32 v37, v37
	v_add_f32_e32 v36, v36, v38
	s_delay_alu instid0(VALU_DEP_1) | instskip(SKIP_1) | instid1(TRANS32_DEP_1)
	v_exp_f32_e32 v36, v36
	v_nop
	v_ldexp_f32 v36, v36, v37
	s_delay_alu instid0(VALU_DEP_1) | instskip(SKIP_1) | instid1(VALU_DEP_2)
	v_cndmask_b32_e32 v36, 0, v36, vcc_lo
	v_cmp_nlt_f32_e32 vcc_lo, 0x42b17218, v33
	v_cndmask_b32_e32 v33, 0x7f800000, v36, vcc_lo
	s_delay_alu instid0(VALU_DEP_1) | instskip(SKIP_1) | instid1(VALU_DEP_1)
	v_mul_f32_e32 v9, v33, v9
	v_add_f32_e32 v33, 1.0, v33
	v_div_scale_f32 v36, null, v33, v33, v9
	s_delay_alu instid0(VALU_DEP_1) | instskip(SKIP_1) | instid1(TRANS32_DEP_1)
	v_rcp_f32_e32 v37, v36
	v_nop
	v_fma_f32 v38, -v36, v37, 1.0
	s_delay_alu instid0(VALU_DEP_1) | instskip(SKIP_1) | instid1(VALU_DEP_1)
	v_fmac_f32_e32 v37, v38, v37
	v_div_scale_f32 v38, vcc_lo, v9, v33, v9
	v_mul_f32_e32 v39, v38, v37
	s_delay_alu instid0(VALU_DEP_1) | instskip(NEXT) | instid1(VALU_DEP_1)
	v_fma_f32 v40, -v36, v39, v38
	v_fmac_f32_e32 v39, v40, v37
	s_delay_alu instid0(VALU_DEP_1) | instskip(NEXT) | instid1(VALU_DEP_1)
	v_fma_f32 v36, -v36, v39, v38
	v_div_fmas_f32 v36, v36, v37, v39
	s_delay_alu instid0(VALU_DEP_1)
	v_div_fixup_f32 v9, v36, v33, v9
.LBB59_59:
	s_or_b32 exec_lo, exec_lo, s11
	s_wait_loadcnt 0x0
	v_bfe_u32 v33, v2, 16, 1
	v_cmp_o_f32_e32 vcc_lo, v2, v2
	s_mov_b32 s11, exec_lo
	s_delay_alu instid0(VALU_DEP_2) | instskip(NEXT) | instid1(VALU_DEP_1)
	v_add3_u32 v33, v2, v33, 0x7fff
	v_and_b32_e32 v33, 0xffff0000, v33
	s_delay_alu instid0(VALU_DEP_1) | instskip(NEXT) | instid1(VALU_DEP_1)
	v_dual_cndmask_b32 v2, 0x7fc00000, v33 :: v_dual_lshlrev_b32 v33, 16, v34
	v_mul_f32_e32 v2, s13, v2
	s_delay_alu instid0(VALU_DEP_1)
	v_cmpx_nlt_f32_e32 s14, v2
	s_cbranch_execz .LBB59_61
; %bb.60:
	v_mul_f32_e32 v36, 0x3fb8aa3b, v2
	v_cmp_ngt_f32_e32 vcc_lo, 0xc2ce8ed0, v2
	s_delay_alu instid0(VALU_DEP_2) | instskip(SKIP_1) | instid1(VALU_DEP_2)
	v_rndne_f32_e32 v37, v36
	v_fma_f32 v38, 0x3fb8aa3b, v2, -v36
	v_sub_f32_e32 v36, v36, v37
	s_delay_alu instid0(VALU_DEP_2) | instskip(SKIP_1) | instid1(VALU_DEP_2)
	v_fmamk_f32 v38, v2, 0x32a5705f, v38
	v_cvt_i32_f32_e32 v37, v37
	v_add_f32_e32 v36, v36, v38
	s_delay_alu instid0(VALU_DEP_1) | instskip(SKIP_1) | instid1(TRANS32_DEP_1)
	v_exp_f32_e32 v36, v36
	v_nop
	v_ldexp_f32 v36, v36, v37
	s_delay_alu instid0(VALU_DEP_1) | instskip(SKIP_1) | instid1(VALU_DEP_2)
	v_cndmask_b32_e32 v36, 0, v36, vcc_lo
	v_cmp_nlt_f32_e32 vcc_lo, 0x42b17218, v2
	v_cndmask_b32_e32 v2, 0x7f800000, v36, vcc_lo
	s_delay_alu instid0(VALU_DEP_1) | instskip(NEXT) | instid1(VALU_DEP_1)
	v_dual_mul_f32 v33, v2, v33 :: v_dual_add_f32 v2, 1.0, v2
	v_div_scale_f32 v36, null, v2, v2, v33
	s_delay_alu instid0(VALU_DEP_1) | instskip(SKIP_1) | instid1(TRANS32_DEP_1)
	v_rcp_f32_e32 v37, v36
	v_nop
	v_fma_f32 v38, -v36, v37, 1.0
	s_delay_alu instid0(VALU_DEP_1) | instskip(SKIP_1) | instid1(VALU_DEP_1)
	v_fmac_f32_e32 v37, v38, v37
	v_div_scale_f32 v38, vcc_lo, v33, v2, v33
	v_mul_f32_e32 v39, v38, v37
	s_delay_alu instid0(VALU_DEP_1) | instskip(NEXT) | instid1(VALU_DEP_1)
	v_fma_f32 v40, -v36, v39, v38
	v_fmac_f32_e32 v39, v40, v37
	s_delay_alu instid0(VALU_DEP_1) | instskip(NEXT) | instid1(VALU_DEP_1)
	v_fma_f32 v36, -v36, v39, v38
	v_div_fmas_f32 v36, v36, v37, v39
	s_delay_alu instid0(VALU_DEP_1)
	v_div_fixup_f32 v33, v36, v2, v33
.LBB59_61:
	s_or_b32 exec_lo, exec_lo, s11
	v_bfe_u32 v2, v3, 16, 1
	v_cmp_o_f32_e32 vcc_lo, v3, v3
	v_and_b32_e32 v34, 0xffff0000, v34
	s_mov_b32 s11, exec_lo
	s_delay_alu instid0(VALU_DEP_3) | instskip(NEXT) | instid1(VALU_DEP_1)
	v_add3_u32 v2, v3, v2, 0x7fff
	v_and_b32_e32 v2, 0xffff0000, v2
	s_delay_alu instid0(VALU_DEP_1) | instskip(NEXT) | instid1(VALU_DEP_1)
	v_cndmask_b32_e32 v2, 0x7fc00000, v2, vcc_lo
	v_mul_f32_e32 v2, s13, v2
	s_delay_alu instid0(VALU_DEP_1)
	v_cmpx_nlt_f32_e32 s14, v2
	s_cbranch_execz .LBB59_63
; %bb.62:
	v_mul_f32_e32 v3, 0x3fb8aa3b, v2
	v_cmp_ngt_f32_e32 vcc_lo, 0xc2ce8ed0, v2
	s_delay_alu instid0(VALU_DEP_2) | instskip(SKIP_1) | instid1(VALU_DEP_2)
	v_rndne_f32_e32 v36, v3
	v_fma_f32 v37, 0x3fb8aa3b, v2, -v3
	v_sub_f32_e32 v3, v3, v36
	s_delay_alu instid0(VALU_DEP_2) | instskip(SKIP_1) | instid1(VALU_DEP_2)
	v_fmamk_f32 v37, v2, 0x32a5705f, v37
	v_cvt_i32_f32_e32 v36, v36
	v_add_f32_e32 v3, v3, v37
	s_delay_alu instid0(VALU_DEP_1) | instskip(SKIP_1) | instid1(TRANS32_DEP_1)
	v_exp_f32_e32 v3, v3
	v_nop
	v_ldexp_f32 v3, v3, v36
	s_delay_alu instid0(VALU_DEP_1) | instskip(SKIP_1) | instid1(VALU_DEP_2)
	v_cndmask_b32_e32 v3, 0, v3, vcc_lo
	v_cmp_nlt_f32_e32 vcc_lo, 0x42b17218, v2
	v_cndmask_b32_e32 v2, 0x7f800000, v3, vcc_lo
	s_delay_alu instid0(VALU_DEP_1) | instskip(SKIP_1) | instid1(VALU_DEP_1)
	v_mul_f32_e32 v3, v2, v34
	v_add_f32_e32 v2, 1.0, v2
	v_div_scale_f32 v34, null, v2, v2, v3
	s_delay_alu instid0(VALU_DEP_1) | instskip(SKIP_1) | instid1(TRANS32_DEP_1)
	v_rcp_f32_e32 v36, v34
	v_nop
	v_fma_f32 v37, -v34, v36, 1.0
	s_delay_alu instid0(VALU_DEP_1) | instskip(SKIP_1) | instid1(VALU_DEP_1)
	v_fmac_f32_e32 v36, v37, v36
	v_div_scale_f32 v37, vcc_lo, v3, v2, v3
	v_mul_f32_e32 v38, v37, v36
	s_delay_alu instid0(VALU_DEP_1) | instskip(NEXT) | instid1(VALU_DEP_1)
	v_fma_f32 v39, -v34, v38, v37
	v_fmac_f32_e32 v38, v39, v36
	s_delay_alu instid0(VALU_DEP_1) | instskip(NEXT) | instid1(VALU_DEP_1)
	v_fma_f32 v34, -v34, v38, v37
	v_div_fmas_f32 v34, v34, v36, v38
	s_delay_alu instid0(VALU_DEP_1)
	v_div_fixup_f32 v34, v34, v2, v3
.LBB59_63:
	s_or_b32 exec_lo, exec_lo, s11
	v_bfe_u32 v2, v4, 16, 1
	v_cmp_o_f32_e32 vcc_lo, v4, v4
	s_mov_b32 s11, exec_lo
	s_delay_alu instid0(VALU_DEP_2) | instskip(SKIP_1) | instid1(VALU_DEP_2)
	v_add3_u32 v2, v4, v2, 0x7fff
	v_lshlrev_b32_e32 v4, 16, v35
	v_and_b32_e32 v2, 0xffff0000, v2
	s_delay_alu instid0(VALU_DEP_1) | instskip(NEXT) | instid1(VALU_DEP_1)
	v_cndmask_b32_e32 v2, 0x7fc00000, v2, vcc_lo
	v_mul_f32_e32 v2, s13, v2
	s_delay_alu instid0(VALU_DEP_1)
	v_cmpx_nlt_f32_e32 s14, v2
	s_cbranch_execz .LBB59_65
; %bb.64:
	v_mul_f32_e32 v3, 0x3fb8aa3b, v2
	v_cmp_ngt_f32_e32 vcc_lo, 0xc2ce8ed0, v2
	s_delay_alu instid0(VALU_DEP_2) | instskip(SKIP_1) | instid1(VALU_DEP_2)
	v_rndne_f32_e32 v36, v3
	v_fma_f32 v37, 0x3fb8aa3b, v2, -v3
	v_sub_f32_e32 v3, v3, v36
	s_delay_alu instid0(VALU_DEP_2) | instskip(SKIP_1) | instid1(VALU_DEP_2)
	v_fmamk_f32 v37, v2, 0x32a5705f, v37
	v_cvt_i32_f32_e32 v36, v36
	v_add_f32_e32 v3, v3, v37
	s_delay_alu instid0(VALU_DEP_1) | instskip(SKIP_1) | instid1(TRANS32_DEP_1)
	v_exp_f32_e32 v3, v3
	v_nop
	v_ldexp_f32 v3, v3, v36
	s_delay_alu instid0(VALU_DEP_1) | instskip(SKIP_1) | instid1(VALU_DEP_2)
	v_cndmask_b32_e32 v3, 0, v3, vcc_lo
	v_cmp_nlt_f32_e32 vcc_lo, 0x42b17218, v2
	v_cndmask_b32_e32 v2, 0x7f800000, v3, vcc_lo
	s_delay_alu instid0(VALU_DEP_1) | instskip(NEXT) | instid1(VALU_DEP_1)
	v_dual_mul_f32 v3, v2, v4 :: v_dual_add_f32 v2, 1.0, v2
	v_div_scale_f32 v4, null, v2, v2, v3
	s_delay_alu instid0(VALU_DEP_1) | instskip(SKIP_1) | instid1(TRANS32_DEP_1)
	v_rcp_f32_e32 v36, v4
	v_nop
	v_fma_f32 v37, -v4, v36, 1.0
	s_delay_alu instid0(VALU_DEP_1) | instskip(SKIP_1) | instid1(VALU_DEP_1)
	v_fmac_f32_e32 v36, v37, v36
	v_div_scale_f32 v37, vcc_lo, v3, v2, v3
	v_mul_f32_e32 v38, v37, v36
	s_delay_alu instid0(VALU_DEP_1) | instskip(NEXT) | instid1(VALU_DEP_1)
	v_fma_f32 v39, -v4, v38, v37
	v_fmac_f32_e32 v38, v39, v36
	s_delay_alu instid0(VALU_DEP_1) | instskip(NEXT) | instid1(VALU_DEP_1)
	v_fma_f32 v4, -v4, v38, v37
	v_div_fmas_f32 v4, v4, v36, v38
	s_delay_alu instid0(VALU_DEP_1)
	v_div_fixup_f32 v4, v4, v2, v3
.LBB59_65:
	s_or_b32 exec_lo, exec_lo, s11
	v_bfe_u32 v2, v5, 16, 1
	v_cmp_o_f32_e32 vcc_lo, v5, v5
	s_mov_b32 s11, exec_lo
	s_delay_alu instid0(VALU_DEP_2) | instskip(SKIP_1) | instid1(VALU_DEP_2)
	v_add3_u32 v2, v5, v2, 0x7fff
	v_and_b32_e32 v5, 0xffff0000, v35
	v_and_b32_e32 v2, 0xffff0000, v2
	s_delay_alu instid0(VALU_DEP_1) | instskip(NEXT) | instid1(VALU_DEP_1)
	v_cndmask_b32_e32 v2, 0x7fc00000, v2, vcc_lo
	v_mul_f32_e32 v2, s13, v2
	s_delay_alu instid0(VALU_DEP_1)
	v_cmpx_nlt_f32_e32 s14, v2
	s_cbranch_execz .LBB59_67
; %bb.66:
	v_mul_f32_e32 v3, 0x3fb8aa3b, v2
	v_cmp_ngt_f32_e32 vcc_lo, 0xc2ce8ed0, v2
	s_delay_alu instid0(VALU_DEP_2) | instskip(SKIP_1) | instid1(VALU_DEP_1)
	v_rndne_f32_e32 v35, v3
	v_fma_f32 v36, 0x3fb8aa3b, v2, -v3
	v_dual_sub_f32 v3, v3, v35 :: v_dual_fmamk_f32 v36, v2, 0x32a5705f, v36
	v_cvt_i32_f32_e32 v35, v35
	s_delay_alu instid0(VALU_DEP_2) | instskip(NEXT) | instid1(VALU_DEP_1)
	v_add_f32_e32 v3, v3, v36
	v_exp_f32_e32 v3, v3
	v_nop
	s_delay_alu instid0(TRANS32_DEP_1) | instskip(NEXT) | instid1(VALU_DEP_1)
	v_ldexp_f32 v3, v3, v35
	v_cndmask_b32_e32 v3, 0, v3, vcc_lo
	v_cmp_nlt_f32_e32 vcc_lo, 0x42b17218, v2
	s_delay_alu instid0(VALU_DEP_2) | instskip(NEXT) | instid1(VALU_DEP_1)
	v_cndmask_b32_e32 v2, 0x7f800000, v3, vcc_lo
	v_dual_mul_f32 v3, v2, v5 :: v_dual_add_f32 v2, 1.0, v2
	s_delay_alu instid0(VALU_DEP_1) | instskip(NEXT) | instid1(VALU_DEP_1)
	v_div_scale_f32 v5, null, v2, v2, v3
	v_rcp_f32_e32 v35, v5
	v_nop
	s_delay_alu instid0(TRANS32_DEP_1) | instskip(NEXT) | instid1(VALU_DEP_1)
	v_fma_f32 v36, -v5, v35, 1.0
	v_fmac_f32_e32 v35, v36, v35
	v_div_scale_f32 v36, vcc_lo, v3, v2, v3
	s_delay_alu instid0(VALU_DEP_1) | instskip(NEXT) | instid1(VALU_DEP_1)
	v_mul_f32_e32 v37, v36, v35
	v_fma_f32 v38, -v5, v37, v36
	s_delay_alu instid0(VALU_DEP_1) | instskip(NEXT) | instid1(VALU_DEP_1)
	v_fmac_f32_e32 v37, v38, v35
	v_fma_f32 v5, -v5, v37, v36
	s_delay_alu instid0(VALU_DEP_1) | instskip(NEXT) | instid1(VALU_DEP_1)
	v_div_fmas_f32 v5, v5, v35, v37
	v_div_fixup_f32 v5, v5, v2, v3
.LBB59_67:
	s_or_b32 exec_lo, exec_lo, s11
	v_bfe_u32 v2, v30, 16, 1
	v_bfe_u32 v3, v1, 16, 1
	;; [unrolled: 1-line block ×3, first 2 shown]
	v_cmp_o_f32_e32 vcc_lo, v30, v30
	v_bfe_u32 v35, v31, 16, 1
	v_add3_u32 v2, v30, v2, 0x7fff
	v_add3_u32 v3, v1, v3, 0x7fff
	;; [unrolled: 1-line block ×3, first 2 shown]
	s_add_nc_u64 s[8:9], s[4:5], s[8:9]
	v_add3_u32 v35, v31, v35, 0x7fff
	v_and_b32_e32 v2, 0xffff0000, v2
	v_lshrrev_b32_e32 v3, 16, v3
	v_and_b32_e32 v36, 0xffff0000, v36
	s_delay_alu instid0(VALU_DEP_3) | instskip(SKIP_1) | instid1(VALU_DEP_4)
	v_cndmask_b32_e32 v2, 0x7fc00000, v2, vcc_lo
	v_cmp_o_f32_e32 vcc_lo, v1, v1
	v_cndmask_b32_e32 v1, 0x7fc0, v3, vcc_lo
	v_cmp_o_f32_e32 vcc_lo, v32, v32
	v_lshrrev_b32_e32 v35, 16, v35
	v_bfe_u32 v32, v28, 16, 1
	s_delay_alu instid0(VALU_DEP_4)
	v_or_b32_e32 v1, v2, v1
	v_cndmask_b32_e32 v3, 0x7fc00000, v36, vcc_lo
	v_cmp_o_f32_e32 vcc_lo, v31, v31
	v_bfe_u32 v2, v27, 16, 1
	v_add3_u32 v32, v28, v32, 0x7fff
	v_bfe_u32 v31, v26, 16, 1
	v_cndmask_b32_e32 v30, 0x7fc0, v35, vcc_lo
	v_bfe_u32 v35, v29, 16, 1
	v_cmp_o_f32_e32 vcc_lo, v27, v27
	s_delay_alu instid0(VALU_DEP_4) | instskip(NEXT) | instid1(VALU_DEP_4)
	v_add3_u32 v31, v26, v31, 0x7fff
	v_or3_b32 v3, 0, v30, v3
	v_add3_u32 v30, v27, v2, 0x7fff
	v_or3_b32 v2, v1, 0, 0
	v_add3_u32 v35, v29, v35, 0x7fff
	s_delay_alu instid0(VALU_DEP_3) | instskip(SKIP_1) | instid1(VALU_DEP_3)
	v_and_b32_e32 v1, 0xffff0000, v30
	v_dual_lshrrev_b32 v30, 16, v31 :: v_dual_lshrrev_b32 v31, 16, v32
	v_and_b32_e32 v32, 0xffff0000, v35
	s_delay_alu instid0(VALU_DEP_3) | instskip(SKIP_1) | instid1(VALU_DEP_4)
	v_cndmask_b32_e32 v1, 0x7fc00000, v1, vcc_lo
	v_cmp_o_f32_e32 vcc_lo, v26, v26
	v_cndmask_b32_e32 v26, 0x7fc0, v30, vcc_lo
	v_cmp_o_f32_e32 vcc_lo, v29, v29
	v_bfe_u32 v29, v22, 16, 1
	v_bfe_u32 v30, v24, 16, 1
	s_delay_alu instid0(VALU_DEP_4)
	v_or_b32_e32 v1, v1, v26
	v_cndmask_b32_e32 v27, 0x7fc00000, v32, vcc_lo
	v_cmp_o_f32_e32 vcc_lo, v28, v28
	v_bfe_u32 v26, v23, 16, 1
	v_add3_u32 v29, v22, v29, 0x7fff
	v_add3_u32 v30, v24, v30, 0x7fff
	v_cndmask_b32_e32 v28, 0x7fc0, v31, vcc_lo
	v_bfe_u32 v31, v25, 16, 1
	v_cmp_o_f32_e32 vcc_lo, v23, v23
	s_delay_alu instid0(VALU_DEP_3) | instskip(SKIP_3) | instid1(VALU_DEP_3)
	v_or3_b32 v27, 0, v28, v27
	v_add3_u32 v28, v23, v26, 0x7fff
	v_or3_b32 v26, v1, 0, 0
	v_add3_u32 v31, v25, v31, 0x7fff
	v_and_b32_e32 v1, 0xffff0000, v28
	v_dual_lshrrev_b32 v28, 16, v29 :: v_dual_lshrrev_b32 v29, 16, v30
	s_delay_alu instid0(VALU_DEP_3) | instskip(NEXT) | instid1(VALU_DEP_3)
	v_and_b32_e32 v30, 0xffff0000, v31
	v_cndmask_b32_e32 v1, 0x7fc00000, v1, vcc_lo
	v_cmp_o_f32_e32 vcc_lo, v22, v22
	s_delay_alu instid0(VALU_DEP_4) | instskip(SKIP_3) | instid1(VALU_DEP_4)
	v_cndmask_b32_e32 v22, 0x7fc0, v28, vcc_lo
	v_cmp_o_f32_e32 vcc_lo, v25, v25
	v_bfe_u32 v25, v18, 16, 1
	v_bfe_u32 v28, v20, 16, 1
	v_or_b32_e32 v1, v1, v22
	v_cndmask_b32_e32 v23, 0x7fc00000, v30, vcc_lo
	v_cmp_o_f32_e32 vcc_lo, v24, v24
	v_bfe_u32 v22, v19, 16, 1
	v_add3_u32 v25, v18, v25, 0x7fff
	v_add3_u32 v28, v20, v28, 0x7fff
	v_cndmask_b32_e32 v24, 0x7fc0, v29, vcc_lo
	v_bfe_u32 v29, v21, 16, 1
	v_cmp_o_f32_e32 vcc_lo, v19, v19
	s_delay_alu instid0(VALU_DEP_3) | instskip(SKIP_3) | instid1(VALU_DEP_3)
	v_or3_b32 v23, 0, v24, v23
	v_add3_u32 v24, v19, v22, 0x7fff
	v_or3_b32 v22, v1, 0, 0
	v_add3_u32 v29, v21, v29, 0x7fff
	v_and_b32_e32 v1, 0xffff0000, v24
	v_dual_lshrrev_b32 v24, 16, v25 :: v_dual_lshrrev_b32 v25, 16, v28
	s_delay_alu instid0(VALU_DEP_3) | instskip(NEXT) | instid1(VALU_DEP_3)
	v_and_b32_e32 v28, 0xffff0000, v29
	v_cndmask_b32_e32 v1, 0x7fc00000, v1, vcc_lo
	v_cmp_o_f32_e32 vcc_lo, v18, v18
	s_delay_alu instid0(VALU_DEP_4) | instskip(SKIP_3) | instid1(VALU_DEP_4)
	v_cndmask_b32_e32 v18, 0x7fc0, v24, vcc_lo
	v_cmp_o_f32_e32 vcc_lo, v21, v21
	v_bfe_u32 v21, v14, 16, 1
	v_bfe_u32 v24, v16, 16, 1
	;; [unrolled: 25-line block ×3, first 2 shown]
	v_or_b32_e32 v1, v1, v14
	v_cndmask_b32_e32 v15, 0x7fc00000, v24, vcc_lo
	v_cmp_o_f32_e32 vcc_lo, v16, v16
	v_bfe_u32 v14, v13, 16, 1
	v_add3_u32 v17, v10, v17, 0x7fff
	v_add3_u32 v20, v12, v20, 0x7fff
	v_cndmask_b32_e32 v16, 0x7fc0, v21, vcc_lo
	v_bfe_u32 v21, v11, 16, 1
	v_cmp_o_f32_e32 vcc_lo, v13, v13
	s_delay_alu instid0(VALU_DEP_3) | instskip(SKIP_4) | instid1(VALU_DEP_4)
	v_or3_b32 v15, 0, v16, v15
	v_add3_u32 v16, v13, v14, 0x7fff
	v_or3_b32 v14, v1, 0, 0
	v_add3_u32 v21, v11, v21, 0x7fff
	v_bfe_u32 v13, v9, 16, 1
	v_and_b32_e32 v1, 0xffff0000, v16
	v_dual_lshrrev_b32 v16, 16, v17 :: v_dual_lshrrev_b32 v17, 16, v20
	s_delay_alu instid0(VALU_DEP_4) | instskip(NEXT) | instid1(VALU_DEP_4)
	v_and_b32_e32 v20, 0xffff0000, v21
	v_add3_u32 v13, v9, v13, 0x7fff
	s_delay_alu instid0(VALU_DEP_4)
	v_cndmask_b32_e32 v1, 0x7fc00000, v1, vcc_lo
	v_cmp_o_f32_e32 vcc_lo, v12, v12
	v_cndmask_b32_e32 v12, 0x7fc0, v17, vcc_lo
	v_cmp_o_f32_e32 vcc_lo, v11, v11
	v_bfe_u32 v17, v8, 16, 1
	v_cndmask_b32_e32 v11, 0x7fc00000, v20, vcc_lo
	v_cmp_o_f32_e32 vcc_lo, v10, v10
	v_bfe_u32 v20, v7, 16, 1
	s_delay_alu instid0(VALU_DEP_4)
	v_add3_u32 v17, v8, v17, 0x7fff
	v_cndmask_b32_e32 v10, 0x7fc0, v16, vcc_lo
	v_bfe_u32 v16, v6, 16, 1
	v_cmp_o_f32_e32 vcc_lo, v9, v9
	v_add3_u32 v20, v7, v20, 0x7fff
	v_bfe_u32 v9, v33, 16, 1
	v_or_b32_e32 v10, v11, v10
	v_or3_b32 v11, 0, v12, v1
	v_and_b32_e32 v1, 0xffff0000, v13
	v_add3_u32 v16, v6, v16, 0x7fff
	v_lshrrev_b32_e32 v13, 16, v17
	v_bfe_u32 v17, v5, 16, 1
	v_add3_u32 v9, v33, v9, 0x7fff
	v_cndmask_b32_e32 v1, 0x7fc00000, v1, vcc_lo
	v_cmp_o_f32_e32 vcc_lo, v8, v8
	v_lshrrev_b32_e32 v12, 16, v16
	v_and_b32_e32 v16, 0xffff0000, v20
	v_lshrrev_b32_e32 v9, 16, v9
	v_or3_b32 v10, v10, 0, 0
	v_cndmask_b32_e32 v8, 0x7fc0, v13, vcc_lo
	v_cmp_o_f32_e32 vcc_lo, v7, v7
	v_bfe_u32 v13, v34, 16, 1
	v_cndmask_b32_e32 v7, 0x7fc00000, v16, vcc_lo
	v_cmp_o_f32_e32 vcc_lo, v6, v6
	v_bfe_u32 v16, v4, 16, 1
	v_cndmask_b32_e32 v6, 0x7fc0, v12, vcc_lo
	v_add3_u32 v12, v34, v13, 0x7fff
	v_cmp_o_f32_e32 vcc_lo, v34, v34
	s_delay_alu instid0(VALU_DEP_4) | instskip(SKIP_3) | instid1(VALU_DEP_4)
	v_add3_u32 v13, v4, v16, 0x7fff
	v_add3_u32 v16, v5, v17, 0x7fff
	v_or_b32_e32 v6, v7, v6
	v_and_b32_e32 v7, 0xffff0000, v12
	v_lshrrev_b32_e32 v12, 16, v13
	s_delay_alu instid0(VALU_DEP_4) | instskip(NEXT) | instid1(VALU_DEP_3)
	v_and_b32_e32 v13, 0xffff0000, v16
	v_cndmask_b32_e32 v7, 0x7fc00000, v7, vcc_lo
	v_cmp_o_f32_e32 vcc_lo, v33, v33
	v_cndmask_b32_e32 v9, 0x7fc0, v9, vcc_lo
	v_cmp_o_f32_e32 vcc_lo, v5, v5
	v_or3_b32 v5, 0, v8, v1
	s_delay_alu instid0(VALU_DEP_3) | instskip(SKIP_3) | instid1(VALU_DEP_4)
	v_or_b32_e32 v9, v7, v9
	v_cndmask_b32_e32 v13, 0x7fc00000, v13, vcc_lo
	v_cmp_o_f32_e32 vcc_lo, v4, v4
	v_or3_b32 v4, v6, 0, 0
	v_or3_b32 v6, v9, 0, 0
	v_cndmask_b32_e32 v12, 0x7fc0, v12, vcc_lo
	s_delay_alu instid0(VALU_DEP_1)
	v_or3_b32 v7, 0, v12, v13
	s_clause 0x7
	global_store_b64 v0, v[2:3], s[8:9] scale_offset
	global_store_b64 v0, v[26:27], s[8:9] offset:4096 scale_offset
	global_store_b64 v0, v[22:23], s[8:9] offset:8192 scale_offset
	;; [unrolled: 1-line block ×7, first 2 shown]
	s_branch .LBB59_2
.LBB59_68:
	s_clause 0x1
	s_load_b32 s11, s[0:1], 0x2c
	s_load_b128 s[16:19], s[0:1], 0x30
	v_dual_mov_b32 v31, v0 :: v_dual_mov_b32 v0, s13
	v_dual_mov_b32 v1, s14 :: v_dual_mov_b32 v2, s4
	;; [unrolled: 1-line block ×5, first 2 shown]
	s_add_nc_u64 s[8:9], s[0:1], 64
	s_wait_xcnt 0x0
	s_get_pc_i64 s[0:1]
	s_add_nc_u64 s[0:1], s[0:1], _ZN2at6native25elementwise_kernel_helperILb1EZZZNS0_12_GLOBAL__N_124softplus_backward_kernelERNS_18TensorIteratorBaseERKN3c106ScalarES8_ENKUlvE_clEvENKUlvE0_clEvEUlffE_NS0_6memory8policies11unroll_baseILi512ESt5arrayIPcLm3EE23TrivialOffsetCalculatorILi2EjESI_ILi1EjENSC_12LoadWithCastILi2EEENSC_13StoreWithCastILi1EEELi32ELi1EEEEEvT0_T1_@rel64+4
	s_wait_kmcnt 0x0
	s_bfe_u32 s12, s11, 0x80008
	v_dual_mov_b32 v9, s11 :: v_dual_mov_b32 v11, s16
	v_dual_mov_b32 v12, s17 :: v_dual_mov_b32 v13, s18
	v_dual_mov_b32 v10, s12 :: v_dual_mov_b32 v14, s19
	s_swap_pc_i64 s[30:31], s[0:1]
	s_endpgm
	.section	.rodata,"a",@progbits
	.p2align	6, 0x0
	.amdhsa_kernel _ZN2at6native39vectorized_templated_elementwise_kernelILi4EZZZNS0_12_GLOBAL__N_124softplus_backward_kernelERNS_18TensorIteratorBaseERKN3c106ScalarES8_ENKUlvE_clEvENKUlvE0_clEvEUlffE_St5arrayIPcLm3EE23TrivialOffsetCalculatorILi2EjESF_ILi1EjENS0_6memory12LoadWithCastILi2EEENSI_13StoreWithCastILi1EEENS5_8BFloat16EJSN_fEEEviT0_T1_T2_T3_T4_T5_
		.amdhsa_group_segment_fixed_size 0
		.amdhsa_private_segment_fixed_size 272
		.amdhsa_kernarg_size 320
		.amdhsa_user_sgpr_count 2
		.amdhsa_user_sgpr_dispatch_ptr 0
		.amdhsa_user_sgpr_queue_ptr 0
		.amdhsa_user_sgpr_kernarg_segment_ptr 1
		.amdhsa_user_sgpr_dispatch_id 0
		.amdhsa_user_sgpr_kernarg_preload_length 0
		.amdhsa_user_sgpr_kernarg_preload_offset 0
		.amdhsa_user_sgpr_private_segment_size 0
		.amdhsa_wavefront_size32 1
		.amdhsa_uses_dynamic_stack 0
		.amdhsa_enable_private_segment 1
		.amdhsa_system_sgpr_workgroup_id_x 1
		.amdhsa_system_sgpr_workgroup_id_y 0
		.amdhsa_system_sgpr_workgroup_id_z 0
		.amdhsa_system_sgpr_workgroup_info 0
		.amdhsa_system_vgpr_workitem_id 0
		.amdhsa_next_free_vgpr 132
		.amdhsa_next_free_sgpr 96
		.amdhsa_named_barrier_count 0
		.amdhsa_reserve_vcc 1
		.amdhsa_float_round_mode_32 0
		.amdhsa_float_round_mode_16_64 0
		.amdhsa_float_denorm_mode_32 3
		.amdhsa_float_denorm_mode_16_64 3
		.amdhsa_fp16_overflow 0
		.amdhsa_memory_ordered 1
		.amdhsa_forward_progress 1
		.amdhsa_inst_pref_size 89
		.amdhsa_round_robin_scheduling 0
		.amdhsa_exception_fp_ieee_invalid_op 0
		.amdhsa_exception_fp_denorm_src 0
		.amdhsa_exception_fp_ieee_div_zero 0
		.amdhsa_exception_fp_ieee_overflow 0
		.amdhsa_exception_fp_ieee_underflow 0
		.amdhsa_exception_fp_ieee_inexact 0
		.amdhsa_exception_int_div_zero 0
	.end_amdhsa_kernel
	.section	.text._ZN2at6native39vectorized_templated_elementwise_kernelILi4EZZZNS0_12_GLOBAL__N_124softplus_backward_kernelERNS_18TensorIteratorBaseERKN3c106ScalarES8_ENKUlvE_clEvENKUlvE0_clEvEUlffE_St5arrayIPcLm3EE23TrivialOffsetCalculatorILi2EjESF_ILi1EjENS0_6memory12LoadWithCastILi2EEENSI_13StoreWithCastILi1EEENS5_8BFloat16EJSN_fEEEviT0_T1_T2_T3_T4_T5_,"axG",@progbits,_ZN2at6native39vectorized_templated_elementwise_kernelILi4EZZZNS0_12_GLOBAL__N_124softplus_backward_kernelERNS_18TensorIteratorBaseERKN3c106ScalarES8_ENKUlvE_clEvENKUlvE0_clEvEUlffE_St5arrayIPcLm3EE23TrivialOffsetCalculatorILi2EjESF_ILi1EjENS0_6memory12LoadWithCastILi2EEENSI_13StoreWithCastILi1EEENS5_8BFloat16EJSN_fEEEviT0_T1_T2_T3_T4_T5_,comdat
.Lfunc_end59:
	.size	_ZN2at6native39vectorized_templated_elementwise_kernelILi4EZZZNS0_12_GLOBAL__N_124softplus_backward_kernelERNS_18TensorIteratorBaseERKN3c106ScalarES8_ENKUlvE_clEvENKUlvE0_clEvEUlffE_St5arrayIPcLm3EE23TrivialOffsetCalculatorILi2EjESF_ILi1EjENS0_6memory12LoadWithCastILi2EEENSI_13StoreWithCastILi1EEENS5_8BFloat16EJSN_fEEEviT0_T1_T2_T3_T4_T5_, .Lfunc_end59-_ZN2at6native39vectorized_templated_elementwise_kernelILi4EZZZNS0_12_GLOBAL__N_124softplus_backward_kernelERNS_18TensorIteratorBaseERKN3c106ScalarES8_ENKUlvE_clEvENKUlvE0_clEvEUlffE_St5arrayIPcLm3EE23TrivialOffsetCalculatorILi2EjESF_ILi1EjENS0_6memory12LoadWithCastILi2EEENSI_13StoreWithCastILi1EEENS5_8BFloat16EJSN_fEEEviT0_T1_T2_T3_T4_T5_
                                        ; -- End function
	.set _ZN2at6native39vectorized_templated_elementwise_kernelILi4EZZZNS0_12_GLOBAL__N_124softplus_backward_kernelERNS_18TensorIteratorBaseERKN3c106ScalarES8_ENKUlvE_clEvENKUlvE0_clEvEUlffE_St5arrayIPcLm3EE23TrivialOffsetCalculatorILi2EjESF_ILi1EjENS0_6memory12LoadWithCastILi2EEENSI_13StoreWithCastILi1EEENS5_8BFloat16EJSN_fEEEviT0_T1_T2_T3_T4_T5_.num_vgpr, max(55, .L_ZN2at6native25elementwise_kernel_helperILb1EZZZNS0_12_GLOBAL__N_124softplus_backward_kernelERNS_18TensorIteratorBaseERKN3c106ScalarES8_ENKUlvE_clEvENKUlvE0_clEvEUlffE_NS0_6memory8policies11unroll_baseILi512ESt5arrayIPcLm3EE23TrivialOffsetCalculatorILi2EjESI_ILi1EjENSC_12LoadWithCastILi2EEENSC_13StoreWithCastILi1EEELi32ELi1EEEEEvT0_T1_.num_vgpr)
	.set _ZN2at6native39vectorized_templated_elementwise_kernelILi4EZZZNS0_12_GLOBAL__N_124softplus_backward_kernelERNS_18TensorIteratorBaseERKN3c106ScalarES8_ENKUlvE_clEvENKUlvE0_clEvEUlffE_St5arrayIPcLm3EE23TrivialOffsetCalculatorILi2EjESF_ILi1EjENS0_6memory12LoadWithCastILi2EEENSI_13StoreWithCastILi1EEENS5_8BFloat16EJSN_fEEEviT0_T1_T2_T3_T4_T5_.num_agpr, max(0, .L_ZN2at6native25elementwise_kernel_helperILb1EZZZNS0_12_GLOBAL__N_124softplus_backward_kernelERNS_18TensorIteratorBaseERKN3c106ScalarES8_ENKUlvE_clEvENKUlvE0_clEvEUlffE_NS0_6memory8policies11unroll_baseILi512ESt5arrayIPcLm3EE23TrivialOffsetCalculatorILi2EjESI_ILi1EjENSC_12LoadWithCastILi2EEENSC_13StoreWithCastILi1EEELi32ELi1EEEEEvT0_T1_.num_agpr)
	.set _ZN2at6native39vectorized_templated_elementwise_kernelILi4EZZZNS0_12_GLOBAL__N_124softplus_backward_kernelERNS_18TensorIteratorBaseERKN3c106ScalarES8_ENKUlvE_clEvENKUlvE0_clEvEUlffE_St5arrayIPcLm3EE23TrivialOffsetCalculatorILi2EjESF_ILi1EjENS0_6memory12LoadWithCastILi2EEENSI_13StoreWithCastILi1EEENS5_8BFloat16EJSN_fEEEviT0_T1_T2_T3_T4_T5_.numbered_sgpr, max(33, .L_ZN2at6native25elementwise_kernel_helperILb1EZZZNS0_12_GLOBAL__N_124softplus_backward_kernelERNS_18TensorIteratorBaseERKN3c106ScalarES8_ENKUlvE_clEvENKUlvE0_clEvEUlffE_NS0_6memory8policies11unroll_baseILi512ESt5arrayIPcLm3EE23TrivialOffsetCalculatorILi2EjESI_ILi1EjENSC_12LoadWithCastILi2EEENSC_13StoreWithCastILi1EEELi32ELi1EEEEEvT0_T1_.numbered_sgpr)
	.set _ZN2at6native39vectorized_templated_elementwise_kernelILi4EZZZNS0_12_GLOBAL__N_124softplus_backward_kernelERNS_18TensorIteratorBaseERKN3c106ScalarES8_ENKUlvE_clEvENKUlvE0_clEvEUlffE_St5arrayIPcLm3EE23TrivialOffsetCalculatorILi2EjESF_ILi1EjENS0_6memory12LoadWithCastILi2EEENSI_13StoreWithCastILi1EEENS5_8BFloat16EJSN_fEEEviT0_T1_T2_T3_T4_T5_.num_named_barrier, max(0, .L_ZN2at6native25elementwise_kernel_helperILb1EZZZNS0_12_GLOBAL__N_124softplus_backward_kernelERNS_18TensorIteratorBaseERKN3c106ScalarES8_ENKUlvE_clEvENKUlvE0_clEvEUlffE_NS0_6memory8policies11unroll_baseILi512ESt5arrayIPcLm3EE23TrivialOffsetCalculatorILi2EjESI_ILi1EjENSC_12LoadWithCastILi2EEENSC_13StoreWithCastILi1EEELi32ELi1EEEEEvT0_T1_.num_named_barrier)
	.set _ZN2at6native39vectorized_templated_elementwise_kernelILi4EZZZNS0_12_GLOBAL__N_124softplus_backward_kernelERNS_18TensorIteratorBaseERKN3c106ScalarES8_ENKUlvE_clEvENKUlvE0_clEvEUlffE_St5arrayIPcLm3EE23TrivialOffsetCalculatorILi2EjESF_ILi1EjENS0_6memory12LoadWithCastILi2EEENSI_13StoreWithCastILi1EEENS5_8BFloat16EJSN_fEEEviT0_T1_T2_T3_T4_T5_.private_seg_size, 0+max(.L_ZN2at6native25elementwise_kernel_helperILb1EZZZNS0_12_GLOBAL__N_124softplus_backward_kernelERNS_18TensorIteratorBaseERKN3c106ScalarES8_ENKUlvE_clEvENKUlvE0_clEvEUlffE_NS0_6memory8policies11unroll_baseILi512ESt5arrayIPcLm3EE23TrivialOffsetCalculatorILi2EjESI_ILi1EjENSC_12LoadWithCastILi2EEENSC_13StoreWithCastILi1EEELi32ELi1EEEEEvT0_T1_.private_seg_size)
	.set _ZN2at6native39vectorized_templated_elementwise_kernelILi4EZZZNS0_12_GLOBAL__N_124softplus_backward_kernelERNS_18TensorIteratorBaseERKN3c106ScalarES8_ENKUlvE_clEvENKUlvE0_clEvEUlffE_St5arrayIPcLm3EE23TrivialOffsetCalculatorILi2EjESF_ILi1EjENS0_6memory12LoadWithCastILi2EEENSI_13StoreWithCastILi1EEENS5_8BFloat16EJSN_fEEEviT0_T1_T2_T3_T4_T5_.uses_vcc, or(1, .L_ZN2at6native25elementwise_kernel_helperILb1EZZZNS0_12_GLOBAL__N_124softplus_backward_kernelERNS_18TensorIteratorBaseERKN3c106ScalarES8_ENKUlvE_clEvENKUlvE0_clEvEUlffE_NS0_6memory8policies11unroll_baseILi512ESt5arrayIPcLm3EE23TrivialOffsetCalculatorILi2EjESI_ILi1EjENSC_12LoadWithCastILi2EEENSC_13StoreWithCastILi1EEELi32ELi1EEEEEvT0_T1_.uses_vcc)
	.set _ZN2at6native39vectorized_templated_elementwise_kernelILi4EZZZNS0_12_GLOBAL__N_124softplus_backward_kernelERNS_18TensorIteratorBaseERKN3c106ScalarES8_ENKUlvE_clEvENKUlvE0_clEvEUlffE_St5arrayIPcLm3EE23TrivialOffsetCalculatorILi2EjESF_ILi1EjENS0_6memory12LoadWithCastILi2EEENSI_13StoreWithCastILi1EEENS5_8BFloat16EJSN_fEEEviT0_T1_T2_T3_T4_T5_.uses_flat_scratch, or(0, .L_ZN2at6native25elementwise_kernel_helperILb1EZZZNS0_12_GLOBAL__N_124softplus_backward_kernelERNS_18TensorIteratorBaseERKN3c106ScalarES8_ENKUlvE_clEvENKUlvE0_clEvEUlffE_NS0_6memory8policies11unroll_baseILi512ESt5arrayIPcLm3EE23TrivialOffsetCalculatorILi2EjESI_ILi1EjENSC_12LoadWithCastILi2EEENSC_13StoreWithCastILi1EEELi32ELi1EEEEEvT0_T1_.uses_flat_scratch)
	.set _ZN2at6native39vectorized_templated_elementwise_kernelILi4EZZZNS0_12_GLOBAL__N_124softplus_backward_kernelERNS_18TensorIteratorBaseERKN3c106ScalarES8_ENKUlvE_clEvENKUlvE0_clEvEUlffE_St5arrayIPcLm3EE23TrivialOffsetCalculatorILi2EjESF_ILi1EjENS0_6memory12LoadWithCastILi2EEENSI_13StoreWithCastILi1EEENS5_8BFloat16EJSN_fEEEviT0_T1_T2_T3_T4_T5_.has_dyn_sized_stack, or(0, .L_ZN2at6native25elementwise_kernel_helperILb1EZZZNS0_12_GLOBAL__N_124softplus_backward_kernelERNS_18TensorIteratorBaseERKN3c106ScalarES8_ENKUlvE_clEvENKUlvE0_clEvEUlffE_NS0_6memory8policies11unroll_baseILi512ESt5arrayIPcLm3EE23TrivialOffsetCalculatorILi2EjESI_ILi1EjENSC_12LoadWithCastILi2EEENSC_13StoreWithCastILi1EEELi32ELi1EEEEEvT0_T1_.has_dyn_sized_stack)
	.set _ZN2at6native39vectorized_templated_elementwise_kernelILi4EZZZNS0_12_GLOBAL__N_124softplus_backward_kernelERNS_18TensorIteratorBaseERKN3c106ScalarES8_ENKUlvE_clEvENKUlvE0_clEvEUlffE_St5arrayIPcLm3EE23TrivialOffsetCalculatorILi2EjESF_ILi1EjENS0_6memory12LoadWithCastILi2EEENSI_13StoreWithCastILi1EEENS5_8BFloat16EJSN_fEEEviT0_T1_T2_T3_T4_T5_.has_recursion, or(0, .L_ZN2at6native25elementwise_kernel_helperILb1EZZZNS0_12_GLOBAL__N_124softplus_backward_kernelERNS_18TensorIteratorBaseERKN3c106ScalarES8_ENKUlvE_clEvENKUlvE0_clEvEUlffE_NS0_6memory8policies11unroll_baseILi512ESt5arrayIPcLm3EE23TrivialOffsetCalculatorILi2EjESI_ILi1EjENSC_12LoadWithCastILi2EEENSC_13StoreWithCastILi1EEELi32ELi1EEEEEvT0_T1_.has_recursion)
	.set _ZN2at6native39vectorized_templated_elementwise_kernelILi4EZZZNS0_12_GLOBAL__N_124softplus_backward_kernelERNS_18TensorIteratorBaseERKN3c106ScalarES8_ENKUlvE_clEvENKUlvE0_clEvEUlffE_St5arrayIPcLm3EE23TrivialOffsetCalculatorILi2EjESF_ILi1EjENS0_6memory12LoadWithCastILi2EEENSI_13StoreWithCastILi1EEENS5_8BFloat16EJSN_fEEEviT0_T1_T2_T3_T4_T5_.has_indirect_call, or(0, .L_ZN2at6native25elementwise_kernel_helperILb1EZZZNS0_12_GLOBAL__N_124softplus_backward_kernelERNS_18TensorIteratorBaseERKN3c106ScalarES8_ENKUlvE_clEvENKUlvE0_clEvEUlffE_NS0_6memory8policies11unroll_baseILi512ESt5arrayIPcLm3EE23TrivialOffsetCalculatorILi2EjESI_ILi1EjENSC_12LoadWithCastILi2EEENSC_13StoreWithCastILi1EEELi32ELi1EEEEEvT0_T1_.has_indirect_call)
	.section	.AMDGPU.csdata,"",@progbits
; Kernel info:
; codeLenInByte = 11372
; TotalNumSgprs: 98
; NumVgprs: 132
; ScratchSize: 272
; MemoryBound: 0
; FloatMode: 240
; IeeeMode: 1
; LDSByteSize: 0 bytes/workgroup (compile time only)
; SGPRBlocks: 0
; VGPRBlocks: 8
; NumSGPRsForWavesPerEU: 98
; NumVGPRsForWavesPerEU: 132
; NamedBarCnt: 0
; Occupancy: 7
; WaveLimiterHint : 1
; COMPUTE_PGM_RSRC2:SCRATCH_EN: 1
; COMPUTE_PGM_RSRC2:USER_SGPR: 2
; COMPUTE_PGM_RSRC2:TRAP_HANDLER: 0
; COMPUTE_PGM_RSRC2:TGID_X_EN: 1
; COMPUTE_PGM_RSRC2:TGID_Y_EN: 0
; COMPUTE_PGM_RSRC2:TGID_Z_EN: 0
; COMPUTE_PGM_RSRC2:TIDIG_COMP_CNT: 0
	.section	.text._ZN2at6native39vectorized_templated_elementwise_kernelILi2EZZZNS0_12_GLOBAL__N_124softplus_backward_kernelERNS_18TensorIteratorBaseERKN3c106ScalarES8_ENKUlvE_clEvENKUlvE0_clEvEUlffE_St5arrayIPcLm3EE23TrivialOffsetCalculatorILi2EjESF_ILi1EjENS0_6memory12LoadWithCastILi2EEENSI_13StoreWithCastILi1EEENS5_8BFloat16EJSN_fEEEviT0_T1_T2_T3_T4_T5_,"axG",@progbits,_ZN2at6native39vectorized_templated_elementwise_kernelILi2EZZZNS0_12_GLOBAL__N_124softplus_backward_kernelERNS_18TensorIteratorBaseERKN3c106ScalarES8_ENKUlvE_clEvENKUlvE0_clEvEUlffE_St5arrayIPcLm3EE23TrivialOffsetCalculatorILi2EjESF_ILi1EjENS0_6memory12LoadWithCastILi2EEENSI_13StoreWithCastILi1EEENS5_8BFloat16EJSN_fEEEviT0_T1_T2_T3_T4_T5_,comdat
	.globl	_ZN2at6native39vectorized_templated_elementwise_kernelILi2EZZZNS0_12_GLOBAL__N_124softplus_backward_kernelERNS_18TensorIteratorBaseERKN3c106ScalarES8_ENKUlvE_clEvENKUlvE0_clEvEUlffE_St5arrayIPcLm3EE23TrivialOffsetCalculatorILi2EjESF_ILi1EjENS0_6memory12LoadWithCastILi2EEENSI_13StoreWithCastILi1EEENS5_8BFloat16EJSN_fEEEviT0_T1_T2_T3_T4_T5_ ; -- Begin function _ZN2at6native39vectorized_templated_elementwise_kernelILi2EZZZNS0_12_GLOBAL__N_124softplus_backward_kernelERNS_18TensorIteratorBaseERKN3c106ScalarES8_ENKUlvE_clEvENKUlvE0_clEvEUlffE_St5arrayIPcLm3EE23TrivialOffsetCalculatorILi2EjESF_ILi1EjENS0_6memory12LoadWithCastILi2EEENSI_13StoreWithCastILi1EEENS5_8BFloat16EJSN_fEEEviT0_T1_T2_T3_T4_T5_
	.p2align	8
	.type	_ZN2at6native39vectorized_templated_elementwise_kernelILi2EZZZNS0_12_GLOBAL__N_124softplus_backward_kernelERNS_18TensorIteratorBaseERKN3c106ScalarES8_ENKUlvE_clEvENKUlvE0_clEvEUlffE_St5arrayIPcLm3EE23TrivialOffsetCalculatorILi2EjESF_ILi1EjENS0_6memory12LoadWithCastILi2EEENSI_13StoreWithCastILi1EEENS5_8BFloat16EJSN_fEEEviT0_T1_T2_T3_T4_T5_,@function
_ZN2at6native39vectorized_templated_elementwise_kernelILi2EZZZNS0_12_GLOBAL__N_124softplus_backward_kernelERNS_18TensorIteratorBaseERKN3c106ScalarES8_ENKUlvE_clEvENKUlvE0_clEvEUlffE_St5arrayIPcLm3EE23TrivialOffsetCalculatorILi2EjESF_ILi1EjENS0_6memory12LoadWithCastILi2EEENSI_13StoreWithCastILi1EEENS5_8BFloat16EJSN_fEEEviT0_T1_T2_T3_T4_T5_: ; @_ZN2at6native39vectorized_templated_elementwise_kernelILi2EZZZNS0_12_GLOBAL__N_124softplus_backward_kernelERNS_18TensorIteratorBaseERKN3c106ScalarES8_ENKUlvE_clEvENKUlvE0_clEvEUlffE_St5arrayIPcLm3EE23TrivialOffsetCalculatorILi2EjESF_ILi1EjENS0_6memory12LoadWithCastILi2EEENSI_13StoreWithCastILi1EEENS5_8BFloat16EJSN_fEEEviT0_T1_T2_T3_T4_T5_
; %bb.0:
	s_clause 0x2
	s_load_b32 s2, s[0:1], 0x40
	s_load_b96 s[12:14], s[0:1], 0x0
	s_load_b64 s[10:11], s[0:1], 0x20
	s_bfe_u32 s3, ttmp6, 0x4000c
	s_load_b128 s[4:7], s[0:1], 0x10
	s_add_co_i32 s3, s3, 1
	s_and_b32 s8, ttmp6, 15
	s_mul_i32 s3, ttmp9, s3
	s_getreg_b32 s9, hwreg(HW_REG_IB_STS2, 6, 4)
	s_add_co_i32 s8, s8, s3
	s_cmp_eq_u32 s9, 0
	s_mov_b32 s32, 0
	s_cselect_b32 s3, ttmp9, s8
	s_mov_b32 s8, -1
	s_not_b32 s3, s3
	s_wait_kmcnt 0x0
	s_add_co_i32 s2, s2, s3
	s_delay_alu instid0(SALU_CYCLE_1) | instskip(NEXT) | instid1(SALU_CYCLE_1)
	s_lshl_b32 s2, s2, 14
	s_sub_co_i32 s12, s12, s2
	s_delay_alu instid0(SALU_CYCLE_1)
	s_cmp_gt_i32 s12, 0x3fff
	s_cbranch_scc1 .LBB60_3
; %bb.1:
	s_and_b32 vcc_lo, exec_lo, s8
	s_cbranch_vccnz .LBB60_68
.LBB60_2:
	s_sendmsg sendmsg(MSG_DEALLOC_VGPRS)
	s_endpgm
.LBB60_3:
	s_ashr_i32 s3, s2, 31
	s_delay_alu instid0(SALU_CYCLE_1)
	s_lshl_b64 s[16:17], s[2:3], 2
	s_lshl_b64 s[8:9], s[2:3], 1
	s_add_nc_u64 s[2:3], s[10:11], s[16:17]
	s_add_nc_u64 s[16:17], s[6:7], s[8:9]
	s_clause 0x1f
	global_load_b64 v[32:33], v0, s[2:3] scale_offset
	global_load_b32 v49, v0, s[16:17] scale_offset
	global_load_b32 v48, v0, s[16:17] offset:2048 scale_offset
	global_load_b32 v47, v0, s[16:17] offset:4096 scale_offset
	;; [unrolled: 1-line block ×15, first 2 shown]
	global_load_b64 v[30:31], v0, s[2:3] offset:4096 scale_offset
	global_load_b64 v[28:29], v0, s[2:3] offset:8192 scale_offset
	;; [unrolled: 1-line block ×13, first 2 shown]
	; meta instruction
	global_load_b64 v[4:5], v0, s[2:3] offset:57344 scale_offset
	global_load_b64 v[2:3], v0, s[2:3] offset:61440 scale_offset
	s_wait_xcnt 0x0
	s_mov_b32 s3, exec_lo
	s_wait_loadcnt 0x1f
	v_bfe_u32 v1, v32, 16, 1
	v_cmp_u_f32_e32 vcc_lo, v32, v32
	v_cmp_u_f32_e64 s2, v33, v33
	s_delay_alu instid0(VALU_DEP_3) | instskip(NEXT) | instid1(VALU_DEP_1)
	v_add3_u32 v1, v32, v1, 0x7fff
	v_and_b32_e32 v1, 0xffff0000, v1
	s_delay_alu instid0(VALU_DEP_1) | instskip(NEXT) | instid1(VALU_DEP_1)
	v_cndmask_b32_e64 v1, v1, 0x7fc00000, vcc_lo
	v_mul_f32_e32 v32, s13, v1
	s_wait_loadcnt 0x1e
	v_lshlrev_b32_e32 v1, 16, v49
	s_delay_alu instid0(VALU_DEP_2)
	v_cmpx_nlt_f32_e32 s14, v32
	s_cbranch_execz .LBB60_5
; %bb.4:
	v_mul_f32_e32 v50, 0x3fb8aa3b, v32
	v_cmp_ngt_f32_e32 vcc_lo, 0xc2ce8ed0, v32
	s_delay_alu instid0(VALU_DEP_2) | instskip(SKIP_1) | instid1(VALU_DEP_2)
	v_rndne_f32_e32 v51, v50
	v_fma_f32 v52, 0x3fb8aa3b, v32, -v50
	v_sub_f32_e32 v50, v50, v51
	s_delay_alu instid0(VALU_DEP_2) | instskip(SKIP_1) | instid1(VALU_DEP_2)
	v_fmamk_f32 v52, v32, 0x32a5705f, v52
	v_cvt_i32_f32_e32 v51, v51
	v_add_f32_e32 v50, v50, v52
	s_delay_alu instid0(VALU_DEP_1) | instskip(SKIP_1) | instid1(TRANS32_DEP_1)
	v_exp_f32_e32 v50, v50
	v_nop
	v_ldexp_f32 v50, v50, v51
	s_delay_alu instid0(VALU_DEP_1) | instskip(SKIP_1) | instid1(VALU_DEP_2)
	v_cndmask_b32_e32 v50, 0, v50, vcc_lo
	v_cmp_nlt_f32_e32 vcc_lo, 0x42b17218, v32
	v_cndmask_b32_e32 v32, 0x7f800000, v50, vcc_lo
	s_delay_alu instid0(VALU_DEP_1) | instskip(NEXT) | instid1(VALU_DEP_1)
	v_dual_mul_f32 v1, v32, v1 :: v_dual_add_f32 v32, 1.0, v32
	v_div_scale_f32 v50, null, v32, v32, v1
	s_delay_alu instid0(VALU_DEP_1) | instskip(SKIP_1) | instid1(TRANS32_DEP_1)
	v_rcp_f32_e32 v51, v50
	v_nop
	v_fma_f32 v52, -v50, v51, 1.0
	s_delay_alu instid0(VALU_DEP_1) | instskip(SKIP_1) | instid1(VALU_DEP_1)
	v_fmac_f32_e32 v51, v52, v51
	v_div_scale_f32 v52, vcc_lo, v1, v32, v1
	v_mul_f32_e32 v53, v52, v51
	s_delay_alu instid0(VALU_DEP_1) | instskip(NEXT) | instid1(VALU_DEP_1)
	v_fma_f32 v54, -v50, v53, v52
	v_fmac_f32_e32 v53, v54, v51
	s_delay_alu instid0(VALU_DEP_1) | instskip(NEXT) | instid1(VALU_DEP_1)
	v_fma_f32 v50, -v50, v53, v52
	v_div_fmas_f32 v50, v50, v51, v53
	s_delay_alu instid0(VALU_DEP_1)
	v_div_fixup_f32 v1, v50, v32, v1
.LBB60_5:
	s_or_b32 exec_lo, exec_lo, s3
	v_bfe_u32 v32, v33, 16, 1
	s_delay_alu instid0(VALU_DEP_1) | instskip(NEXT) | instid1(VALU_DEP_1)
	v_add3_u32 v32, v33, v32, 0x7fff
	v_and_b32_e32 v32, 0xffff0000, v32
	s_delay_alu instid0(VALU_DEP_1) | instskip(SKIP_1) | instid1(VALU_DEP_1)
	v_cndmask_b32_e64 v32, v32, 0x7fc00000, s2
	s_mov_b32 s2, exec_lo
	v_mul_f32_e32 v33, s13, v32
	v_and_b32_e32 v32, 0xffff0000, v49
	s_delay_alu instid0(VALU_DEP_2)
	v_cmpx_nlt_f32_e32 s14, v33
	s_cbranch_execz .LBB60_7
; %bb.6:
	v_mul_f32_e32 v49, 0x3fb8aa3b, v33
	v_cmp_ngt_f32_e32 vcc_lo, 0xc2ce8ed0, v33
	s_delay_alu instid0(VALU_DEP_2) | instskip(SKIP_1) | instid1(VALU_DEP_2)
	v_rndne_f32_e32 v50, v49
	v_fma_f32 v51, 0x3fb8aa3b, v33, -v49
	v_sub_f32_e32 v49, v49, v50
	s_delay_alu instid0(VALU_DEP_2) | instskip(SKIP_1) | instid1(VALU_DEP_2)
	v_fmamk_f32 v51, v33, 0x32a5705f, v51
	v_cvt_i32_f32_e32 v50, v50
	v_add_f32_e32 v49, v49, v51
	s_delay_alu instid0(VALU_DEP_1) | instskip(SKIP_1) | instid1(TRANS32_DEP_1)
	v_exp_f32_e32 v49, v49
	v_nop
	v_ldexp_f32 v49, v49, v50
	s_delay_alu instid0(VALU_DEP_1) | instskip(SKIP_1) | instid1(VALU_DEP_2)
	v_cndmask_b32_e32 v49, 0, v49, vcc_lo
	v_cmp_nlt_f32_e32 vcc_lo, 0x42b17218, v33
	v_cndmask_b32_e32 v33, 0x7f800000, v49, vcc_lo
	s_delay_alu instid0(VALU_DEP_1) | instskip(NEXT) | instid1(VALU_DEP_1)
	v_dual_mul_f32 v32, v33, v32 :: v_dual_add_f32 v33, 1.0, v33
	v_div_scale_f32 v49, null, v33, v33, v32
	s_delay_alu instid0(VALU_DEP_1) | instskip(SKIP_1) | instid1(TRANS32_DEP_1)
	v_rcp_f32_e32 v50, v49
	v_nop
	v_fma_f32 v51, -v49, v50, 1.0
	s_delay_alu instid0(VALU_DEP_1) | instskip(SKIP_1) | instid1(VALU_DEP_1)
	v_fmac_f32_e32 v50, v51, v50
	v_div_scale_f32 v51, vcc_lo, v32, v33, v32
	v_mul_f32_e32 v52, v51, v50
	s_delay_alu instid0(VALU_DEP_1) | instskip(NEXT) | instid1(VALU_DEP_1)
	v_fma_f32 v53, -v49, v52, v51
	v_fmac_f32_e32 v52, v53, v50
	s_delay_alu instid0(VALU_DEP_1) | instskip(NEXT) | instid1(VALU_DEP_1)
	v_fma_f32 v49, -v49, v52, v51
	v_div_fmas_f32 v49, v49, v50, v52
	s_delay_alu instid0(VALU_DEP_1)
	v_div_fixup_f32 v32, v49, v33, v32
.LBB60_7:
	s_or_b32 exec_lo, exec_lo, s2
	s_wait_loadcnt 0xe
	v_bfe_u32 v33, v30, 16, 1
	v_cmp_u_f32_e32 vcc_lo, v30, v30
	v_cmp_u_f32_e64 s2, v31, v31
	s_mov_b32 s3, exec_lo
	v_add3_u32 v33, v30, v33, 0x7fff
	s_delay_alu instid0(VALU_DEP_1) | instskip(NEXT) | instid1(VALU_DEP_1)
	v_and_b32_e32 v33, 0xffff0000, v33
	v_cndmask_b32_e64 v30, v33, 0x7fc00000, vcc_lo
	s_delay_alu instid0(VALU_DEP_1) | instskip(NEXT) | instid1(VALU_DEP_1)
	v_dual_mul_f32 v33, s13, v30 :: v_dual_lshlrev_b32 v30, 16, v48
	v_cmpx_nlt_f32_e32 s14, v33
	s_cbranch_execz .LBB60_9
; %bb.8:
	v_mul_f32_e32 v49, 0x3fb8aa3b, v33
	v_cmp_ngt_f32_e32 vcc_lo, 0xc2ce8ed0, v33
	s_delay_alu instid0(VALU_DEP_2) | instskip(SKIP_1) | instid1(VALU_DEP_2)
	v_rndne_f32_e32 v50, v49
	v_fma_f32 v51, 0x3fb8aa3b, v33, -v49
	v_sub_f32_e32 v49, v49, v50
	s_delay_alu instid0(VALU_DEP_2) | instskip(SKIP_1) | instid1(VALU_DEP_2)
	v_fmamk_f32 v51, v33, 0x32a5705f, v51
	v_cvt_i32_f32_e32 v50, v50
	v_add_f32_e32 v49, v49, v51
	s_delay_alu instid0(VALU_DEP_1) | instskip(SKIP_1) | instid1(TRANS32_DEP_1)
	v_exp_f32_e32 v49, v49
	v_nop
	v_ldexp_f32 v49, v49, v50
	s_delay_alu instid0(VALU_DEP_1) | instskip(SKIP_1) | instid1(VALU_DEP_2)
	v_cndmask_b32_e32 v49, 0, v49, vcc_lo
	v_cmp_nlt_f32_e32 vcc_lo, 0x42b17218, v33
	v_cndmask_b32_e32 v33, 0x7f800000, v49, vcc_lo
	s_delay_alu instid0(VALU_DEP_1) | instskip(NEXT) | instid1(VALU_DEP_1)
	v_dual_mul_f32 v30, v33, v30 :: v_dual_add_f32 v33, 1.0, v33
	v_div_scale_f32 v49, null, v33, v33, v30
	s_delay_alu instid0(VALU_DEP_1) | instskip(SKIP_1) | instid1(TRANS32_DEP_1)
	v_rcp_f32_e32 v50, v49
	v_nop
	v_fma_f32 v51, -v49, v50, 1.0
	s_delay_alu instid0(VALU_DEP_1) | instskip(SKIP_1) | instid1(VALU_DEP_1)
	v_fmac_f32_e32 v50, v51, v50
	v_div_scale_f32 v51, vcc_lo, v30, v33, v30
	v_mul_f32_e32 v52, v51, v50
	s_delay_alu instid0(VALU_DEP_1) | instskip(NEXT) | instid1(VALU_DEP_1)
	v_fma_f32 v53, -v49, v52, v51
	v_fmac_f32_e32 v52, v53, v50
	s_delay_alu instid0(VALU_DEP_1) | instskip(NEXT) | instid1(VALU_DEP_1)
	v_fma_f32 v49, -v49, v52, v51
	v_div_fmas_f32 v49, v49, v50, v52
	s_delay_alu instid0(VALU_DEP_1)
	v_div_fixup_f32 v30, v49, v33, v30
.LBB60_9:
	s_or_b32 exec_lo, exec_lo, s3
	v_bfe_u32 v33, v31, 16, 1
	s_delay_alu instid0(VALU_DEP_1) | instskip(NEXT) | instid1(VALU_DEP_1)
	v_add3_u32 v31, v31, v33, 0x7fff
	v_and_b32_e32 v31, 0xffff0000, v31
	s_delay_alu instid0(VALU_DEP_1) | instskip(SKIP_1) | instid1(VALU_DEP_1)
	v_cndmask_b32_e64 v31, v31, 0x7fc00000, s2
	s_mov_b32 s2, exec_lo
	v_mul_f32_e32 v33, s13, v31
	v_and_b32_e32 v31, 0xffff0000, v48
	s_delay_alu instid0(VALU_DEP_2)
	v_cmpx_nlt_f32_e32 s14, v33
	s_cbranch_execz .LBB60_11
; %bb.10:
	v_mul_f32_e32 v48, 0x3fb8aa3b, v33
	v_cmp_ngt_f32_e32 vcc_lo, 0xc2ce8ed0, v33
	s_delay_alu instid0(VALU_DEP_2) | instskip(SKIP_1) | instid1(VALU_DEP_2)
	v_rndne_f32_e32 v49, v48
	v_fma_f32 v50, 0x3fb8aa3b, v33, -v48
	v_sub_f32_e32 v48, v48, v49
	s_delay_alu instid0(VALU_DEP_2) | instskip(SKIP_1) | instid1(VALU_DEP_2)
	v_fmamk_f32 v50, v33, 0x32a5705f, v50
	v_cvt_i32_f32_e32 v49, v49
	v_add_f32_e32 v48, v48, v50
	s_delay_alu instid0(VALU_DEP_1) | instskip(SKIP_1) | instid1(TRANS32_DEP_1)
	v_exp_f32_e32 v48, v48
	v_nop
	v_ldexp_f32 v48, v48, v49
	s_delay_alu instid0(VALU_DEP_1) | instskip(SKIP_1) | instid1(VALU_DEP_2)
	v_cndmask_b32_e32 v48, 0, v48, vcc_lo
	v_cmp_nlt_f32_e32 vcc_lo, 0x42b17218, v33
	v_cndmask_b32_e32 v33, 0x7f800000, v48, vcc_lo
	s_delay_alu instid0(VALU_DEP_1) | instskip(NEXT) | instid1(VALU_DEP_1)
	v_dual_mul_f32 v31, v33, v31 :: v_dual_add_f32 v33, 1.0, v33
	v_div_scale_f32 v48, null, v33, v33, v31
	s_delay_alu instid0(VALU_DEP_1) | instskip(SKIP_1) | instid1(TRANS32_DEP_1)
	v_rcp_f32_e32 v49, v48
	v_nop
	v_fma_f32 v50, -v48, v49, 1.0
	s_delay_alu instid0(VALU_DEP_1) | instskip(SKIP_1) | instid1(VALU_DEP_1)
	v_fmac_f32_e32 v49, v50, v49
	v_div_scale_f32 v50, vcc_lo, v31, v33, v31
	v_mul_f32_e32 v51, v50, v49
	s_delay_alu instid0(VALU_DEP_1) | instskip(NEXT) | instid1(VALU_DEP_1)
	v_fma_f32 v52, -v48, v51, v50
	v_fmac_f32_e32 v51, v52, v49
	s_delay_alu instid0(VALU_DEP_1) | instskip(NEXT) | instid1(VALU_DEP_1)
	v_fma_f32 v48, -v48, v51, v50
	v_div_fmas_f32 v48, v48, v49, v51
	s_delay_alu instid0(VALU_DEP_1)
	v_div_fixup_f32 v31, v48, v33, v31
.LBB60_11:
	s_or_b32 exec_lo, exec_lo, s2
	s_wait_loadcnt 0xd
	v_bfe_u32 v33, v28, 16, 1
	v_cmp_u_f32_e32 vcc_lo, v28, v28
	v_cmp_u_f32_e64 s2, v29, v29
	s_mov_b32 s3, exec_lo
	v_add3_u32 v33, v28, v33, 0x7fff
	s_delay_alu instid0(VALU_DEP_1) | instskip(NEXT) | instid1(VALU_DEP_1)
	v_and_b32_e32 v33, 0xffff0000, v33
	v_cndmask_b32_e64 v28, v33, 0x7fc00000, vcc_lo
	s_delay_alu instid0(VALU_DEP_1) | instskip(NEXT) | instid1(VALU_DEP_1)
	v_dual_mul_f32 v33, s13, v28 :: v_dual_lshlrev_b32 v28, 16, v47
	v_cmpx_nlt_f32_e32 s14, v33
	s_cbranch_execz .LBB60_13
; %bb.12:
	v_mul_f32_e32 v48, 0x3fb8aa3b, v33
	v_cmp_ngt_f32_e32 vcc_lo, 0xc2ce8ed0, v33
	s_delay_alu instid0(VALU_DEP_2) | instskip(SKIP_1) | instid1(VALU_DEP_2)
	v_rndne_f32_e32 v49, v48
	v_fma_f32 v50, 0x3fb8aa3b, v33, -v48
	v_sub_f32_e32 v48, v48, v49
	s_delay_alu instid0(VALU_DEP_2) | instskip(SKIP_1) | instid1(VALU_DEP_2)
	v_fmamk_f32 v50, v33, 0x32a5705f, v50
	v_cvt_i32_f32_e32 v49, v49
	v_add_f32_e32 v48, v48, v50
	s_delay_alu instid0(VALU_DEP_1) | instskip(SKIP_1) | instid1(TRANS32_DEP_1)
	v_exp_f32_e32 v48, v48
	v_nop
	v_ldexp_f32 v48, v48, v49
	s_delay_alu instid0(VALU_DEP_1) | instskip(SKIP_1) | instid1(VALU_DEP_2)
	v_cndmask_b32_e32 v48, 0, v48, vcc_lo
	v_cmp_nlt_f32_e32 vcc_lo, 0x42b17218, v33
	v_cndmask_b32_e32 v33, 0x7f800000, v48, vcc_lo
	s_delay_alu instid0(VALU_DEP_1) | instskip(NEXT) | instid1(VALU_DEP_1)
	v_dual_mul_f32 v28, v33, v28 :: v_dual_add_f32 v33, 1.0, v33
	v_div_scale_f32 v48, null, v33, v33, v28
	s_delay_alu instid0(VALU_DEP_1) | instskip(SKIP_1) | instid1(TRANS32_DEP_1)
	v_rcp_f32_e32 v49, v48
	v_nop
	v_fma_f32 v50, -v48, v49, 1.0
	s_delay_alu instid0(VALU_DEP_1) | instskip(SKIP_1) | instid1(VALU_DEP_1)
	v_fmac_f32_e32 v49, v50, v49
	v_div_scale_f32 v50, vcc_lo, v28, v33, v28
	v_mul_f32_e32 v51, v50, v49
	s_delay_alu instid0(VALU_DEP_1) | instskip(NEXT) | instid1(VALU_DEP_1)
	v_fma_f32 v52, -v48, v51, v50
	v_fmac_f32_e32 v51, v52, v49
	s_delay_alu instid0(VALU_DEP_1) | instskip(NEXT) | instid1(VALU_DEP_1)
	v_fma_f32 v48, -v48, v51, v50
	v_div_fmas_f32 v48, v48, v49, v51
	s_delay_alu instid0(VALU_DEP_1)
	v_div_fixup_f32 v28, v48, v33, v28
.LBB60_13:
	s_or_b32 exec_lo, exec_lo, s3
	v_bfe_u32 v33, v29, 16, 1
	s_delay_alu instid0(VALU_DEP_1) | instskip(NEXT) | instid1(VALU_DEP_1)
	v_add3_u32 v29, v29, v33, 0x7fff
	v_and_b32_e32 v29, 0xffff0000, v29
	s_delay_alu instid0(VALU_DEP_1) | instskip(SKIP_1) | instid1(VALU_DEP_1)
	v_cndmask_b32_e64 v29, v29, 0x7fc00000, s2
	s_mov_b32 s2, exec_lo
	v_mul_f32_e32 v33, s13, v29
	v_and_b32_e32 v29, 0xffff0000, v47
	s_delay_alu instid0(VALU_DEP_2)
	v_cmpx_nlt_f32_e32 s14, v33
	s_cbranch_execz .LBB60_15
; %bb.14:
	v_mul_f32_e32 v47, 0x3fb8aa3b, v33
	v_cmp_ngt_f32_e32 vcc_lo, 0xc2ce8ed0, v33
	s_delay_alu instid0(VALU_DEP_2) | instskip(SKIP_1) | instid1(VALU_DEP_2)
	v_rndne_f32_e32 v48, v47
	v_fma_f32 v49, 0x3fb8aa3b, v33, -v47
	v_sub_f32_e32 v47, v47, v48
	s_delay_alu instid0(VALU_DEP_2) | instskip(SKIP_1) | instid1(VALU_DEP_2)
	v_fmamk_f32 v49, v33, 0x32a5705f, v49
	v_cvt_i32_f32_e32 v48, v48
	v_add_f32_e32 v47, v47, v49
	s_delay_alu instid0(VALU_DEP_1) | instskip(SKIP_1) | instid1(TRANS32_DEP_1)
	v_exp_f32_e32 v47, v47
	v_nop
	v_ldexp_f32 v47, v47, v48
	s_delay_alu instid0(VALU_DEP_1) | instskip(SKIP_1) | instid1(VALU_DEP_2)
	v_cndmask_b32_e32 v47, 0, v47, vcc_lo
	v_cmp_nlt_f32_e32 vcc_lo, 0x42b17218, v33
	v_cndmask_b32_e32 v33, 0x7f800000, v47, vcc_lo
	s_delay_alu instid0(VALU_DEP_1) | instskip(SKIP_1) | instid1(VALU_DEP_1)
	v_mul_f32_e32 v29, v33, v29
	v_add_f32_e32 v33, 1.0, v33
	v_div_scale_f32 v47, null, v33, v33, v29
	s_delay_alu instid0(VALU_DEP_1) | instskip(SKIP_1) | instid1(TRANS32_DEP_1)
	v_rcp_f32_e32 v48, v47
	v_nop
	v_fma_f32 v49, -v47, v48, 1.0
	s_delay_alu instid0(VALU_DEP_1) | instskip(SKIP_1) | instid1(VALU_DEP_1)
	v_fmac_f32_e32 v48, v49, v48
	v_div_scale_f32 v49, vcc_lo, v29, v33, v29
	v_mul_f32_e32 v50, v49, v48
	s_delay_alu instid0(VALU_DEP_1) | instskip(NEXT) | instid1(VALU_DEP_1)
	v_fma_f32 v51, -v47, v50, v49
	v_fmac_f32_e32 v50, v51, v48
	s_delay_alu instid0(VALU_DEP_1) | instskip(NEXT) | instid1(VALU_DEP_1)
	v_fma_f32 v47, -v47, v50, v49
	v_div_fmas_f32 v47, v47, v48, v50
	s_delay_alu instid0(VALU_DEP_1)
	v_div_fixup_f32 v29, v47, v33, v29
.LBB60_15:
	s_or_b32 exec_lo, exec_lo, s2
	s_wait_loadcnt 0xc
	v_bfe_u32 v33, v26, 16, 1
	v_cmp_u_f32_e32 vcc_lo, v26, v26
	v_cmp_u_f32_e64 s2, v27, v27
	s_mov_b32 s3, exec_lo
	v_add3_u32 v33, v26, v33, 0x7fff
	s_delay_alu instid0(VALU_DEP_1) | instskip(NEXT) | instid1(VALU_DEP_1)
	v_and_b32_e32 v33, 0xffff0000, v33
	v_cndmask_b32_e64 v26, v33, 0x7fc00000, vcc_lo
	s_delay_alu instid0(VALU_DEP_1) | instskip(SKIP_1) | instid1(VALU_DEP_2)
	v_mul_f32_e32 v33, s13, v26
	v_lshlrev_b32_e32 v26, 16, v46
	v_cmpx_nlt_f32_e32 s14, v33
	s_cbranch_execz .LBB60_17
; %bb.16:
	v_mul_f32_e32 v47, 0x3fb8aa3b, v33
	v_cmp_ngt_f32_e32 vcc_lo, 0xc2ce8ed0, v33
	s_delay_alu instid0(VALU_DEP_2) | instskip(SKIP_1) | instid1(VALU_DEP_2)
	v_rndne_f32_e32 v48, v47
	v_fma_f32 v49, 0x3fb8aa3b, v33, -v47
	v_sub_f32_e32 v47, v47, v48
	s_delay_alu instid0(VALU_DEP_2) | instskip(SKIP_1) | instid1(VALU_DEP_2)
	v_fmamk_f32 v49, v33, 0x32a5705f, v49
	v_cvt_i32_f32_e32 v48, v48
	v_add_f32_e32 v47, v47, v49
	s_delay_alu instid0(VALU_DEP_1) | instskip(SKIP_1) | instid1(TRANS32_DEP_1)
	v_exp_f32_e32 v47, v47
	v_nop
	v_ldexp_f32 v47, v47, v48
	s_delay_alu instid0(VALU_DEP_1) | instskip(SKIP_1) | instid1(VALU_DEP_2)
	v_cndmask_b32_e32 v47, 0, v47, vcc_lo
	v_cmp_nlt_f32_e32 vcc_lo, 0x42b17218, v33
	v_cndmask_b32_e32 v33, 0x7f800000, v47, vcc_lo
	s_delay_alu instid0(VALU_DEP_1) | instskip(NEXT) | instid1(VALU_DEP_1)
	v_dual_mul_f32 v26, v33, v26 :: v_dual_add_f32 v33, 1.0, v33
	v_div_scale_f32 v47, null, v33, v33, v26
	s_delay_alu instid0(VALU_DEP_1) | instskip(SKIP_1) | instid1(TRANS32_DEP_1)
	v_rcp_f32_e32 v48, v47
	v_nop
	v_fma_f32 v49, -v47, v48, 1.0
	s_delay_alu instid0(VALU_DEP_1) | instskip(SKIP_1) | instid1(VALU_DEP_1)
	v_fmac_f32_e32 v48, v49, v48
	v_div_scale_f32 v49, vcc_lo, v26, v33, v26
	v_mul_f32_e32 v50, v49, v48
	s_delay_alu instid0(VALU_DEP_1) | instskip(NEXT) | instid1(VALU_DEP_1)
	v_fma_f32 v51, -v47, v50, v49
	v_fmac_f32_e32 v50, v51, v48
	s_delay_alu instid0(VALU_DEP_1) | instskip(NEXT) | instid1(VALU_DEP_1)
	v_fma_f32 v47, -v47, v50, v49
	v_div_fmas_f32 v47, v47, v48, v50
	s_delay_alu instid0(VALU_DEP_1)
	v_div_fixup_f32 v26, v47, v33, v26
.LBB60_17:
	s_or_b32 exec_lo, exec_lo, s3
	v_bfe_u32 v33, v27, 16, 1
	s_delay_alu instid0(VALU_DEP_1) | instskip(NEXT) | instid1(VALU_DEP_1)
	v_add3_u32 v27, v27, v33, 0x7fff
	v_and_b32_e32 v27, 0xffff0000, v27
	s_delay_alu instid0(VALU_DEP_1) | instskip(SKIP_1) | instid1(VALU_DEP_1)
	v_cndmask_b32_e64 v27, v27, 0x7fc00000, s2
	s_mov_b32 s2, exec_lo
	v_mul_f32_e32 v33, s13, v27
	v_and_b32_e32 v27, 0xffff0000, v46
	s_delay_alu instid0(VALU_DEP_2)
	v_cmpx_nlt_f32_e32 s14, v33
	s_cbranch_execz .LBB60_19
; %bb.18:
	v_mul_f32_e32 v46, 0x3fb8aa3b, v33
	v_cmp_ngt_f32_e32 vcc_lo, 0xc2ce8ed0, v33
	s_delay_alu instid0(VALU_DEP_2) | instskip(SKIP_1) | instid1(VALU_DEP_2)
	v_rndne_f32_e32 v47, v46
	v_fma_f32 v48, 0x3fb8aa3b, v33, -v46
	v_sub_f32_e32 v46, v46, v47
	s_delay_alu instid0(VALU_DEP_2) | instskip(SKIP_1) | instid1(VALU_DEP_2)
	v_fmamk_f32 v48, v33, 0x32a5705f, v48
	v_cvt_i32_f32_e32 v47, v47
	v_add_f32_e32 v46, v46, v48
	s_delay_alu instid0(VALU_DEP_1) | instskip(SKIP_1) | instid1(TRANS32_DEP_1)
	v_exp_f32_e32 v46, v46
	v_nop
	v_ldexp_f32 v46, v46, v47
	s_delay_alu instid0(VALU_DEP_1) | instskip(SKIP_1) | instid1(VALU_DEP_2)
	v_cndmask_b32_e32 v46, 0, v46, vcc_lo
	v_cmp_nlt_f32_e32 vcc_lo, 0x42b17218, v33
	v_cndmask_b32_e32 v33, 0x7f800000, v46, vcc_lo
	s_delay_alu instid0(VALU_DEP_1) | instskip(NEXT) | instid1(VALU_DEP_1)
	v_dual_mul_f32 v27, v33, v27 :: v_dual_add_f32 v33, 1.0, v33
	v_div_scale_f32 v46, null, v33, v33, v27
	s_delay_alu instid0(VALU_DEP_1) | instskip(SKIP_1) | instid1(TRANS32_DEP_1)
	v_rcp_f32_e32 v47, v46
	v_nop
	v_fma_f32 v48, -v46, v47, 1.0
	s_delay_alu instid0(VALU_DEP_1) | instskip(SKIP_1) | instid1(VALU_DEP_1)
	v_fmac_f32_e32 v47, v48, v47
	v_div_scale_f32 v48, vcc_lo, v27, v33, v27
	v_mul_f32_e32 v49, v48, v47
	s_delay_alu instid0(VALU_DEP_1) | instskip(NEXT) | instid1(VALU_DEP_1)
	v_fma_f32 v50, -v46, v49, v48
	v_fmac_f32_e32 v49, v50, v47
	s_delay_alu instid0(VALU_DEP_1) | instskip(NEXT) | instid1(VALU_DEP_1)
	v_fma_f32 v46, -v46, v49, v48
	v_div_fmas_f32 v46, v46, v47, v49
	s_delay_alu instid0(VALU_DEP_1)
	v_div_fixup_f32 v27, v46, v33, v27
.LBB60_19:
	s_or_b32 exec_lo, exec_lo, s2
	s_wait_loadcnt 0xb
	v_bfe_u32 v33, v24, 16, 1
	v_cmp_u_f32_e32 vcc_lo, v24, v24
	v_cmp_u_f32_e64 s2, v25, v25
	s_mov_b32 s3, exec_lo
	v_add3_u32 v33, v24, v33, 0x7fff
	s_delay_alu instid0(VALU_DEP_1) | instskip(NEXT) | instid1(VALU_DEP_1)
	v_and_b32_e32 v33, 0xffff0000, v33
	v_cndmask_b32_e64 v24, v33, 0x7fc00000, vcc_lo
	s_delay_alu instid0(VALU_DEP_1) | instskip(NEXT) | instid1(VALU_DEP_1)
	v_dual_mul_f32 v33, s13, v24 :: v_dual_lshlrev_b32 v24, 16, v45
	v_cmpx_nlt_f32_e32 s14, v33
	s_cbranch_execz .LBB60_21
; %bb.20:
	v_mul_f32_e32 v46, 0x3fb8aa3b, v33
	v_cmp_ngt_f32_e32 vcc_lo, 0xc2ce8ed0, v33
	s_delay_alu instid0(VALU_DEP_2) | instskip(SKIP_1) | instid1(VALU_DEP_2)
	v_rndne_f32_e32 v47, v46
	v_fma_f32 v48, 0x3fb8aa3b, v33, -v46
	v_sub_f32_e32 v46, v46, v47
	s_delay_alu instid0(VALU_DEP_2) | instskip(SKIP_1) | instid1(VALU_DEP_2)
	v_fmamk_f32 v48, v33, 0x32a5705f, v48
	v_cvt_i32_f32_e32 v47, v47
	v_add_f32_e32 v46, v46, v48
	s_delay_alu instid0(VALU_DEP_1) | instskip(SKIP_1) | instid1(TRANS32_DEP_1)
	v_exp_f32_e32 v46, v46
	v_nop
	v_ldexp_f32 v46, v46, v47
	s_delay_alu instid0(VALU_DEP_1) | instskip(SKIP_1) | instid1(VALU_DEP_2)
	v_cndmask_b32_e32 v46, 0, v46, vcc_lo
	v_cmp_nlt_f32_e32 vcc_lo, 0x42b17218, v33
	v_cndmask_b32_e32 v33, 0x7f800000, v46, vcc_lo
	s_delay_alu instid0(VALU_DEP_1) | instskip(NEXT) | instid1(VALU_DEP_1)
	v_dual_mul_f32 v24, v33, v24 :: v_dual_add_f32 v33, 1.0, v33
	v_div_scale_f32 v46, null, v33, v33, v24
	s_delay_alu instid0(VALU_DEP_1) | instskip(SKIP_1) | instid1(TRANS32_DEP_1)
	v_rcp_f32_e32 v47, v46
	v_nop
	v_fma_f32 v48, -v46, v47, 1.0
	s_delay_alu instid0(VALU_DEP_1) | instskip(SKIP_1) | instid1(VALU_DEP_1)
	v_fmac_f32_e32 v47, v48, v47
	v_div_scale_f32 v48, vcc_lo, v24, v33, v24
	v_mul_f32_e32 v49, v48, v47
	s_delay_alu instid0(VALU_DEP_1) | instskip(NEXT) | instid1(VALU_DEP_1)
	v_fma_f32 v50, -v46, v49, v48
	v_fmac_f32_e32 v49, v50, v47
	s_delay_alu instid0(VALU_DEP_1) | instskip(NEXT) | instid1(VALU_DEP_1)
	v_fma_f32 v46, -v46, v49, v48
	v_div_fmas_f32 v46, v46, v47, v49
	s_delay_alu instid0(VALU_DEP_1)
	v_div_fixup_f32 v24, v46, v33, v24
.LBB60_21:
	s_or_b32 exec_lo, exec_lo, s3
	v_bfe_u32 v33, v25, 16, 1
	s_delay_alu instid0(VALU_DEP_1) | instskip(NEXT) | instid1(VALU_DEP_1)
	v_add3_u32 v25, v25, v33, 0x7fff
	v_and_b32_e32 v25, 0xffff0000, v25
	s_delay_alu instid0(VALU_DEP_1) | instskip(SKIP_1) | instid1(VALU_DEP_1)
	v_cndmask_b32_e64 v25, v25, 0x7fc00000, s2
	s_mov_b32 s2, exec_lo
	v_mul_f32_e32 v33, s13, v25
	v_and_b32_e32 v25, 0xffff0000, v45
	s_delay_alu instid0(VALU_DEP_2)
	v_cmpx_nlt_f32_e32 s14, v33
	s_cbranch_execz .LBB60_23
; %bb.22:
	v_mul_f32_e32 v45, 0x3fb8aa3b, v33
	v_cmp_ngt_f32_e32 vcc_lo, 0xc2ce8ed0, v33
	s_delay_alu instid0(VALU_DEP_2) | instskip(SKIP_1) | instid1(VALU_DEP_2)
	v_rndne_f32_e32 v46, v45
	v_fma_f32 v47, 0x3fb8aa3b, v33, -v45
	v_sub_f32_e32 v45, v45, v46
	s_delay_alu instid0(VALU_DEP_2) | instskip(SKIP_1) | instid1(VALU_DEP_2)
	v_fmamk_f32 v47, v33, 0x32a5705f, v47
	v_cvt_i32_f32_e32 v46, v46
	v_add_f32_e32 v45, v45, v47
	s_delay_alu instid0(VALU_DEP_1) | instskip(SKIP_1) | instid1(TRANS32_DEP_1)
	v_exp_f32_e32 v45, v45
	v_nop
	v_ldexp_f32 v45, v45, v46
	s_delay_alu instid0(VALU_DEP_1) | instskip(SKIP_1) | instid1(VALU_DEP_2)
	v_cndmask_b32_e32 v45, 0, v45, vcc_lo
	v_cmp_nlt_f32_e32 vcc_lo, 0x42b17218, v33
	v_cndmask_b32_e32 v33, 0x7f800000, v45, vcc_lo
	s_delay_alu instid0(VALU_DEP_1) | instskip(SKIP_1) | instid1(VALU_DEP_1)
	v_mul_f32_e32 v25, v33, v25
	v_add_f32_e32 v33, 1.0, v33
	v_div_scale_f32 v45, null, v33, v33, v25
	s_delay_alu instid0(VALU_DEP_1) | instskip(SKIP_1) | instid1(TRANS32_DEP_1)
	v_rcp_f32_e32 v46, v45
	v_nop
	v_fma_f32 v47, -v45, v46, 1.0
	s_delay_alu instid0(VALU_DEP_1) | instskip(SKIP_1) | instid1(VALU_DEP_1)
	v_fmac_f32_e32 v46, v47, v46
	v_div_scale_f32 v47, vcc_lo, v25, v33, v25
	v_mul_f32_e32 v48, v47, v46
	s_delay_alu instid0(VALU_DEP_1) | instskip(NEXT) | instid1(VALU_DEP_1)
	v_fma_f32 v49, -v45, v48, v47
	v_fmac_f32_e32 v48, v49, v46
	s_delay_alu instid0(VALU_DEP_1) | instskip(NEXT) | instid1(VALU_DEP_1)
	v_fma_f32 v45, -v45, v48, v47
	v_div_fmas_f32 v45, v45, v46, v48
	s_delay_alu instid0(VALU_DEP_1)
	v_div_fixup_f32 v25, v45, v33, v25
.LBB60_23:
	s_or_b32 exec_lo, exec_lo, s2
	s_wait_loadcnt 0xa
	v_bfe_u32 v33, v22, 16, 1
	v_cmp_u_f32_e32 vcc_lo, v22, v22
	v_cmp_u_f32_e64 s2, v23, v23
	s_mov_b32 s3, exec_lo
	v_add3_u32 v33, v22, v33, 0x7fff
	s_delay_alu instid0(VALU_DEP_1) | instskip(NEXT) | instid1(VALU_DEP_1)
	v_and_b32_e32 v33, 0xffff0000, v33
	v_cndmask_b32_e64 v22, v33, 0x7fc00000, vcc_lo
	s_delay_alu instid0(VALU_DEP_1) | instskip(NEXT) | instid1(VALU_DEP_1)
	v_dual_mul_f32 v33, s13, v22 :: v_dual_lshlrev_b32 v22, 16, v44
	v_cmpx_nlt_f32_e32 s14, v33
	s_cbranch_execz .LBB60_25
; %bb.24:
	v_mul_f32_e32 v45, 0x3fb8aa3b, v33
	v_cmp_ngt_f32_e32 vcc_lo, 0xc2ce8ed0, v33
	s_delay_alu instid0(VALU_DEP_2) | instskip(SKIP_1) | instid1(VALU_DEP_2)
	v_rndne_f32_e32 v46, v45
	v_fma_f32 v47, 0x3fb8aa3b, v33, -v45
	v_sub_f32_e32 v45, v45, v46
	s_delay_alu instid0(VALU_DEP_2) | instskip(SKIP_1) | instid1(VALU_DEP_2)
	v_fmamk_f32 v47, v33, 0x32a5705f, v47
	v_cvt_i32_f32_e32 v46, v46
	v_add_f32_e32 v45, v45, v47
	s_delay_alu instid0(VALU_DEP_1) | instskip(SKIP_1) | instid1(TRANS32_DEP_1)
	v_exp_f32_e32 v45, v45
	v_nop
	v_ldexp_f32 v45, v45, v46
	s_delay_alu instid0(VALU_DEP_1) | instskip(SKIP_1) | instid1(VALU_DEP_2)
	v_cndmask_b32_e32 v45, 0, v45, vcc_lo
	v_cmp_nlt_f32_e32 vcc_lo, 0x42b17218, v33
	v_cndmask_b32_e32 v33, 0x7f800000, v45, vcc_lo
	s_delay_alu instid0(VALU_DEP_1) | instskip(NEXT) | instid1(VALU_DEP_1)
	v_dual_mul_f32 v22, v33, v22 :: v_dual_add_f32 v33, 1.0, v33
	v_div_scale_f32 v45, null, v33, v33, v22
	s_delay_alu instid0(VALU_DEP_1) | instskip(SKIP_1) | instid1(TRANS32_DEP_1)
	v_rcp_f32_e32 v46, v45
	v_nop
	v_fma_f32 v47, -v45, v46, 1.0
	s_delay_alu instid0(VALU_DEP_1) | instskip(SKIP_1) | instid1(VALU_DEP_1)
	v_fmac_f32_e32 v46, v47, v46
	v_div_scale_f32 v47, vcc_lo, v22, v33, v22
	v_mul_f32_e32 v48, v47, v46
	s_delay_alu instid0(VALU_DEP_1) | instskip(NEXT) | instid1(VALU_DEP_1)
	v_fma_f32 v49, -v45, v48, v47
	v_fmac_f32_e32 v48, v49, v46
	s_delay_alu instid0(VALU_DEP_1) | instskip(NEXT) | instid1(VALU_DEP_1)
	v_fma_f32 v45, -v45, v48, v47
	v_div_fmas_f32 v45, v45, v46, v48
	s_delay_alu instid0(VALU_DEP_1)
	v_div_fixup_f32 v22, v45, v33, v22
.LBB60_25:
	s_or_b32 exec_lo, exec_lo, s3
	v_bfe_u32 v33, v23, 16, 1
	s_delay_alu instid0(VALU_DEP_1) | instskip(NEXT) | instid1(VALU_DEP_1)
	v_add3_u32 v23, v23, v33, 0x7fff
	v_and_b32_e32 v23, 0xffff0000, v23
	s_delay_alu instid0(VALU_DEP_1) | instskip(SKIP_1) | instid1(VALU_DEP_1)
	v_cndmask_b32_e64 v23, v23, 0x7fc00000, s2
	s_mov_b32 s2, exec_lo
	v_mul_f32_e32 v33, s13, v23
	v_and_b32_e32 v23, 0xffff0000, v44
	s_delay_alu instid0(VALU_DEP_2)
	v_cmpx_nlt_f32_e32 s14, v33
	s_cbranch_execz .LBB60_27
; %bb.26:
	v_mul_f32_e32 v44, 0x3fb8aa3b, v33
	v_cmp_ngt_f32_e32 vcc_lo, 0xc2ce8ed0, v33
	s_delay_alu instid0(VALU_DEP_2) | instskip(SKIP_1) | instid1(VALU_DEP_2)
	v_rndne_f32_e32 v45, v44
	v_fma_f32 v46, 0x3fb8aa3b, v33, -v44
	v_sub_f32_e32 v44, v44, v45
	s_delay_alu instid0(VALU_DEP_2) | instskip(SKIP_1) | instid1(VALU_DEP_2)
	v_fmamk_f32 v46, v33, 0x32a5705f, v46
	v_cvt_i32_f32_e32 v45, v45
	v_add_f32_e32 v44, v44, v46
	s_delay_alu instid0(VALU_DEP_1) | instskip(SKIP_1) | instid1(TRANS32_DEP_1)
	v_exp_f32_e32 v44, v44
	v_nop
	v_ldexp_f32 v44, v44, v45
	s_delay_alu instid0(VALU_DEP_1) | instskip(SKIP_1) | instid1(VALU_DEP_2)
	v_cndmask_b32_e32 v44, 0, v44, vcc_lo
	v_cmp_nlt_f32_e32 vcc_lo, 0x42b17218, v33
	v_cndmask_b32_e32 v33, 0x7f800000, v44, vcc_lo
	s_delay_alu instid0(VALU_DEP_1) | instskip(NEXT) | instid1(VALU_DEP_1)
	v_dual_mul_f32 v23, v33, v23 :: v_dual_add_f32 v33, 1.0, v33
	v_div_scale_f32 v44, null, v33, v33, v23
	s_delay_alu instid0(VALU_DEP_1) | instskip(SKIP_1) | instid1(TRANS32_DEP_1)
	v_rcp_f32_e32 v45, v44
	v_nop
	v_fma_f32 v46, -v44, v45, 1.0
	s_delay_alu instid0(VALU_DEP_1) | instskip(SKIP_1) | instid1(VALU_DEP_1)
	v_fmac_f32_e32 v45, v46, v45
	v_div_scale_f32 v46, vcc_lo, v23, v33, v23
	v_mul_f32_e32 v47, v46, v45
	s_delay_alu instid0(VALU_DEP_1) | instskip(NEXT) | instid1(VALU_DEP_1)
	v_fma_f32 v48, -v44, v47, v46
	v_fmac_f32_e32 v47, v48, v45
	s_delay_alu instid0(VALU_DEP_1) | instskip(NEXT) | instid1(VALU_DEP_1)
	v_fma_f32 v44, -v44, v47, v46
	v_div_fmas_f32 v44, v44, v45, v47
	s_delay_alu instid0(VALU_DEP_1)
	v_div_fixup_f32 v23, v44, v33, v23
.LBB60_27:
	s_or_b32 exec_lo, exec_lo, s2
	s_wait_loadcnt 0x9
	v_bfe_u32 v33, v20, 16, 1
	v_cmp_u_f32_e32 vcc_lo, v20, v20
	v_cmp_u_f32_e64 s2, v21, v21
	s_mov_b32 s3, exec_lo
	v_add3_u32 v33, v20, v33, 0x7fff
	s_delay_alu instid0(VALU_DEP_1) | instskip(NEXT) | instid1(VALU_DEP_1)
	v_and_b32_e32 v33, 0xffff0000, v33
	v_cndmask_b32_e64 v20, v33, 0x7fc00000, vcc_lo
	s_delay_alu instid0(VALU_DEP_1) | instskip(NEXT) | instid1(VALU_DEP_1)
	v_dual_mul_f32 v33, s13, v20 :: v_dual_lshlrev_b32 v20, 16, v43
	v_cmpx_nlt_f32_e32 s14, v33
	s_cbranch_execz .LBB60_29
; %bb.28:
	v_mul_f32_e32 v44, 0x3fb8aa3b, v33
	v_cmp_ngt_f32_e32 vcc_lo, 0xc2ce8ed0, v33
	s_delay_alu instid0(VALU_DEP_2) | instskip(SKIP_1) | instid1(VALU_DEP_2)
	v_rndne_f32_e32 v45, v44
	v_fma_f32 v46, 0x3fb8aa3b, v33, -v44
	v_sub_f32_e32 v44, v44, v45
	s_delay_alu instid0(VALU_DEP_2) | instskip(SKIP_1) | instid1(VALU_DEP_2)
	v_fmamk_f32 v46, v33, 0x32a5705f, v46
	v_cvt_i32_f32_e32 v45, v45
	v_add_f32_e32 v44, v44, v46
	s_delay_alu instid0(VALU_DEP_1) | instskip(SKIP_1) | instid1(TRANS32_DEP_1)
	v_exp_f32_e32 v44, v44
	v_nop
	v_ldexp_f32 v44, v44, v45
	s_delay_alu instid0(VALU_DEP_1) | instskip(SKIP_1) | instid1(VALU_DEP_2)
	v_cndmask_b32_e32 v44, 0, v44, vcc_lo
	v_cmp_nlt_f32_e32 vcc_lo, 0x42b17218, v33
	v_cndmask_b32_e32 v33, 0x7f800000, v44, vcc_lo
	s_delay_alu instid0(VALU_DEP_1) | instskip(NEXT) | instid1(VALU_DEP_1)
	v_dual_mul_f32 v20, v33, v20 :: v_dual_add_f32 v33, 1.0, v33
	v_div_scale_f32 v44, null, v33, v33, v20
	s_delay_alu instid0(VALU_DEP_1) | instskip(SKIP_1) | instid1(TRANS32_DEP_1)
	v_rcp_f32_e32 v45, v44
	v_nop
	v_fma_f32 v46, -v44, v45, 1.0
	s_delay_alu instid0(VALU_DEP_1) | instskip(SKIP_1) | instid1(VALU_DEP_1)
	v_fmac_f32_e32 v45, v46, v45
	v_div_scale_f32 v46, vcc_lo, v20, v33, v20
	v_mul_f32_e32 v47, v46, v45
	s_delay_alu instid0(VALU_DEP_1) | instskip(NEXT) | instid1(VALU_DEP_1)
	v_fma_f32 v48, -v44, v47, v46
	v_fmac_f32_e32 v47, v48, v45
	s_delay_alu instid0(VALU_DEP_1) | instskip(NEXT) | instid1(VALU_DEP_1)
	v_fma_f32 v44, -v44, v47, v46
	v_div_fmas_f32 v44, v44, v45, v47
	s_delay_alu instid0(VALU_DEP_1)
	v_div_fixup_f32 v20, v44, v33, v20
.LBB60_29:
	s_or_b32 exec_lo, exec_lo, s3
	v_bfe_u32 v33, v21, 16, 1
	s_delay_alu instid0(VALU_DEP_1) | instskip(NEXT) | instid1(VALU_DEP_1)
	v_add3_u32 v21, v21, v33, 0x7fff
	v_and_b32_e32 v21, 0xffff0000, v21
	s_delay_alu instid0(VALU_DEP_1) | instskip(SKIP_1) | instid1(VALU_DEP_1)
	v_cndmask_b32_e64 v21, v21, 0x7fc00000, s2
	s_mov_b32 s2, exec_lo
	v_mul_f32_e32 v33, s13, v21
	v_and_b32_e32 v21, 0xffff0000, v43
	s_delay_alu instid0(VALU_DEP_2)
	v_cmpx_nlt_f32_e32 s14, v33
	s_cbranch_execz .LBB60_31
; %bb.30:
	v_mul_f32_e32 v43, 0x3fb8aa3b, v33
	v_cmp_ngt_f32_e32 vcc_lo, 0xc2ce8ed0, v33
	s_delay_alu instid0(VALU_DEP_2) | instskip(SKIP_1) | instid1(VALU_DEP_2)
	v_rndne_f32_e32 v44, v43
	v_fma_f32 v45, 0x3fb8aa3b, v33, -v43
	v_sub_f32_e32 v43, v43, v44
	s_delay_alu instid0(VALU_DEP_2) | instskip(SKIP_1) | instid1(VALU_DEP_2)
	v_fmamk_f32 v45, v33, 0x32a5705f, v45
	v_cvt_i32_f32_e32 v44, v44
	v_add_f32_e32 v43, v43, v45
	s_delay_alu instid0(VALU_DEP_1) | instskip(SKIP_1) | instid1(TRANS32_DEP_1)
	v_exp_f32_e32 v43, v43
	v_nop
	v_ldexp_f32 v43, v43, v44
	s_delay_alu instid0(VALU_DEP_1) | instskip(SKIP_1) | instid1(VALU_DEP_2)
	v_cndmask_b32_e32 v43, 0, v43, vcc_lo
	v_cmp_nlt_f32_e32 vcc_lo, 0x42b17218, v33
	v_cndmask_b32_e32 v33, 0x7f800000, v43, vcc_lo
	s_delay_alu instid0(VALU_DEP_1) | instskip(SKIP_1) | instid1(VALU_DEP_1)
	v_mul_f32_e32 v21, v33, v21
	v_add_f32_e32 v33, 1.0, v33
	v_div_scale_f32 v43, null, v33, v33, v21
	s_delay_alu instid0(VALU_DEP_1) | instskip(SKIP_1) | instid1(TRANS32_DEP_1)
	v_rcp_f32_e32 v44, v43
	v_nop
	v_fma_f32 v45, -v43, v44, 1.0
	s_delay_alu instid0(VALU_DEP_1) | instskip(SKIP_1) | instid1(VALU_DEP_1)
	v_fmac_f32_e32 v44, v45, v44
	v_div_scale_f32 v45, vcc_lo, v21, v33, v21
	v_mul_f32_e32 v46, v45, v44
	s_delay_alu instid0(VALU_DEP_1) | instskip(NEXT) | instid1(VALU_DEP_1)
	v_fma_f32 v47, -v43, v46, v45
	v_fmac_f32_e32 v46, v47, v44
	s_delay_alu instid0(VALU_DEP_1) | instskip(NEXT) | instid1(VALU_DEP_1)
	v_fma_f32 v43, -v43, v46, v45
	v_div_fmas_f32 v43, v43, v44, v46
	s_delay_alu instid0(VALU_DEP_1)
	v_div_fixup_f32 v21, v43, v33, v21
.LBB60_31:
	s_or_b32 exec_lo, exec_lo, s2
	s_wait_loadcnt 0x8
	v_bfe_u32 v33, v18, 16, 1
	v_cmp_u_f32_e32 vcc_lo, v18, v18
	v_cmp_u_f32_e64 s2, v19, v19
	s_mov_b32 s3, exec_lo
	v_add3_u32 v33, v18, v33, 0x7fff
	s_delay_alu instid0(VALU_DEP_1) | instskip(NEXT) | instid1(VALU_DEP_1)
	v_and_b32_e32 v33, 0xffff0000, v33
	v_cndmask_b32_e64 v18, v33, 0x7fc00000, vcc_lo
	s_delay_alu instid0(VALU_DEP_1) | instskip(SKIP_1) | instid1(VALU_DEP_2)
	v_mul_f32_e32 v33, s13, v18
	v_lshlrev_b32_e32 v18, 16, v42
	v_cmpx_nlt_f32_e32 s14, v33
	s_cbranch_execz .LBB60_33
; %bb.32:
	v_mul_f32_e32 v43, 0x3fb8aa3b, v33
	v_cmp_ngt_f32_e32 vcc_lo, 0xc2ce8ed0, v33
	s_delay_alu instid0(VALU_DEP_2) | instskip(SKIP_1) | instid1(VALU_DEP_2)
	v_rndne_f32_e32 v44, v43
	v_fma_f32 v45, 0x3fb8aa3b, v33, -v43
	v_sub_f32_e32 v43, v43, v44
	s_delay_alu instid0(VALU_DEP_2) | instskip(SKIP_1) | instid1(VALU_DEP_2)
	v_fmamk_f32 v45, v33, 0x32a5705f, v45
	v_cvt_i32_f32_e32 v44, v44
	v_add_f32_e32 v43, v43, v45
	s_delay_alu instid0(VALU_DEP_1) | instskip(SKIP_1) | instid1(TRANS32_DEP_1)
	v_exp_f32_e32 v43, v43
	v_nop
	v_ldexp_f32 v43, v43, v44
	s_delay_alu instid0(VALU_DEP_1) | instskip(SKIP_1) | instid1(VALU_DEP_2)
	v_cndmask_b32_e32 v43, 0, v43, vcc_lo
	v_cmp_nlt_f32_e32 vcc_lo, 0x42b17218, v33
	v_cndmask_b32_e32 v33, 0x7f800000, v43, vcc_lo
	s_delay_alu instid0(VALU_DEP_1) | instskip(NEXT) | instid1(VALU_DEP_1)
	v_dual_mul_f32 v18, v33, v18 :: v_dual_add_f32 v33, 1.0, v33
	v_div_scale_f32 v43, null, v33, v33, v18
	s_delay_alu instid0(VALU_DEP_1) | instskip(SKIP_1) | instid1(TRANS32_DEP_1)
	v_rcp_f32_e32 v44, v43
	v_nop
	v_fma_f32 v45, -v43, v44, 1.0
	s_delay_alu instid0(VALU_DEP_1) | instskip(SKIP_1) | instid1(VALU_DEP_1)
	v_fmac_f32_e32 v44, v45, v44
	v_div_scale_f32 v45, vcc_lo, v18, v33, v18
	v_mul_f32_e32 v46, v45, v44
	s_delay_alu instid0(VALU_DEP_1) | instskip(NEXT) | instid1(VALU_DEP_1)
	v_fma_f32 v47, -v43, v46, v45
	v_fmac_f32_e32 v46, v47, v44
	s_delay_alu instid0(VALU_DEP_1) | instskip(NEXT) | instid1(VALU_DEP_1)
	v_fma_f32 v43, -v43, v46, v45
	v_div_fmas_f32 v43, v43, v44, v46
	s_delay_alu instid0(VALU_DEP_1)
	v_div_fixup_f32 v18, v43, v33, v18
.LBB60_33:
	s_or_b32 exec_lo, exec_lo, s3
	v_bfe_u32 v33, v19, 16, 1
	s_delay_alu instid0(VALU_DEP_1) | instskip(NEXT) | instid1(VALU_DEP_1)
	v_add3_u32 v19, v19, v33, 0x7fff
	v_and_b32_e32 v19, 0xffff0000, v19
	s_delay_alu instid0(VALU_DEP_1) | instskip(SKIP_1) | instid1(VALU_DEP_1)
	v_cndmask_b32_e64 v19, v19, 0x7fc00000, s2
	s_mov_b32 s2, exec_lo
	v_mul_f32_e32 v33, s13, v19
	v_and_b32_e32 v19, 0xffff0000, v42
	s_delay_alu instid0(VALU_DEP_2)
	v_cmpx_nlt_f32_e32 s14, v33
	s_cbranch_execz .LBB60_35
; %bb.34:
	v_mul_f32_e32 v42, 0x3fb8aa3b, v33
	v_cmp_ngt_f32_e32 vcc_lo, 0xc2ce8ed0, v33
	s_delay_alu instid0(VALU_DEP_2) | instskip(SKIP_1) | instid1(VALU_DEP_2)
	v_rndne_f32_e32 v43, v42
	v_fma_f32 v44, 0x3fb8aa3b, v33, -v42
	v_sub_f32_e32 v42, v42, v43
	s_delay_alu instid0(VALU_DEP_2) | instskip(SKIP_1) | instid1(VALU_DEP_2)
	v_fmamk_f32 v44, v33, 0x32a5705f, v44
	v_cvt_i32_f32_e32 v43, v43
	v_add_f32_e32 v42, v42, v44
	s_delay_alu instid0(VALU_DEP_1) | instskip(SKIP_1) | instid1(TRANS32_DEP_1)
	v_exp_f32_e32 v42, v42
	v_nop
	v_ldexp_f32 v42, v42, v43
	s_delay_alu instid0(VALU_DEP_1) | instskip(SKIP_1) | instid1(VALU_DEP_2)
	v_cndmask_b32_e32 v42, 0, v42, vcc_lo
	v_cmp_nlt_f32_e32 vcc_lo, 0x42b17218, v33
	v_cndmask_b32_e32 v33, 0x7f800000, v42, vcc_lo
	s_delay_alu instid0(VALU_DEP_1) | instskip(NEXT) | instid1(VALU_DEP_1)
	v_dual_mul_f32 v19, v33, v19 :: v_dual_add_f32 v33, 1.0, v33
	v_div_scale_f32 v42, null, v33, v33, v19
	s_delay_alu instid0(VALU_DEP_1) | instskip(SKIP_1) | instid1(TRANS32_DEP_1)
	v_rcp_f32_e32 v43, v42
	v_nop
	v_fma_f32 v44, -v42, v43, 1.0
	s_delay_alu instid0(VALU_DEP_1) | instskip(SKIP_1) | instid1(VALU_DEP_1)
	v_fmac_f32_e32 v43, v44, v43
	v_div_scale_f32 v44, vcc_lo, v19, v33, v19
	v_mul_f32_e32 v45, v44, v43
	s_delay_alu instid0(VALU_DEP_1) | instskip(NEXT) | instid1(VALU_DEP_1)
	v_fma_f32 v46, -v42, v45, v44
	v_fmac_f32_e32 v45, v46, v43
	s_delay_alu instid0(VALU_DEP_1) | instskip(NEXT) | instid1(VALU_DEP_1)
	v_fma_f32 v42, -v42, v45, v44
	v_div_fmas_f32 v42, v42, v43, v45
	s_delay_alu instid0(VALU_DEP_1)
	v_div_fixup_f32 v19, v42, v33, v19
.LBB60_35:
	s_or_b32 exec_lo, exec_lo, s2
	s_wait_loadcnt 0x7
	v_bfe_u32 v33, v16, 16, 1
	v_cmp_u_f32_e32 vcc_lo, v16, v16
	v_cmp_u_f32_e64 s2, v17, v17
	s_mov_b32 s3, exec_lo
	v_add3_u32 v33, v16, v33, 0x7fff
	s_delay_alu instid0(VALU_DEP_1) | instskip(NEXT) | instid1(VALU_DEP_1)
	v_and_b32_e32 v33, 0xffff0000, v33
	v_cndmask_b32_e64 v16, v33, 0x7fc00000, vcc_lo
	s_delay_alu instid0(VALU_DEP_1) | instskip(NEXT) | instid1(VALU_DEP_1)
	v_dual_mul_f32 v33, s13, v16 :: v_dual_lshlrev_b32 v16, 16, v41
	v_cmpx_nlt_f32_e32 s14, v33
	s_cbranch_execz .LBB60_37
; %bb.36:
	v_mul_f32_e32 v42, 0x3fb8aa3b, v33
	v_cmp_ngt_f32_e32 vcc_lo, 0xc2ce8ed0, v33
	s_delay_alu instid0(VALU_DEP_2) | instskip(SKIP_1) | instid1(VALU_DEP_2)
	v_rndne_f32_e32 v43, v42
	v_fma_f32 v44, 0x3fb8aa3b, v33, -v42
	v_sub_f32_e32 v42, v42, v43
	s_delay_alu instid0(VALU_DEP_2) | instskip(SKIP_1) | instid1(VALU_DEP_2)
	v_fmamk_f32 v44, v33, 0x32a5705f, v44
	v_cvt_i32_f32_e32 v43, v43
	v_add_f32_e32 v42, v42, v44
	s_delay_alu instid0(VALU_DEP_1) | instskip(SKIP_1) | instid1(TRANS32_DEP_1)
	v_exp_f32_e32 v42, v42
	v_nop
	v_ldexp_f32 v42, v42, v43
	s_delay_alu instid0(VALU_DEP_1) | instskip(SKIP_1) | instid1(VALU_DEP_2)
	v_cndmask_b32_e32 v42, 0, v42, vcc_lo
	v_cmp_nlt_f32_e32 vcc_lo, 0x42b17218, v33
	v_cndmask_b32_e32 v33, 0x7f800000, v42, vcc_lo
	s_delay_alu instid0(VALU_DEP_1) | instskip(NEXT) | instid1(VALU_DEP_1)
	v_dual_mul_f32 v16, v33, v16 :: v_dual_add_f32 v33, 1.0, v33
	v_div_scale_f32 v42, null, v33, v33, v16
	s_delay_alu instid0(VALU_DEP_1) | instskip(SKIP_1) | instid1(TRANS32_DEP_1)
	v_rcp_f32_e32 v43, v42
	v_nop
	v_fma_f32 v44, -v42, v43, 1.0
	s_delay_alu instid0(VALU_DEP_1) | instskip(SKIP_1) | instid1(VALU_DEP_1)
	v_fmac_f32_e32 v43, v44, v43
	v_div_scale_f32 v44, vcc_lo, v16, v33, v16
	v_mul_f32_e32 v45, v44, v43
	s_delay_alu instid0(VALU_DEP_1) | instskip(NEXT) | instid1(VALU_DEP_1)
	v_fma_f32 v46, -v42, v45, v44
	v_fmac_f32_e32 v45, v46, v43
	s_delay_alu instid0(VALU_DEP_1) | instskip(NEXT) | instid1(VALU_DEP_1)
	v_fma_f32 v42, -v42, v45, v44
	v_div_fmas_f32 v42, v42, v43, v45
	s_delay_alu instid0(VALU_DEP_1)
	v_div_fixup_f32 v16, v42, v33, v16
.LBB60_37:
	s_or_b32 exec_lo, exec_lo, s3
	v_bfe_u32 v33, v17, 16, 1
	s_delay_alu instid0(VALU_DEP_1) | instskip(NEXT) | instid1(VALU_DEP_1)
	v_add3_u32 v17, v17, v33, 0x7fff
	v_and_b32_e32 v17, 0xffff0000, v17
	s_delay_alu instid0(VALU_DEP_1) | instskip(SKIP_1) | instid1(VALU_DEP_1)
	v_cndmask_b32_e64 v17, v17, 0x7fc00000, s2
	s_mov_b32 s2, exec_lo
	v_mul_f32_e32 v33, s13, v17
	v_and_b32_e32 v17, 0xffff0000, v41
	s_delay_alu instid0(VALU_DEP_2)
	v_cmpx_nlt_f32_e32 s14, v33
	s_cbranch_execz .LBB60_39
; %bb.38:
	v_mul_f32_e32 v41, 0x3fb8aa3b, v33
	v_cmp_ngt_f32_e32 vcc_lo, 0xc2ce8ed0, v33
	s_delay_alu instid0(VALU_DEP_2) | instskip(SKIP_1) | instid1(VALU_DEP_2)
	v_rndne_f32_e32 v42, v41
	v_fma_f32 v43, 0x3fb8aa3b, v33, -v41
	v_sub_f32_e32 v41, v41, v42
	s_delay_alu instid0(VALU_DEP_2) | instskip(SKIP_1) | instid1(VALU_DEP_2)
	v_fmamk_f32 v43, v33, 0x32a5705f, v43
	v_cvt_i32_f32_e32 v42, v42
	v_add_f32_e32 v41, v41, v43
	s_delay_alu instid0(VALU_DEP_1) | instskip(SKIP_1) | instid1(TRANS32_DEP_1)
	v_exp_f32_e32 v41, v41
	v_nop
	v_ldexp_f32 v41, v41, v42
	s_delay_alu instid0(VALU_DEP_1) | instskip(SKIP_1) | instid1(VALU_DEP_2)
	v_cndmask_b32_e32 v41, 0, v41, vcc_lo
	v_cmp_nlt_f32_e32 vcc_lo, 0x42b17218, v33
	v_cndmask_b32_e32 v33, 0x7f800000, v41, vcc_lo
	s_delay_alu instid0(VALU_DEP_1) | instskip(SKIP_1) | instid1(VALU_DEP_1)
	v_mul_f32_e32 v17, v33, v17
	v_add_f32_e32 v33, 1.0, v33
	v_div_scale_f32 v41, null, v33, v33, v17
	s_delay_alu instid0(VALU_DEP_1) | instskip(SKIP_1) | instid1(TRANS32_DEP_1)
	v_rcp_f32_e32 v42, v41
	v_nop
	v_fma_f32 v43, -v41, v42, 1.0
	s_delay_alu instid0(VALU_DEP_1) | instskip(SKIP_1) | instid1(VALU_DEP_1)
	v_fmac_f32_e32 v42, v43, v42
	v_div_scale_f32 v43, vcc_lo, v17, v33, v17
	v_mul_f32_e32 v44, v43, v42
	s_delay_alu instid0(VALU_DEP_1) | instskip(NEXT) | instid1(VALU_DEP_1)
	v_fma_f32 v45, -v41, v44, v43
	v_fmac_f32_e32 v44, v45, v42
	s_delay_alu instid0(VALU_DEP_1) | instskip(NEXT) | instid1(VALU_DEP_1)
	v_fma_f32 v41, -v41, v44, v43
	v_div_fmas_f32 v41, v41, v42, v44
	s_delay_alu instid0(VALU_DEP_1)
	v_div_fixup_f32 v17, v41, v33, v17
.LBB60_39:
	s_or_b32 exec_lo, exec_lo, s2
	s_wait_loadcnt 0x6
	v_bfe_u32 v33, v14, 16, 1
	v_cmp_u_f32_e32 vcc_lo, v14, v14
	v_cmp_u_f32_e64 s2, v15, v15
	s_mov_b32 s3, exec_lo
	v_add3_u32 v33, v14, v33, 0x7fff
	s_delay_alu instid0(VALU_DEP_1) | instskip(NEXT) | instid1(VALU_DEP_1)
	v_and_b32_e32 v33, 0xffff0000, v33
	v_cndmask_b32_e64 v14, v33, 0x7fc00000, vcc_lo
	s_delay_alu instid0(VALU_DEP_1) | instskip(NEXT) | instid1(VALU_DEP_1)
	v_dual_mul_f32 v33, s13, v14 :: v_dual_lshlrev_b32 v14, 16, v40
	v_cmpx_nlt_f32_e32 s14, v33
	s_cbranch_execz .LBB60_41
; %bb.40:
	v_mul_f32_e32 v41, 0x3fb8aa3b, v33
	v_cmp_ngt_f32_e32 vcc_lo, 0xc2ce8ed0, v33
	s_delay_alu instid0(VALU_DEP_2) | instskip(SKIP_1) | instid1(VALU_DEP_2)
	v_rndne_f32_e32 v42, v41
	v_fma_f32 v43, 0x3fb8aa3b, v33, -v41
	v_sub_f32_e32 v41, v41, v42
	s_delay_alu instid0(VALU_DEP_2) | instskip(SKIP_1) | instid1(VALU_DEP_2)
	v_fmamk_f32 v43, v33, 0x32a5705f, v43
	v_cvt_i32_f32_e32 v42, v42
	v_add_f32_e32 v41, v41, v43
	s_delay_alu instid0(VALU_DEP_1) | instskip(SKIP_1) | instid1(TRANS32_DEP_1)
	v_exp_f32_e32 v41, v41
	v_nop
	v_ldexp_f32 v41, v41, v42
	s_delay_alu instid0(VALU_DEP_1) | instskip(SKIP_1) | instid1(VALU_DEP_2)
	v_cndmask_b32_e32 v41, 0, v41, vcc_lo
	v_cmp_nlt_f32_e32 vcc_lo, 0x42b17218, v33
	v_cndmask_b32_e32 v33, 0x7f800000, v41, vcc_lo
	s_delay_alu instid0(VALU_DEP_1) | instskip(NEXT) | instid1(VALU_DEP_1)
	v_dual_mul_f32 v14, v33, v14 :: v_dual_add_f32 v33, 1.0, v33
	v_div_scale_f32 v41, null, v33, v33, v14
	s_delay_alu instid0(VALU_DEP_1) | instskip(SKIP_1) | instid1(TRANS32_DEP_1)
	v_rcp_f32_e32 v42, v41
	v_nop
	v_fma_f32 v43, -v41, v42, 1.0
	s_delay_alu instid0(VALU_DEP_1) | instskip(SKIP_1) | instid1(VALU_DEP_1)
	v_fmac_f32_e32 v42, v43, v42
	v_div_scale_f32 v43, vcc_lo, v14, v33, v14
	v_mul_f32_e32 v44, v43, v42
	s_delay_alu instid0(VALU_DEP_1) | instskip(NEXT) | instid1(VALU_DEP_1)
	v_fma_f32 v45, -v41, v44, v43
	v_fmac_f32_e32 v44, v45, v42
	s_delay_alu instid0(VALU_DEP_1) | instskip(NEXT) | instid1(VALU_DEP_1)
	v_fma_f32 v41, -v41, v44, v43
	v_div_fmas_f32 v41, v41, v42, v44
	s_delay_alu instid0(VALU_DEP_1)
	v_div_fixup_f32 v14, v41, v33, v14
.LBB60_41:
	s_or_b32 exec_lo, exec_lo, s3
	v_bfe_u32 v33, v15, 16, 1
	s_delay_alu instid0(VALU_DEP_1) | instskip(NEXT) | instid1(VALU_DEP_1)
	v_add3_u32 v15, v15, v33, 0x7fff
	v_and_b32_e32 v15, 0xffff0000, v15
	s_delay_alu instid0(VALU_DEP_1) | instskip(SKIP_1) | instid1(VALU_DEP_1)
	v_cndmask_b32_e64 v15, v15, 0x7fc00000, s2
	s_mov_b32 s2, exec_lo
	v_mul_f32_e32 v33, s13, v15
	v_and_b32_e32 v15, 0xffff0000, v40
	s_delay_alu instid0(VALU_DEP_2)
	v_cmpx_nlt_f32_e32 s14, v33
	s_cbranch_execz .LBB60_43
; %bb.42:
	v_mul_f32_e32 v40, 0x3fb8aa3b, v33
	v_cmp_ngt_f32_e32 vcc_lo, 0xc2ce8ed0, v33
	s_delay_alu instid0(VALU_DEP_2) | instskip(SKIP_1) | instid1(VALU_DEP_2)
	v_rndne_f32_e32 v41, v40
	v_fma_f32 v42, 0x3fb8aa3b, v33, -v40
	v_sub_f32_e32 v40, v40, v41
	s_delay_alu instid0(VALU_DEP_2) | instskip(SKIP_1) | instid1(VALU_DEP_2)
	v_fmamk_f32 v42, v33, 0x32a5705f, v42
	v_cvt_i32_f32_e32 v41, v41
	v_add_f32_e32 v40, v40, v42
	s_delay_alu instid0(VALU_DEP_1) | instskip(SKIP_1) | instid1(TRANS32_DEP_1)
	v_exp_f32_e32 v40, v40
	v_nop
	v_ldexp_f32 v40, v40, v41
	s_delay_alu instid0(VALU_DEP_1) | instskip(SKIP_1) | instid1(VALU_DEP_2)
	v_cndmask_b32_e32 v40, 0, v40, vcc_lo
	v_cmp_nlt_f32_e32 vcc_lo, 0x42b17218, v33
	v_cndmask_b32_e32 v33, 0x7f800000, v40, vcc_lo
	s_delay_alu instid0(VALU_DEP_1) | instskip(NEXT) | instid1(VALU_DEP_1)
	v_dual_mul_f32 v15, v33, v15 :: v_dual_add_f32 v33, 1.0, v33
	v_div_scale_f32 v40, null, v33, v33, v15
	s_delay_alu instid0(VALU_DEP_1) | instskip(SKIP_1) | instid1(TRANS32_DEP_1)
	v_rcp_f32_e32 v41, v40
	v_nop
	v_fma_f32 v42, -v40, v41, 1.0
	s_delay_alu instid0(VALU_DEP_1) | instskip(SKIP_1) | instid1(VALU_DEP_1)
	v_fmac_f32_e32 v41, v42, v41
	v_div_scale_f32 v42, vcc_lo, v15, v33, v15
	v_mul_f32_e32 v43, v42, v41
	s_delay_alu instid0(VALU_DEP_1) | instskip(NEXT) | instid1(VALU_DEP_1)
	v_fma_f32 v44, -v40, v43, v42
	v_fmac_f32_e32 v43, v44, v41
	s_delay_alu instid0(VALU_DEP_1) | instskip(NEXT) | instid1(VALU_DEP_1)
	v_fma_f32 v40, -v40, v43, v42
	v_div_fmas_f32 v40, v40, v41, v43
	s_delay_alu instid0(VALU_DEP_1)
	v_div_fixup_f32 v15, v40, v33, v15
.LBB60_43:
	s_or_b32 exec_lo, exec_lo, s2
	s_wait_loadcnt 0x5
	v_bfe_u32 v33, v12, 16, 1
	v_cmp_u_f32_e32 vcc_lo, v12, v12
	v_cmp_u_f32_e64 s2, v13, v13
	s_mov_b32 s3, exec_lo
	v_add3_u32 v33, v12, v33, 0x7fff
	s_delay_alu instid0(VALU_DEP_1) | instskip(NEXT) | instid1(VALU_DEP_1)
	v_and_b32_e32 v33, 0xffff0000, v33
	v_cndmask_b32_e64 v12, v33, 0x7fc00000, vcc_lo
	s_delay_alu instid0(VALU_DEP_1) | instskip(NEXT) | instid1(VALU_DEP_1)
	v_dual_mul_f32 v33, s13, v12 :: v_dual_lshlrev_b32 v12, 16, v39
	v_cmpx_nlt_f32_e32 s14, v33
	s_cbranch_execz .LBB60_45
; %bb.44:
	v_mul_f32_e32 v40, 0x3fb8aa3b, v33
	v_cmp_ngt_f32_e32 vcc_lo, 0xc2ce8ed0, v33
	s_delay_alu instid0(VALU_DEP_2) | instskip(SKIP_1) | instid1(VALU_DEP_2)
	v_rndne_f32_e32 v41, v40
	v_fma_f32 v42, 0x3fb8aa3b, v33, -v40
	v_sub_f32_e32 v40, v40, v41
	s_delay_alu instid0(VALU_DEP_2) | instskip(SKIP_1) | instid1(VALU_DEP_2)
	v_fmamk_f32 v42, v33, 0x32a5705f, v42
	v_cvt_i32_f32_e32 v41, v41
	v_add_f32_e32 v40, v40, v42
	s_delay_alu instid0(VALU_DEP_1) | instskip(SKIP_1) | instid1(TRANS32_DEP_1)
	v_exp_f32_e32 v40, v40
	v_nop
	v_ldexp_f32 v40, v40, v41
	s_delay_alu instid0(VALU_DEP_1) | instskip(SKIP_1) | instid1(VALU_DEP_2)
	v_cndmask_b32_e32 v40, 0, v40, vcc_lo
	v_cmp_nlt_f32_e32 vcc_lo, 0x42b17218, v33
	v_cndmask_b32_e32 v33, 0x7f800000, v40, vcc_lo
	s_delay_alu instid0(VALU_DEP_1) | instskip(NEXT) | instid1(VALU_DEP_1)
	v_dual_mul_f32 v12, v33, v12 :: v_dual_add_f32 v33, 1.0, v33
	v_div_scale_f32 v40, null, v33, v33, v12
	s_delay_alu instid0(VALU_DEP_1) | instskip(SKIP_1) | instid1(TRANS32_DEP_1)
	v_rcp_f32_e32 v41, v40
	v_nop
	v_fma_f32 v42, -v40, v41, 1.0
	s_delay_alu instid0(VALU_DEP_1) | instskip(SKIP_1) | instid1(VALU_DEP_1)
	v_fmac_f32_e32 v41, v42, v41
	v_div_scale_f32 v42, vcc_lo, v12, v33, v12
	v_mul_f32_e32 v43, v42, v41
	s_delay_alu instid0(VALU_DEP_1) | instskip(NEXT) | instid1(VALU_DEP_1)
	v_fma_f32 v44, -v40, v43, v42
	v_fmac_f32_e32 v43, v44, v41
	s_delay_alu instid0(VALU_DEP_1) | instskip(NEXT) | instid1(VALU_DEP_1)
	v_fma_f32 v40, -v40, v43, v42
	v_div_fmas_f32 v40, v40, v41, v43
	s_delay_alu instid0(VALU_DEP_1)
	v_div_fixup_f32 v12, v40, v33, v12
.LBB60_45:
	s_or_b32 exec_lo, exec_lo, s3
	v_bfe_u32 v33, v13, 16, 1
	s_delay_alu instid0(VALU_DEP_1) | instskip(NEXT) | instid1(VALU_DEP_1)
	v_add3_u32 v13, v13, v33, 0x7fff
	v_and_b32_e32 v13, 0xffff0000, v13
	s_delay_alu instid0(VALU_DEP_1) | instskip(SKIP_1) | instid1(VALU_DEP_1)
	v_cndmask_b32_e64 v13, v13, 0x7fc00000, s2
	s_mov_b32 s2, exec_lo
	v_mul_f32_e32 v33, s13, v13
	v_and_b32_e32 v13, 0xffff0000, v39
	s_delay_alu instid0(VALU_DEP_2)
	v_cmpx_nlt_f32_e32 s14, v33
	s_cbranch_execz .LBB60_47
; %bb.46:
	v_mul_f32_e32 v39, 0x3fb8aa3b, v33
	v_cmp_ngt_f32_e32 vcc_lo, 0xc2ce8ed0, v33
	s_delay_alu instid0(VALU_DEP_2) | instskip(SKIP_1) | instid1(VALU_DEP_2)
	v_rndne_f32_e32 v40, v39
	v_fma_f32 v41, 0x3fb8aa3b, v33, -v39
	v_sub_f32_e32 v39, v39, v40
	s_delay_alu instid0(VALU_DEP_2) | instskip(SKIP_1) | instid1(VALU_DEP_2)
	v_fmamk_f32 v41, v33, 0x32a5705f, v41
	v_cvt_i32_f32_e32 v40, v40
	v_add_f32_e32 v39, v39, v41
	s_delay_alu instid0(VALU_DEP_1) | instskip(SKIP_1) | instid1(TRANS32_DEP_1)
	v_exp_f32_e32 v39, v39
	v_nop
	v_ldexp_f32 v39, v39, v40
	s_delay_alu instid0(VALU_DEP_1) | instskip(SKIP_1) | instid1(VALU_DEP_2)
	v_cndmask_b32_e32 v39, 0, v39, vcc_lo
	v_cmp_nlt_f32_e32 vcc_lo, 0x42b17218, v33
	v_cndmask_b32_e32 v33, 0x7f800000, v39, vcc_lo
	s_delay_alu instid0(VALU_DEP_1) | instskip(SKIP_1) | instid1(VALU_DEP_1)
	v_mul_f32_e32 v13, v33, v13
	v_add_f32_e32 v33, 1.0, v33
	v_div_scale_f32 v39, null, v33, v33, v13
	s_delay_alu instid0(VALU_DEP_1) | instskip(SKIP_1) | instid1(TRANS32_DEP_1)
	v_rcp_f32_e32 v40, v39
	v_nop
	v_fma_f32 v41, -v39, v40, 1.0
	s_delay_alu instid0(VALU_DEP_1) | instskip(SKIP_1) | instid1(VALU_DEP_1)
	v_fmac_f32_e32 v40, v41, v40
	v_div_scale_f32 v41, vcc_lo, v13, v33, v13
	v_mul_f32_e32 v42, v41, v40
	s_delay_alu instid0(VALU_DEP_1) | instskip(NEXT) | instid1(VALU_DEP_1)
	v_fma_f32 v43, -v39, v42, v41
	v_fmac_f32_e32 v42, v43, v40
	s_delay_alu instid0(VALU_DEP_1) | instskip(NEXT) | instid1(VALU_DEP_1)
	v_fma_f32 v39, -v39, v42, v41
	v_div_fmas_f32 v39, v39, v40, v42
	s_delay_alu instid0(VALU_DEP_1)
	v_div_fixup_f32 v13, v39, v33, v13
.LBB60_47:
	s_or_b32 exec_lo, exec_lo, s2
	s_wait_loadcnt 0x4
	v_bfe_u32 v33, v10, 16, 1
	v_cmp_u_f32_e32 vcc_lo, v10, v10
	v_cmp_u_f32_e64 s2, v11, v11
	s_mov_b32 s3, exec_lo
	v_add3_u32 v33, v10, v33, 0x7fff
	s_delay_alu instid0(VALU_DEP_1) | instskip(NEXT) | instid1(VALU_DEP_1)
	v_and_b32_e32 v33, 0xffff0000, v33
	v_cndmask_b32_e64 v10, v33, 0x7fc00000, vcc_lo
	s_delay_alu instid0(VALU_DEP_1) | instskip(SKIP_1) | instid1(VALU_DEP_2)
	v_mul_f32_e32 v33, s13, v10
	v_lshlrev_b32_e32 v10, 16, v38
	v_cmpx_nlt_f32_e32 s14, v33
	s_cbranch_execz .LBB60_49
; %bb.48:
	v_mul_f32_e32 v39, 0x3fb8aa3b, v33
	v_cmp_ngt_f32_e32 vcc_lo, 0xc2ce8ed0, v33
	s_delay_alu instid0(VALU_DEP_2) | instskip(SKIP_1) | instid1(VALU_DEP_2)
	v_rndne_f32_e32 v40, v39
	v_fma_f32 v41, 0x3fb8aa3b, v33, -v39
	v_sub_f32_e32 v39, v39, v40
	s_delay_alu instid0(VALU_DEP_2) | instskip(SKIP_1) | instid1(VALU_DEP_2)
	v_fmamk_f32 v41, v33, 0x32a5705f, v41
	v_cvt_i32_f32_e32 v40, v40
	v_add_f32_e32 v39, v39, v41
	s_delay_alu instid0(VALU_DEP_1) | instskip(SKIP_1) | instid1(TRANS32_DEP_1)
	v_exp_f32_e32 v39, v39
	v_nop
	v_ldexp_f32 v39, v39, v40
	s_delay_alu instid0(VALU_DEP_1) | instskip(SKIP_1) | instid1(VALU_DEP_2)
	v_cndmask_b32_e32 v39, 0, v39, vcc_lo
	v_cmp_nlt_f32_e32 vcc_lo, 0x42b17218, v33
	v_cndmask_b32_e32 v33, 0x7f800000, v39, vcc_lo
	s_delay_alu instid0(VALU_DEP_1) | instskip(NEXT) | instid1(VALU_DEP_1)
	v_dual_mul_f32 v10, v33, v10 :: v_dual_add_f32 v33, 1.0, v33
	v_div_scale_f32 v39, null, v33, v33, v10
	s_delay_alu instid0(VALU_DEP_1) | instskip(SKIP_1) | instid1(TRANS32_DEP_1)
	v_rcp_f32_e32 v40, v39
	v_nop
	v_fma_f32 v41, -v39, v40, 1.0
	s_delay_alu instid0(VALU_DEP_1) | instskip(SKIP_1) | instid1(VALU_DEP_1)
	v_fmac_f32_e32 v40, v41, v40
	v_div_scale_f32 v41, vcc_lo, v10, v33, v10
	v_mul_f32_e32 v42, v41, v40
	s_delay_alu instid0(VALU_DEP_1) | instskip(NEXT) | instid1(VALU_DEP_1)
	v_fma_f32 v43, -v39, v42, v41
	v_fmac_f32_e32 v42, v43, v40
	s_delay_alu instid0(VALU_DEP_1) | instskip(NEXT) | instid1(VALU_DEP_1)
	v_fma_f32 v39, -v39, v42, v41
	v_div_fmas_f32 v39, v39, v40, v42
	s_delay_alu instid0(VALU_DEP_1)
	v_div_fixup_f32 v10, v39, v33, v10
.LBB60_49:
	s_or_b32 exec_lo, exec_lo, s3
	v_bfe_u32 v33, v11, 16, 1
	s_delay_alu instid0(VALU_DEP_1) | instskip(NEXT) | instid1(VALU_DEP_1)
	v_add3_u32 v11, v11, v33, 0x7fff
	v_and_b32_e32 v11, 0xffff0000, v11
	s_delay_alu instid0(VALU_DEP_1) | instskip(SKIP_1) | instid1(VALU_DEP_1)
	v_cndmask_b32_e64 v11, v11, 0x7fc00000, s2
	s_mov_b32 s2, exec_lo
	v_mul_f32_e32 v33, s13, v11
	v_and_b32_e32 v11, 0xffff0000, v38
	s_delay_alu instid0(VALU_DEP_2)
	v_cmpx_nlt_f32_e32 s14, v33
	s_cbranch_execz .LBB60_51
; %bb.50:
	v_mul_f32_e32 v38, 0x3fb8aa3b, v33
	v_cmp_ngt_f32_e32 vcc_lo, 0xc2ce8ed0, v33
	s_delay_alu instid0(VALU_DEP_2) | instskip(SKIP_1) | instid1(VALU_DEP_2)
	v_rndne_f32_e32 v39, v38
	v_fma_f32 v40, 0x3fb8aa3b, v33, -v38
	v_sub_f32_e32 v38, v38, v39
	s_delay_alu instid0(VALU_DEP_2) | instskip(SKIP_1) | instid1(VALU_DEP_2)
	v_fmamk_f32 v40, v33, 0x32a5705f, v40
	v_cvt_i32_f32_e32 v39, v39
	v_add_f32_e32 v38, v38, v40
	s_delay_alu instid0(VALU_DEP_1) | instskip(SKIP_1) | instid1(TRANS32_DEP_1)
	v_exp_f32_e32 v38, v38
	v_nop
	v_ldexp_f32 v38, v38, v39
	s_delay_alu instid0(VALU_DEP_1) | instskip(SKIP_1) | instid1(VALU_DEP_2)
	v_cndmask_b32_e32 v38, 0, v38, vcc_lo
	v_cmp_nlt_f32_e32 vcc_lo, 0x42b17218, v33
	v_cndmask_b32_e32 v33, 0x7f800000, v38, vcc_lo
	s_delay_alu instid0(VALU_DEP_1) | instskip(NEXT) | instid1(VALU_DEP_1)
	v_dual_mul_f32 v11, v33, v11 :: v_dual_add_f32 v33, 1.0, v33
	v_div_scale_f32 v38, null, v33, v33, v11
	s_delay_alu instid0(VALU_DEP_1) | instskip(SKIP_1) | instid1(TRANS32_DEP_1)
	v_rcp_f32_e32 v39, v38
	v_nop
	v_fma_f32 v40, -v38, v39, 1.0
	s_delay_alu instid0(VALU_DEP_1) | instskip(SKIP_1) | instid1(VALU_DEP_1)
	v_fmac_f32_e32 v39, v40, v39
	v_div_scale_f32 v40, vcc_lo, v11, v33, v11
	v_mul_f32_e32 v41, v40, v39
	s_delay_alu instid0(VALU_DEP_1) | instskip(NEXT) | instid1(VALU_DEP_1)
	v_fma_f32 v42, -v38, v41, v40
	v_fmac_f32_e32 v41, v42, v39
	s_delay_alu instid0(VALU_DEP_1) | instskip(NEXT) | instid1(VALU_DEP_1)
	v_fma_f32 v38, -v38, v41, v40
	v_div_fmas_f32 v38, v38, v39, v41
	s_delay_alu instid0(VALU_DEP_1)
	v_div_fixup_f32 v11, v38, v33, v11
.LBB60_51:
	s_or_b32 exec_lo, exec_lo, s2
	s_wait_loadcnt 0x3
	v_bfe_u32 v33, v8, 16, 1
	v_cmp_u_f32_e32 vcc_lo, v8, v8
	v_cmp_u_f32_e64 s2, v9, v9
	s_mov_b32 s3, exec_lo
	v_add3_u32 v33, v8, v33, 0x7fff
	s_delay_alu instid0(VALU_DEP_1) | instskip(NEXT) | instid1(VALU_DEP_1)
	v_and_b32_e32 v33, 0xffff0000, v33
	v_cndmask_b32_e64 v8, v33, 0x7fc00000, vcc_lo
	s_delay_alu instid0(VALU_DEP_1) | instskip(NEXT) | instid1(VALU_DEP_1)
	v_dual_mul_f32 v33, s13, v8 :: v_dual_lshlrev_b32 v8, 16, v37
	v_cmpx_nlt_f32_e32 s14, v33
	s_cbranch_execz .LBB60_53
; %bb.52:
	v_mul_f32_e32 v38, 0x3fb8aa3b, v33
	v_cmp_ngt_f32_e32 vcc_lo, 0xc2ce8ed0, v33
	s_delay_alu instid0(VALU_DEP_2) | instskip(SKIP_1) | instid1(VALU_DEP_2)
	v_rndne_f32_e32 v39, v38
	v_fma_f32 v40, 0x3fb8aa3b, v33, -v38
	v_sub_f32_e32 v38, v38, v39
	s_delay_alu instid0(VALU_DEP_2) | instskip(SKIP_1) | instid1(VALU_DEP_2)
	v_fmamk_f32 v40, v33, 0x32a5705f, v40
	v_cvt_i32_f32_e32 v39, v39
	v_add_f32_e32 v38, v38, v40
	s_delay_alu instid0(VALU_DEP_1) | instskip(SKIP_1) | instid1(TRANS32_DEP_1)
	v_exp_f32_e32 v38, v38
	v_nop
	v_ldexp_f32 v38, v38, v39
	s_delay_alu instid0(VALU_DEP_1) | instskip(SKIP_1) | instid1(VALU_DEP_2)
	v_cndmask_b32_e32 v38, 0, v38, vcc_lo
	v_cmp_nlt_f32_e32 vcc_lo, 0x42b17218, v33
	v_cndmask_b32_e32 v33, 0x7f800000, v38, vcc_lo
	s_delay_alu instid0(VALU_DEP_1) | instskip(NEXT) | instid1(VALU_DEP_1)
	v_dual_mul_f32 v8, v33, v8 :: v_dual_add_f32 v33, 1.0, v33
	v_div_scale_f32 v38, null, v33, v33, v8
	s_delay_alu instid0(VALU_DEP_1) | instskip(SKIP_1) | instid1(TRANS32_DEP_1)
	v_rcp_f32_e32 v39, v38
	v_nop
	v_fma_f32 v40, -v38, v39, 1.0
	s_delay_alu instid0(VALU_DEP_1) | instskip(SKIP_1) | instid1(VALU_DEP_1)
	v_fmac_f32_e32 v39, v40, v39
	v_div_scale_f32 v40, vcc_lo, v8, v33, v8
	v_mul_f32_e32 v41, v40, v39
	s_delay_alu instid0(VALU_DEP_1) | instskip(NEXT) | instid1(VALU_DEP_1)
	v_fma_f32 v42, -v38, v41, v40
	v_fmac_f32_e32 v41, v42, v39
	s_delay_alu instid0(VALU_DEP_1) | instskip(NEXT) | instid1(VALU_DEP_1)
	v_fma_f32 v38, -v38, v41, v40
	v_div_fmas_f32 v38, v38, v39, v41
	s_delay_alu instid0(VALU_DEP_1)
	v_div_fixup_f32 v8, v38, v33, v8
.LBB60_53:
	s_or_b32 exec_lo, exec_lo, s3
	v_bfe_u32 v33, v9, 16, 1
	s_delay_alu instid0(VALU_DEP_1) | instskip(NEXT) | instid1(VALU_DEP_1)
	v_add3_u32 v9, v9, v33, 0x7fff
	v_and_b32_e32 v9, 0xffff0000, v9
	s_delay_alu instid0(VALU_DEP_1) | instskip(SKIP_1) | instid1(VALU_DEP_1)
	v_cndmask_b32_e64 v9, v9, 0x7fc00000, s2
	s_mov_b32 s2, exec_lo
	v_mul_f32_e32 v33, s13, v9
	v_and_b32_e32 v9, 0xffff0000, v37
	s_delay_alu instid0(VALU_DEP_2)
	v_cmpx_nlt_f32_e32 s14, v33
	s_cbranch_execz .LBB60_55
; %bb.54:
	v_mul_f32_e32 v37, 0x3fb8aa3b, v33
	v_cmp_ngt_f32_e32 vcc_lo, 0xc2ce8ed0, v33
	s_delay_alu instid0(VALU_DEP_2) | instskip(SKIP_1) | instid1(VALU_DEP_2)
	v_rndne_f32_e32 v38, v37
	v_fma_f32 v39, 0x3fb8aa3b, v33, -v37
	v_sub_f32_e32 v37, v37, v38
	s_delay_alu instid0(VALU_DEP_2) | instskip(SKIP_1) | instid1(VALU_DEP_2)
	v_fmamk_f32 v39, v33, 0x32a5705f, v39
	v_cvt_i32_f32_e32 v38, v38
	v_add_f32_e32 v37, v37, v39
	s_delay_alu instid0(VALU_DEP_1) | instskip(SKIP_1) | instid1(TRANS32_DEP_1)
	v_exp_f32_e32 v37, v37
	v_nop
	v_ldexp_f32 v37, v37, v38
	s_delay_alu instid0(VALU_DEP_1) | instskip(SKIP_1) | instid1(VALU_DEP_2)
	v_cndmask_b32_e32 v37, 0, v37, vcc_lo
	v_cmp_nlt_f32_e32 vcc_lo, 0x42b17218, v33
	v_cndmask_b32_e32 v33, 0x7f800000, v37, vcc_lo
	s_delay_alu instid0(VALU_DEP_1) | instskip(SKIP_1) | instid1(VALU_DEP_1)
	v_mul_f32_e32 v9, v33, v9
	v_add_f32_e32 v33, 1.0, v33
	v_div_scale_f32 v37, null, v33, v33, v9
	s_delay_alu instid0(VALU_DEP_1) | instskip(SKIP_1) | instid1(TRANS32_DEP_1)
	v_rcp_f32_e32 v38, v37
	v_nop
	v_fma_f32 v39, -v37, v38, 1.0
	s_delay_alu instid0(VALU_DEP_1) | instskip(SKIP_1) | instid1(VALU_DEP_1)
	v_fmac_f32_e32 v38, v39, v38
	v_div_scale_f32 v39, vcc_lo, v9, v33, v9
	v_mul_f32_e32 v40, v39, v38
	s_delay_alu instid0(VALU_DEP_1) | instskip(NEXT) | instid1(VALU_DEP_1)
	v_fma_f32 v41, -v37, v40, v39
	v_fmac_f32_e32 v40, v41, v38
	s_delay_alu instid0(VALU_DEP_1) | instskip(NEXT) | instid1(VALU_DEP_1)
	v_fma_f32 v37, -v37, v40, v39
	v_div_fmas_f32 v37, v37, v38, v40
	s_delay_alu instid0(VALU_DEP_1)
	v_div_fixup_f32 v9, v37, v33, v9
.LBB60_55:
	s_or_b32 exec_lo, exec_lo, s2
	s_wait_loadcnt 0x2
	v_bfe_u32 v33, v6, 16, 1
	v_cmp_u_f32_e32 vcc_lo, v6, v6
	v_cmp_u_f32_e64 s2, v7, v7
	s_mov_b32 s3, exec_lo
	v_add3_u32 v33, v6, v33, 0x7fff
	s_delay_alu instid0(VALU_DEP_1) | instskip(NEXT) | instid1(VALU_DEP_1)
	v_and_b32_e32 v33, 0xffff0000, v33
	v_cndmask_b32_e64 v6, v33, 0x7fc00000, vcc_lo
	s_delay_alu instid0(VALU_DEP_1) | instskip(NEXT) | instid1(VALU_DEP_1)
	v_dual_mul_f32 v33, s13, v6 :: v_dual_lshlrev_b32 v6, 16, v36
	v_cmpx_nlt_f32_e32 s14, v33
	s_cbranch_execz .LBB60_57
; %bb.56:
	v_mul_f32_e32 v37, 0x3fb8aa3b, v33
	v_cmp_ngt_f32_e32 vcc_lo, 0xc2ce8ed0, v33
	s_delay_alu instid0(VALU_DEP_2) | instskip(SKIP_1) | instid1(VALU_DEP_2)
	v_rndne_f32_e32 v38, v37
	v_fma_f32 v39, 0x3fb8aa3b, v33, -v37
	v_sub_f32_e32 v37, v37, v38
	s_delay_alu instid0(VALU_DEP_2) | instskip(SKIP_1) | instid1(VALU_DEP_2)
	v_fmamk_f32 v39, v33, 0x32a5705f, v39
	v_cvt_i32_f32_e32 v38, v38
	v_add_f32_e32 v37, v37, v39
	s_delay_alu instid0(VALU_DEP_1) | instskip(SKIP_1) | instid1(TRANS32_DEP_1)
	v_exp_f32_e32 v37, v37
	v_nop
	v_ldexp_f32 v37, v37, v38
	s_delay_alu instid0(VALU_DEP_1) | instskip(SKIP_1) | instid1(VALU_DEP_2)
	v_cndmask_b32_e32 v37, 0, v37, vcc_lo
	v_cmp_nlt_f32_e32 vcc_lo, 0x42b17218, v33
	v_cndmask_b32_e32 v33, 0x7f800000, v37, vcc_lo
	s_delay_alu instid0(VALU_DEP_1) | instskip(NEXT) | instid1(VALU_DEP_1)
	v_dual_mul_f32 v6, v33, v6 :: v_dual_add_f32 v33, 1.0, v33
	v_div_scale_f32 v37, null, v33, v33, v6
	s_delay_alu instid0(VALU_DEP_1) | instskip(SKIP_1) | instid1(TRANS32_DEP_1)
	v_rcp_f32_e32 v38, v37
	v_nop
	v_fma_f32 v39, -v37, v38, 1.0
	s_delay_alu instid0(VALU_DEP_1) | instskip(SKIP_1) | instid1(VALU_DEP_1)
	v_fmac_f32_e32 v38, v39, v38
	v_div_scale_f32 v39, vcc_lo, v6, v33, v6
	v_mul_f32_e32 v40, v39, v38
	s_delay_alu instid0(VALU_DEP_1) | instskip(NEXT) | instid1(VALU_DEP_1)
	v_fma_f32 v41, -v37, v40, v39
	v_fmac_f32_e32 v40, v41, v38
	s_delay_alu instid0(VALU_DEP_1) | instskip(NEXT) | instid1(VALU_DEP_1)
	v_fma_f32 v37, -v37, v40, v39
	v_div_fmas_f32 v37, v37, v38, v40
	s_delay_alu instid0(VALU_DEP_1)
	v_div_fixup_f32 v6, v37, v33, v6
.LBB60_57:
	s_or_b32 exec_lo, exec_lo, s3
	v_bfe_u32 v33, v7, 16, 1
	s_delay_alu instid0(VALU_DEP_1) | instskip(NEXT) | instid1(VALU_DEP_1)
	v_add3_u32 v7, v7, v33, 0x7fff
	v_and_b32_e32 v7, 0xffff0000, v7
	s_delay_alu instid0(VALU_DEP_1) | instskip(SKIP_1) | instid1(VALU_DEP_1)
	v_cndmask_b32_e64 v7, v7, 0x7fc00000, s2
	s_mov_b32 s2, exec_lo
	v_mul_f32_e32 v33, s13, v7
	v_and_b32_e32 v7, 0xffff0000, v36
	s_delay_alu instid0(VALU_DEP_2)
	v_cmpx_nlt_f32_e32 s14, v33
	s_cbranch_execz .LBB60_59
; %bb.58:
	v_mul_f32_e32 v36, 0x3fb8aa3b, v33
	v_cmp_ngt_f32_e32 vcc_lo, 0xc2ce8ed0, v33
	s_delay_alu instid0(VALU_DEP_2) | instskip(SKIP_1) | instid1(VALU_DEP_2)
	v_rndne_f32_e32 v37, v36
	v_fma_f32 v38, 0x3fb8aa3b, v33, -v36
	v_sub_f32_e32 v36, v36, v37
	s_delay_alu instid0(VALU_DEP_2) | instskip(SKIP_1) | instid1(VALU_DEP_2)
	v_fmamk_f32 v38, v33, 0x32a5705f, v38
	v_cvt_i32_f32_e32 v37, v37
	v_add_f32_e32 v36, v36, v38
	s_delay_alu instid0(VALU_DEP_1) | instskip(SKIP_1) | instid1(TRANS32_DEP_1)
	v_exp_f32_e32 v36, v36
	v_nop
	v_ldexp_f32 v36, v36, v37
	s_delay_alu instid0(VALU_DEP_1) | instskip(SKIP_1) | instid1(VALU_DEP_2)
	v_cndmask_b32_e32 v36, 0, v36, vcc_lo
	v_cmp_nlt_f32_e32 vcc_lo, 0x42b17218, v33
	v_cndmask_b32_e32 v33, 0x7f800000, v36, vcc_lo
	s_delay_alu instid0(VALU_DEP_1) | instskip(NEXT) | instid1(VALU_DEP_1)
	v_dual_mul_f32 v7, v33, v7 :: v_dual_add_f32 v33, 1.0, v33
	v_div_scale_f32 v36, null, v33, v33, v7
	s_delay_alu instid0(VALU_DEP_1) | instskip(SKIP_1) | instid1(TRANS32_DEP_1)
	v_rcp_f32_e32 v37, v36
	v_nop
	v_fma_f32 v38, -v36, v37, 1.0
	s_delay_alu instid0(VALU_DEP_1) | instskip(SKIP_1) | instid1(VALU_DEP_1)
	v_fmac_f32_e32 v37, v38, v37
	v_div_scale_f32 v38, vcc_lo, v7, v33, v7
	v_mul_f32_e32 v39, v38, v37
	s_delay_alu instid0(VALU_DEP_1) | instskip(NEXT) | instid1(VALU_DEP_1)
	v_fma_f32 v40, -v36, v39, v38
	v_fmac_f32_e32 v39, v40, v37
	s_delay_alu instid0(VALU_DEP_1) | instskip(NEXT) | instid1(VALU_DEP_1)
	v_fma_f32 v36, -v36, v39, v38
	v_div_fmas_f32 v36, v36, v37, v39
	s_delay_alu instid0(VALU_DEP_1)
	v_div_fixup_f32 v7, v36, v33, v7
.LBB60_59:
	s_or_b32 exec_lo, exec_lo, s2
	s_wait_loadcnt 0x1
	v_bfe_u32 v33, v4, 16, 1
	v_cmp_u_f32_e32 vcc_lo, v4, v4
	v_cmp_u_f32_e64 s2, v5, v5
	s_mov_b32 s3, exec_lo
	v_add3_u32 v33, v4, v33, 0x7fff
	s_delay_alu instid0(VALU_DEP_1) | instskip(NEXT) | instid1(VALU_DEP_1)
	v_and_b32_e32 v33, 0xffff0000, v33
	v_cndmask_b32_e64 v4, v33, 0x7fc00000, vcc_lo
	s_delay_alu instid0(VALU_DEP_1) | instskip(NEXT) | instid1(VALU_DEP_1)
	v_dual_mul_f32 v33, s13, v4 :: v_dual_lshlrev_b32 v4, 16, v35
	v_cmpx_nlt_f32_e32 s14, v33
	s_cbranch_execz .LBB60_61
; %bb.60:
	v_mul_f32_e32 v36, 0x3fb8aa3b, v33
	v_cmp_ngt_f32_e32 vcc_lo, 0xc2ce8ed0, v33
	s_delay_alu instid0(VALU_DEP_2) | instskip(SKIP_1) | instid1(VALU_DEP_2)
	v_rndne_f32_e32 v37, v36
	v_fma_f32 v38, 0x3fb8aa3b, v33, -v36
	v_sub_f32_e32 v36, v36, v37
	s_delay_alu instid0(VALU_DEP_2) | instskip(SKIP_1) | instid1(VALU_DEP_2)
	v_fmamk_f32 v38, v33, 0x32a5705f, v38
	v_cvt_i32_f32_e32 v37, v37
	v_add_f32_e32 v36, v36, v38
	s_delay_alu instid0(VALU_DEP_1) | instskip(SKIP_1) | instid1(TRANS32_DEP_1)
	v_exp_f32_e32 v36, v36
	v_nop
	v_ldexp_f32 v36, v36, v37
	s_delay_alu instid0(VALU_DEP_1) | instskip(SKIP_1) | instid1(VALU_DEP_2)
	v_cndmask_b32_e32 v36, 0, v36, vcc_lo
	v_cmp_nlt_f32_e32 vcc_lo, 0x42b17218, v33
	v_cndmask_b32_e32 v33, 0x7f800000, v36, vcc_lo
	s_delay_alu instid0(VALU_DEP_1) | instskip(NEXT) | instid1(VALU_DEP_1)
	v_dual_mul_f32 v4, v33, v4 :: v_dual_add_f32 v33, 1.0, v33
	v_div_scale_f32 v36, null, v33, v33, v4
	s_delay_alu instid0(VALU_DEP_1) | instskip(SKIP_1) | instid1(TRANS32_DEP_1)
	v_rcp_f32_e32 v37, v36
	v_nop
	v_fma_f32 v38, -v36, v37, 1.0
	s_delay_alu instid0(VALU_DEP_1) | instskip(SKIP_1) | instid1(VALU_DEP_1)
	v_fmac_f32_e32 v37, v38, v37
	v_div_scale_f32 v38, vcc_lo, v4, v33, v4
	v_mul_f32_e32 v39, v38, v37
	s_delay_alu instid0(VALU_DEP_1) | instskip(NEXT) | instid1(VALU_DEP_1)
	v_fma_f32 v40, -v36, v39, v38
	v_fmac_f32_e32 v39, v40, v37
	s_delay_alu instid0(VALU_DEP_1) | instskip(NEXT) | instid1(VALU_DEP_1)
	v_fma_f32 v36, -v36, v39, v38
	v_div_fmas_f32 v36, v36, v37, v39
	s_delay_alu instid0(VALU_DEP_1)
	v_div_fixup_f32 v4, v36, v33, v4
.LBB60_61:
	s_or_b32 exec_lo, exec_lo, s3
	v_bfe_u32 v33, v5, 16, 1
	s_delay_alu instid0(VALU_DEP_1) | instskip(NEXT) | instid1(VALU_DEP_1)
	v_add3_u32 v5, v5, v33, 0x7fff
	v_and_b32_e32 v5, 0xffff0000, v5
	s_delay_alu instid0(VALU_DEP_1) | instskip(SKIP_1) | instid1(VALU_DEP_1)
	v_cndmask_b32_e64 v5, v5, 0x7fc00000, s2
	s_mov_b32 s2, exec_lo
	v_mul_f32_e32 v33, s13, v5
	v_and_b32_e32 v5, 0xffff0000, v35
	s_delay_alu instid0(VALU_DEP_2)
	v_cmpx_nlt_f32_e32 s14, v33
	s_cbranch_execz .LBB60_63
; %bb.62:
	v_mul_f32_e32 v35, 0x3fb8aa3b, v33
	v_cmp_ngt_f32_e32 vcc_lo, 0xc2ce8ed0, v33
	s_delay_alu instid0(VALU_DEP_2) | instskip(SKIP_1) | instid1(VALU_DEP_2)
	v_rndne_f32_e32 v36, v35
	v_fma_f32 v37, 0x3fb8aa3b, v33, -v35
	v_sub_f32_e32 v35, v35, v36
	s_delay_alu instid0(VALU_DEP_2) | instskip(SKIP_1) | instid1(VALU_DEP_2)
	v_fmamk_f32 v37, v33, 0x32a5705f, v37
	v_cvt_i32_f32_e32 v36, v36
	v_add_f32_e32 v35, v35, v37
	s_delay_alu instid0(VALU_DEP_1) | instskip(SKIP_1) | instid1(TRANS32_DEP_1)
	v_exp_f32_e32 v35, v35
	v_nop
	v_ldexp_f32 v35, v35, v36
	s_delay_alu instid0(VALU_DEP_1) | instskip(SKIP_1) | instid1(VALU_DEP_2)
	v_cndmask_b32_e32 v35, 0, v35, vcc_lo
	v_cmp_nlt_f32_e32 vcc_lo, 0x42b17218, v33
	v_cndmask_b32_e32 v33, 0x7f800000, v35, vcc_lo
	s_delay_alu instid0(VALU_DEP_1) | instskip(SKIP_1) | instid1(VALU_DEP_1)
	v_mul_f32_e32 v5, v33, v5
	v_add_f32_e32 v33, 1.0, v33
	v_div_scale_f32 v35, null, v33, v33, v5
	s_delay_alu instid0(VALU_DEP_1) | instskip(SKIP_1) | instid1(TRANS32_DEP_1)
	v_rcp_f32_e32 v36, v35
	v_nop
	v_fma_f32 v37, -v35, v36, 1.0
	s_delay_alu instid0(VALU_DEP_1) | instskip(SKIP_1) | instid1(VALU_DEP_1)
	v_fmac_f32_e32 v36, v37, v36
	v_div_scale_f32 v37, vcc_lo, v5, v33, v5
	v_mul_f32_e32 v38, v37, v36
	s_delay_alu instid0(VALU_DEP_1) | instskip(NEXT) | instid1(VALU_DEP_1)
	v_fma_f32 v39, -v35, v38, v37
	v_fmac_f32_e32 v38, v39, v36
	s_delay_alu instid0(VALU_DEP_1) | instskip(NEXT) | instid1(VALU_DEP_1)
	v_fma_f32 v35, -v35, v38, v37
	v_div_fmas_f32 v35, v35, v36, v38
	s_delay_alu instid0(VALU_DEP_1)
	v_div_fixup_f32 v5, v35, v33, v5
.LBB60_63:
	s_or_b32 exec_lo, exec_lo, s2
	s_wait_loadcnt 0x0
	v_bfe_u32 v33, v2, 16, 1
	v_cmp_u_f32_e32 vcc_lo, v2, v2
	v_cmp_u_f32_e64 s2, v3, v3
	s_mov_b32 s3, exec_lo
	v_add3_u32 v33, v2, v33, 0x7fff
	s_delay_alu instid0(VALU_DEP_1) | instskip(NEXT) | instid1(VALU_DEP_1)
	v_and_b32_e32 v33, 0xffff0000, v33
	v_cndmask_b32_e64 v2, v33, 0x7fc00000, vcc_lo
	s_delay_alu instid0(VALU_DEP_1) | instskip(SKIP_1) | instid1(VALU_DEP_2)
	v_mul_f32_e32 v33, s13, v2
	v_lshlrev_b32_e32 v2, 16, v34
	v_cmpx_nlt_f32_e32 s14, v33
	s_cbranch_execz .LBB60_65
; %bb.64:
	v_mul_f32_e32 v35, 0x3fb8aa3b, v33
	v_cmp_ngt_f32_e32 vcc_lo, 0xc2ce8ed0, v33
	s_delay_alu instid0(VALU_DEP_2) | instskip(SKIP_1) | instid1(VALU_DEP_2)
	v_rndne_f32_e32 v36, v35
	v_fma_f32 v37, 0x3fb8aa3b, v33, -v35
	v_sub_f32_e32 v35, v35, v36
	s_delay_alu instid0(VALU_DEP_2) | instskip(SKIP_1) | instid1(VALU_DEP_2)
	v_fmamk_f32 v37, v33, 0x32a5705f, v37
	v_cvt_i32_f32_e32 v36, v36
	v_add_f32_e32 v35, v35, v37
	s_delay_alu instid0(VALU_DEP_1) | instskip(SKIP_1) | instid1(TRANS32_DEP_1)
	v_exp_f32_e32 v35, v35
	v_nop
	v_ldexp_f32 v35, v35, v36
	s_delay_alu instid0(VALU_DEP_1) | instskip(SKIP_1) | instid1(VALU_DEP_2)
	v_cndmask_b32_e32 v35, 0, v35, vcc_lo
	v_cmp_nlt_f32_e32 vcc_lo, 0x42b17218, v33
	v_cndmask_b32_e32 v33, 0x7f800000, v35, vcc_lo
	s_delay_alu instid0(VALU_DEP_1) | instskip(NEXT) | instid1(VALU_DEP_1)
	v_dual_mul_f32 v2, v33, v2 :: v_dual_add_f32 v33, 1.0, v33
	v_div_scale_f32 v35, null, v33, v33, v2
	s_delay_alu instid0(VALU_DEP_1) | instskip(SKIP_1) | instid1(TRANS32_DEP_1)
	v_rcp_f32_e32 v36, v35
	v_nop
	v_fma_f32 v37, -v35, v36, 1.0
	s_delay_alu instid0(VALU_DEP_1) | instskip(SKIP_1) | instid1(VALU_DEP_1)
	v_fmac_f32_e32 v36, v37, v36
	v_div_scale_f32 v37, vcc_lo, v2, v33, v2
	v_mul_f32_e32 v38, v37, v36
	s_delay_alu instid0(VALU_DEP_1) | instskip(NEXT) | instid1(VALU_DEP_1)
	v_fma_f32 v39, -v35, v38, v37
	v_fmac_f32_e32 v38, v39, v36
	s_delay_alu instid0(VALU_DEP_1) | instskip(NEXT) | instid1(VALU_DEP_1)
	v_fma_f32 v35, -v35, v38, v37
	v_div_fmas_f32 v35, v35, v36, v38
	s_delay_alu instid0(VALU_DEP_1)
	v_div_fixup_f32 v2, v35, v33, v2
.LBB60_65:
	s_or_b32 exec_lo, exec_lo, s3
	v_bfe_u32 v33, v3, 16, 1
	s_delay_alu instid0(VALU_DEP_1) | instskip(NEXT) | instid1(VALU_DEP_1)
	v_add3_u32 v3, v3, v33, 0x7fff
	v_and_b32_e32 v3, 0xffff0000, v3
	s_delay_alu instid0(VALU_DEP_1) | instskip(SKIP_1) | instid1(VALU_DEP_1)
	v_cndmask_b32_e64 v3, v3, 0x7fc00000, s2
	s_mov_b32 s2, exec_lo
	v_mul_f32_e32 v33, s13, v3
	v_and_b32_e32 v3, 0xffff0000, v34
	s_delay_alu instid0(VALU_DEP_2)
	v_cmpx_nlt_f32_e32 s14, v33
	s_cbranch_execz .LBB60_67
; %bb.66:
	v_mul_f32_e32 v34, 0x3fb8aa3b, v33
	v_cmp_ngt_f32_e32 vcc_lo, 0xc2ce8ed0, v33
	s_delay_alu instid0(VALU_DEP_2) | instskip(SKIP_1) | instid1(VALU_DEP_2)
	v_rndne_f32_e32 v35, v34
	v_fma_f32 v36, 0x3fb8aa3b, v33, -v34
	v_sub_f32_e32 v34, v34, v35
	s_delay_alu instid0(VALU_DEP_2) | instskip(SKIP_1) | instid1(VALU_DEP_2)
	v_fmamk_f32 v36, v33, 0x32a5705f, v36
	v_cvt_i32_f32_e32 v35, v35
	v_add_f32_e32 v34, v34, v36
	s_delay_alu instid0(VALU_DEP_1) | instskip(SKIP_1) | instid1(TRANS32_DEP_1)
	v_exp_f32_e32 v34, v34
	v_nop
	v_ldexp_f32 v34, v34, v35
	s_delay_alu instid0(VALU_DEP_1) | instskip(SKIP_1) | instid1(VALU_DEP_2)
	v_cndmask_b32_e32 v34, 0, v34, vcc_lo
	v_cmp_nlt_f32_e32 vcc_lo, 0x42b17218, v33
	v_cndmask_b32_e32 v33, 0x7f800000, v34, vcc_lo
	s_delay_alu instid0(VALU_DEP_1) | instskip(NEXT) | instid1(VALU_DEP_1)
	v_dual_mul_f32 v3, v33, v3 :: v_dual_add_f32 v33, 1.0, v33
	v_div_scale_f32 v34, null, v33, v33, v3
	s_delay_alu instid0(VALU_DEP_1) | instskip(SKIP_1) | instid1(TRANS32_DEP_1)
	v_rcp_f32_e32 v35, v34
	v_nop
	v_fma_f32 v36, -v34, v35, 1.0
	s_delay_alu instid0(VALU_DEP_1) | instskip(SKIP_1) | instid1(VALU_DEP_1)
	v_fmac_f32_e32 v35, v36, v35
	v_div_scale_f32 v36, vcc_lo, v3, v33, v3
	v_mul_f32_e32 v37, v36, v35
	s_delay_alu instid0(VALU_DEP_1) | instskip(NEXT) | instid1(VALU_DEP_1)
	v_fma_f32 v38, -v34, v37, v36
	v_fmac_f32_e32 v37, v38, v35
	s_delay_alu instid0(VALU_DEP_1) | instskip(NEXT) | instid1(VALU_DEP_1)
	v_fma_f32 v34, -v34, v37, v36
	v_div_fmas_f32 v34, v34, v35, v37
	s_delay_alu instid0(VALU_DEP_1)
	v_div_fixup_f32 v3, v34, v33, v3
.LBB60_67:
	s_or_b32 exec_lo, exec_lo, s2
	v_bfe_u32 v33, v32, 16, 1
	v_bfe_u32 v34, v1, 16, 1
	;; [unrolled: 1-line block ×4, first 2 shown]
	v_cmp_o_f32_e32 vcc_lo, v32, v32
	v_add3_u32 v33, v32, v33, 0x7fff
	v_add3_u32 v34, v1, v34, 0x7fff
	;; [unrolled: 1-line block ×4, first 2 shown]
	s_add_nc_u64 s[2:3], s[4:5], s[8:9]
	v_and_b32_e32 v33, 0xffff0000, v33
	s_delay_alu instid0(VALU_DEP_3) | instskip(NEXT) | instid1(VALU_DEP_3)
	v_dual_lshrrev_b32 v34, 16, v34 :: v_dual_lshrrev_b32 v35, 16, v35
	v_and_b32_e32 v36, 0xffff0000, v36
	s_delay_alu instid0(VALU_DEP_3) | instskip(SKIP_4) | instid1(VALU_DEP_3)
	v_cndmask_b32_e32 v32, 0x7fc00000, v33, vcc_lo
	v_cmp_o_f32_e32 vcc_lo, v1, v1
	v_bfe_u32 v33, v29, 16, 1
	v_cndmask_b32_e32 v1, 0x7fc0, v34, vcc_lo
	v_cmp_o_f32_e32 vcc_lo, v31, v31
	v_add3_u32 v33, v29, v33, 0x7fff
	v_bfe_u32 v34, v28, 16, 1
	v_cndmask_b32_e32 v31, 0x7fc00000, v36, vcc_lo
	v_cmp_o_f32_e32 vcc_lo, v30, v30
	v_cndmask_b32_e32 v30, 0x7fc0, v35, vcc_lo
	v_cmp_o_f32_e32 vcc_lo, v29, v29
	v_bfe_u32 v35, v24, 16, 1
	s_delay_alu instid0(VALU_DEP_3) | instskip(SKIP_2) | instid1(VALU_DEP_2)
	v_or_b32_e32 v30, v31, v30
	v_and_b32_e32 v31, 0xffff0000, v33
	v_bfe_u32 v33, v26, 16, 1
	v_cndmask_b32_e32 v29, 0x7fc00000, v31, vcc_lo
	s_delay_alu instid0(VALU_DEP_2) | instskip(SKIP_1) | instid1(VALU_DEP_2)
	v_add3_u32 v31, v26, v33, 0x7fff
	v_cmp_o_f32_e32 vcc_lo, v28, v28
	v_dual_lshrrev_b32 v31, 16, v31 :: v_dual_bitop2_b32 v1, v32, v1 bitop3:0x54
	v_add3_u32 v32, v28, v34, 0x7fff
	v_bfe_u32 v34, v27, 16, 1
	s_delay_alu instid0(VALU_DEP_2) | instskip(NEXT) | instid1(VALU_DEP_2)
	v_lshrrev_b32_e32 v32, 16, v32
	v_add3_u32 v33, v27, v34, 0x7fff
	v_bfe_u32 v34, v25, 16, 1
	s_delay_alu instid0(VALU_DEP_3) | instskip(NEXT) | instid1(VALU_DEP_3)
	v_cndmask_b32_e32 v28, 0x7fc0, v32, vcc_lo
	v_and_b32_e32 v32, 0xffff0000, v33
	v_cmp_o_f32_e32 vcc_lo, v27, v27
	s_delay_alu instid0(VALU_DEP_4)
	v_add3_u32 v33, v25, v34, 0x7fff
	v_add3_u32 v34, v24, v35, 0x7fff
	v_or_b32_e32 v28, v29, v28
	v_bfe_u32 v29, v20, 16, 1
	v_cndmask_b32_e32 v27, 0x7fc00000, v32, vcc_lo
	v_cmp_o_f32_e32 vcc_lo, v26, v26
	v_and_b32_e32 v32, 0xffff0000, v33
	v_bfe_u32 v33, v23, 16, 1
	v_cndmask_b32_e32 v26, 0x7fc0, v31, vcc_lo
	v_cmp_o_f32_e32 vcc_lo, v25, v25
	v_lshrrev_b32_e32 v31, 16, v34
	s_delay_alu instid0(VALU_DEP_3)
	v_or_b32_e32 v26, v27, v26
	v_cndmask_b32_e32 v25, 0x7fc00000, v32, vcc_lo
	v_cmp_o_f32_e32 vcc_lo, v24, v24
	v_bfe_u32 v32, v22, 16, 1
	v_cndmask_b32_e32 v24, 0x7fc0, v31, vcc_lo
	v_add3_u32 v31, v23, v33, 0x7fff
	s_delay_alu instid0(VALU_DEP_3)
	v_add3_u32 v27, v22, v32, 0x7fff
	v_cmp_o_f32_e32 vcc_lo, v23, v23
	v_bfe_u32 v32, v18, 16, 1
	v_or_b32_e32 v24, v25, v24
	v_and_b32_e32 v25, 0xffff0000, v31
	v_bfe_u32 v31, v21, 16, 1
	v_lshrrev_b32_e32 v27, 16, v27
	s_delay_alu instid0(VALU_DEP_3) | instskip(SKIP_1) | instid1(VALU_DEP_4)
	v_cndmask_b32_e32 v23, 0x7fc00000, v25, vcc_lo
	v_add3_u32 v25, v20, v29, 0x7fff
	v_add3_u32 v29, v21, v31, 0x7fff
	v_cmp_o_f32_e32 vcc_lo, v22, v22
	v_bfe_u32 v31, v19, 16, 1
	s_delay_alu instid0(VALU_DEP_4) | instskip(NEXT) | instid1(VALU_DEP_4)
	v_dual_cndmask_b32 v22, 0x7fc0, v27 :: v_dual_lshrrev_b32 v25, 16, v25
	v_and_b32_e32 v27, 0xffff0000, v29
	v_cmp_o_f32_e32 vcc_lo, v21, v21
	s_delay_alu instid0(VALU_DEP_4)
	v_add3_u32 v29, v19, v31, 0x7fff
	v_add3_u32 v31, v18, v32, 0x7fff
	v_or_b32_e32 v22, v23, v22
	v_cndmask_b32_e32 v21, 0x7fc00000, v27, vcc_lo
	v_cmp_o_f32_e32 vcc_lo, v20, v20
	v_and_b32_e32 v27, 0xffff0000, v29
	v_dual_cndmask_b32 v20, 0x7fc0, v25 :: v_dual_lshrrev_b32 v29, 16, v31
	v_cmp_o_f32_e32 vcc_lo, v19, v19
	v_bfe_u32 v25, v16, 16, 1
	s_delay_alu instid0(VALU_DEP_3) | instskip(SKIP_4) | instid1(VALU_DEP_2)
	v_or_b32_e32 v20, v21, v20
	v_cndmask_b32_e32 v19, 0x7fc00000, v27, vcc_lo
	v_cmp_o_f32_e32 vcc_lo, v18, v18
	v_bfe_u32 v27, v17, 16, 1
	v_cndmask_b32_e32 v18, 0x7fc0, v29, vcc_lo
	v_add3_u32 v21, v17, v27, 0x7fff
	v_cmp_o_f32_e32 vcc_lo, v17, v17
	s_delay_alu instid0(VALU_DEP_3) | instskip(SKIP_1) | instid1(VALU_DEP_1)
	v_or_b32_e32 v18, v19, v18
	v_add3_u32 v19, v16, v25, 0x7fff
	v_lshrrev_b32_e32 v19, 16, v19
	s_clause 0x7
	global_store_b32 v0, v1, s[2:3] scale_offset
	global_store_b32 v0, v30, s[2:3] offset:2048 scale_offset
	global_store_b32 v0, v28, s[2:3] offset:4096 scale_offset
	;; [unrolled: 1-line block ×7, first 2 shown]
	s_wait_xcnt 0x7
	v_and_b32_e32 v1, 0xffff0000, v21
	s_wait_xcnt 0x0
	v_bfe_u32 v18, v14, 16, 1
	v_bfe_u32 v20, v15, 16, 1
	;; [unrolled: 1-line block ×3, first 2 shown]
	v_cndmask_b32_e32 v1, 0x7fc00000, v1, vcc_lo
	s_delay_alu instid0(VALU_DEP_4) | instskip(NEXT) | instid1(VALU_DEP_4)
	v_add3_u32 v17, v14, v18, 0x7fff
	v_add3_u32 v18, v15, v20, 0x7fff
	v_cmp_o_f32_e32 vcc_lo, v16, v16
	v_bfe_u32 v20, v13, 16, 1
	s_delay_alu instid0(VALU_DEP_4) | instskip(NEXT) | instid1(VALU_DEP_4)
	v_lshrrev_b32_e32 v17, 16, v17
	v_and_b32_e32 v18, 0xffff0000, v18
	v_cndmask_b32_e32 v16, 0x7fc0, v19, vcc_lo
	v_cmp_o_f32_e32 vcc_lo, v15, v15
	v_add3_u32 v19, v13, v20, 0x7fff
	v_add3_u32 v20, v12, v21, 0x7fff
	s_delay_alu instid0(VALU_DEP_4)
	v_or_b32_e32 v1, v1, v16
	v_cndmask_b32_e32 v15, 0x7fc00000, v18, vcc_lo
	v_cmp_o_f32_e32 vcc_lo, v14, v14
	v_and_b32_e32 v18, 0xffff0000, v19
	v_bfe_u32 v19, v11, 16, 1
	v_bfe_u32 v16, v9, 16, 1
	v_cndmask_b32_e32 v14, 0x7fc0, v17, vcc_lo
	v_cmp_o_f32_e32 vcc_lo, v13, v13
	s_delay_alu instid0(VALU_DEP_2) | instskip(SKIP_3) | instid1(VALU_DEP_4)
	v_dual_lshrrev_b32 v17, 16, v20 :: v_dual_bitop2_b32 v14, v15, v14 bitop3:0x54
	v_cndmask_b32_e32 v13, 0x7fc00000, v18, vcc_lo
	v_cmp_o_f32_e32 vcc_lo, v12, v12
	v_bfe_u32 v18, v10, 16, 1
	v_cndmask_b32_e32 v12, 0x7fc0, v17, vcc_lo
	v_add3_u32 v17, v11, v19, 0x7fff
	s_delay_alu instid0(VALU_DEP_3)
	v_add3_u32 v15, v10, v18, 0x7fff
	v_cmp_o_f32_e32 vcc_lo, v11, v11
	v_bfe_u32 v18, v2, 16, 1
	v_or_b32_e32 v12, v13, v12
	v_and_b32_e32 v13, 0xffff0000, v17
	v_bfe_u32 v17, v8, 16, 1
	v_lshrrev_b32_e32 v15, 16, v15
	s_delay_alu instid0(VALU_DEP_3) | instskip(SKIP_4) | instid1(VALU_DEP_4)
	v_cndmask_b32_e32 v11, 0x7fc00000, v13, vcc_lo
	v_add3_u32 v13, v9, v16, 0x7fff
	v_cmp_o_f32_e32 vcc_lo, v10, v10
	v_add3_u32 v16, v8, v17, 0x7fff
	v_bfe_u32 v17, v7, 16, 1
	v_and_b32_e32 v13, 0xffff0000, v13
	v_cndmask_b32_e32 v10, 0x7fc0, v15, vcc_lo
	v_cmp_o_f32_e32 vcc_lo, v9, v9
	v_bfe_u32 v15, v6, 16, 1
	v_lshrrev_b32_e32 v16, 16, v16
	v_add3_u32 v17, v7, v17, 0x7fff
	v_or_b32_e32 v10, v11, v10
	v_cndmask_b32_e32 v9, 0x7fc00000, v13, vcc_lo
	v_cmp_o_f32_e32 vcc_lo, v8, v8
	v_add3_u32 v13, v6, v15, 0x7fff
	v_and_b32_e32 v15, 0xffff0000, v17
	v_bfe_u32 v17, v5, 16, 1
	v_cndmask_b32_e32 v8, 0x7fc0, v16, vcc_lo
	v_bfe_u32 v16, v4, 16, 1
	v_cmp_o_f32_e32 vcc_lo, v7, v7
	s_delay_alu instid0(VALU_DEP_3) | instskip(SKIP_1) | instid1(VALU_DEP_4)
	v_dual_lshrrev_b32 v13, 16, v13 :: v_dual_bitop2_b32 v8, v9, v8 bitop3:0x54
	v_cndmask_b32_e32 v7, 0x7fc00000, v15, vcc_lo
	v_add3_u32 v15, v4, v16, 0x7fff
	v_add3_u32 v16, v5, v17, 0x7fff
	v_cmp_o_f32_e32 vcc_lo, v6, v6
	v_bfe_u32 v17, v3, 16, 1
	s_delay_alu instid0(VALU_DEP_4) | instskip(NEXT) | instid1(VALU_DEP_4)
	v_dual_cndmask_b32 v6, 0x7fc0, v13 :: v_dual_lshrrev_b32 v15, 16, v15
	v_and_b32_e32 v13, 0xffff0000, v16
	v_cmp_o_f32_e32 vcc_lo, v5, v5
	s_delay_alu instid0(VALU_DEP_4)
	v_add3_u32 v16, v3, v17, 0x7fff
	v_add3_u32 v17, v2, v18, 0x7fff
	v_or_b32_e32 v6, v7, v6
	v_cndmask_b32_e32 v5, 0x7fc00000, v13, vcc_lo
	v_cmp_o_f32_e32 vcc_lo, v4, v4
	v_and_b32_e32 v13, 0xffff0000, v16
	v_lshrrev_b32_e32 v16, 16, v17
	v_cndmask_b32_e32 v4, 0x7fc0, v15, vcc_lo
	v_cmp_o_f32_e32 vcc_lo, v3, v3
	s_delay_alu instid0(VALU_DEP_2) | instskip(SKIP_3) | instid1(VALU_DEP_1)
	v_or_b32_e32 v4, v5, v4
	v_cndmask_b32_e32 v3, 0x7fc00000, v13, vcc_lo
	v_cmp_o_f32_e32 vcc_lo, v2, v2
	v_cndmask_b32_e32 v2, 0x7fc0, v16, vcc_lo
	v_or_b32_e32 v2, v3, v2
	s_clause 0x7
	global_store_b32 v0, v1, s[2:3] offset:16384 scale_offset
	global_store_b32 v0, v14, s[2:3] offset:18432 scale_offset
	;; [unrolled: 1-line block ×8, first 2 shown]
	s_branch .LBB60_2
.LBB60_68:
	s_wait_xcnt 0x0
	s_clause 0x1
	s_load_b32 s2, s[0:1], 0x2c
	s_load_b128 s[16:19], s[0:1], 0x30
	v_dual_mov_b32 v31, v0 :: v_dual_mov_b32 v0, s13
	v_dual_mov_b32 v1, s14 :: v_dual_mov_b32 v2, s4
	;; [unrolled: 1-line block ×5, first 2 shown]
	s_add_nc_u64 s[8:9], s[0:1], 64
	s_wait_xcnt 0x0
	s_get_pc_i64 s[0:1]
	s_add_nc_u64 s[0:1], s[0:1], _ZN2at6native25elementwise_kernel_helperILb1EZZZNS0_12_GLOBAL__N_124softplus_backward_kernelERNS_18TensorIteratorBaseERKN3c106ScalarES8_ENKUlvE_clEvENKUlvE0_clEvEUlffE_NS0_6memory8policies11unroll_baseILi512ESt5arrayIPcLm3EE23TrivialOffsetCalculatorILi2EjESI_ILi1EjENSC_12LoadWithCastILi2EEENSC_13StoreWithCastILi1EEELi32ELi1EEEEEvT0_T1_@rel64+4
	s_wait_kmcnt 0x0
	s_bfe_u32 s3, s2, 0x80008
	v_dual_mov_b32 v9, s2 :: v_dual_mov_b32 v11, s16
	v_dual_mov_b32 v12, s17 :: v_dual_mov_b32 v13, s18
	;; [unrolled: 1-line block ×3, first 2 shown]
	s_swap_pc_i64 s[30:31], s[0:1]
	s_endpgm
	.section	.rodata,"a",@progbits
	.p2align	6, 0x0
	.amdhsa_kernel _ZN2at6native39vectorized_templated_elementwise_kernelILi2EZZZNS0_12_GLOBAL__N_124softplus_backward_kernelERNS_18TensorIteratorBaseERKN3c106ScalarES8_ENKUlvE_clEvENKUlvE0_clEvEUlffE_St5arrayIPcLm3EE23TrivialOffsetCalculatorILi2EjESF_ILi1EjENS0_6memory12LoadWithCastILi2EEENSI_13StoreWithCastILi1EEENS5_8BFloat16EJSN_fEEEviT0_T1_T2_T3_T4_T5_
		.amdhsa_group_segment_fixed_size 0
		.amdhsa_private_segment_fixed_size 272
		.amdhsa_kernarg_size 320
		.amdhsa_user_sgpr_count 2
		.amdhsa_user_sgpr_dispatch_ptr 0
		.amdhsa_user_sgpr_queue_ptr 0
		.amdhsa_user_sgpr_kernarg_segment_ptr 1
		.amdhsa_user_sgpr_dispatch_id 0
		.amdhsa_user_sgpr_kernarg_preload_length 0
		.amdhsa_user_sgpr_kernarg_preload_offset 0
		.amdhsa_user_sgpr_private_segment_size 0
		.amdhsa_wavefront_size32 1
		.amdhsa_uses_dynamic_stack 0
		.amdhsa_enable_private_segment 1
		.amdhsa_system_sgpr_workgroup_id_x 1
		.amdhsa_system_sgpr_workgroup_id_y 0
		.amdhsa_system_sgpr_workgroup_id_z 0
		.amdhsa_system_sgpr_workgroup_info 0
		.amdhsa_system_vgpr_workitem_id 0
		.amdhsa_next_free_vgpr 132
		.amdhsa_next_free_sgpr 96
		.amdhsa_named_barrier_count 0
		.amdhsa_reserve_vcc 1
		.amdhsa_float_round_mode_32 0
		.amdhsa_float_round_mode_16_64 0
		.amdhsa_float_denorm_mode_32 3
		.amdhsa_float_denorm_mode_16_64 3
		.amdhsa_fp16_overflow 0
		.amdhsa_memory_ordered 1
		.amdhsa_forward_progress 1
		.amdhsa_inst_pref_size 93
		.amdhsa_round_robin_scheduling 0
		.amdhsa_exception_fp_ieee_invalid_op 0
		.amdhsa_exception_fp_denorm_src 0
		.amdhsa_exception_fp_ieee_div_zero 0
		.amdhsa_exception_fp_ieee_overflow 0
		.amdhsa_exception_fp_ieee_underflow 0
		.amdhsa_exception_fp_ieee_inexact 0
		.amdhsa_exception_int_div_zero 0
	.end_amdhsa_kernel
	.section	.text._ZN2at6native39vectorized_templated_elementwise_kernelILi2EZZZNS0_12_GLOBAL__N_124softplus_backward_kernelERNS_18TensorIteratorBaseERKN3c106ScalarES8_ENKUlvE_clEvENKUlvE0_clEvEUlffE_St5arrayIPcLm3EE23TrivialOffsetCalculatorILi2EjESF_ILi1EjENS0_6memory12LoadWithCastILi2EEENSI_13StoreWithCastILi1EEENS5_8BFloat16EJSN_fEEEviT0_T1_T2_T3_T4_T5_,"axG",@progbits,_ZN2at6native39vectorized_templated_elementwise_kernelILi2EZZZNS0_12_GLOBAL__N_124softplus_backward_kernelERNS_18TensorIteratorBaseERKN3c106ScalarES8_ENKUlvE_clEvENKUlvE0_clEvEUlffE_St5arrayIPcLm3EE23TrivialOffsetCalculatorILi2EjESF_ILi1EjENS0_6memory12LoadWithCastILi2EEENSI_13StoreWithCastILi1EEENS5_8BFloat16EJSN_fEEEviT0_T1_T2_T3_T4_T5_,comdat
.Lfunc_end60:
	.size	_ZN2at6native39vectorized_templated_elementwise_kernelILi2EZZZNS0_12_GLOBAL__N_124softplus_backward_kernelERNS_18TensorIteratorBaseERKN3c106ScalarES8_ENKUlvE_clEvENKUlvE0_clEvEUlffE_St5arrayIPcLm3EE23TrivialOffsetCalculatorILi2EjESF_ILi1EjENS0_6memory12LoadWithCastILi2EEENSI_13StoreWithCastILi1EEENS5_8BFloat16EJSN_fEEEviT0_T1_T2_T3_T4_T5_, .Lfunc_end60-_ZN2at6native39vectorized_templated_elementwise_kernelILi2EZZZNS0_12_GLOBAL__N_124softplus_backward_kernelERNS_18TensorIteratorBaseERKN3c106ScalarES8_ENKUlvE_clEvENKUlvE0_clEvEUlffE_St5arrayIPcLm3EE23TrivialOffsetCalculatorILi2EjESF_ILi1EjENS0_6memory12LoadWithCastILi2EEENSI_13StoreWithCastILi1EEENS5_8BFloat16EJSN_fEEEviT0_T1_T2_T3_T4_T5_
                                        ; -- End function
	.set _ZN2at6native39vectorized_templated_elementwise_kernelILi2EZZZNS0_12_GLOBAL__N_124softplus_backward_kernelERNS_18TensorIteratorBaseERKN3c106ScalarES8_ENKUlvE_clEvENKUlvE0_clEvEUlffE_St5arrayIPcLm3EE23TrivialOffsetCalculatorILi2EjESF_ILi1EjENS0_6memory12LoadWithCastILi2EEENSI_13StoreWithCastILi1EEENS5_8BFloat16EJSN_fEEEviT0_T1_T2_T3_T4_T5_.num_vgpr, max(55, .L_ZN2at6native25elementwise_kernel_helperILb1EZZZNS0_12_GLOBAL__N_124softplus_backward_kernelERNS_18TensorIteratorBaseERKN3c106ScalarES8_ENKUlvE_clEvENKUlvE0_clEvEUlffE_NS0_6memory8policies11unroll_baseILi512ESt5arrayIPcLm3EE23TrivialOffsetCalculatorILi2EjESI_ILi1EjENSC_12LoadWithCastILi2EEENSC_13StoreWithCastILi1EEELi32ELi1EEEEEvT0_T1_.num_vgpr)
	.set _ZN2at6native39vectorized_templated_elementwise_kernelILi2EZZZNS0_12_GLOBAL__N_124softplus_backward_kernelERNS_18TensorIteratorBaseERKN3c106ScalarES8_ENKUlvE_clEvENKUlvE0_clEvEUlffE_St5arrayIPcLm3EE23TrivialOffsetCalculatorILi2EjESF_ILi1EjENS0_6memory12LoadWithCastILi2EEENSI_13StoreWithCastILi1EEENS5_8BFloat16EJSN_fEEEviT0_T1_T2_T3_T4_T5_.num_agpr, max(0, .L_ZN2at6native25elementwise_kernel_helperILb1EZZZNS0_12_GLOBAL__N_124softplus_backward_kernelERNS_18TensorIteratorBaseERKN3c106ScalarES8_ENKUlvE_clEvENKUlvE0_clEvEUlffE_NS0_6memory8policies11unroll_baseILi512ESt5arrayIPcLm3EE23TrivialOffsetCalculatorILi2EjESI_ILi1EjENSC_12LoadWithCastILi2EEENSC_13StoreWithCastILi1EEELi32ELi1EEEEEvT0_T1_.num_agpr)
	.set _ZN2at6native39vectorized_templated_elementwise_kernelILi2EZZZNS0_12_GLOBAL__N_124softplus_backward_kernelERNS_18TensorIteratorBaseERKN3c106ScalarES8_ENKUlvE_clEvENKUlvE0_clEvEUlffE_St5arrayIPcLm3EE23TrivialOffsetCalculatorILi2EjESF_ILi1EjENS0_6memory12LoadWithCastILi2EEENSI_13StoreWithCastILi1EEENS5_8BFloat16EJSN_fEEEviT0_T1_T2_T3_T4_T5_.numbered_sgpr, max(33, .L_ZN2at6native25elementwise_kernel_helperILb1EZZZNS0_12_GLOBAL__N_124softplus_backward_kernelERNS_18TensorIteratorBaseERKN3c106ScalarES8_ENKUlvE_clEvENKUlvE0_clEvEUlffE_NS0_6memory8policies11unroll_baseILi512ESt5arrayIPcLm3EE23TrivialOffsetCalculatorILi2EjESI_ILi1EjENSC_12LoadWithCastILi2EEENSC_13StoreWithCastILi1EEELi32ELi1EEEEEvT0_T1_.numbered_sgpr)
	.set _ZN2at6native39vectorized_templated_elementwise_kernelILi2EZZZNS0_12_GLOBAL__N_124softplus_backward_kernelERNS_18TensorIteratorBaseERKN3c106ScalarES8_ENKUlvE_clEvENKUlvE0_clEvEUlffE_St5arrayIPcLm3EE23TrivialOffsetCalculatorILi2EjESF_ILi1EjENS0_6memory12LoadWithCastILi2EEENSI_13StoreWithCastILi1EEENS5_8BFloat16EJSN_fEEEviT0_T1_T2_T3_T4_T5_.num_named_barrier, max(0, .L_ZN2at6native25elementwise_kernel_helperILb1EZZZNS0_12_GLOBAL__N_124softplus_backward_kernelERNS_18TensorIteratorBaseERKN3c106ScalarES8_ENKUlvE_clEvENKUlvE0_clEvEUlffE_NS0_6memory8policies11unroll_baseILi512ESt5arrayIPcLm3EE23TrivialOffsetCalculatorILi2EjESI_ILi1EjENSC_12LoadWithCastILi2EEENSC_13StoreWithCastILi1EEELi32ELi1EEEEEvT0_T1_.num_named_barrier)
	.set _ZN2at6native39vectorized_templated_elementwise_kernelILi2EZZZNS0_12_GLOBAL__N_124softplus_backward_kernelERNS_18TensorIteratorBaseERKN3c106ScalarES8_ENKUlvE_clEvENKUlvE0_clEvEUlffE_St5arrayIPcLm3EE23TrivialOffsetCalculatorILi2EjESF_ILi1EjENS0_6memory12LoadWithCastILi2EEENSI_13StoreWithCastILi1EEENS5_8BFloat16EJSN_fEEEviT0_T1_T2_T3_T4_T5_.private_seg_size, 0+max(.L_ZN2at6native25elementwise_kernel_helperILb1EZZZNS0_12_GLOBAL__N_124softplus_backward_kernelERNS_18TensorIteratorBaseERKN3c106ScalarES8_ENKUlvE_clEvENKUlvE0_clEvEUlffE_NS0_6memory8policies11unroll_baseILi512ESt5arrayIPcLm3EE23TrivialOffsetCalculatorILi2EjESI_ILi1EjENSC_12LoadWithCastILi2EEENSC_13StoreWithCastILi1EEELi32ELi1EEEEEvT0_T1_.private_seg_size)
	.set _ZN2at6native39vectorized_templated_elementwise_kernelILi2EZZZNS0_12_GLOBAL__N_124softplus_backward_kernelERNS_18TensorIteratorBaseERKN3c106ScalarES8_ENKUlvE_clEvENKUlvE0_clEvEUlffE_St5arrayIPcLm3EE23TrivialOffsetCalculatorILi2EjESF_ILi1EjENS0_6memory12LoadWithCastILi2EEENSI_13StoreWithCastILi1EEENS5_8BFloat16EJSN_fEEEviT0_T1_T2_T3_T4_T5_.uses_vcc, or(1, .L_ZN2at6native25elementwise_kernel_helperILb1EZZZNS0_12_GLOBAL__N_124softplus_backward_kernelERNS_18TensorIteratorBaseERKN3c106ScalarES8_ENKUlvE_clEvENKUlvE0_clEvEUlffE_NS0_6memory8policies11unroll_baseILi512ESt5arrayIPcLm3EE23TrivialOffsetCalculatorILi2EjESI_ILi1EjENSC_12LoadWithCastILi2EEENSC_13StoreWithCastILi1EEELi32ELi1EEEEEvT0_T1_.uses_vcc)
	.set _ZN2at6native39vectorized_templated_elementwise_kernelILi2EZZZNS0_12_GLOBAL__N_124softplus_backward_kernelERNS_18TensorIteratorBaseERKN3c106ScalarES8_ENKUlvE_clEvENKUlvE0_clEvEUlffE_St5arrayIPcLm3EE23TrivialOffsetCalculatorILi2EjESF_ILi1EjENS0_6memory12LoadWithCastILi2EEENSI_13StoreWithCastILi1EEENS5_8BFloat16EJSN_fEEEviT0_T1_T2_T3_T4_T5_.uses_flat_scratch, or(0, .L_ZN2at6native25elementwise_kernel_helperILb1EZZZNS0_12_GLOBAL__N_124softplus_backward_kernelERNS_18TensorIteratorBaseERKN3c106ScalarES8_ENKUlvE_clEvENKUlvE0_clEvEUlffE_NS0_6memory8policies11unroll_baseILi512ESt5arrayIPcLm3EE23TrivialOffsetCalculatorILi2EjESI_ILi1EjENSC_12LoadWithCastILi2EEENSC_13StoreWithCastILi1EEELi32ELi1EEEEEvT0_T1_.uses_flat_scratch)
	.set _ZN2at6native39vectorized_templated_elementwise_kernelILi2EZZZNS0_12_GLOBAL__N_124softplus_backward_kernelERNS_18TensorIteratorBaseERKN3c106ScalarES8_ENKUlvE_clEvENKUlvE0_clEvEUlffE_St5arrayIPcLm3EE23TrivialOffsetCalculatorILi2EjESF_ILi1EjENS0_6memory12LoadWithCastILi2EEENSI_13StoreWithCastILi1EEENS5_8BFloat16EJSN_fEEEviT0_T1_T2_T3_T4_T5_.has_dyn_sized_stack, or(0, .L_ZN2at6native25elementwise_kernel_helperILb1EZZZNS0_12_GLOBAL__N_124softplus_backward_kernelERNS_18TensorIteratorBaseERKN3c106ScalarES8_ENKUlvE_clEvENKUlvE0_clEvEUlffE_NS0_6memory8policies11unroll_baseILi512ESt5arrayIPcLm3EE23TrivialOffsetCalculatorILi2EjESI_ILi1EjENSC_12LoadWithCastILi2EEENSC_13StoreWithCastILi1EEELi32ELi1EEEEEvT0_T1_.has_dyn_sized_stack)
	.set _ZN2at6native39vectorized_templated_elementwise_kernelILi2EZZZNS0_12_GLOBAL__N_124softplus_backward_kernelERNS_18TensorIteratorBaseERKN3c106ScalarES8_ENKUlvE_clEvENKUlvE0_clEvEUlffE_St5arrayIPcLm3EE23TrivialOffsetCalculatorILi2EjESF_ILi1EjENS0_6memory12LoadWithCastILi2EEENSI_13StoreWithCastILi1EEENS5_8BFloat16EJSN_fEEEviT0_T1_T2_T3_T4_T5_.has_recursion, or(0, .L_ZN2at6native25elementwise_kernel_helperILb1EZZZNS0_12_GLOBAL__N_124softplus_backward_kernelERNS_18TensorIteratorBaseERKN3c106ScalarES8_ENKUlvE_clEvENKUlvE0_clEvEUlffE_NS0_6memory8policies11unroll_baseILi512ESt5arrayIPcLm3EE23TrivialOffsetCalculatorILi2EjESI_ILi1EjENSC_12LoadWithCastILi2EEENSC_13StoreWithCastILi1EEELi32ELi1EEEEEvT0_T1_.has_recursion)
	.set _ZN2at6native39vectorized_templated_elementwise_kernelILi2EZZZNS0_12_GLOBAL__N_124softplus_backward_kernelERNS_18TensorIteratorBaseERKN3c106ScalarES8_ENKUlvE_clEvENKUlvE0_clEvEUlffE_St5arrayIPcLm3EE23TrivialOffsetCalculatorILi2EjESF_ILi1EjENS0_6memory12LoadWithCastILi2EEENSI_13StoreWithCastILi1EEENS5_8BFloat16EJSN_fEEEviT0_T1_T2_T3_T4_T5_.has_indirect_call, or(0, .L_ZN2at6native25elementwise_kernel_helperILb1EZZZNS0_12_GLOBAL__N_124softplus_backward_kernelERNS_18TensorIteratorBaseERKN3c106ScalarES8_ENKUlvE_clEvENKUlvE0_clEvEUlffE_NS0_6memory8policies11unroll_baseILi512ESt5arrayIPcLm3EE23TrivialOffsetCalculatorILi2EjESI_ILi1EjENSC_12LoadWithCastILi2EEENSC_13StoreWithCastILi1EEELi32ELi1EEEEEvT0_T1_.has_indirect_call)
	.section	.AMDGPU.csdata,"",@progbits
; Kernel info:
; codeLenInByte = 11812
; TotalNumSgprs: 98
; NumVgprs: 132
; ScratchSize: 272
; MemoryBound: 0
; FloatMode: 240
; IeeeMode: 1
; LDSByteSize: 0 bytes/workgroup (compile time only)
; SGPRBlocks: 0
; VGPRBlocks: 8
; NumSGPRsForWavesPerEU: 98
; NumVGPRsForWavesPerEU: 132
; NamedBarCnt: 0
; Occupancy: 7
; WaveLimiterHint : 1
; COMPUTE_PGM_RSRC2:SCRATCH_EN: 1
; COMPUTE_PGM_RSRC2:USER_SGPR: 2
; COMPUTE_PGM_RSRC2:TRAP_HANDLER: 0
; COMPUTE_PGM_RSRC2:TGID_X_EN: 1
; COMPUTE_PGM_RSRC2:TGID_Y_EN: 0
; COMPUTE_PGM_RSRC2:TGID_Z_EN: 0
; COMPUTE_PGM_RSRC2:TIDIG_COMP_CNT: 0
	.section	.text._ZN2at6native39vectorized_templated_elementwise_kernelILi8EZZZNS0_12_GLOBAL__N_124softplus_backward_kernelERNS_18TensorIteratorBaseERKN3c106ScalarES8_ENKUlvE_clEvENKUlvE0_clEvEUlffE_St5arrayIPcLm3EE23TrivialOffsetCalculatorILi2EjESF_ILi1EjENS0_6memory12LoadWithCastILi2EEENSI_13StoreWithCastILi1EEEfJfNS5_4HalfEEEEviT0_T1_T2_T3_T4_T5_,"axG",@progbits,_ZN2at6native39vectorized_templated_elementwise_kernelILi8EZZZNS0_12_GLOBAL__N_124softplus_backward_kernelERNS_18TensorIteratorBaseERKN3c106ScalarES8_ENKUlvE_clEvENKUlvE0_clEvEUlffE_St5arrayIPcLm3EE23TrivialOffsetCalculatorILi2EjESF_ILi1EjENS0_6memory12LoadWithCastILi2EEENSI_13StoreWithCastILi1EEEfJfNS5_4HalfEEEEviT0_T1_T2_T3_T4_T5_,comdat
	.globl	_ZN2at6native39vectorized_templated_elementwise_kernelILi8EZZZNS0_12_GLOBAL__N_124softplus_backward_kernelERNS_18TensorIteratorBaseERKN3c106ScalarES8_ENKUlvE_clEvENKUlvE0_clEvEUlffE_St5arrayIPcLm3EE23TrivialOffsetCalculatorILi2EjESF_ILi1EjENS0_6memory12LoadWithCastILi2EEENSI_13StoreWithCastILi1EEEfJfNS5_4HalfEEEEviT0_T1_T2_T3_T4_T5_ ; -- Begin function _ZN2at6native39vectorized_templated_elementwise_kernelILi8EZZZNS0_12_GLOBAL__N_124softplus_backward_kernelERNS_18TensorIteratorBaseERKN3c106ScalarES8_ENKUlvE_clEvENKUlvE0_clEvEUlffE_St5arrayIPcLm3EE23TrivialOffsetCalculatorILi2EjESF_ILi1EjENS0_6memory12LoadWithCastILi2EEENSI_13StoreWithCastILi1EEEfJfNS5_4HalfEEEEviT0_T1_T2_T3_T4_T5_
	.p2align	8
	.type	_ZN2at6native39vectorized_templated_elementwise_kernelILi8EZZZNS0_12_GLOBAL__N_124softplus_backward_kernelERNS_18TensorIteratorBaseERKN3c106ScalarES8_ENKUlvE_clEvENKUlvE0_clEvEUlffE_St5arrayIPcLm3EE23TrivialOffsetCalculatorILi2EjESF_ILi1EjENS0_6memory12LoadWithCastILi2EEENSI_13StoreWithCastILi1EEEfJfNS5_4HalfEEEEviT0_T1_T2_T3_T4_T5_,@function
_ZN2at6native39vectorized_templated_elementwise_kernelILi8EZZZNS0_12_GLOBAL__N_124softplus_backward_kernelERNS_18TensorIteratorBaseERKN3c106ScalarES8_ENKUlvE_clEvENKUlvE0_clEvEUlffE_St5arrayIPcLm3EE23TrivialOffsetCalculatorILi2EjESF_ILi1EjENS0_6memory12LoadWithCastILi2EEENSI_13StoreWithCastILi1EEEfJfNS5_4HalfEEEEviT0_T1_T2_T3_T4_T5_: ; @_ZN2at6native39vectorized_templated_elementwise_kernelILi8EZZZNS0_12_GLOBAL__N_124softplus_backward_kernelERNS_18TensorIteratorBaseERKN3c106ScalarES8_ENKUlvE_clEvENKUlvE0_clEvEUlffE_St5arrayIPcLm3EE23TrivialOffsetCalculatorILi2EjESF_ILi1EjENS0_6memory12LoadWithCastILi2EEENSI_13StoreWithCastILi1EEEfJfNS5_4HalfEEEEviT0_T1_T2_T3_T4_T5_
; %bb.0:
	s_clause 0x2
	s_load_b32 s8, s[0:1], 0x40
	s_load_b96 s[12:14], s[0:1], 0x0
	s_load_b64 s[2:3], s[0:1], 0x20
	s_bfe_u32 s9, ttmp6, 0x4000c
	s_load_b128 s[4:7], s[0:1], 0x10
	s_add_co_i32 s9, s9, 1
	s_and_b32 s10, ttmp6, 15
	s_mul_i32 s9, ttmp9, s9
	s_getreg_b32 s11, hwreg(HW_REG_IB_STS2, 6, 4)
	s_add_co_i32 s10, s10, s9
	s_cmp_eq_u32 s11, 0
	s_mov_b32 s32, 0
	s_cselect_b32 s9, ttmp9, s10
	s_delay_alu instid0(SALU_CYCLE_1) | instskip(SKIP_4) | instid1(SALU_CYCLE_1)
	s_not_b32 s9, s9
	s_wait_kmcnt 0x0
	s_add_co_i32 s8, s8, s9
	s_mov_b32 s9, -1
	s_lshl_b32 s8, s8, 14
	s_sub_co_i32 s10, s12, s8
	s_delay_alu instid0(SALU_CYCLE_1)
	s_cmp_gt_i32 s10, 0x3fff
	s_cbranch_scc1 .LBB61_3
; %bb.1:
	s_and_b32 vcc_lo, exec_lo, s9
	s_cbranch_vccnz .LBB61_68
.LBB61_2:
	s_sendmsg sendmsg(MSG_DEALLOC_VGPRS)
	s_endpgm
.LBB61_3:
	s_ashr_i32 s9, s8, 31
	s_mov_b32 s11, exec_lo
	s_lshl_b64 s[16:17], s[8:9], 1
	s_lshl_b64 s[8:9], s[8:9], 2
	s_add_nc_u64 s[16:17], s[2:3], s[16:17]
	s_add_nc_u64 s[18:19], s[6:7], s[8:9]
	global_load_b128 v[46:49], v0, s[16:17] scale_offset
	s_wait_loadcnt 0x0
	v_cvt_f32_f16_e32 v50, v46
	s_delay_alu instid0(VALU_DEP_1)
	v_dual_mul_f32 v50, s13, v50 :: v_dual_lshlrev_b32 v1, 5, v0
	s_clause 0x7
	global_load_b128 v[26:29], v1, s[18:19] offset:16
	global_load_b128 v[30:33], v1, s[18:19]
	global_load_b128 v[18:21], v1, s[18:19] offset:16400
	global_load_b128 v[22:25], v1, s[18:19] offset:16384
	;; [unrolled: 1-line block ×6, first 2 shown]
	s_clause 0x2
	global_load_b128 v[42:45], v0, s[16:17] offset:8192 scale_offset
	global_load_b128 v[38:41], v0, s[16:17] offset:16384 scale_offset
	;; [unrolled: 1-line block ×3, first 2 shown]
	s_wait_xcnt 0x0
	v_cmpx_nlt_f32_e32 s14, v50
	s_cbranch_execz .LBB61_5
; %bb.4:
	v_mul_f32_e32 v51, 0x3fb8aa3b, v50
	v_cmp_ngt_f32_e32 vcc_lo, 0xc2ce8ed0, v50
	s_delay_alu instid0(VALU_DEP_2) | instskip(SKIP_1) | instid1(VALU_DEP_2)
	v_rndne_f32_e32 v52, v51
	v_fma_f32 v53, 0x3fb8aa3b, v50, -v51
	v_sub_f32_e32 v51, v51, v52
	s_delay_alu instid0(VALU_DEP_2) | instskip(SKIP_1) | instid1(VALU_DEP_2)
	v_fmamk_f32 v53, v50, 0x32a5705f, v53
	v_cvt_i32_f32_e32 v52, v52
	v_add_f32_e32 v51, v51, v53
	s_delay_alu instid0(VALU_DEP_1) | instskip(SKIP_1) | instid1(TRANS32_DEP_1)
	v_exp_f32_e32 v51, v51
	v_nop
	v_ldexp_f32 v51, v51, v52
	s_delay_alu instid0(VALU_DEP_1) | instskip(SKIP_1) | instid1(VALU_DEP_2)
	v_cndmask_b32_e32 v51, 0, v51, vcc_lo
	v_cmp_nlt_f32_e32 vcc_lo, 0x42b17218, v50
	v_cndmask_b32_e32 v50, 0x7f800000, v51, vcc_lo
	s_wait_loadcnt 0x9
	s_delay_alu instid0(VALU_DEP_1) | instskip(NEXT) | instid1(VALU_DEP_1)
	v_dual_mul_f32 v30, v30, v50 :: v_dual_add_f32 v50, 1.0, v50
	v_div_scale_f32 v51, null, v50, v50, v30
	s_delay_alu instid0(VALU_DEP_1) | instskip(SKIP_1) | instid1(TRANS32_DEP_1)
	v_rcp_f32_e32 v52, v51
	v_nop
	v_fma_f32 v53, -v51, v52, 1.0
	s_delay_alu instid0(VALU_DEP_1) | instskip(SKIP_1) | instid1(VALU_DEP_1)
	v_fmac_f32_e32 v52, v53, v52
	v_div_scale_f32 v53, vcc_lo, v30, v50, v30
	v_mul_f32_e32 v54, v53, v52
	s_delay_alu instid0(VALU_DEP_1) | instskip(NEXT) | instid1(VALU_DEP_1)
	v_fma_f32 v55, -v51, v54, v53
	v_fmac_f32_e32 v54, v55, v52
	s_delay_alu instid0(VALU_DEP_1) | instskip(NEXT) | instid1(VALU_DEP_1)
	v_fma_f32 v51, -v51, v54, v53
	v_div_fmas_f32 v51, v51, v52, v54
	s_delay_alu instid0(VALU_DEP_1)
	v_div_fixup_f32 v30, v51, v50, v30
.LBB61_5:
	s_or_b32 exec_lo, exec_lo, s11
	v_lshrrev_b32_e32 v46, 16, v46
	s_mov_b32 s11, exec_lo
	s_delay_alu instid0(VALU_DEP_1) | instskip(NEXT) | instid1(VALU_DEP_1)
	v_cvt_f32_f16_e32 v46, v46
	v_mul_f32_e32 v46, s13, v46
	s_delay_alu instid0(VALU_DEP_1)
	v_cmpx_nlt_f32_e32 s14, v46
	s_cbranch_execz .LBB61_7
; %bb.6:
	v_mul_f32_e32 v50, 0x3fb8aa3b, v46
	v_cmp_ngt_f32_e32 vcc_lo, 0xc2ce8ed0, v46
	s_delay_alu instid0(VALU_DEP_2) | instskip(SKIP_1) | instid1(VALU_DEP_2)
	v_rndne_f32_e32 v51, v50
	v_fma_f32 v52, 0x3fb8aa3b, v46, -v50
	v_sub_f32_e32 v50, v50, v51
	s_delay_alu instid0(VALU_DEP_2) | instskip(SKIP_1) | instid1(VALU_DEP_2)
	v_fmamk_f32 v52, v46, 0x32a5705f, v52
	v_cvt_i32_f32_e32 v51, v51
	v_add_f32_e32 v50, v50, v52
	s_delay_alu instid0(VALU_DEP_1) | instskip(SKIP_1) | instid1(TRANS32_DEP_1)
	v_exp_f32_e32 v50, v50
	v_nop
	v_ldexp_f32 v50, v50, v51
	s_delay_alu instid0(VALU_DEP_1) | instskip(SKIP_1) | instid1(VALU_DEP_2)
	v_cndmask_b32_e32 v50, 0, v50, vcc_lo
	v_cmp_nlt_f32_e32 vcc_lo, 0x42b17218, v46
	v_cndmask_b32_e32 v46, 0x7f800000, v50, vcc_lo
	s_wait_loadcnt 0x9
	s_delay_alu instid0(VALU_DEP_1) | instskip(NEXT) | instid1(VALU_DEP_1)
	v_dual_mul_f32 v31, v31, v46 :: v_dual_add_f32 v46, 1.0, v46
	v_div_scale_f32 v50, null, v46, v46, v31
	s_delay_alu instid0(VALU_DEP_1) | instskip(SKIP_1) | instid1(TRANS32_DEP_1)
	v_rcp_f32_e32 v51, v50
	v_nop
	v_fma_f32 v52, -v50, v51, 1.0
	s_delay_alu instid0(VALU_DEP_1) | instskip(SKIP_1) | instid1(VALU_DEP_1)
	v_fmac_f32_e32 v51, v52, v51
	v_div_scale_f32 v52, vcc_lo, v31, v46, v31
	v_mul_f32_e32 v53, v52, v51
	s_delay_alu instid0(VALU_DEP_1) | instskip(NEXT) | instid1(VALU_DEP_1)
	v_fma_f32 v54, -v50, v53, v52
	v_fmac_f32_e32 v53, v54, v51
	s_delay_alu instid0(VALU_DEP_1) | instskip(NEXT) | instid1(VALU_DEP_1)
	v_fma_f32 v50, -v50, v53, v52
	v_div_fmas_f32 v50, v50, v51, v53
	s_delay_alu instid0(VALU_DEP_1)
	v_div_fixup_f32 v31, v50, v46, v31
.LBB61_7:
	s_or_b32 exec_lo, exec_lo, s11
	v_cvt_f32_f16_e32 v46, v47
	s_mov_b32 s11, exec_lo
	s_delay_alu instid0(VALU_DEP_1) | instskip(NEXT) | instid1(VALU_DEP_1)
	v_mul_f32_e32 v46, s13, v46
	v_cmpx_nlt_f32_e32 s14, v46
	s_cbranch_execz .LBB61_9
; %bb.8:
	v_mul_f32_e32 v50, 0x3fb8aa3b, v46
	v_cmp_ngt_f32_e32 vcc_lo, 0xc2ce8ed0, v46
	s_delay_alu instid0(VALU_DEP_2) | instskip(SKIP_1) | instid1(VALU_DEP_2)
	v_rndne_f32_e32 v51, v50
	v_fma_f32 v52, 0x3fb8aa3b, v46, -v50
	v_sub_f32_e32 v50, v50, v51
	s_delay_alu instid0(VALU_DEP_2) | instskip(SKIP_1) | instid1(VALU_DEP_2)
	v_fmamk_f32 v52, v46, 0x32a5705f, v52
	v_cvt_i32_f32_e32 v51, v51
	v_add_f32_e32 v50, v50, v52
	s_delay_alu instid0(VALU_DEP_1) | instskip(SKIP_1) | instid1(TRANS32_DEP_1)
	v_exp_f32_e32 v50, v50
	v_nop
	v_ldexp_f32 v50, v50, v51
	s_delay_alu instid0(VALU_DEP_1) | instskip(SKIP_1) | instid1(VALU_DEP_2)
	v_cndmask_b32_e32 v50, 0, v50, vcc_lo
	v_cmp_nlt_f32_e32 vcc_lo, 0x42b17218, v46
	v_cndmask_b32_e32 v46, 0x7f800000, v50, vcc_lo
	s_wait_loadcnt 0x9
	s_delay_alu instid0(VALU_DEP_1) | instskip(NEXT) | instid1(VALU_DEP_1)
	v_dual_mul_f32 v32, v32, v46 :: v_dual_add_f32 v46, 1.0, v46
	v_div_scale_f32 v50, null, v46, v46, v32
	s_delay_alu instid0(VALU_DEP_1) | instskip(SKIP_1) | instid1(TRANS32_DEP_1)
	v_rcp_f32_e32 v51, v50
	v_nop
	v_fma_f32 v52, -v50, v51, 1.0
	s_delay_alu instid0(VALU_DEP_1) | instskip(SKIP_1) | instid1(VALU_DEP_1)
	v_fmac_f32_e32 v51, v52, v51
	v_div_scale_f32 v52, vcc_lo, v32, v46, v32
	v_mul_f32_e32 v53, v52, v51
	s_delay_alu instid0(VALU_DEP_1) | instskip(NEXT) | instid1(VALU_DEP_1)
	v_fma_f32 v54, -v50, v53, v52
	v_fmac_f32_e32 v53, v54, v51
	s_delay_alu instid0(VALU_DEP_1) | instskip(NEXT) | instid1(VALU_DEP_1)
	v_fma_f32 v50, -v50, v53, v52
	v_div_fmas_f32 v50, v50, v51, v53
	s_delay_alu instid0(VALU_DEP_1)
	v_div_fixup_f32 v32, v50, v46, v32
.LBB61_9:
	s_or_b32 exec_lo, exec_lo, s11
	v_lshrrev_b32_e32 v46, 16, v47
	s_mov_b32 s11, exec_lo
	s_delay_alu instid0(VALU_DEP_1) | instskip(NEXT) | instid1(VALU_DEP_1)
	v_cvt_f32_f16_e32 v46, v46
	v_mul_f32_e32 v46, s13, v46
	s_delay_alu instid0(VALU_DEP_1)
	v_cmpx_nlt_f32_e32 s14, v46
	s_cbranch_execz .LBB61_11
; %bb.10:
	v_mul_f32_e32 v47, 0x3fb8aa3b, v46
	v_cmp_ngt_f32_e32 vcc_lo, 0xc2ce8ed0, v46
	s_delay_alu instid0(VALU_DEP_2) | instskip(SKIP_1) | instid1(VALU_DEP_2)
	v_rndne_f32_e32 v50, v47
	v_fma_f32 v51, 0x3fb8aa3b, v46, -v47
	v_sub_f32_e32 v47, v47, v50
	s_delay_alu instid0(VALU_DEP_2) | instskip(SKIP_1) | instid1(VALU_DEP_2)
	v_fmamk_f32 v51, v46, 0x32a5705f, v51
	v_cvt_i32_f32_e32 v50, v50
	v_add_f32_e32 v47, v47, v51
	s_delay_alu instid0(VALU_DEP_1) | instskip(SKIP_1) | instid1(TRANS32_DEP_1)
	v_exp_f32_e32 v47, v47
	v_nop
	v_ldexp_f32 v47, v47, v50
	s_delay_alu instid0(VALU_DEP_1) | instskip(SKIP_1) | instid1(VALU_DEP_2)
	v_cndmask_b32_e32 v47, 0, v47, vcc_lo
	v_cmp_nlt_f32_e32 vcc_lo, 0x42b17218, v46
	v_cndmask_b32_e32 v46, 0x7f800000, v47, vcc_lo
	s_wait_loadcnt 0x9
	s_delay_alu instid0(VALU_DEP_1) | instskip(NEXT) | instid1(VALU_DEP_1)
	v_dual_mul_f32 v33, v33, v46 :: v_dual_add_f32 v46, 1.0, v46
	v_div_scale_f32 v47, null, v46, v46, v33
	s_delay_alu instid0(VALU_DEP_1) | instskip(SKIP_1) | instid1(TRANS32_DEP_1)
	v_rcp_f32_e32 v50, v47
	v_nop
	v_fma_f32 v51, -v47, v50, 1.0
	s_delay_alu instid0(VALU_DEP_1) | instskip(SKIP_1) | instid1(VALU_DEP_1)
	v_fmac_f32_e32 v50, v51, v50
	v_div_scale_f32 v51, vcc_lo, v33, v46, v33
	v_mul_f32_e32 v52, v51, v50
	s_delay_alu instid0(VALU_DEP_1) | instskip(NEXT) | instid1(VALU_DEP_1)
	v_fma_f32 v53, -v47, v52, v51
	v_fmac_f32_e32 v52, v53, v50
	s_delay_alu instid0(VALU_DEP_1) | instskip(NEXT) | instid1(VALU_DEP_1)
	v_fma_f32 v47, -v47, v52, v51
	v_div_fmas_f32 v47, v47, v50, v52
	s_delay_alu instid0(VALU_DEP_1)
	v_div_fixup_f32 v33, v47, v46, v33
.LBB61_11:
	s_or_b32 exec_lo, exec_lo, s11
	v_cvt_f32_f16_e32 v46, v48
	s_mov_b32 s11, exec_lo
	s_delay_alu instid0(VALU_DEP_1) | instskip(NEXT) | instid1(VALU_DEP_1)
	v_mul_f32_e32 v46, s13, v46
	v_cmpx_nlt_f32_e32 s14, v46
	s_cbranch_execz .LBB61_13
; %bb.12:
	v_mul_f32_e32 v47, 0x3fb8aa3b, v46
	v_cmp_ngt_f32_e32 vcc_lo, 0xc2ce8ed0, v46
	s_delay_alu instid0(VALU_DEP_2) | instskip(SKIP_1) | instid1(VALU_DEP_2)
	v_rndne_f32_e32 v50, v47
	v_fma_f32 v51, 0x3fb8aa3b, v46, -v47
	v_sub_f32_e32 v47, v47, v50
	s_delay_alu instid0(VALU_DEP_2) | instskip(SKIP_1) | instid1(VALU_DEP_2)
	v_fmamk_f32 v51, v46, 0x32a5705f, v51
	v_cvt_i32_f32_e32 v50, v50
	v_add_f32_e32 v47, v47, v51
	s_delay_alu instid0(VALU_DEP_1) | instskip(SKIP_1) | instid1(TRANS32_DEP_1)
	v_exp_f32_e32 v47, v47
	v_nop
	v_ldexp_f32 v47, v47, v50
	s_delay_alu instid0(VALU_DEP_1) | instskip(SKIP_1) | instid1(VALU_DEP_2)
	v_cndmask_b32_e32 v47, 0, v47, vcc_lo
	v_cmp_nlt_f32_e32 vcc_lo, 0x42b17218, v46
	v_cndmask_b32_e32 v46, 0x7f800000, v47, vcc_lo
	s_wait_loadcnt 0xa
	s_delay_alu instid0(VALU_DEP_1) | instskip(NEXT) | instid1(VALU_DEP_1)
	v_dual_mul_f32 v26, v26, v46 :: v_dual_add_f32 v46, 1.0, v46
	v_div_scale_f32 v47, null, v46, v46, v26
	s_delay_alu instid0(VALU_DEP_1) | instskip(SKIP_1) | instid1(TRANS32_DEP_1)
	v_rcp_f32_e32 v50, v47
	v_nop
	v_fma_f32 v51, -v47, v50, 1.0
	s_delay_alu instid0(VALU_DEP_1) | instskip(SKIP_1) | instid1(VALU_DEP_1)
	v_fmac_f32_e32 v50, v51, v50
	v_div_scale_f32 v51, vcc_lo, v26, v46, v26
	v_mul_f32_e32 v52, v51, v50
	s_delay_alu instid0(VALU_DEP_1) | instskip(NEXT) | instid1(VALU_DEP_1)
	v_fma_f32 v53, -v47, v52, v51
	v_fmac_f32_e32 v52, v53, v50
	s_delay_alu instid0(VALU_DEP_1) | instskip(NEXT) | instid1(VALU_DEP_1)
	v_fma_f32 v47, -v47, v52, v51
	v_div_fmas_f32 v47, v47, v50, v52
	s_delay_alu instid0(VALU_DEP_1)
	v_div_fixup_f32 v26, v47, v46, v26
.LBB61_13:
	s_or_b32 exec_lo, exec_lo, s11
	v_lshrrev_b32_e32 v46, 16, v48
	s_mov_b32 s11, exec_lo
	s_delay_alu instid0(VALU_DEP_1) | instskip(NEXT) | instid1(VALU_DEP_1)
	v_cvt_f32_f16_e32 v46, v46
	v_mul_f32_e32 v46, s13, v46
	s_delay_alu instid0(VALU_DEP_1)
	v_cmpx_nlt_f32_e32 s14, v46
	s_cbranch_execz .LBB61_15
; %bb.14:
	v_mul_f32_e32 v47, 0x3fb8aa3b, v46
	v_cmp_ngt_f32_e32 vcc_lo, 0xc2ce8ed0, v46
	s_delay_alu instid0(VALU_DEP_2) | instskip(SKIP_1) | instid1(VALU_DEP_1)
	v_rndne_f32_e32 v48, v47
	v_fma_f32 v50, 0x3fb8aa3b, v46, -v47
	v_dual_sub_f32 v47, v47, v48 :: v_dual_fmamk_f32 v50, v46, 0x32a5705f, v50
	v_cvt_i32_f32_e32 v48, v48
	s_delay_alu instid0(VALU_DEP_2) | instskip(NEXT) | instid1(VALU_DEP_1)
	v_add_f32_e32 v47, v47, v50
	v_exp_f32_e32 v47, v47
	v_nop
	s_delay_alu instid0(TRANS32_DEP_1) | instskip(NEXT) | instid1(VALU_DEP_1)
	v_ldexp_f32 v47, v47, v48
	v_cndmask_b32_e32 v47, 0, v47, vcc_lo
	v_cmp_nlt_f32_e32 vcc_lo, 0x42b17218, v46
	s_delay_alu instid0(VALU_DEP_2) | instskip(SKIP_1) | instid1(VALU_DEP_1)
	v_cndmask_b32_e32 v46, 0x7f800000, v47, vcc_lo
	s_wait_loadcnt 0xa
	v_dual_mul_f32 v27, v27, v46 :: v_dual_add_f32 v46, 1.0, v46
	s_delay_alu instid0(VALU_DEP_1) | instskip(NEXT) | instid1(VALU_DEP_1)
	v_div_scale_f32 v47, null, v46, v46, v27
	v_rcp_f32_e32 v48, v47
	v_nop
	s_delay_alu instid0(TRANS32_DEP_1) | instskip(NEXT) | instid1(VALU_DEP_1)
	v_fma_f32 v50, -v47, v48, 1.0
	v_fmac_f32_e32 v48, v50, v48
	v_div_scale_f32 v50, vcc_lo, v27, v46, v27
	s_delay_alu instid0(VALU_DEP_1) | instskip(NEXT) | instid1(VALU_DEP_1)
	v_mul_f32_e32 v51, v50, v48
	v_fma_f32 v52, -v47, v51, v50
	s_delay_alu instid0(VALU_DEP_1) | instskip(NEXT) | instid1(VALU_DEP_1)
	v_fmac_f32_e32 v51, v52, v48
	v_fma_f32 v47, -v47, v51, v50
	s_delay_alu instid0(VALU_DEP_1) | instskip(NEXT) | instid1(VALU_DEP_1)
	v_div_fmas_f32 v47, v47, v48, v51
	v_div_fixup_f32 v27, v47, v46, v27
.LBB61_15:
	s_or_b32 exec_lo, exec_lo, s11
	v_cvt_f32_f16_e32 v46, v49
	s_mov_b32 s11, exec_lo
	s_delay_alu instid0(VALU_DEP_1) | instskip(NEXT) | instid1(VALU_DEP_1)
	v_mul_f32_e32 v46, s13, v46
	v_cmpx_nlt_f32_e32 s14, v46
	s_cbranch_execz .LBB61_17
; %bb.16:
	v_mul_f32_e32 v47, 0x3fb8aa3b, v46
	v_cmp_ngt_f32_e32 vcc_lo, 0xc2ce8ed0, v46
	s_delay_alu instid0(VALU_DEP_2) | instskip(SKIP_1) | instid1(VALU_DEP_1)
	v_rndne_f32_e32 v48, v47
	v_fma_f32 v50, 0x3fb8aa3b, v46, -v47
	v_dual_sub_f32 v47, v47, v48 :: v_dual_fmamk_f32 v50, v46, 0x32a5705f, v50
	v_cvt_i32_f32_e32 v48, v48
	s_delay_alu instid0(VALU_DEP_2) | instskip(NEXT) | instid1(VALU_DEP_1)
	v_add_f32_e32 v47, v47, v50
	v_exp_f32_e32 v47, v47
	v_nop
	s_delay_alu instid0(TRANS32_DEP_1) | instskip(NEXT) | instid1(VALU_DEP_1)
	v_ldexp_f32 v47, v47, v48
	v_cndmask_b32_e32 v47, 0, v47, vcc_lo
	v_cmp_nlt_f32_e32 vcc_lo, 0x42b17218, v46
	s_delay_alu instid0(VALU_DEP_2) | instskip(SKIP_1) | instid1(VALU_DEP_1)
	v_cndmask_b32_e32 v46, 0x7f800000, v47, vcc_lo
	s_wait_loadcnt 0xa
	v_dual_mul_f32 v28, v28, v46 :: v_dual_add_f32 v46, 1.0, v46
	s_delay_alu instid0(VALU_DEP_1) | instskip(NEXT) | instid1(VALU_DEP_1)
	v_div_scale_f32 v47, null, v46, v46, v28
	v_rcp_f32_e32 v48, v47
	v_nop
	s_delay_alu instid0(TRANS32_DEP_1) | instskip(NEXT) | instid1(VALU_DEP_1)
	v_fma_f32 v50, -v47, v48, 1.0
	v_fmac_f32_e32 v48, v50, v48
	v_div_scale_f32 v50, vcc_lo, v28, v46, v28
	s_delay_alu instid0(VALU_DEP_1) | instskip(NEXT) | instid1(VALU_DEP_1)
	v_mul_f32_e32 v51, v50, v48
	v_fma_f32 v52, -v47, v51, v50
	s_delay_alu instid0(VALU_DEP_1) | instskip(NEXT) | instid1(VALU_DEP_1)
	v_fmac_f32_e32 v51, v52, v48
	v_fma_f32 v47, -v47, v51, v50
	s_delay_alu instid0(VALU_DEP_1) | instskip(NEXT) | instid1(VALU_DEP_1)
	v_div_fmas_f32 v47, v47, v48, v51
	v_div_fixup_f32 v28, v47, v46, v28
.LBB61_17:
	s_or_b32 exec_lo, exec_lo, s11
	v_lshrrev_b32_e32 v46, 16, v49
	s_mov_b32 s11, exec_lo
	s_delay_alu instid0(VALU_DEP_1) | instskip(NEXT) | instid1(VALU_DEP_1)
	v_cvt_f32_f16_e32 v46, v46
	v_mul_f32_e32 v46, s13, v46
	s_delay_alu instid0(VALU_DEP_1)
	v_cmpx_nlt_f32_e32 s14, v46
	s_cbranch_execz .LBB61_19
; %bb.18:
	v_mul_f32_e32 v47, 0x3fb8aa3b, v46
	v_cmp_ngt_f32_e32 vcc_lo, 0xc2ce8ed0, v46
	s_delay_alu instid0(VALU_DEP_2) | instskip(SKIP_1) | instid1(VALU_DEP_2)
	v_rndne_f32_e32 v48, v47
	v_fma_f32 v49, 0x3fb8aa3b, v46, -v47
	v_sub_f32_e32 v47, v47, v48
	s_delay_alu instid0(VALU_DEP_2) | instskip(SKIP_1) | instid1(VALU_DEP_2)
	v_fmamk_f32 v49, v46, 0x32a5705f, v49
	v_cvt_i32_f32_e32 v48, v48
	v_add_f32_e32 v47, v47, v49
	s_delay_alu instid0(VALU_DEP_1) | instskip(SKIP_1) | instid1(TRANS32_DEP_1)
	v_exp_f32_e32 v47, v47
	v_nop
	v_ldexp_f32 v47, v47, v48
	s_delay_alu instid0(VALU_DEP_1) | instskip(SKIP_1) | instid1(VALU_DEP_2)
	v_cndmask_b32_e32 v47, 0, v47, vcc_lo
	v_cmp_nlt_f32_e32 vcc_lo, 0x42b17218, v46
	v_cndmask_b32_e32 v46, 0x7f800000, v47, vcc_lo
	s_wait_loadcnt 0xa
	s_delay_alu instid0(VALU_DEP_1) | instskip(NEXT) | instid1(VALU_DEP_1)
	v_dual_mul_f32 v29, v29, v46 :: v_dual_add_f32 v46, 1.0, v46
	v_div_scale_f32 v47, null, v46, v46, v29
	s_delay_alu instid0(VALU_DEP_1) | instskip(SKIP_1) | instid1(TRANS32_DEP_1)
	v_rcp_f32_e32 v48, v47
	v_nop
	v_fma_f32 v49, -v47, v48, 1.0
	s_delay_alu instid0(VALU_DEP_1) | instskip(SKIP_1) | instid1(VALU_DEP_1)
	v_fmac_f32_e32 v48, v49, v48
	v_div_scale_f32 v49, vcc_lo, v29, v46, v29
	v_mul_f32_e32 v50, v49, v48
	s_delay_alu instid0(VALU_DEP_1) | instskip(NEXT) | instid1(VALU_DEP_1)
	v_fma_f32 v51, -v47, v50, v49
	v_fmac_f32_e32 v50, v51, v48
	s_delay_alu instid0(VALU_DEP_1) | instskip(NEXT) | instid1(VALU_DEP_1)
	v_fma_f32 v47, -v47, v50, v49
	v_div_fmas_f32 v47, v47, v48, v50
	s_delay_alu instid0(VALU_DEP_1)
	v_div_fixup_f32 v29, v47, v46, v29
.LBB61_19:
	s_or_b32 exec_lo, exec_lo, s11
	s_wait_loadcnt 0x2
	v_cvt_f32_f16_e32 v46, v42
	s_mov_b32 s11, exec_lo
	s_delay_alu instid0(VALU_DEP_1) | instskip(NEXT) | instid1(VALU_DEP_1)
	v_mul_f32_e32 v46, s13, v46
	v_cmpx_nlt_f32_e32 s14, v46
	s_cbranch_execz .LBB61_21
; %bb.20:
	v_mul_f32_e32 v47, 0x3fb8aa3b, v46
	v_cmp_ngt_f32_e32 vcc_lo, 0xc2ce8ed0, v46
	s_delay_alu instid0(VALU_DEP_2) | instskip(SKIP_1) | instid1(VALU_DEP_2)
	v_rndne_f32_e32 v48, v47
	v_fma_f32 v49, 0x3fb8aa3b, v46, -v47
	v_sub_f32_e32 v47, v47, v48
	s_delay_alu instid0(VALU_DEP_2) | instskip(SKIP_1) | instid1(VALU_DEP_2)
	v_fmamk_f32 v49, v46, 0x32a5705f, v49
	v_cvt_i32_f32_e32 v48, v48
	v_add_f32_e32 v47, v47, v49
	s_delay_alu instid0(VALU_DEP_1) | instskip(SKIP_1) | instid1(TRANS32_DEP_1)
	v_exp_f32_e32 v47, v47
	v_nop
	v_ldexp_f32 v47, v47, v48
	s_delay_alu instid0(VALU_DEP_1) | instskip(SKIP_1) | instid1(VALU_DEP_2)
	v_cndmask_b32_e32 v47, 0, v47, vcc_lo
	v_cmp_nlt_f32_e32 vcc_lo, 0x42b17218, v46
	v_cndmask_b32_e32 v46, 0x7f800000, v47, vcc_lo
	s_delay_alu instid0(VALU_DEP_1) | instskip(NEXT) | instid1(VALU_DEP_1)
	v_dual_mul_f32 v22, v22, v46 :: v_dual_add_f32 v46, 1.0, v46
	v_div_scale_f32 v47, null, v46, v46, v22
	s_delay_alu instid0(VALU_DEP_1) | instskip(SKIP_1) | instid1(TRANS32_DEP_1)
	v_rcp_f32_e32 v48, v47
	v_nop
	v_fma_f32 v49, -v47, v48, 1.0
	s_delay_alu instid0(VALU_DEP_1) | instskip(SKIP_1) | instid1(VALU_DEP_1)
	v_fmac_f32_e32 v48, v49, v48
	v_div_scale_f32 v49, vcc_lo, v22, v46, v22
	v_mul_f32_e32 v50, v49, v48
	s_delay_alu instid0(VALU_DEP_1) | instskip(NEXT) | instid1(VALU_DEP_1)
	v_fma_f32 v51, -v47, v50, v49
	v_fmac_f32_e32 v50, v51, v48
	s_delay_alu instid0(VALU_DEP_1) | instskip(NEXT) | instid1(VALU_DEP_1)
	v_fma_f32 v47, -v47, v50, v49
	v_div_fmas_f32 v47, v47, v48, v50
	s_delay_alu instid0(VALU_DEP_1)
	v_div_fixup_f32 v22, v47, v46, v22
.LBB61_21:
	s_or_b32 exec_lo, exec_lo, s11
	v_lshrrev_b32_e32 v42, 16, v42
	s_mov_b32 s11, exec_lo
	s_delay_alu instid0(VALU_DEP_1) | instskip(NEXT) | instid1(VALU_DEP_1)
	v_cvt_f32_f16_e32 v42, v42
	v_mul_f32_e32 v42, s13, v42
	s_delay_alu instid0(VALU_DEP_1)
	v_cmpx_nlt_f32_e32 s14, v42
	s_cbranch_execz .LBB61_23
; %bb.22:
	v_mul_f32_e32 v46, 0x3fb8aa3b, v42
	v_cmp_ngt_f32_e32 vcc_lo, 0xc2ce8ed0, v42
	s_delay_alu instid0(VALU_DEP_2) | instskip(SKIP_1) | instid1(VALU_DEP_2)
	v_rndne_f32_e32 v47, v46
	v_fma_f32 v48, 0x3fb8aa3b, v42, -v46
	v_sub_f32_e32 v46, v46, v47
	s_delay_alu instid0(VALU_DEP_2) | instskip(SKIP_1) | instid1(VALU_DEP_2)
	v_fmamk_f32 v48, v42, 0x32a5705f, v48
	v_cvt_i32_f32_e32 v47, v47
	v_add_f32_e32 v46, v46, v48
	s_delay_alu instid0(VALU_DEP_1) | instskip(SKIP_1) | instid1(TRANS32_DEP_1)
	v_exp_f32_e32 v46, v46
	v_nop
	v_ldexp_f32 v46, v46, v47
	s_delay_alu instid0(VALU_DEP_1) | instskip(SKIP_1) | instid1(VALU_DEP_2)
	v_cndmask_b32_e32 v46, 0, v46, vcc_lo
	v_cmp_nlt_f32_e32 vcc_lo, 0x42b17218, v42
	v_cndmask_b32_e32 v42, 0x7f800000, v46, vcc_lo
	s_delay_alu instid0(VALU_DEP_1) | instskip(NEXT) | instid1(VALU_DEP_1)
	v_dual_mul_f32 v23, v23, v42 :: v_dual_add_f32 v42, 1.0, v42
	v_div_scale_f32 v46, null, v42, v42, v23
	s_delay_alu instid0(VALU_DEP_1) | instskip(SKIP_1) | instid1(TRANS32_DEP_1)
	v_rcp_f32_e32 v47, v46
	v_nop
	v_fma_f32 v48, -v46, v47, 1.0
	s_delay_alu instid0(VALU_DEP_1) | instskip(SKIP_1) | instid1(VALU_DEP_1)
	v_fmac_f32_e32 v47, v48, v47
	v_div_scale_f32 v48, vcc_lo, v23, v42, v23
	v_mul_f32_e32 v49, v48, v47
	s_delay_alu instid0(VALU_DEP_1) | instskip(NEXT) | instid1(VALU_DEP_1)
	v_fma_f32 v50, -v46, v49, v48
	v_fmac_f32_e32 v49, v50, v47
	s_delay_alu instid0(VALU_DEP_1) | instskip(NEXT) | instid1(VALU_DEP_1)
	v_fma_f32 v46, -v46, v49, v48
	v_div_fmas_f32 v46, v46, v47, v49
	s_delay_alu instid0(VALU_DEP_1)
	v_div_fixup_f32 v23, v46, v42, v23
.LBB61_23:
	s_or_b32 exec_lo, exec_lo, s11
	v_cvt_f32_f16_e32 v42, v43
	s_mov_b32 s11, exec_lo
	s_delay_alu instid0(VALU_DEP_1) | instskip(NEXT) | instid1(VALU_DEP_1)
	v_mul_f32_e32 v42, s13, v42
	v_cmpx_nlt_f32_e32 s14, v42
	s_cbranch_execz .LBB61_25
; %bb.24:
	v_mul_f32_e32 v46, 0x3fb8aa3b, v42
	v_cmp_ngt_f32_e32 vcc_lo, 0xc2ce8ed0, v42
	s_delay_alu instid0(VALU_DEP_2) | instskip(SKIP_1) | instid1(VALU_DEP_2)
	v_rndne_f32_e32 v47, v46
	v_fma_f32 v48, 0x3fb8aa3b, v42, -v46
	v_sub_f32_e32 v46, v46, v47
	s_delay_alu instid0(VALU_DEP_2) | instskip(SKIP_1) | instid1(VALU_DEP_2)
	v_fmamk_f32 v48, v42, 0x32a5705f, v48
	v_cvt_i32_f32_e32 v47, v47
	v_add_f32_e32 v46, v46, v48
	s_delay_alu instid0(VALU_DEP_1) | instskip(SKIP_1) | instid1(TRANS32_DEP_1)
	v_exp_f32_e32 v46, v46
	v_nop
	v_ldexp_f32 v46, v46, v47
	s_delay_alu instid0(VALU_DEP_1) | instskip(SKIP_1) | instid1(VALU_DEP_2)
	v_cndmask_b32_e32 v46, 0, v46, vcc_lo
	v_cmp_nlt_f32_e32 vcc_lo, 0x42b17218, v42
	v_cndmask_b32_e32 v42, 0x7f800000, v46, vcc_lo
	s_delay_alu instid0(VALU_DEP_1) | instskip(NEXT) | instid1(VALU_DEP_1)
	v_dual_mul_f32 v24, v24, v42 :: v_dual_add_f32 v42, 1.0, v42
	v_div_scale_f32 v46, null, v42, v42, v24
	s_delay_alu instid0(VALU_DEP_1) | instskip(SKIP_1) | instid1(TRANS32_DEP_1)
	v_rcp_f32_e32 v47, v46
	v_nop
	v_fma_f32 v48, -v46, v47, 1.0
	s_delay_alu instid0(VALU_DEP_1) | instskip(SKIP_1) | instid1(VALU_DEP_1)
	v_fmac_f32_e32 v47, v48, v47
	v_div_scale_f32 v48, vcc_lo, v24, v42, v24
	v_mul_f32_e32 v49, v48, v47
	s_delay_alu instid0(VALU_DEP_1) | instskip(NEXT) | instid1(VALU_DEP_1)
	v_fma_f32 v50, -v46, v49, v48
	v_fmac_f32_e32 v49, v50, v47
	s_delay_alu instid0(VALU_DEP_1) | instskip(NEXT) | instid1(VALU_DEP_1)
	v_fma_f32 v46, -v46, v49, v48
	v_div_fmas_f32 v46, v46, v47, v49
	s_delay_alu instid0(VALU_DEP_1)
	v_div_fixup_f32 v24, v46, v42, v24
.LBB61_25:
	s_or_b32 exec_lo, exec_lo, s11
	v_lshrrev_b32_e32 v42, 16, v43
	s_mov_b32 s11, exec_lo
	s_delay_alu instid0(VALU_DEP_1) | instskip(NEXT) | instid1(VALU_DEP_1)
	v_cvt_f32_f16_e32 v42, v42
	v_mul_f32_e32 v42, s13, v42
	s_delay_alu instid0(VALU_DEP_1)
	v_cmpx_nlt_f32_e32 s14, v42
	s_cbranch_execz .LBB61_27
; %bb.26:
	v_mul_f32_e32 v43, 0x3fb8aa3b, v42
	v_cmp_ngt_f32_e32 vcc_lo, 0xc2ce8ed0, v42
	s_delay_alu instid0(VALU_DEP_2) | instskip(SKIP_1) | instid1(VALU_DEP_2)
	v_rndne_f32_e32 v46, v43
	v_fma_f32 v47, 0x3fb8aa3b, v42, -v43
	v_sub_f32_e32 v43, v43, v46
	s_delay_alu instid0(VALU_DEP_2) | instskip(SKIP_1) | instid1(VALU_DEP_2)
	v_fmamk_f32 v47, v42, 0x32a5705f, v47
	v_cvt_i32_f32_e32 v46, v46
	v_add_f32_e32 v43, v43, v47
	s_delay_alu instid0(VALU_DEP_1) | instskip(SKIP_1) | instid1(TRANS32_DEP_1)
	v_exp_f32_e32 v43, v43
	v_nop
	v_ldexp_f32 v43, v43, v46
	s_delay_alu instid0(VALU_DEP_1) | instskip(SKIP_1) | instid1(VALU_DEP_2)
	v_cndmask_b32_e32 v43, 0, v43, vcc_lo
	v_cmp_nlt_f32_e32 vcc_lo, 0x42b17218, v42
	v_cndmask_b32_e32 v42, 0x7f800000, v43, vcc_lo
	s_delay_alu instid0(VALU_DEP_1) | instskip(NEXT) | instid1(VALU_DEP_1)
	v_dual_mul_f32 v25, v25, v42 :: v_dual_add_f32 v42, 1.0, v42
	v_div_scale_f32 v43, null, v42, v42, v25
	s_delay_alu instid0(VALU_DEP_1) | instskip(SKIP_1) | instid1(TRANS32_DEP_1)
	v_rcp_f32_e32 v46, v43
	v_nop
	v_fma_f32 v47, -v43, v46, 1.0
	s_delay_alu instid0(VALU_DEP_1) | instskip(SKIP_1) | instid1(VALU_DEP_1)
	v_fmac_f32_e32 v46, v47, v46
	v_div_scale_f32 v47, vcc_lo, v25, v42, v25
	v_mul_f32_e32 v48, v47, v46
	s_delay_alu instid0(VALU_DEP_1) | instskip(NEXT) | instid1(VALU_DEP_1)
	v_fma_f32 v49, -v43, v48, v47
	v_fmac_f32_e32 v48, v49, v46
	s_delay_alu instid0(VALU_DEP_1) | instskip(NEXT) | instid1(VALU_DEP_1)
	v_fma_f32 v43, -v43, v48, v47
	v_div_fmas_f32 v43, v43, v46, v48
	s_delay_alu instid0(VALU_DEP_1)
	v_div_fixup_f32 v25, v43, v42, v25
.LBB61_27:
	s_or_b32 exec_lo, exec_lo, s11
	v_cvt_f32_f16_e32 v42, v44
	s_mov_b32 s11, exec_lo
	s_delay_alu instid0(VALU_DEP_1) | instskip(NEXT) | instid1(VALU_DEP_1)
	v_mul_f32_e32 v42, s13, v42
	v_cmpx_nlt_f32_e32 s14, v42
	s_cbranch_execz .LBB61_29
; %bb.28:
	v_mul_f32_e32 v43, 0x3fb8aa3b, v42
	v_cmp_ngt_f32_e32 vcc_lo, 0xc2ce8ed0, v42
	s_delay_alu instid0(VALU_DEP_2) | instskip(SKIP_1) | instid1(VALU_DEP_2)
	v_rndne_f32_e32 v46, v43
	v_fma_f32 v47, 0x3fb8aa3b, v42, -v43
	v_sub_f32_e32 v43, v43, v46
	s_delay_alu instid0(VALU_DEP_2) | instskip(SKIP_1) | instid1(VALU_DEP_2)
	v_fmamk_f32 v47, v42, 0x32a5705f, v47
	v_cvt_i32_f32_e32 v46, v46
	v_add_f32_e32 v43, v43, v47
	s_delay_alu instid0(VALU_DEP_1) | instskip(SKIP_1) | instid1(TRANS32_DEP_1)
	v_exp_f32_e32 v43, v43
	v_nop
	v_ldexp_f32 v43, v43, v46
	s_delay_alu instid0(VALU_DEP_1) | instskip(SKIP_1) | instid1(VALU_DEP_2)
	v_cndmask_b32_e32 v43, 0, v43, vcc_lo
	v_cmp_nlt_f32_e32 vcc_lo, 0x42b17218, v42
	v_cndmask_b32_e32 v42, 0x7f800000, v43, vcc_lo
	s_delay_alu instid0(VALU_DEP_1) | instskip(NEXT) | instid1(VALU_DEP_1)
	v_dual_mul_f32 v18, v18, v42 :: v_dual_add_f32 v42, 1.0, v42
	v_div_scale_f32 v43, null, v42, v42, v18
	s_delay_alu instid0(VALU_DEP_1) | instskip(SKIP_1) | instid1(TRANS32_DEP_1)
	v_rcp_f32_e32 v46, v43
	v_nop
	v_fma_f32 v47, -v43, v46, 1.0
	s_delay_alu instid0(VALU_DEP_1) | instskip(SKIP_1) | instid1(VALU_DEP_1)
	v_fmac_f32_e32 v46, v47, v46
	v_div_scale_f32 v47, vcc_lo, v18, v42, v18
	v_mul_f32_e32 v48, v47, v46
	s_delay_alu instid0(VALU_DEP_1) | instskip(NEXT) | instid1(VALU_DEP_1)
	v_fma_f32 v49, -v43, v48, v47
	v_fmac_f32_e32 v48, v49, v46
	s_delay_alu instid0(VALU_DEP_1) | instskip(NEXT) | instid1(VALU_DEP_1)
	v_fma_f32 v43, -v43, v48, v47
	v_div_fmas_f32 v43, v43, v46, v48
	s_delay_alu instid0(VALU_DEP_1)
	v_div_fixup_f32 v18, v43, v42, v18
.LBB61_29:
	s_or_b32 exec_lo, exec_lo, s11
	v_lshrrev_b32_e32 v42, 16, v44
	s_mov_b32 s11, exec_lo
	s_delay_alu instid0(VALU_DEP_1) | instskip(NEXT) | instid1(VALU_DEP_1)
	v_cvt_f32_f16_e32 v42, v42
	v_mul_f32_e32 v42, s13, v42
	s_delay_alu instid0(VALU_DEP_1)
	v_cmpx_nlt_f32_e32 s14, v42
	s_cbranch_execz .LBB61_31
; %bb.30:
	v_mul_f32_e32 v43, 0x3fb8aa3b, v42
	v_cmp_ngt_f32_e32 vcc_lo, 0xc2ce8ed0, v42
	s_delay_alu instid0(VALU_DEP_2) | instskip(SKIP_1) | instid1(VALU_DEP_1)
	v_rndne_f32_e32 v44, v43
	v_fma_f32 v46, 0x3fb8aa3b, v42, -v43
	v_dual_sub_f32 v43, v43, v44 :: v_dual_fmamk_f32 v46, v42, 0x32a5705f, v46
	v_cvt_i32_f32_e32 v44, v44
	s_delay_alu instid0(VALU_DEP_2) | instskip(NEXT) | instid1(VALU_DEP_1)
	v_add_f32_e32 v43, v43, v46
	v_exp_f32_e32 v43, v43
	v_nop
	s_delay_alu instid0(TRANS32_DEP_1) | instskip(NEXT) | instid1(VALU_DEP_1)
	v_ldexp_f32 v43, v43, v44
	v_cndmask_b32_e32 v43, 0, v43, vcc_lo
	v_cmp_nlt_f32_e32 vcc_lo, 0x42b17218, v42
	s_delay_alu instid0(VALU_DEP_2) | instskip(NEXT) | instid1(VALU_DEP_1)
	v_cndmask_b32_e32 v42, 0x7f800000, v43, vcc_lo
	v_dual_mul_f32 v19, v19, v42 :: v_dual_add_f32 v42, 1.0, v42
	s_delay_alu instid0(VALU_DEP_1) | instskip(NEXT) | instid1(VALU_DEP_1)
	v_div_scale_f32 v43, null, v42, v42, v19
	v_rcp_f32_e32 v44, v43
	v_nop
	s_delay_alu instid0(TRANS32_DEP_1) | instskip(NEXT) | instid1(VALU_DEP_1)
	v_fma_f32 v46, -v43, v44, 1.0
	v_fmac_f32_e32 v44, v46, v44
	v_div_scale_f32 v46, vcc_lo, v19, v42, v19
	s_delay_alu instid0(VALU_DEP_1) | instskip(NEXT) | instid1(VALU_DEP_1)
	v_mul_f32_e32 v47, v46, v44
	v_fma_f32 v48, -v43, v47, v46
	s_delay_alu instid0(VALU_DEP_1) | instskip(NEXT) | instid1(VALU_DEP_1)
	v_fmac_f32_e32 v47, v48, v44
	v_fma_f32 v43, -v43, v47, v46
	s_delay_alu instid0(VALU_DEP_1) | instskip(NEXT) | instid1(VALU_DEP_1)
	v_div_fmas_f32 v43, v43, v44, v47
	v_div_fixup_f32 v19, v43, v42, v19
.LBB61_31:
	s_or_b32 exec_lo, exec_lo, s11
	v_cvt_f32_f16_e32 v42, v45
	s_mov_b32 s11, exec_lo
	s_delay_alu instid0(VALU_DEP_1) | instskip(NEXT) | instid1(VALU_DEP_1)
	v_mul_f32_e32 v42, s13, v42
	v_cmpx_nlt_f32_e32 s14, v42
	s_cbranch_execz .LBB61_33
; %bb.32:
	v_mul_f32_e32 v43, 0x3fb8aa3b, v42
	v_cmp_ngt_f32_e32 vcc_lo, 0xc2ce8ed0, v42
	s_delay_alu instid0(VALU_DEP_2) | instskip(SKIP_1) | instid1(VALU_DEP_1)
	v_rndne_f32_e32 v44, v43
	v_fma_f32 v46, 0x3fb8aa3b, v42, -v43
	v_dual_sub_f32 v43, v43, v44 :: v_dual_fmamk_f32 v46, v42, 0x32a5705f, v46
	v_cvt_i32_f32_e32 v44, v44
	s_delay_alu instid0(VALU_DEP_2) | instskip(NEXT) | instid1(VALU_DEP_1)
	v_add_f32_e32 v43, v43, v46
	v_exp_f32_e32 v43, v43
	v_nop
	s_delay_alu instid0(TRANS32_DEP_1) | instskip(NEXT) | instid1(VALU_DEP_1)
	v_ldexp_f32 v43, v43, v44
	v_cndmask_b32_e32 v43, 0, v43, vcc_lo
	v_cmp_nlt_f32_e32 vcc_lo, 0x42b17218, v42
	s_delay_alu instid0(VALU_DEP_2) | instskip(NEXT) | instid1(VALU_DEP_1)
	v_cndmask_b32_e32 v42, 0x7f800000, v43, vcc_lo
	v_dual_mul_f32 v20, v20, v42 :: v_dual_add_f32 v42, 1.0, v42
	s_delay_alu instid0(VALU_DEP_1) | instskip(NEXT) | instid1(VALU_DEP_1)
	v_div_scale_f32 v43, null, v42, v42, v20
	v_rcp_f32_e32 v44, v43
	v_nop
	s_delay_alu instid0(TRANS32_DEP_1) | instskip(NEXT) | instid1(VALU_DEP_1)
	v_fma_f32 v46, -v43, v44, 1.0
	v_fmac_f32_e32 v44, v46, v44
	v_div_scale_f32 v46, vcc_lo, v20, v42, v20
	s_delay_alu instid0(VALU_DEP_1) | instskip(NEXT) | instid1(VALU_DEP_1)
	v_mul_f32_e32 v47, v46, v44
	v_fma_f32 v48, -v43, v47, v46
	s_delay_alu instid0(VALU_DEP_1) | instskip(NEXT) | instid1(VALU_DEP_1)
	v_fmac_f32_e32 v47, v48, v44
	v_fma_f32 v43, -v43, v47, v46
	s_delay_alu instid0(VALU_DEP_1) | instskip(NEXT) | instid1(VALU_DEP_1)
	v_div_fmas_f32 v43, v43, v44, v47
	v_div_fixup_f32 v20, v43, v42, v20
.LBB61_33:
	s_or_b32 exec_lo, exec_lo, s11
	v_lshrrev_b32_e32 v42, 16, v45
	s_mov_b32 s11, exec_lo
	s_delay_alu instid0(VALU_DEP_1) | instskip(NEXT) | instid1(VALU_DEP_1)
	v_cvt_f32_f16_e32 v42, v42
	v_mul_f32_e32 v42, s13, v42
	s_delay_alu instid0(VALU_DEP_1)
	v_cmpx_nlt_f32_e32 s14, v42
	s_cbranch_execz .LBB61_35
; %bb.34:
	v_mul_f32_e32 v43, 0x3fb8aa3b, v42
	v_cmp_ngt_f32_e32 vcc_lo, 0xc2ce8ed0, v42
	s_delay_alu instid0(VALU_DEP_2) | instskip(SKIP_1) | instid1(VALU_DEP_2)
	v_rndne_f32_e32 v44, v43
	v_fma_f32 v45, 0x3fb8aa3b, v42, -v43
	v_sub_f32_e32 v43, v43, v44
	s_delay_alu instid0(VALU_DEP_2) | instskip(SKIP_1) | instid1(VALU_DEP_2)
	v_fmamk_f32 v45, v42, 0x32a5705f, v45
	v_cvt_i32_f32_e32 v44, v44
	v_add_f32_e32 v43, v43, v45
	s_delay_alu instid0(VALU_DEP_1) | instskip(SKIP_1) | instid1(TRANS32_DEP_1)
	v_exp_f32_e32 v43, v43
	v_nop
	v_ldexp_f32 v43, v43, v44
	s_delay_alu instid0(VALU_DEP_1) | instskip(SKIP_1) | instid1(VALU_DEP_2)
	v_cndmask_b32_e32 v43, 0, v43, vcc_lo
	v_cmp_nlt_f32_e32 vcc_lo, 0x42b17218, v42
	v_cndmask_b32_e32 v42, 0x7f800000, v43, vcc_lo
	s_delay_alu instid0(VALU_DEP_1) | instskip(NEXT) | instid1(VALU_DEP_1)
	v_dual_mul_f32 v21, v21, v42 :: v_dual_add_f32 v42, 1.0, v42
	v_div_scale_f32 v43, null, v42, v42, v21
	s_delay_alu instid0(VALU_DEP_1) | instskip(SKIP_1) | instid1(TRANS32_DEP_1)
	v_rcp_f32_e32 v44, v43
	v_nop
	v_fma_f32 v45, -v43, v44, 1.0
	s_delay_alu instid0(VALU_DEP_1) | instskip(SKIP_1) | instid1(VALU_DEP_1)
	v_fmac_f32_e32 v44, v45, v44
	v_div_scale_f32 v45, vcc_lo, v21, v42, v21
	v_mul_f32_e32 v46, v45, v44
	s_delay_alu instid0(VALU_DEP_1) | instskip(NEXT) | instid1(VALU_DEP_1)
	v_fma_f32 v47, -v43, v46, v45
	v_fmac_f32_e32 v46, v47, v44
	s_delay_alu instid0(VALU_DEP_1) | instskip(NEXT) | instid1(VALU_DEP_1)
	v_fma_f32 v43, -v43, v46, v45
	v_div_fmas_f32 v43, v43, v44, v46
	s_delay_alu instid0(VALU_DEP_1)
	v_div_fixup_f32 v21, v43, v42, v21
.LBB61_35:
	s_or_b32 exec_lo, exec_lo, s11
	s_wait_loadcnt 0x1
	v_cvt_f32_f16_e32 v42, v38
	s_mov_b32 s11, exec_lo
	s_delay_alu instid0(VALU_DEP_1) | instskip(NEXT) | instid1(VALU_DEP_1)
	v_mul_f32_e32 v42, s13, v42
	v_cmpx_nlt_f32_e32 s14, v42
	s_cbranch_execz .LBB61_37
; %bb.36:
	v_mul_f32_e32 v43, 0x3fb8aa3b, v42
	v_cmp_ngt_f32_e32 vcc_lo, 0xc2ce8ed0, v42
	s_delay_alu instid0(VALU_DEP_2) | instskip(SKIP_1) | instid1(VALU_DEP_2)
	v_rndne_f32_e32 v44, v43
	v_fma_f32 v45, 0x3fb8aa3b, v42, -v43
	v_sub_f32_e32 v43, v43, v44
	s_delay_alu instid0(VALU_DEP_2) | instskip(SKIP_1) | instid1(VALU_DEP_2)
	v_fmamk_f32 v45, v42, 0x32a5705f, v45
	v_cvt_i32_f32_e32 v44, v44
	v_add_f32_e32 v43, v43, v45
	s_delay_alu instid0(VALU_DEP_1) | instskip(SKIP_1) | instid1(TRANS32_DEP_1)
	v_exp_f32_e32 v43, v43
	v_nop
	v_ldexp_f32 v43, v43, v44
	s_delay_alu instid0(VALU_DEP_1) | instskip(SKIP_1) | instid1(VALU_DEP_2)
	v_cndmask_b32_e32 v43, 0, v43, vcc_lo
	v_cmp_nlt_f32_e32 vcc_lo, 0x42b17218, v42
	v_cndmask_b32_e32 v42, 0x7f800000, v43, vcc_lo
	s_delay_alu instid0(VALU_DEP_1) | instskip(NEXT) | instid1(VALU_DEP_1)
	v_dual_mul_f32 v14, v14, v42 :: v_dual_add_f32 v42, 1.0, v42
	v_div_scale_f32 v43, null, v42, v42, v14
	s_delay_alu instid0(VALU_DEP_1) | instskip(SKIP_1) | instid1(TRANS32_DEP_1)
	v_rcp_f32_e32 v44, v43
	v_nop
	v_fma_f32 v45, -v43, v44, 1.0
	s_delay_alu instid0(VALU_DEP_1) | instskip(SKIP_1) | instid1(VALU_DEP_1)
	v_fmac_f32_e32 v44, v45, v44
	v_div_scale_f32 v45, vcc_lo, v14, v42, v14
	v_mul_f32_e32 v46, v45, v44
	s_delay_alu instid0(VALU_DEP_1) | instskip(NEXT) | instid1(VALU_DEP_1)
	v_fma_f32 v47, -v43, v46, v45
	v_fmac_f32_e32 v46, v47, v44
	s_delay_alu instid0(VALU_DEP_1) | instskip(NEXT) | instid1(VALU_DEP_1)
	v_fma_f32 v43, -v43, v46, v45
	v_div_fmas_f32 v43, v43, v44, v46
	s_delay_alu instid0(VALU_DEP_1)
	v_div_fixup_f32 v14, v43, v42, v14
.LBB61_37:
	s_or_b32 exec_lo, exec_lo, s11
	v_lshrrev_b32_e32 v38, 16, v38
	s_mov_b32 s11, exec_lo
	s_delay_alu instid0(VALU_DEP_1) | instskip(NEXT) | instid1(VALU_DEP_1)
	v_cvt_f32_f16_e32 v38, v38
	v_mul_f32_e32 v38, s13, v38
	s_delay_alu instid0(VALU_DEP_1)
	v_cmpx_nlt_f32_e32 s14, v38
	s_cbranch_execz .LBB61_39
; %bb.38:
	v_mul_f32_e32 v42, 0x3fb8aa3b, v38
	v_cmp_ngt_f32_e32 vcc_lo, 0xc2ce8ed0, v38
	s_delay_alu instid0(VALU_DEP_2) | instskip(SKIP_1) | instid1(VALU_DEP_2)
	v_rndne_f32_e32 v43, v42
	v_fma_f32 v44, 0x3fb8aa3b, v38, -v42
	v_sub_f32_e32 v42, v42, v43
	s_delay_alu instid0(VALU_DEP_2) | instskip(SKIP_1) | instid1(VALU_DEP_2)
	v_fmamk_f32 v44, v38, 0x32a5705f, v44
	v_cvt_i32_f32_e32 v43, v43
	v_add_f32_e32 v42, v42, v44
	s_delay_alu instid0(VALU_DEP_1) | instskip(SKIP_1) | instid1(TRANS32_DEP_1)
	v_exp_f32_e32 v42, v42
	v_nop
	v_ldexp_f32 v42, v42, v43
	s_delay_alu instid0(VALU_DEP_1) | instskip(SKIP_1) | instid1(VALU_DEP_2)
	v_cndmask_b32_e32 v42, 0, v42, vcc_lo
	v_cmp_nlt_f32_e32 vcc_lo, 0x42b17218, v38
	v_cndmask_b32_e32 v38, 0x7f800000, v42, vcc_lo
	s_delay_alu instid0(VALU_DEP_1) | instskip(NEXT) | instid1(VALU_DEP_1)
	v_dual_mul_f32 v15, v15, v38 :: v_dual_add_f32 v38, 1.0, v38
	v_div_scale_f32 v42, null, v38, v38, v15
	s_delay_alu instid0(VALU_DEP_1) | instskip(SKIP_1) | instid1(TRANS32_DEP_1)
	v_rcp_f32_e32 v43, v42
	v_nop
	v_fma_f32 v44, -v42, v43, 1.0
	s_delay_alu instid0(VALU_DEP_1) | instskip(SKIP_1) | instid1(VALU_DEP_1)
	v_fmac_f32_e32 v43, v44, v43
	v_div_scale_f32 v44, vcc_lo, v15, v38, v15
	v_mul_f32_e32 v45, v44, v43
	s_delay_alu instid0(VALU_DEP_1) | instskip(NEXT) | instid1(VALU_DEP_1)
	v_fma_f32 v46, -v42, v45, v44
	v_fmac_f32_e32 v45, v46, v43
	s_delay_alu instid0(VALU_DEP_1) | instskip(NEXT) | instid1(VALU_DEP_1)
	v_fma_f32 v42, -v42, v45, v44
	v_div_fmas_f32 v42, v42, v43, v45
	s_delay_alu instid0(VALU_DEP_1)
	v_div_fixup_f32 v15, v42, v38, v15
.LBB61_39:
	s_or_b32 exec_lo, exec_lo, s11
	v_cvt_f32_f16_e32 v38, v39
	s_mov_b32 s11, exec_lo
	s_delay_alu instid0(VALU_DEP_1) | instskip(NEXT) | instid1(VALU_DEP_1)
	v_mul_f32_e32 v38, s13, v38
	v_cmpx_nlt_f32_e32 s14, v38
	s_cbranch_execz .LBB61_41
; %bb.40:
	v_mul_f32_e32 v42, 0x3fb8aa3b, v38
	v_cmp_ngt_f32_e32 vcc_lo, 0xc2ce8ed0, v38
	s_delay_alu instid0(VALU_DEP_2) | instskip(SKIP_1) | instid1(VALU_DEP_2)
	v_rndne_f32_e32 v43, v42
	v_fma_f32 v44, 0x3fb8aa3b, v38, -v42
	v_sub_f32_e32 v42, v42, v43
	s_delay_alu instid0(VALU_DEP_2) | instskip(SKIP_1) | instid1(VALU_DEP_2)
	v_fmamk_f32 v44, v38, 0x32a5705f, v44
	v_cvt_i32_f32_e32 v43, v43
	v_add_f32_e32 v42, v42, v44
	s_delay_alu instid0(VALU_DEP_1) | instskip(SKIP_1) | instid1(TRANS32_DEP_1)
	v_exp_f32_e32 v42, v42
	v_nop
	v_ldexp_f32 v42, v42, v43
	s_delay_alu instid0(VALU_DEP_1) | instskip(SKIP_1) | instid1(VALU_DEP_2)
	v_cndmask_b32_e32 v42, 0, v42, vcc_lo
	v_cmp_nlt_f32_e32 vcc_lo, 0x42b17218, v38
	v_cndmask_b32_e32 v38, 0x7f800000, v42, vcc_lo
	s_delay_alu instid0(VALU_DEP_1) | instskip(NEXT) | instid1(VALU_DEP_1)
	v_dual_mul_f32 v16, v16, v38 :: v_dual_add_f32 v38, 1.0, v38
	v_div_scale_f32 v42, null, v38, v38, v16
	s_delay_alu instid0(VALU_DEP_1) | instskip(SKIP_1) | instid1(TRANS32_DEP_1)
	v_rcp_f32_e32 v43, v42
	v_nop
	v_fma_f32 v44, -v42, v43, 1.0
	s_delay_alu instid0(VALU_DEP_1) | instskip(SKIP_1) | instid1(VALU_DEP_1)
	v_fmac_f32_e32 v43, v44, v43
	v_div_scale_f32 v44, vcc_lo, v16, v38, v16
	v_mul_f32_e32 v45, v44, v43
	s_delay_alu instid0(VALU_DEP_1) | instskip(NEXT) | instid1(VALU_DEP_1)
	v_fma_f32 v46, -v42, v45, v44
	v_fmac_f32_e32 v45, v46, v43
	s_delay_alu instid0(VALU_DEP_1) | instskip(NEXT) | instid1(VALU_DEP_1)
	v_fma_f32 v42, -v42, v45, v44
	v_div_fmas_f32 v42, v42, v43, v45
	s_delay_alu instid0(VALU_DEP_1)
	v_div_fixup_f32 v16, v42, v38, v16
.LBB61_41:
	s_or_b32 exec_lo, exec_lo, s11
	v_lshrrev_b32_e32 v38, 16, v39
	s_mov_b32 s11, exec_lo
	s_delay_alu instid0(VALU_DEP_1) | instskip(NEXT) | instid1(VALU_DEP_1)
	v_cvt_f32_f16_e32 v38, v38
	v_mul_f32_e32 v38, s13, v38
	s_delay_alu instid0(VALU_DEP_1)
	v_cmpx_nlt_f32_e32 s14, v38
	s_cbranch_execz .LBB61_43
; %bb.42:
	v_mul_f32_e32 v39, 0x3fb8aa3b, v38
	v_cmp_ngt_f32_e32 vcc_lo, 0xc2ce8ed0, v38
	s_delay_alu instid0(VALU_DEP_2) | instskip(SKIP_1) | instid1(VALU_DEP_2)
	v_rndne_f32_e32 v42, v39
	v_fma_f32 v43, 0x3fb8aa3b, v38, -v39
	v_sub_f32_e32 v39, v39, v42
	s_delay_alu instid0(VALU_DEP_2) | instskip(SKIP_1) | instid1(VALU_DEP_2)
	v_fmamk_f32 v43, v38, 0x32a5705f, v43
	v_cvt_i32_f32_e32 v42, v42
	v_add_f32_e32 v39, v39, v43
	s_delay_alu instid0(VALU_DEP_1) | instskip(SKIP_1) | instid1(TRANS32_DEP_1)
	v_exp_f32_e32 v39, v39
	v_nop
	v_ldexp_f32 v39, v39, v42
	s_delay_alu instid0(VALU_DEP_1) | instskip(SKIP_1) | instid1(VALU_DEP_2)
	v_cndmask_b32_e32 v39, 0, v39, vcc_lo
	v_cmp_nlt_f32_e32 vcc_lo, 0x42b17218, v38
	v_cndmask_b32_e32 v38, 0x7f800000, v39, vcc_lo
	s_delay_alu instid0(VALU_DEP_1) | instskip(NEXT) | instid1(VALU_DEP_1)
	v_dual_mul_f32 v17, v17, v38 :: v_dual_add_f32 v38, 1.0, v38
	v_div_scale_f32 v39, null, v38, v38, v17
	s_delay_alu instid0(VALU_DEP_1) | instskip(SKIP_1) | instid1(TRANS32_DEP_1)
	v_rcp_f32_e32 v42, v39
	v_nop
	v_fma_f32 v43, -v39, v42, 1.0
	s_delay_alu instid0(VALU_DEP_1) | instskip(SKIP_1) | instid1(VALU_DEP_1)
	v_fmac_f32_e32 v42, v43, v42
	v_div_scale_f32 v43, vcc_lo, v17, v38, v17
	v_mul_f32_e32 v44, v43, v42
	s_delay_alu instid0(VALU_DEP_1) | instskip(NEXT) | instid1(VALU_DEP_1)
	v_fma_f32 v45, -v39, v44, v43
	v_fmac_f32_e32 v44, v45, v42
	s_delay_alu instid0(VALU_DEP_1) | instskip(NEXT) | instid1(VALU_DEP_1)
	v_fma_f32 v39, -v39, v44, v43
	v_div_fmas_f32 v39, v39, v42, v44
	s_delay_alu instid0(VALU_DEP_1)
	v_div_fixup_f32 v17, v39, v38, v17
.LBB61_43:
	s_or_b32 exec_lo, exec_lo, s11
	v_cvt_f32_f16_e32 v38, v40
	s_mov_b32 s11, exec_lo
	s_delay_alu instid0(VALU_DEP_1) | instskip(NEXT) | instid1(VALU_DEP_1)
	v_mul_f32_e32 v38, s13, v38
	v_cmpx_nlt_f32_e32 s14, v38
	s_cbranch_execz .LBB61_45
; %bb.44:
	v_mul_f32_e32 v39, 0x3fb8aa3b, v38
	v_cmp_ngt_f32_e32 vcc_lo, 0xc2ce8ed0, v38
	s_delay_alu instid0(VALU_DEP_2) | instskip(SKIP_1) | instid1(VALU_DEP_2)
	v_rndne_f32_e32 v42, v39
	v_fma_f32 v43, 0x3fb8aa3b, v38, -v39
	v_sub_f32_e32 v39, v39, v42
	s_delay_alu instid0(VALU_DEP_2) | instskip(SKIP_1) | instid1(VALU_DEP_2)
	v_fmamk_f32 v43, v38, 0x32a5705f, v43
	v_cvt_i32_f32_e32 v42, v42
	v_add_f32_e32 v39, v39, v43
	s_delay_alu instid0(VALU_DEP_1) | instskip(SKIP_1) | instid1(TRANS32_DEP_1)
	v_exp_f32_e32 v39, v39
	v_nop
	v_ldexp_f32 v39, v39, v42
	s_delay_alu instid0(VALU_DEP_1) | instskip(SKIP_1) | instid1(VALU_DEP_2)
	v_cndmask_b32_e32 v39, 0, v39, vcc_lo
	v_cmp_nlt_f32_e32 vcc_lo, 0x42b17218, v38
	v_cndmask_b32_e32 v38, 0x7f800000, v39, vcc_lo
	s_delay_alu instid0(VALU_DEP_1) | instskip(NEXT) | instid1(VALU_DEP_1)
	v_dual_mul_f32 v10, v10, v38 :: v_dual_add_f32 v38, 1.0, v38
	v_div_scale_f32 v39, null, v38, v38, v10
	s_delay_alu instid0(VALU_DEP_1) | instskip(SKIP_1) | instid1(TRANS32_DEP_1)
	v_rcp_f32_e32 v42, v39
	v_nop
	v_fma_f32 v43, -v39, v42, 1.0
	s_delay_alu instid0(VALU_DEP_1) | instskip(SKIP_1) | instid1(VALU_DEP_1)
	v_fmac_f32_e32 v42, v43, v42
	v_div_scale_f32 v43, vcc_lo, v10, v38, v10
	v_mul_f32_e32 v44, v43, v42
	s_delay_alu instid0(VALU_DEP_1) | instskip(NEXT) | instid1(VALU_DEP_1)
	v_fma_f32 v45, -v39, v44, v43
	v_fmac_f32_e32 v44, v45, v42
	s_delay_alu instid0(VALU_DEP_1) | instskip(NEXT) | instid1(VALU_DEP_1)
	v_fma_f32 v39, -v39, v44, v43
	v_div_fmas_f32 v39, v39, v42, v44
	s_delay_alu instid0(VALU_DEP_1)
	v_div_fixup_f32 v10, v39, v38, v10
.LBB61_45:
	s_or_b32 exec_lo, exec_lo, s11
	v_lshrrev_b32_e32 v38, 16, v40
	s_mov_b32 s11, exec_lo
	s_delay_alu instid0(VALU_DEP_1) | instskip(NEXT) | instid1(VALU_DEP_1)
	v_cvt_f32_f16_e32 v38, v38
	v_mul_f32_e32 v38, s13, v38
	s_delay_alu instid0(VALU_DEP_1)
	v_cmpx_nlt_f32_e32 s14, v38
	s_cbranch_execz .LBB61_47
; %bb.46:
	v_mul_f32_e32 v39, 0x3fb8aa3b, v38
	v_cmp_ngt_f32_e32 vcc_lo, 0xc2ce8ed0, v38
	s_delay_alu instid0(VALU_DEP_2) | instskip(SKIP_1) | instid1(VALU_DEP_1)
	v_rndne_f32_e32 v40, v39
	v_fma_f32 v42, 0x3fb8aa3b, v38, -v39
	v_dual_sub_f32 v39, v39, v40 :: v_dual_fmamk_f32 v42, v38, 0x32a5705f, v42
	v_cvt_i32_f32_e32 v40, v40
	s_delay_alu instid0(VALU_DEP_2) | instskip(NEXT) | instid1(VALU_DEP_1)
	v_add_f32_e32 v39, v39, v42
	v_exp_f32_e32 v39, v39
	v_nop
	s_delay_alu instid0(TRANS32_DEP_1) | instskip(NEXT) | instid1(VALU_DEP_1)
	v_ldexp_f32 v39, v39, v40
	v_cndmask_b32_e32 v39, 0, v39, vcc_lo
	v_cmp_nlt_f32_e32 vcc_lo, 0x42b17218, v38
	s_delay_alu instid0(VALU_DEP_2) | instskip(NEXT) | instid1(VALU_DEP_1)
	v_cndmask_b32_e32 v38, 0x7f800000, v39, vcc_lo
	v_dual_mul_f32 v11, v11, v38 :: v_dual_add_f32 v38, 1.0, v38
	s_delay_alu instid0(VALU_DEP_1) | instskip(NEXT) | instid1(VALU_DEP_1)
	v_div_scale_f32 v39, null, v38, v38, v11
	v_rcp_f32_e32 v40, v39
	v_nop
	s_delay_alu instid0(TRANS32_DEP_1) | instskip(NEXT) | instid1(VALU_DEP_1)
	v_fma_f32 v42, -v39, v40, 1.0
	v_fmac_f32_e32 v40, v42, v40
	v_div_scale_f32 v42, vcc_lo, v11, v38, v11
	s_delay_alu instid0(VALU_DEP_1) | instskip(NEXT) | instid1(VALU_DEP_1)
	v_mul_f32_e32 v43, v42, v40
	v_fma_f32 v44, -v39, v43, v42
	s_delay_alu instid0(VALU_DEP_1) | instskip(NEXT) | instid1(VALU_DEP_1)
	v_fmac_f32_e32 v43, v44, v40
	v_fma_f32 v39, -v39, v43, v42
	s_delay_alu instid0(VALU_DEP_1) | instskip(NEXT) | instid1(VALU_DEP_1)
	v_div_fmas_f32 v39, v39, v40, v43
	v_div_fixup_f32 v11, v39, v38, v11
.LBB61_47:
	s_or_b32 exec_lo, exec_lo, s11
	v_cvt_f32_f16_e32 v38, v41
	s_mov_b32 s11, exec_lo
	s_delay_alu instid0(VALU_DEP_1) | instskip(NEXT) | instid1(VALU_DEP_1)
	v_mul_f32_e32 v38, s13, v38
	v_cmpx_nlt_f32_e32 s14, v38
	s_cbranch_execz .LBB61_49
; %bb.48:
	v_mul_f32_e32 v39, 0x3fb8aa3b, v38
	v_cmp_ngt_f32_e32 vcc_lo, 0xc2ce8ed0, v38
	s_delay_alu instid0(VALU_DEP_2) | instskip(SKIP_1) | instid1(VALU_DEP_1)
	v_rndne_f32_e32 v40, v39
	v_fma_f32 v42, 0x3fb8aa3b, v38, -v39
	v_dual_sub_f32 v39, v39, v40 :: v_dual_fmamk_f32 v42, v38, 0x32a5705f, v42
	v_cvt_i32_f32_e32 v40, v40
	s_delay_alu instid0(VALU_DEP_2) | instskip(NEXT) | instid1(VALU_DEP_1)
	v_add_f32_e32 v39, v39, v42
	v_exp_f32_e32 v39, v39
	v_nop
	s_delay_alu instid0(TRANS32_DEP_1) | instskip(NEXT) | instid1(VALU_DEP_1)
	v_ldexp_f32 v39, v39, v40
	v_cndmask_b32_e32 v39, 0, v39, vcc_lo
	v_cmp_nlt_f32_e32 vcc_lo, 0x42b17218, v38
	s_delay_alu instid0(VALU_DEP_2) | instskip(NEXT) | instid1(VALU_DEP_1)
	v_cndmask_b32_e32 v38, 0x7f800000, v39, vcc_lo
	v_dual_mul_f32 v12, v12, v38 :: v_dual_add_f32 v38, 1.0, v38
	s_delay_alu instid0(VALU_DEP_1) | instskip(NEXT) | instid1(VALU_DEP_1)
	v_div_scale_f32 v39, null, v38, v38, v12
	v_rcp_f32_e32 v40, v39
	v_nop
	s_delay_alu instid0(TRANS32_DEP_1) | instskip(NEXT) | instid1(VALU_DEP_1)
	v_fma_f32 v42, -v39, v40, 1.0
	v_fmac_f32_e32 v40, v42, v40
	v_div_scale_f32 v42, vcc_lo, v12, v38, v12
	s_delay_alu instid0(VALU_DEP_1) | instskip(NEXT) | instid1(VALU_DEP_1)
	v_mul_f32_e32 v43, v42, v40
	v_fma_f32 v44, -v39, v43, v42
	s_delay_alu instid0(VALU_DEP_1) | instskip(NEXT) | instid1(VALU_DEP_1)
	v_fmac_f32_e32 v43, v44, v40
	v_fma_f32 v39, -v39, v43, v42
	s_delay_alu instid0(VALU_DEP_1) | instskip(NEXT) | instid1(VALU_DEP_1)
	v_div_fmas_f32 v39, v39, v40, v43
	v_div_fixup_f32 v12, v39, v38, v12
.LBB61_49:
	s_or_b32 exec_lo, exec_lo, s11
	v_lshrrev_b32_e32 v38, 16, v41
	s_mov_b32 s11, exec_lo
	s_delay_alu instid0(VALU_DEP_1) | instskip(NEXT) | instid1(VALU_DEP_1)
	v_cvt_f32_f16_e32 v38, v38
	v_mul_f32_e32 v38, s13, v38
	s_delay_alu instid0(VALU_DEP_1)
	v_cmpx_nlt_f32_e32 s14, v38
	s_cbranch_execz .LBB61_51
; %bb.50:
	v_mul_f32_e32 v39, 0x3fb8aa3b, v38
	v_cmp_ngt_f32_e32 vcc_lo, 0xc2ce8ed0, v38
	s_delay_alu instid0(VALU_DEP_2) | instskip(SKIP_1) | instid1(VALU_DEP_2)
	v_rndne_f32_e32 v40, v39
	v_fma_f32 v41, 0x3fb8aa3b, v38, -v39
	v_sub_f32_e32 v39, v39, v40
	s_delay_alu instid0(VALU_DEP_2) | instskip(SKIP_1) | instid1(VALU_DEP_2)
	v_fmamk_f32 v41, v38, 0x32a5705f, v41
	v_cvt_i32_f32_e32 v40, v40
	v_add_f32_e32 v39, v39, v41
	s_delay_alu instid0(VALU_DEP_1) | instskip(SKIP_1) | instid1(TRANS32_DEP_1)
	v_exp_f32_e32 v39, v39
	v_nop
	v_ldexp_f32 v39, v39, v40
	s_delay_alu instid0(VALU_DEP_1) | instskip(SKIP_1) | instid1(VALU_DEP_2)
	v_cndmask_b32_e32 v39, 0, v39, vcc_lo
	v_cmp_nlt_f32_e32 vcc_lo, 0x42b17218, v38
	v_cndmask_b32_e32 v38, 0x7f800000, v39, vcc_lo
	s_delay_alu instid0(VALU_DEP_1) | instskip(NEXT) | instid1(VALU_DEP_1)
	v_dual_mul_f32 v13, v13, v38 :: v_dual_add_f32 v38, 1.0, v38
	v_div_scale_f32 v39, null, v38, v38, v13
	s_delay_alu instid0(VALU_DEP_1) | instskip(SKIP_1) | instid1(TRANS32_DEP_1)
	v_rcp_f32_e32 v40, v39
	v_nop
	v_fma_f32 v41, -v39, v40, 1.0
	s_delay_alu instid0(VALU_DEP_1) | instskip(SKIP_1) | instid1(VALU_DEP_1)
	v_fmac_f32_e32 v40, v41, v40
	v_div_scale_f32 v41, vcc_lo, v13, v38, v13
	v_mul_f32_e32 v42, v41, v40
	s_delay_alu instid0(VALU_DEP_1) | instskip(NEXT) | instid1(VALU_DEP_1)
	v_fma_f32 v43, -v39, v42, v41
	v_fmac_f32_e32 v42, v43, v40
	s_delay_alu instid0(VALU_DEP_1) | instskip(NEXT) | instid1(VALU_DEP_1)
	v_fma_f32 v39, -v39, v42, v41
	v_div_fmas_f32 v39, v39, v40, v42
	s_delay_alu instid0(VALU_DEP_1)
	v_div_fixup_f32 v13, v39, v38, v13
.LBB61_51:
	s_or_b32 exec_lo, exec_lo, s11
	s_wait_loadcnt 0x0
	v_cvt_f32_f16_e32 v38, v34
	s_mov_b32 s11, exec_lo
	s_delay_alu instid0(VALU_DEP_1) | instskip(NEXT) | instid1(VALU_DEP_1)
	v_mul_f32_e32 v38, s13, v38
	v_cmpx_nlt_f32_e32 s14, v38
	s_cbranch_execz .LBB61_53
; %bb.52:
	v_mul_f32_e32 v39, 0x3fb8aa3b, v38
	v_cmp_ngt_f32_e32 vcc_lo, 0xc2ce8ed0, v38
	s_delay_alu instid0(VALU_DEP_2) | instskip(SKIP_1) | instid1(VALU_DEP_2)
	v_rndne_f32_e32 v40, v39
	v_fma_f32 v41, 0x3fb8aa3b, v38, -v39
	v_sub_f32_e32 v39, v39, v40
	s_delay_alu instid0(VALU_DEP_2) | instskip(SKIP_1) | instid1(VALU_DEP_2)
	v_fmamk_f32 v41, v38, 0x32a5705f, v41
	v_cvt_i32_f32_e32 v40, v40
	v_add_f32_e32 v39, v39, v41
	s_delay_alu instid0(VALU_DEP_1) | instskip(SKIP_1) | instid1(TRANS32_DEP_1)
	v_exp_f32_e32 v39, v39
	v_nop
	v_ldexp_f32 v39, v39, v40
	s_delay_alu instid0(VALU_DEP_1) | instskip(SKIP_1) | instid1(VALU_DEP_2)
	v_cndmask_b32_e32 v39, 0, v39, vcc_lo
	v_cmp_nlt_f32_e32 vcc_lo, 0x42b17218, v38
	v_cndmask_b32_e32 v38, 0x7f800000, v39, vcc_lo
	s_delay_alu instid0(VALU_DEP_1) | instskip(NEXT) | instid1(VALU_DEP_1)
	v_dual_mul_f32 v6, v6, v38 :: v_dual_add_f32 v38, 1.0, v38
	v_div_scale_f32 v39, null, v38, v38, v6
	s_delay_alu instid0(VALU_DEP_1) | instskip(SKIP_1) | instid1(TRANS32_DEP_1)
	v_rcp_f32_e32 v40, v39
	v_nop
	v_fma_f32 v41, -v39, v40, 1.0
	s_delay_alu instid0(VALU_DEP_1) | instskip(SKIP_1) | instid1(VALU_DEP_1)
	v_fmac_f32_e32 v40, v41, v40
	v_div_scale_f32 v41, vcc_lo, v6, v38, v6
	v_mul_f32_e32 v42, v41, v40
	s_delay_alu instid0(VALU_DEP_1) | instskip(NEXT) | instid1(VALU_DEP_1)
	v_fma_f32 v43, -v39, v42, v41
	v_fmac_f32_e32 v42, v43, v40
	s_delay_alu instid0(VALU_DEP_1) | instskip(NEXT) | instid1(VALU_DEP_1)
	v_fma_f32 v39, -v39, v42, v41
	v_div_fmas_f32 v39, v39, v40, v42
	s_delay_alu instid0(VALU_DEP_1)
	v_div_fixup_f32 v6, v39, v38, v6
.LBB61_53:
	s_or_b32 exec_lo, exec_lo, s11
	v_lshrrev_b32_e32 v34, 16, v34
	s_mov_b32 s11, exec_lo
	s_delay_alu instid0(VALU_DEP_1) | instskip(NEXT) | instid1(VALU_DEP_1)
	v_cvt_f32_f16_e32 v34, v34
	v_mul_f32_e32 v34, s13, v34
	s_delay_alu instid0(VALU_DEP_1)
	v_cmpx_nlt_f32_e32 s14, v34
	s_cbranch_execz .LBB61_55
; %bb.54:
	v_mul_f32_e32 v38, 0x3fb8aa3b, v34
	v_cmp_ngt_f32_e32 vcc_lo, 0xc2ce8ed0, v34
	s_delay_alu instid0(VALU_DEP_2) | instskip(SKIP_1) | instid1(VALU_DEP_2)
	v_rndne_f32_e32 v39, v38
	v_fma_f32 v40, 0x3fb8aa3b, v34, -v38
	v_sub_f32_e32 v38, v38, v39
	s_delay_alu instid0(VALU_DEP_2) | instskip(SKIP_1) | instid1(VALU_DEP_2)
	v_fmamk_f32 v40, v34, 0x32a5705f, v40
	v_cvt_i32_f32_e32 v39, v39
	v_add_f32_e32 v38, v38, v40
	s_delay_alu instid0(VALU_DEP_1) | instskip(SKIP_1) | instid1(TRANS32_DEP_1)
	v_exp_f32_e32 v38, v38
	v_nop
	v_ldexp_f32 v38, v38, v39
	s_delay_alu instid0(VALU_DEP_1) | instskip(SKIP_1) | instid1(VALU_DEP_2)
	v_cndmask_b32_e32 v38, 0, v38, vcc_lo
	v_cmp_nlt_f32_e32 vcc_lo, 0x42b17218, v34
	v_cndmask_b32_e32 v34, 0x7f800000, v38, vcc_lo
	s_delay_alu instid0(VALU_DEP_1) | instskip(NEXT) | instid1(VALU_DEP_1)
	v_dual_mul_f32 v7, v7, v34 :: v_dual_add_f32 v34, 1.0, v34
	v_div_scale_f32 v38, null, v34, v34, v7
	s_delay_alu instid0(VALU_DEP_1) | instskip(SKIP_1) | instid1(TRANS32_DEP_1)
	v_rcp_f32_e32 v39, v38
	v_nop
	v_fma_f32 v40, -v38, v39, 1.0
	s_delay_alu instid0(VALU_DEP_1) | instskip(SKIP_1) | instid1(VALU_DEP_1)
	v_fmac_f32_e32 v39, v40, v39
	v_div_scale_f32 v40, vcc_lo, v7, v34, v7
	v_mul_f32_e32 v41, v40, v39
	s_delay_alu instid0(VALU_DEP_1) | instskip(NEXT) | instid1(VALU_DEP_1)
	v_fma_f32 v42, -v38, v41, v40
	v_fmac_f32_e32 v41, v42, v39
	s_delay_alu instid0(VALU_DEP_1) | instskip(NEXT) | instid1(VALU_DEP_1)
	v_fma_f32 v38, -v38, v41, v40
	v_div_fmas_f32 v38, v38, v39, v41
	s_delay_alu instid0(VALU_DEP_1)
	v_div_fixup_f32 v7, v38, v34, v7
.LBB61_55:
	s_or_b32 exec_lo, exec_lo, s11
	v_cvt_f32_f16_e32 v34, v35
	s_mov_b32 s11, exec_lo
	s_delay_alu instid0(VALU_DEP_1) | instskip(NEXT) | instid1(VALU_DEP_1)
	v_mul_f32_e32 v34, s13, v34
	v_cmpx_nlt_f32_e32 s14, v34
	s_cbranch_execz .LBB61_57
; %bb.56:
	v_mul_f32_e32 v38, 0x3fb8aa3b, v34
	v_cmp_ngt_f32_e32 vcc_lo, 0xc2ce8ed0, v34
	s_delay_alu instid0(VALU_DEP_2) | instskip(SKIP_1) | instid1(VALU_DEP_2)
	v_rndne_f32_e32 v39, v38
	v_fma_f32 v40, 0x3fb8aa3b, v34, -v38
	v_sub_f32_e32 v38, v38, v39
	s_delay_alu instid0(VALU_DEP_2) | instskip(SKIP_1) | instid1(VALU_DEP_2)
	v_fmamk_f32 v40, v34, 0x32a5705f, v40
	v_cvt_i32_f32_e32 v39, v39
	v_add_f32_e32 v38, v38, v40
	s_delay_alu instid0(VALU_DEP_1) | instskip(SKIP_1) | instid1(TRANS32_DEP_1)
	v_exp_f32_e32 v38, v38
	v_nop
	v_ldexp_f32 v38, v38, v39
	s_delay_alu instid0(VALU_DEP_1) | instskip(SKIP_1) | instid1(VALU_DEP_2)
	v_cndmask_b32_e32 v38, 0, v38, vcc_lo
	v_cmp_nlt_f32_e32 vcc_lo, 0x42b17218, v34
	v_cndmask_b32_e32 v34, 0x7f800000, v38, vcc_lo
	s_delay_alu instid0(VALU_DEP_1) | instskip(NEXT) | instid1(VALU_DEP_1)
	v_dual_mul_f32 v8, v8, v34 :: v_dual_add_f32 v34, 1.0, v34
	v_div_scale_f32 v38, null, v34, v34, v8
	s_delay_alu instid0(VALU_DEP_1) | instskip(SKIP_1) | instid1(TRANS32_DEP_1)
	v_rcp_f32_e32 v39, v38
	v_nop
	v_fma_f32 v40, -v38, v39, 1.0
	s_delay_alu instid0(VALU_DEP_1) | instskip(SKIP_1) | instid1(VALU_DEP_1)
	v_fmac_f32_e32 v39, v40, v39
	v_div_scale_f32 v40, vcc_lo, v8, v34, v8
	v_mul_f32_e32 v41, v40, v39
	s_delay_alu instid0(VALU_DEP_1) | instskip(NEXT) | instid1(VALU_DEP_1)
	v_fma_f32 v42, -v38, v41, v40
	v_fmac_f32_e32 v41, v42, v39
	s_delay_alu instid0(VALU_DEP_1) | instskip(NEXT) | instid1(VALU_DEP_1)
	v_fma_f32 v38, -v38, v41, v40
	v_div_fmas_f32 v38, v38, v39, v41
	s_delay_alu instid0(VALU_DEP_1)
	v_div_fixup_f32 v8, v38, v34, v8
.LBB61_57:
	s_or_b32 exec_lo, exec_lo, s11
	v_lshrrev_b32_e32 v34, 16, v35
	s_mov_b32 s11, exec_lo
	s_delay_alu instid0(VALU_DEP_1) | instskip(NEXT) | instid1(VALU_DEP_1)
	v_cvt_f32_f16_e32 v34, v34
	v_mul_f32_e32 v34, s13, v34
	s_delay_alu instid0(VALU_DEP_1)
	v_cmpx_nlt_f32_e32 s14, v34
	s_cbranch_execz .LBB61_59
; %bb.58:
	v_mul_f32_e32 v35, 0x3fb8aa3b, v34
	v_cmp_ngt_f32_e32 vcc_lo, 0xc2ce8ed0, v34
	s_delay_alu instid0(VALU_DEP_2) | instskip(SKIP_1) | instid1(VALU_DEP_2)
	v_rndne_f32_e32 v38, v35
	v_fma_f32 v39, 0x3fb8aa3b, v34, -v35
	v_sub_f32_e32 v35, v35, v38
	s_delay_alu instid0(VALU_DEP_2) | instskip(SKIP_1) | instid1(VALU_DEP_2)
	v_fmamk_f32 v39, v34, 0x32a5705f, v39
	v_cvt_i32_f32_e32 v38, v38
	v_add_f32_e32 v35, v35, v39
	s_delay_alu instid0(VALU_DEP_1) | instskip(SKIP_1) | instid1(TRANS32_DEP_1)
	v_exp_f32_e32 v35, v35
	v_nop
	v_ldexp_f32 v35, v35, v38
	s_delay_alu instid0(VALU_DEP_1) | instskip(SKIP_1) | instid1(VALU_DEP_2)
	v_cndmask_b32_e32 v35, 0, v35, vcc_lo
	v_cmp_nlt_f32_e32 vcc_lo, 0x42b17218, v34
	v_cndmask_b32_e32 v34, 0x7f800000, v35, vcc_lo
	s_delay_alu instid0(VALU_DEP_1) | instskip(NEXT) | instid1(VALU_DEP_1)
	v_dual_mul_f32 v9, v9, v34 :: v_dual_add_f32 v34, 1.0, v34
	v_div_scale_f32 v35, null, v34, v34, v9
	s_delay_alu instid0(VALU_DEP_1) | instskip(SKIP_1) | instid1(TRANS32_DEP_1)
	v_rcp_f32_e32 v38, v35
	v_nop
	v_fma_f32 v39, -v35, v38, 1.0
	s_delay_alu instid0(VALU_DEP_1) | instskip(SKIP_1) | instid1(VALU_DEP_1)
	v_fmac_f32_e32 v38, v39, v38
	v_div_scale_f32 v39, vcc_lo, v9, v34, v9
	v_mul_f32_e32 v40, v39, v38
	s_delay_alu instid0(VALU_DEP_1) | instskip(NEXT) | instid1(VALU_DEP_1)
	v_fma_f32 v41, -v35, v40, v39
	v_fmac_f32_e32 v40, v41, v38
	s_delay_alu instid0(VALU_DEP_1) | instskip(NEXT) | instid1(VALU_DEP_1)
	v_fma_f32 v35, -v35, v40, v39
	v_div_fmas_f32 v35, v35, v38, v40
	s_delay_alu instid0(VALU_DEP_1)
	v_div_fixup_f32 v9, v35, v34, v9
.LBB61_59:
	s_or_b32 exec_lo, exec_lo, s11
	v_cvt_f32_f16_e32 v34, v36
	s_mov_b32 s11, exec_lo
	s_delay_alu instid0(VALU_DEP_1) | instskip(NEXT) | instid1(VALU_DEP_1)
	v_mul_f32_e32 v34, s13, v34
	v_cmpx_nlt_f32_e32 s14, v34
	s_cbranch_execz .LBB61_61
; %bb.60:
	v_mul_f32_e32 v35, 0x3fb8aa3b, v34
	v_cmp_ngt_f32_e32 vcc_lo, 0xc2ce8ed0, v34
	s_delay_alu instid0(VALU_DEP_2) | instskip(SKIP_1) | instid1(VALU_DEP_2)
	v_rndne_f32_e32 v38, v35
	v_fma_f32 v39, 0x3fb8aa3b, v34, -v35
	v_sub_f32_e32 v35, v35, v38
	s_delay_alu instid0(VALU_DEP_2) | instskip(SKIP_1) | instid1(VALU_DEP_2)
	v_fmamk_f32 v39, v34, 0x32a5705f, v39
	v_cvt_i32_f32_e32 v38, v38
	v_add_f32_e32 v35, v35, v39
	s_delay_alu instid0(VALU_DEP_1) | instskip(SKIP_1) | instid1(TRANS32_DEP_1)
	v_exp_f32_e32 v35, v35
	v_nop
	v_ldexp_f32 v35, v35, v38
	s_delay_alu instid0(VALU_DEP_1) | instskip(SKIP_1) | instid1(VALU_DEP_2)
	v_cndmask_b32_e32 v35, 0, v35, vcc_lo
	v_cmp_nlt_f32_e32 vcc_lo, 0x42b17218, v34
	v_cndmask_b32_e32 v34, 0x7f800000, v35, vcc_lo
	s_delay_alu instid0(VALU_DEP_1) | instskip(NEXT) | instid1(VALU_DEP_1)
	v_dual_mul_f32 v2, v2, v34 :: v_dual_add_f32 v34, 1.0, v34
	v_div_scale_f32 v35, null, v34, v34, v2
	s_delay_alu instid0(VALU_DEP_1) | instskip(SKIP_1) | instid1(TRANS32_DEP_1)
	v_rcp_f32_e32 v38, v35
	v_nop
	v_fma_f32 v39, -v35, v38, 1.0
	s_delay_alu instid0(VALU_DEP_1) | instskip(SKIP_1) | instid1(VALU_DEP_1)
	v_fmac_f32_e32 v38, v39, v38
	v_div_scale_f32 v39, vcc_lo, v2, v34, v2
	v_mul_f32_e32 v40, v39, v38
	s_delay_alu instid0(VALU_DEP_1) | instskip(NEXT) | instid1(VALU_DEP_1)
	v_fma_f32 v41, -v35, v40, v39
	v_fmac_f32_e32 v40, v41, v38
	s_delay_alu instid0(VALU_DEP_1) | instskip(NEXT) | instid1(VALU_DEP_1)
	v_fma_f32 v35, -v35, v40, v39
	v_div_fmas_f32 v35, v35, v38, v40
	s_delay_alu instid0(VALU_DEP_1)
	v_div_fixup_f32 v2, v35, v34, v2
.LBB61_61:
	s_or_b32 exec_lo, exec_lo, s11
	v_lshrrev_b32_e32 v34, 16, v36
	s_mov_b32 s11, exec_lo
	s_delay_alu instid0(VALU_DEP_1) | instskip(NEXT) | instid1(VALU_DEP_1)
	v_cvt_f32_f16_e32 v34, v34
	v_mul_f32_e32 v34, s13, v34
	s_delay_alu instid0(VALU_DEP_1)
	v_cmpx_nlt_f32_e32 s14, v34
	s_cbranch_execz .LBB61_63
; %bb.62:
	v_mul_f32_e32 v35, 0x3fb8aa3b, v34
	v_cmp_ngt_f32_e32 vcc_lo, 0xc2ce8ed0, v34
	s_delay_alu instid0(VALU_DEP_2) | instskip(SKIP_1) | instid1(VALU_DEP_1)
	v_rndne_f32_e32 v36, v35
	v_fma_f32 v38, 0x3fb8aa3b, v34, -v35
	v_dual_sub_f32 v35, v35, v36 :: v_dual_fmamk_f32 v38, v34, 0x32a5705f, v38
	v_cvt_i32_f32_e32 v36, v36
	s_delay_alu instid0(VALU_DEP_2) | instskip(NEXT) | instid1(VALU_DEP_1)
	v_add_f32_e32 v35, v35, v38
	v_exp_f32_e32 v35, v35
	v_nop
	s_delay_alu instid0(TRANS32_DEP_1) | instskip(NEXT) | instid1(VALU_DEP_1)
	v_ldexp_f32 v35, v35, v36
	v_cndmask_b32_e32 v35, 0, v35, vcc_lo
	v_cmp_nlt_f32_e32 vcc_lo, 0x42b17218, v34
	s_delay_alu instid0(VALU_DEP_2) | instskip(NEXT) | instid1(VALU_DEP_1)
	v_cndmask_b32_e32 v34, 0x7f800000, v35, vcc_lo
	v_dual_mul_f32 v3, v3, v34 :: v_dual_add_f32 v34, 1.0, v34
	s_delay_alu instid0(VALU_DEP_1) | instskip(NEXT) | instid1(VALU_DEP_1)
	v_div_scale_f32 v35, null, v34, v34, v3
	v_rcp_f32_e32 v36, v35
	v_nop
	s_delay_alu instid0(TRANS32_DEP_1) | instskip(NEXT) | instid1(VALU_DEP_1)
	v_fma_f32 v38, -v35, v36, 1.0
	v_fmac_f32_e32 v36, v38, v36
	v_div_scale_f32 v38, vcc_lo, v3, v34, v3
	s_delay_alu instid0(VALU_DEP_1) | instskip(NEXT) | instid1(VALU_DEP_1)
	v_mul_f32_e32 v39, v38, v36
	v_fma_f32 v40, -v35, v39, v38
	s_delay_alu instid0(VALU_DEP_1) | instskip(NEXT) | instid1(VALU_DEP_1)
	v_fmac_f32_e32 v39, v40, v36
	v_fma_f32 v35, -v35, v39, v38
	s_delay_alu instid0(VALU_DEP_1) | instskip(NEXT) | instid1(VALU_DEP_1)
	v_div_fmas_f32 v35, v35, v36, v39
	v_div_fixup_f32 v3, v35, v34, v3
.LBB61_63:
	s_or_b32 exec_lo, exec_lo, s11
	v_cvt_f32_f16_e32 v34, v37
	s_mov_b32 s11, exec_lo
	s_delay_alu instid0(VALU_DEP_1) | instskip(NEXT) | instid1(VALU_DEP_1)
	v_mul_f32_e32 v34, s13, v34
	v_cmpx_nlt_f32_e32 s14, v34
	s_cbranch_execz .LBB61_65
; %bb.64:
	v_mul_f32_e32 v35, 0x3fb8aa3b, v34
	v_cmp_ngt_f32_e32 vcc_lo, 0xc2ce8ed0, v34
	s_delay_alu instid0(VALU_DEP_2) | instskip(SKIP_1) | instid1(VALU_DEP_1)
	v_rndne_f32_e32 v36, v35
	v_fma_f32 v38, 0x3fb8aa3b, v34, -v35
	v_dual_sub_f32 v35, v35, v36 :: v_dual_fmamk_f32 v38, v34, 0x32a5705f, v38
	v_cvt_i32_f32_e32 v36, v36
	s_delay_alu instid0(VALU_DEP_2) | instskip(NEXT) | instid1(VALU_DEP_1)
	v_add_f32_e32 v35, v35, v38
	v_exp_f32_e32 v35, v35
	v_nop
	s_delay_alu instid0(TRANS32_DEP_1) | instskip(NEXT) | instid1(VALU_DEP_1)
	v_ldexp_f32 v35, v35, v36
	v_cndmask_b32_e32 v35, 0, v35, vcc_lo
	v_cmp_nlt_f32_e32 vcc_lo, 0x42b17218, v34
	s_delay_alu instid0(VALU_DEP_2) | instskip(NEXT) | instid1(VALU_DEP_1)
	v_cndmask_b32_e32 v34, 0x7f800000, v35, vcc_lo
	v_dual_mul_f32 v4, v4, v34 :: v_dual_add_f32 v34, 1.0, v34
	s_delay_alu instid0(VALU_DEP_1) | instskip(NEXT) | instid1(VALU_DEP_1)
	v_div_scale_f32 v35, null, v34, v34, v4
	v_rcp_f32_e32 v36, v35
	v_nop
	s_delay_alu instid0(TRANS32_DEP_1) | instskip(NEXT) | instid1(VALU_DEP_1)
	v_fma_f32 v38, -v35, v36, 1.0
	v_fmac_f32_e32 v36, v38, v36
	v_div_scale_f32 v38, vcc_lo, v4, v34, v4
	s_delay_alu instid0(VALU_DEP_1) | instskip(NEXT) | instid1(VALU_DEP_1)
	v_mul_f32_e32 v39, v38, v36
	v_fma_f32 v40, -v35, v39, v38
	s_delay_alu instid0(VALU_DEP_1) | instskip(NEXT) | instid1(VALU_DEP_1)
	v_fmac_f32_e32 v39, v40, v36
	v_fma_f32 v35, -v35, v39, v38
	s_delay_alu instid0(VALU_DEP_1) | instskip(NEXT) | instid1(VALU_DEP_1)
	v_div_fmas_f32 v35, v35, v36, v39
	v_div_fixup_f32 v4, v35, v34, v4
.LBB61_65:
	s_or_b32 exec_lo, exec_lo, s11
	v_lshrrev_b32_e32 v34, 16, v37
	s_mov_b32 s11, exec_lo
	s_delay_alu instid0(VALU_DEP_1) | instskip(NEXT) | instid1(VALU_DEP_1)
	v_cvt_f32_f16_e32 v34, v34
	v_mul_f32_e32 v34, s13, v34
	s_delay_alu instid0(VALU_DEP_1)
	v_cmpx_nlt_f32_e32 s14, v34
	s_cbranch_execz .LBB61_67
; %bb.66:
	v_mul_f32_e32 v35, 0x3fb8aa3b, v34
	v_cmp_ngt_f32_e32 vcc_lo, 0xc2ce8ed0, v34
	s_delay_alu instid0(VALU_DEP_2) | instskip(SKIP_1) | instid1(VALU_DEP_2)
	v_rndne_f32_e32 v36, v35
	v_fma_f32 v37, 0x3fb8aa3b, v34, -v35
	v_sub_f32_e32 v35, v35, v36
	s_delay_alu instid0(VALU_DEP_2) | instskip(SKIP_1) | instid1(VALU_DEP_2)
	v_fmamk_f32 v37, v34, 0x32a5705f, v37
	v_cvt_i32_f32_e32 v36, v36
	v_add_f32_e32 v35, v35, v37
	s_delay_alu instid0(VALU_DEP_1) | instskip(SKIP_1) | instid1(TRANS32_DEP_1)
	v_exp_f32_e32 v35, v35
	v_nop
	v_ldexp_f32 v35, v35, v36
	s_delay_alu instid0(VALU_DEP_1) | instskip(SKIP_1) | instid1(VALU_DEP_2)
	v_cndmask_b32_e32 v35, 0, v35, vcc_lo
	v_cmp_nlt_f32_e32 vcc_lo, 0x42b17218, v34
	v_cndmask_b32_e32 v34, 0x7f800000, v35, vcc_lo
	s_delay_alu instid0(VALU_DEP_1) | instskip(NEXT) | instid1(VALU_DEP_1)
	v_dual_mul_f32 v5, v5, v34 :: v_dual_add_f32 v34, 1.0, v34
	v_div_scale_f32 v35, null, v34, v34, v5
	s_delay_alu instid0(VALU_DEP_1) | instskip(SKIP_1) | instid1(TRANS32_DEP_1)
	v_rcp_f32_e32 v36, v35
	v_nop
	v_fma_f32 v37, -v35, v36, 1.0
	s_delay_alu instid0(VALU_DEP_1) | instskip(SKIP_1) | instid1(VALU_DEP_1)
	v_fmac_f32_e32 v36, v37, v36
	v_div_scale_f32 v37, vcc_lo, v5, v34, v5
	v_mul_f32_e32 v38, v37, v36
	s_delay_alu instid0(VALU_DEP_1) | instskip(NEXT) | instid1(VALU_DEP_1)
	v_fma_f32 v39, -v35, v38, v37
	v_fmac_f32_e32 v38, v39, v36
	s_delay_alu instid0(VALU_DEP_1) | instskip(NEXT) | instid1(VALU_DEP_1)
	v_fma_f32 v35, -v35, v38, v37
	v_div_fmas_f32 v35, v35, v36, v38
	s_delay_alu instid0(VALU_DEP_1)
	v_div_fixup_f32 v5, v35, v34, v5
.LBB61_67:
	s_or_b32 exec_lo, exec_lo, s11
	s_add_nc_u64 s[16:17], s[4:5], s[8:9]
	s_clause 0x7
	global_store_b128 v1, v[30:33], s[16:17]
	global_store_b128 v1, v[26:29], s[16:17] offset:16
	global_store_b128 v1, v[22:25], s[16:17] offset:16384
	;; [unrolled: 1-line block ×7, first 2 shown]
	s_branch .LBB61_2
.LBB61_68:
	s_clause 0x1
	s_load_b32 s11, s[0:1], 0x2c
	s_load_b128 s[16:19], s[0:1], 0x30
	v_dual_mov_b32 v31, v0 :: v_dual_mov_b32 v0, s13
	v_dual_mov_b32 v1, s14 :: v_dual_mov_b32 v2, s4
	;; [unrolled: 1-line block ×5, first 2 shown]
	s_add_nc_u64 s[8:9], s[0:1], 64
	s_wait_xcnt 0x0
	s_get_pc_i64 s[0:1]
	s_add_nc_u64 s[0:1], s[0:1], _ZN2at6native25elementwise_kernel_helperILb1EZZZNS0_12_GLOBAL__N_124softplus_backward_kernelERNS_18TensorIteratorBaseERKN3c106ScalarES8_ENKUlvE_clEvENKUlvE0_clEvEUlffE_NS0_6memory8policies11unroll_baseILi512ESt5arrayIPcLm3EE23TrivialOffsetCalculatorILi2EjESI_ILi1EjENSC_12LoadWithCastILi2EEENSC_13StoreWithCastILi1EEELi32ELi1EEEEEvT0_T1_@rel64+4
	s_wait_kmcnt 0x0
	s_bfe_u32 s12, s11, 0x80008
	v_dual_mov_b32 v9, s11 :: v_dual_mov_b32 v11, s16
	v_dual_mov_b32 v12, s17 :: v_dual_mov_b32 v13, s18
	;; [unrolled: 1-line block ×3, first 2 shown]
	s_swap_pc_i64 s[30:31], s[0:1]
	s_endpgm
	.section	.rodata,"a",@progbits
	.p2align	6, 0x0
	.amdhsa_kernel _ZN2at6native39vectorized_templated_elementwise_kernelILi8EZZZNS0_12_GLOBAL__N_124softplus_backward_kernelERNS_18TensorIteratorBaseERKN3c106ScalarES8_ENKUlvE_clEvENKUlvE0_clEvEUlffE_St5arrayIPcLm3EE23TrivialOffsetCalculatorILi2EjESF_ILi1EjENS0_6memory12LoadWithCastILi2EEENSI_13StoreWithCastILi1EEEfJfNS5_4HalfEEEEviT0_T1_T2_T3_T4_T5_
		.amdhsa_group_segment_fixed_size 0
		.amdhsa_private_segment_fixed_size 272
		.amdhsa_kernarg_size 320
		.amdhsa_user_sgpr_count 2
		.amdhsa_user_sgpr_dispatch_ptr 0
		.amdhsa_user_sgpr_queue_ptr 0
		.amdhsa_user_sgpr_kernarg_segment_ptr 1
		.amdhsa_user_sgpr_dispatch_id 0
		.amdhsa_user_sgpr_kernarg_preload_length 0
		.amdhsa_user_sgpr_kernarg_preload_offset 0
		.amdhsa_user_sgpr_private_segment_size 0
		.amdhsa_wavefront_size32 1
		.amdhsa_uses_dynamic_stack 0
		.amdhsa_enable_private_segment 1
		.amdhsa_system_sgpr_workgroup_id_x 1
		.amdhsa_system_sgpr_workgroup_id_y 0
		.amdhsa_system_sgpr_workgroup_id_z 0
		.amdhsa_system_sgpr_workgroup_info 0
		.amdhsa_system_vgpr_workitem_id 0
		.amdhsa_next_free_vgpr 132
		.amdhsa_next_free_sgpr 96
		.amdhsa_named_barrier_count 0
		.amdhsa_reserve_vcc 1
		.amdhsa_float_round_mode_32 0
		.amdhsa_float_round_mode_16_64 0
		.amdhsa_float_denorm_mode_32 3
		.amdhsa_float_denorm_mode_16_64 3
		.amdhsa_fp16_overflow 0
		.amdhsa_memory_ordered 1
		.amdhsa_forward_progress 1
		.amdhsa_inst_pref_size 66
		.amdhsa_round_robin_scheduling 0
		.amdhsa_exception_fp_ieee_invalid_op 0
		.amdhsa_exception_fp_denorm_src 0
		.amdhsa_exception_fp_ieee_div_zero 0
		.amdhsa_exception_fp_ieee_overflow 0
		.amdhsa_exception_fp_ieee_underflow 0
		.amdhsa_exception_fp_ieee_inexact 0
		.amdhsa_exception_int_div_zero 0
	.end_amdhsa_kernel
	.section	.text._ZN2at6native39vectorized_templated_elementwise_kernelILi8EZZZNS0_12_GLOBAL__N_124softplus_backward_kernelERNS_18TensorIteratorBaseERKN3c106ScalarES8_ENKUlvE_clEvENKUlvE0_clEvEUlffE_St5arrayIPcLm3EE23TrivialOffsetCalculatorILi2EjESF_ILi1EjENS0_6memory12LoadWithCastILi2EEENSI_13StoreWithCastILi1EEEfJfNS5_4HalfEEEEviT0_T1_T2_T3_T4_T5_,"axG",@progbits,_ZN2at6native39vectorized_templated_elementwise_kernelILi8EZZZNS0_12_GLOBAL__N_124softplus_backward_kernelERNS_18TensorIteratorBaseERKN3c106ScalarES8_ENKUlvE_clEvENKUlvE0_clEvEUlffE_St5arrayIPcLm3EE23TrivialOffsetCalculatorILi2EjESF_ILi1EjENS0_6memory12LoadWithCastILi2EEENSI_13StoreWithCastILi1EEEfJfNS5_4HalfEEEEviT0_T1_T2_T3_T4_T5_,comdat
.Lfunc_end61:
	.size	_ZN2at6native39vectorized_templated_elementwise_kernelILi8EZZZNS0_12_GLOBAL__N_124softplus_backward_kernelERNS_18TensorIteratorBaseERKN3c106ScalarES8_ENKUlvE_clEvENKUlvE0_clEvEUlffE_St5arrayIPcLm3EE23TrivialOffsetCalculatorILi2EjESF_ILi1EjENS0_6memory12LoadWithCastILi2EEENSI_13StoreWithCastILi1EEEfJfNS5_4HalfEEEEviT0_T1_T2_T3_T4_T5_, .Lfunc_end61-_ZN2at6native39vectorized_templated_elementwise_kernelILi8EZZZNS0_12_GLOBAL__N_124softplus_backward_kernelERNS_18TensorIteratorBaseERKN3c106ScalarES8_ENKUlvE_clEvENKUlvE0_clEvEUlffE_St5arrayIPcLm3EE23TrivialOffsetCalculatorILi2EjESF_ILi1EjENS0_6memory12LoadWithCastILi2EEENSI_13StoreWithCastILi1EEEfJfNS5_4HalfEEEEviT0_T1_T2_T3_T4_T5_
                                        ; -- End function
	.set _ZN2at6native39vectorized_templated_elementwise_kernelILi8EZZZNS0_12_GLOBAL__N_124softplus_backward_kernelERNS_18TensorIteratorBaseERKN3c106ScalarES8_ENKUlvE_clEvENKUlvE0_clEvEUlffE_St5arrayIPcLm3EE23TrivialOffsetCalculatorILi2EjESF_ILi1EjENS0_6memory12LoadWithCastILi2EEENSI_13StoreWithCastILi1EEEfJfNS5_4HalfEEEEviT0_T1_T2_T3_T4_T5_.num_vgpr, max(56, .L_ZN2at6native25elementwise_kernel_helperILb1EZZZNS0_12_GLOBAL__N_124softplus_backward_kernelERNS_18TensorIteratorBaseERKN3c106ScalarES8_ENKUlvE_clEvENKUlvE0_clEvEUlffE_NS0_6memory8policies11unroll_baseILi512ESt5arrayIPcLm3EE23TrivialOffsetCalculatorILi2EjESI_ILi1EjENSC_12LoadWithCastILi2EEENSC_13StoreWithCastILi1EEELi32ELi1EEEEEvT0_T1_.num_vgpr)
	.set _ZN2at6native39vectorized_templated_elementwise_kernelILi8EZZZNS0_12_GLOBAL__N_124softplus_backward_kernelERNS_18TensorIteratorBaseERKN3c106ScalarES8_ENKUlvE_clEvENKUlvE0_clEvEUlffE_St5arrayIPcLm3EE23TrivialOffsetCalculatorILi2EjESF_ILi1EjENS0_6memory12LoadWithCastILi2EEENSI_13StoreWithCastILi1EEEfJfNS5_4HalfEEEEviT0_T1_T2_T3_T4_T5_.num_agpr, max(0, .L_ZN2at6native25elementwise_kernel_helperILb1EZZZNS0_12_GLOBAL__N_124softplus_backward_kernelERNS_18TensorIteratorBaseERKN3c106ScalarES8_ENKUlvE_clEvENKUlvE0_clEvEUlffE_NS0_6memory8policies11unroll_baseILi512ESt5arrayIPcLm3EE23TrivialOffsetCalculatorILi2EjESI_ILi1EjENSC_12LoadWithCastILi2EEENSC_13StoreWithCastILi1EEELi32ELi1EEEEEvT0_T1_.num_agpr)
	.set _ZN2at6native39vectorized_templated_elementwise_kernelILi8EZZZNS0_12_GLOBAL__N_124softplus_backward_kernelERNS_18TensorIteratorBaseERKN3c106ScalarES8_ENKUlvE_clEvENKUlvE0_clEvEUlffE_St5arrayIPcLm3EE23TrivialOffsetCalculatorILi2EjESF_ILi1EjENS0_6memory12LoadWithCastILi2EEENSI_13StoreWithCastILi1EEEfJfNS5_4HalfEEEEviT0_T1_T2_T3_T4_T5_.numbered_sgpr, max(33, .L_ZN2at6native25elementwise_kernel_helperILb1EZZZNS0_12_GLOBAL__N_124softplus_backward_kernelERNS_18TensorIteratorBaseERKN3c106ScalarES8_ENKUlvE_clEvENKUlvE0_clEvEUlffE_NS0_6memory8policies11unroll_baseILi512ESt5arrayIPcLm3EE23TrivialOffsetCalculatorILi2EjESI_ILi1EjENSC_12LoadWithCastILi2EEENSC_13StoreWithCastILi1EEELi32ELi1EEEEEvT0_T1_.numbered_sgpr)
	.set _ZN2at6native39vectorized_templated_elementwise_kernelILi8EZZZNS0_12_GLOBAL__N_124softplus_backward_kernelERNS_18TensorIteratorBaseERKN3c106ScalarES8_ENKUlvE_clEvENKUlvE0_clEvEUlffE_St5arrayIPcLm3EE23TrivialOffsetCalculatorILi2EjESF_ILi1EjENS0_6memory12LoadWithCastILi2EEENSI_13StoreWithCastILi1EEEfJfNS5_4HalfEEEEviT0_T1_T2_T3_T4_T5_.num_named_barrier, max(0, .L_ZN2at6native25elementwise_kernel_helperILb1EZZZNS0_12_GLOBAL__N_124softplus_backward_kernelERNS_18TensorIteratorBaseERKN3c106ScalarES8_ENKUlvE_clEvENKUlvE0_clEvEUlffE_NS0_6memory8policies11unroll_baseILi512ESt5arrayIPcLm3EE23TrivialOffsetCalculatorILi2EjESI_ILi1EjENSC_12LoadWithCastILi2EEENSC_13StoreWithCastILi1EEELi32ELi1EEEEEvT0_T1_.num_named_barrier)
	.set _ZN2at6native39vectorized_templated_elementwise_kernelILi8EZZZNS0_12_GLOBAL__N_124softplus_backward_kernelERNS_18TensorIteratorBaseERKN3c106ScalarES8_ENKUlvE_clEvENKUlvE0_clEvEUlffE_St5arrayIPcLm3EE23TrivialOffsetCalculatorILi2EjESF_ILi1EjENS0_6memory12LoadWithCastILi2EEENSI_13StoreWithCastILi1EEEfJfNS5_4HalfEEEEviT0_T1_T2_T3_T4_T5_.private_seg_size, 0+max(.L_ZN2at6native25elementwise_kernel_helperILb1EZZZNS0_12_GLOBAL__N_124softplus_backward_kernelERNS_18TensorIteratorBaseERKN3c106ScalarES8_ENKUlvE_clEvENKUlvE0_clEvEUlffE_NS0_6memory8policies11unroll_baseILi512ESt5arrayIPcLm3EE23TrivialOffsetCalculatorILi2EjESI_ILi1EjENSC_12LoadWithCastILi2EEENSC_13StoreWithCastILi1EEELi32ELi1EEEEEvT0_T1_.private_seg_size)
	.set _ZN2at6native39vectorized_templated_elementwise_kernelILi8EZZZNS0_12_GLOBAL__N_124softplus_backward_kernelERNS_18TensorIteratorBaseERKN3c106ScalarES8_ENKUlvE_clEvENKUlvE0_clEvEUlffE_St5arrayIPcLm3EE23TrivialOffsetCalculatorILi2EjESF_ILi1EjENS0_6memory12LoadWithCastILi2EEENSI_13StoreWithCastILi1EEEfJfNS5_4HalfEEEEviT0_T1_T2_T3_T4_T5_.uses_vcc, or(1, .L_ZN2at6native25elementwise_kernel_helperILb1EZZZNS0_12_GLOBAL__N_124softplus_backward_kernelERNS_18TensorIteratorBaseERKN3c106ScalarES8_ENKUlvE_clEvENKUlvE0_clEvEUlffE_NS0_6memory8policies11unroll_baseILi512ESt5arrayIPcLm3EE23TrivialOffsetCalculatorILi2EjESI_ILi1EjENSC_12LoadWithCastILi2EEENSC_13StoreWithCastILi1EEELi32ELi1EEEEEvT0_T1_.uses_vcc)
	.set _ZN2at6native39vectorized_templated_elementwise_kernelILi8EZZZNS0_12_GLOBAL__N_124softplus_backward_kernelERNS_18TensorIteratorBaseERKN3c106ScalarES8_ENKUlvE_clEvENKUlvE0_clEvEUlffE_St5arrayIPcLm3EE23TrivialOffsetCalculatorILi2EjESF_ILi1EjENS0_6memory12LoadWithCastILi2EEENSI_13StoreWithCastILi1EEEfJfNS5_4HalfEEEEviT0_T1_T2_T3_T4_T5_.uses_flat_scratch, or(0, .L_ZN2at6native25elementwise_kernel_helperILb1EZZZNS0_12_GLOBAL__N_124softplus_backward_kernelERNS_18TensorIteratorBaseERKN3c106ScalarES8_ENKUlvE_clEvENKUlvE0_clEvEUlffE_NS0_6memory8policies11unroll_baseILi512ESt5arrayIPcLm3EE23TrivialOffsetCalculatorILi2EjESI_ILi1EjENSC_12LoadWithCastILi2EEENSC_13StoreWithCastILi1EEELi32ELi1EEEEEvT0_T1_.uses_flat_scratch)
	.set _ZN2at6native39vectorized_templated_elementwise_kernelILi8EZZZNS0_12_GLOBAL__N_124softplus_backward_kernelERNS_18TensorIteratorBaseERKN3c106ScalarES8_ENKUlvE_clEvENKUlvE0_clEvEUlffE_St5arrayIPcLm3EE23TrivialOffsetCalculatorILi2EjESF_ILi1EjENS0_6memory12LoadWithCastILi2EEENSI_13StoreWithCastILi1EEEfJfNS5_4HalfEEEEviT0_T1_T2_T3_T4_T5_.has_dyn_sized_stack, or(0, .L_ZN2at6native25elementwise_kernel_helperILb1EZZZNS0_12_GLOBAL__N_124softplus_backward_kernelERNS_18TensorIteratorBaseERKN3c106ScalarES8_ENKUlvE_clEvENKUlvE0_clEvEUlffE_NS0_6memory8policies11unroll_baseILi512ESt5arrayIPcLm3EE23TrivialOffsetCalculatorILi2EjESI_ILi1EjENSC_12LoadWithCastILi2EEENSC_13StoreWithCastILi1EEELi32ELi1EEEEEvT0_T1_.has_dyn_sized_stack)
	.set _ZN2at6native39vectorized_templated_elementwise_kernelILi8EZZZNS0_12_GLOBAL__N_124softplus_backward_kernelERNS_18TensorIteratorBaseERKN3c106ScalarES8_ENKUlvE_clEvENKUlvE0_clEvEUlffE_St5arrayIPcLm3EE23TrivialOffsetCalculatorILi2EjESF_ILi1EjENS0_6memory12LoadWithCastILi2EEENSI_13StoreWithCastILi1EEEfJfNS5_4HalfEEEEviT0_T1_T2_T3_T4_T5_.has_recursion, or(0, .L_ZN2at6native25elementwise_kernel_helperILb1EZZZNS0_12_GLOBAL__N_124softplus_backward_kernelERNS_18TensorIteratorBaseERKN3c106ScalarES8_ENKUlvE_clEvENKUlvE0_clEvEUlffE_NS0_6memory8policies11unroll_baseILi512ESt5arrayIPcLm3EE23TrivialOffsetCalculatorILi2EjESI_ILi1EjENSC_12LoadWithCastILi2EEENSC_13StoreWithCastILi1EEELi32ELi1EEEEEvT0_T1_.has_recursion)
	.set _ZN2at6native39vectorized_templated_elementwise_kernelILi8EZZZNS0_12_GLOBAL__N_124softplus_backward_kernelERNS_18TensorIteratorBaseERKN3c106ScalarES8_ENKUlvE_clEvENKUlvE0_clEvEUlffE_St5arrayIPcLm3EE23TrivialOffsetCalculatorILi2EjESF_ILi1EjENS0_6memory12LoadWithCastILi2EEENSI_13StoreWithCastILi1EEEfJfNS5_4HalfEEEEviT0_T1_T2_T3_T4_T5_.has_indirect_call, or(0, .L_ZN2at6native25elementwise_kernel_helperILb1EZZZNS0_12_GLOBAL__N_124softplus_backward_kernelERNS_18TensorIteratorBaseERKN3c106ScalarES8_ENKUlvE_clEvENKUlvE0_clEvEUlffE_NS0_6memory8policies11unroll_baseILi512ESt5arrayIPcLm3EE23TrivialOffsetCalculatorILi2EjESI_ILi1EjENSC_12LoadWithCastILi2EEENSC_13StoreWithCastILi1EEELi32ELi1EEEEEvT0_T1_.has_indirect_call)
	.section	.AMDGPU.csdata,"",@progbits
; Kernel info:
; codeLenInByte = 8448
; TotalNumSgprs: 98
; NumVgprs: 132
; ScratchSize: 272
; MemoryBound: 0
; FloatMode: 240
; IeeeMode: 1
; LDSByteSize: 0 bytes/workgroup (compile time only)
; SGPRBlocks: 0
; VGPRBlocks: 8
; NumSGPRsForWavesPerEU: 98
; NumVGPRsForWavesPerEU: 132
; NamedBarCnt: 0
; Occupancy: 7
; WaveLimiterHint : 1
; COMPUTE_PGM_RSRC2:SCRATCH_EN: 1
; COMPUTE_PGM_RSRC2:USER_SGPR: 2
; COMPUTE_PGM_RSRC2:TRAP_HANDLER: 0
; COMPUTE_PGM_RSRC2:TGID_X_EN: 1
; COMPUTE_PGM_RSRC2:TGID_Y_EN: 0
; COMPUTE_PGM_RSRC2:TGID_Z_EN: 0
; COMPUTE_PGM_RSRC2:TIDIG_COMP_CNT: 0
	.section	.text._ZN2at6native39vectorized_templated_elementwise_kernelILi4EZZZNS0_12_GLOBAL__N_124softplus_backward_kernelERNS_18TensorIteratorBaseERKN3c106ScalarES8_ENKUlvE_clEvENKUlvE0_clEvEUlffE_St5arrayIPcLm3EE23TrivialOffsetCalculatorILi2EjESF_ILi1EjENS0_6memory12LoadWithCastILi2EEENSI_13StoreWithCastILi1EEEfJfNS5_4HalfEEEEviT0_T1_T2_T3_T4_T5_,"axG",@progbits,_ZN2at6native39vectorized_templated_elementwise_kernelILi4EZZZNS0_12_GLOBAL__N_124softplus_backward_kernelERNS_18TensorIteratorBaseERKN3c106ScalarES8_ENKUlvE_clEvENKUlvE0_clEvEUlffE_St5arrayIPcLm3EE23TrivialOffsetCalculatorILi2EjESF_ILi1EjENS0_6memory12LoadWithCastILi2EEENSI_13StoreWithCastILi1EEEfJfNS5_4HalfEEEEviT0_T1_T2_T3_T4_T5_,comdat
	.globl	_ZN2at6native39vectorized_templated_elementwise_kernelILi4EZZZNS0_12_GLOBAL__N_124softplus_backward_kernelERNS_18TensorIteratorBaseERKN3c106ScalarES8_ENKUlvE_clEvENKUlvE0_clEvEUlffE_St5arrayIPcLm3EE23TrivialOffsetCalculatorILi2EjESF_ILi1EjENS0_6memory12LoadWithCastILi2EEENSI_13StoreWithCastILi1EEEfJfNS5_4HalfEEEEviT0_T1_T2_T3_T4_T5_ ; -- Begin function _ZN2at6native39vectorized_templated_elementwise_kernelILi4EZZZNS0_12_GLOBAL__N_124softplus_backward_kernelERNS_18TensorIteratorBaseERKN3c106ScalarES8_ENKUlvE_clEvENKUlvE0_clEvEUlffE_St5arrayIPcLm3EE23TrivialOffsetCalculatorILi2EjESF_ILi1EjENS0_6memory12LoadWithCastILi2EEENSI_13StoreWithCastILi1EEEfJfNS5_4HalfEEEEviT0_T1_T2_T3_T4_T5_
	.p2align	8
	.type	_ZN2at6native39vectorized_templated_elementwise_kernelILi4EZZZNS0_12_GLOBAL__N_124softplus_backward_kernelERNS_18TensorIteratorBaseERKN3c106ScalarES8_ENKUlvE_clEvENKUlvE0_clEvEUlffE_St5arrayIPcLm3EE23TrivialOffsetCalculatorILi2EjESF_ILi1EjENS0_6memory12LoadWithCastILi2EEENSI_13StoreWithCastILi1EEEfJfNS5_4HalfEEEEviT0_T1_T2_T3_T4_T5_,@function
_ZN2at6native39vectorized_templated_elementwise_kernelILi4EZZZNS0_12_GLOBAL__N_124softplus_backward_kernelERNS_18TensorIteratorBaseERKN3c106ScalarES8_ENKUlvE_clEvENKUlvE0_clEvEUlffE_St5arrayIPcLm3EE23TrivialOffsetCalculatorILi2EjESF_ILi1EjENS0_6memory12LoadWithCastILi2EEENSI_13StoreWithCastILi1EEEfJfNS5_4HalfEEEEviT0_T1_T2_T3_T4_T5_: ; @_ZN2at6native39vectorized_templated_elementwise_kernelILi4EZZZNS0_12_GLOBAL__N_124softplus_backward_kernelERNS_18TensorIteratorBaseERKN3c106ScalarES8_ENKUlvE_clEvENKUlvE0_clEvEUlffE_St5arrayIPcLm3EE23TrivialOffsetCalculatorILi2EjESF_ILi1EjENS0_6memory12LoadWithCastILi2EEENSI_13StoreWithCastILi1EEEfJfNS5_4HalfEEEEviT0_T1_T2_T3_T4_T5_
; %bb.0:
	s_clause 0x2
	s_load_b32 s8, s[0:1], 0x40
	s_load_b96 s[12:14], s[0:1], 0x0
	s_load_b64 s[2:3], s[0:1], 0x20
	s_bfe_u32 s9, ttmp6, 0x4000c
	s_load_b128 s[4:7], s[0:1], 0x10
	s_add_co_i32 s9, s9, 1
	s_and_b32 s10, ttmp6, 15
	s_mul_i32 s9, ttmp9, s9
	s_getreg_b32 s11, hwreg(HW_REG_IB_STS2, 6, 4)
	s_add_co_i32 s10, s10, s9
	s_cmp_eq_u32 s11, 0
	s_mov_b32 s32, 0
	s_cselect_b32 s9, ttmp9, s10
	s_delay_alu instid0(SALU_CYCLE_1) | instskip(SKIP_4) | instid1(SALU_CYCLE_1)
	s_not_b32 s9, s9
	s_wait_kmcnt 0x0
	s_add_co_i32 s8, s8, s9
	s_mov_b32 s9, -1
	s_lshl_b32 s8, s8, 14
	s_sub_co_i32 s10, s12, s8
	s_delay_alu instid0(SALU_CYCLE_1)
	s_cmp_gt_i32 s10, 0x3fff
	s_cbranch_scc1 .LBB62_3
; %bb.1:
	s_and_b32 vcc_lo, exec_lo, s9
	s_cbranch_vccnz .LBB62_68
.LBB62_2:
	s_sendmsg sendmsg(MSG_DEALLOC_VGPRS)
	s_endpgm
.LBB62_3:
	s_ashr_i32 s9, s8, 31
	s_mov_b32 s11, exec_lo
	s_lshl_b64 s[16:17], s[8:9], 1
	s_lshl_b64 s[8:9], s[8:9], 2
	s_add_nc_u64 s[16:17], s[2:3], s[16:17]
	s_add_nc_u64 s[18:19], s[6:7], s[8:9]
	s_clause 0xf
	global_load_b64 v[48:49], v0, s[16:17] scale_offset
	global_load_b128 v[30:33], v0, s[18:19] scale_offset
	global_load_b128 v[26:29], v0, s[18:19] offset:8192 scale_offset
	global_load_b128 v[22:25], v0, s[18:19] offset:16384 scale_offset
	;; [unrolled: 1-line block ×7, first 2 shown]
	global_load_b64 v[46:47], v0, s[16:17] offset:4096 scale_offset
	global_load_b64 v[44:45], v0, s[16:17] offset:8192 scale_offset
	;; [unrolled: 1-line block ×6, first 2 shown]
	; meta instruction
	global_load_b64 v[34:35], v0, s[16:17] offset:28672 scale_offset
	s_wait_loadcnt 0xf
	v_cvt_f32_f16_e32 v1, v48
	s_delay_alu instid0(VALU_DEP_1) | instskip(SKIP_1) | instid1(VALU_DEP_1)
	v_mul_f32_e32 v1, s13, v1
	s_wait_xcnt 0x0
	v_cmpx_nlt_f32_e32 s14, v1
	s_cbranch_execz .LBB62_5
; %bb.4:
	v_mul_f32_e32 v50, 0x3fb8aa3b, v1
	v_cmp_ngt_f32_e32 vcc_lo, 0xc2ce8ed0, v1
	s_delay_alu instid0(VALU_DEP_2) | instskip(SKIP_1) | instid1(VALU_DEP_2)
	v_rndne_f32_e32 v51, v50
	v_fma_f32 v52, 0x3fb8aa3b, v1, -v50
	v_sub_f32_e32 v50, v50, v51
	s_delay_alu instid0(VALU_DEP_2) | instskip(SKIP_1) | instid1(VALU_DEP_2)
	v_fmamk_f32 v52, v1, 0x32a5705f, v52
	v_cvt_i32_f32_e32 v51, v51
	v_add_f32_e32 v50, v50, v52
	s_delay_alu instid0(VALU_DEP_1) | instskip(SKIP_1) | instid1(TRANS32_DEP_1)
	v_exp_f32_e32 v50, v50
	v_nop
	v_ldexp_f32 v50, v50, v51
	s_delay_alu instid0(VALU_DEP_1) | instskip(SKIP_1) | instid1(VALU_DEP_2)
	v_cndmask_b32_e32 v50, 0, v50, vcc_lo
	v_cmp_nlt_f32_e32 vcc_lo, 0x42b17218, v1
	v_cndmask_b32_e32 v1, 0x7f800000, v50, vcc_lo
	s_wait_loadcnt 0xe
	s_delay_alu instid0(VALU_DEP_1) | instskip(NEXT) | instid1(VALU_DEP_1)
	v_dual_mul_f32 v30, v30, v1 :: v_dual_add_f32 v1, 1.0, v1
	v_div_scale_f32 v50, null, v1, v1, v30
	s_delay_alu instid0(VALU_DEP_1) | instskip(SKIP_1) | instid1(TRANS32_DEP_1)
	v_rcp_f32_e32 v51, v50
	v_nop
	v_fma_f32 v52, -v50, v51, 1.0
	s_delay_alu instid0(VALU_DEP_1) | instskip(SKIP_1) | instid1(VALU_DEP_1)
	v_fmac_f32_e32 v51, v52, v51
	v_div_scale_f32 v52, vcc_lo, v30, v1, v30
	v_mul_f32_e32 v53, v52, v51
	s_delay_alu instid0(VALU_DEP_1) | instskip(NEXT) | instid1(VALU_DEP_1)
	v_fma_f32 v54, -v50, v53, v52
	v_fmac_f32_e32 v53, v54, v51
	s_delay_alu instid0(VALU_DEP_1) | instskip(NEXT) | instid1(VALU_DEP_1)
	v_fma_f32 v50, -v50, v53, v52
	v_div_fmas_f32 v50, v50, v51, v53
	s_delay_alu instid0(VALU_DEP_1)
	v_div_fixup_f32 v30, v50, v1, v30
.LBB62_5:
	s_or_b32 exec_lo, exec_lo, s11
	v_lshrrev_b32_e32 v1, 16, v48
	s_mov_b32 s11, exec_lo
	s_delay_alu instid0(VALU_DEP_1) | instskip(NEXT) | instid1(VALU_DEP_1)
	v_cvt_f32_f16_e32 v1, v1
	v_mul_f32_e32 v1, s13, v1
	s_delay_alu instid0(VALU_DEP_1)
	v_cmpx_nlt_f32_e32 s14, v1
	s_cbranch_execz .LBB62_7
; %bb.6:
	v_mul_f32_e32 v48, 0x3fb8aa3b, v1
	v_cmp_ngt_f32_e32 vcc_lo, 0xc2ce8ed0, v1
	s_delay_alu instid0(VALU_DEP_2) | instskip(SKIP_1) | instid1(VALU_DEP_1)
	v_rndne_f32_e32 v50, v48
	v_fma_f32 v51, 0x3fb8aa3b, v1, -v48
	v_dual_sub_f32 v48, v48, v50 :: v_dual_fmamk_f32 v51, v1, 0x32a5705f, v51
	v_cvt_i32_f32_e32 v50, v50
	s_delay_alu instid0(VALU_DEP_2) | instskip(NEXT) | instid1(VALU_DEP_1)
	v_add_f32_e32 v48, v48, v51
	v_exp_f32_e32 v48, v48
	v_nop
	s_delay_alu instid0(TRANS32_DEP_1) | instskip(NEXT) | instid1(VALU_DEP_1)
	v_ldexp_f32 v48, v48, v50
	v_cndmask_b32_e32 v48, 0, v48, vcc_lo
	v_cmp_nlt_f32_e32 vcc_lo, 0x42b17218, v1
	s_delay_alu instid0(VALU_DEP_2) | instskip(SKIP_1) | instid1(VALU_DEP_1)
	v_cndmask_b32_e32 v1, 0x7f800000, v48, vcc_lo
	s_wait_loadcnt 0xe
	v_dual_mul_f32 v31, v31, v1 :: v_dual_add_f32 v1, 1.0, v1
	s_delay_alu instid0(VALU_DEP_1) | instskip(NEXT) | instid1(VALU_DEP_1)
	v_div_scale_f32 v48, null, v1, v1, v31
	v_rcp_f32_e32 v50, v48
	v_nop
	s_delay_alu instid0(TRANS32_DEP_1) | instskip(NEXT) | instid1(VALU_DEP_1)
	v_fma_f32 v51, -v48, v50, 1.0
	v_fmac_f32_e32 v50, v51, v50
	v_div_scale_f32 v51, vcc_lo, v31, v1, v31
	s_delay_alu instid0(VALU_DEP_1) | instskip(NEXT) | instid1(VALU_DEP_1)
	v_mul_f32_e32 v52, v51, v50
	v_fma_f32 v53, -v48, v52, v51
	s_delay_alu instid0(VALU_DEP_1) | instskip(NEXT) | instid1(VALU_DEP_1)
	v_fmac_f32_e32 v52, v53, v50
	v_fma_f32 v48, -v48, v52, v51
	s_delay_alu instid0(VALU_DEP_1) | instskip(NEXT) | instid1(VALU_DEP_1)
	v_div_fmas_f32 v48, v48, v50, v52
	v_div_fixup_f32 v31, v48, v1, v31
.LBB62_7:
	s_or_b32 exec_lo, exec_lo, s11
	v_cvt_f32_f16_e32 v1, v49
	s_mov_b32 s11, exec_lo
	s_delay_alu instid0(VALU_DEP_1) | instskip(NEXT) | instid1(VALU_DEP_1)
	v_mul_f32_e32 v1, s13, v1
	v_cmpx_nlt_f32_e32 s14, v1
	s_cbranch_execz .LBB62_9
; %bb.8:
	v_mul_f32_e32 v48, 0x3fb8aa3b, v1
	v_cmp_ngt_f32_e32 vcc_lo, 0xc2ce8ed0, v1
	s_delay_alu instid0(VALU_DEP_2) | instskip(SKIP_1) | instid1(VALU_DEP_1)
	v_rndne_f32_e32 v50, v48
	v_fma_f32 v51, 0x3fb8aa3b, v1, -v48
	v_dual_sub_f32 v48, v48, v50 :: v_dual_fmamk_f32 v51, v1, 0x32a5705f, v51
	v_cvt_i32_f32_e32 v50, v50
	s_delay_alu instid0(VALU_DEP_2) | instskip(NEXT) | instid1(VALU_DEP_1)
	v_add_f32_e32 v48, v48, v51
	v_exp_f32_e32 v48, v48
	v_nop
	s_delay_alu instid0(TRANS32_DEP_1) | instskip(NEXT) | instid1(VALU_DEP_1)
	v_ldexp_f32 v48, v48, v50
	v_cndmask_b32_e32 v48, 0, v48, vcc_lo
	v_cmp_nlt_f32_e32 vcc_lo, 0x42b17218, v1
	s_delay_alu instid0(VALU_DEP_2) | instskip(SKIP_1) | instid1(VALU_DEP_1)
	v_cndmask_b32_e32 v1, 0x7f800000, v48, vcc_lo
	s_wait_loadcnt 0xe
	v_dual_mul_f32 v32, v32, v1 :: v_dual_add_f32 v1, 1.0, v1
	s_delay_alu instid0(VALU_DEP_1) | instskip(NEXT) | instid1(VALU_DEP_1)
	v_div_scale_f32 v48, null, v1, v1, v32
	v_rcp_f32_e32 v50, v48
	v_nop
	s_delay_alu instid0(TRANS32_DEP_1) | instskip(NEXT) | instid1(VALU_DEP_1)
	v_fma_f32 v51, -v48, v50, 1.0
	v_fmac_f32_e32 v50, v51, v50
	v_div_scale_f32 v51, vcc_lo, v32, v1, v32
	s_delay_alu instid0(VALU_DEP_1) | instskip(NEXT) | instid1(VALU_DEP_1)
	v_mul_f32_e32 v52, v51, v50
	v_fma_f32 v53, -v48, v52, v51
	s_delay_alu instid0(VALU_DEP_1) | instskip(NEXT) | instid1(VALU_DEP_1)
	v_fmac_f32_e32 v52, v53, v50
	v_fma_f32 v48, -v48, v52, v51
	s_delay_alu instid0(VALU_DEP_1) | instskip(NEXT) | instid1(VALU_DEP_1)
	v_div_fmas_f32 v48, v48, v50, v52
	v_div_fixup_f32 v32, v48, v1, v32
.LBB62_9:
	s_or_b32 exec_lo, exec_lo, s11
	v_lshrrev_b32_e32 v1, 16, v49
	s_mov_b32 s11, exec_lo
	s_delay_alu instid0(VALU_DEP_1) | instskip(NEXT) | instid1(VALU_DEP_1)
	v_cvt_f32_f16_e32 v1, v1
	v_mul_f32_e32 v1, s13, v1
	s_delay_alu instid0(VALU_DEP_1)
	v_cmpx_nlt_f32_e32 s14, v1
	s_cbranch_execz .LBB62_11
; %bb.10:
	v_mul_f32_e32 v48, 0x3fb8aa3b, v1
	v_cmp_ngt_f32_e32 vcc_lo, 0xc2ce8ed0, v1
	s_delay_alu instid0(VALU_DEP_2) | instskip(SKIP_1) | instid1(VALU_DEP_2)
	v_rndne_f32_e32 v49, v48
	v_fma_f32 v50, 0x3fb8aa3b, v1, -v48
	v_sub_f32_e32 v48, v48, v49
	s_delay_alu instid0(VALU_DEP_2) | instskip(SKIP_1) | instid1(VALU_DEP_2)
	v_fmamk_f32 v50, v1, 0x32a5705f, v50
	v_cvt_i32_f32_e32 v49, v49
	v_add_f32_e32 v48, v48, v50
	s_delay_alu instid0(VALU_DEP_1) | instskip(SKIP_1) | instid1(TRANS32_DEP_1)
	v_exp_f32_e32 v48, v48
	v_nop
	v_ldexp_f32 v48, v48, v49
	s_delay_alu instid0(VALU_DEP_1) | instskip(SKIP_1) | instid1(VALU_DEP_2)
	v_cndmask_b32_e32 v48, 0, v48, vcc_lo
	v_cmp_nlt_f32_e32 vcc_lo, 0x42b17218, v1
	v_cndmask_b32_e32 v1, 0x7f800000, v48, vcc_lo
	s_wait_loadcnt 0xe
	s_delay_alu instid0(VALU_DEP_1) | instskip(NEXT) | instid1(VALU_DEP_1)
	v_dual_mul_f32 v33, v33, v1 :: v_dual_add_f32 v1, 1.0, v1
	v_div_scale_f32 v48, null, v1, v1, v33
	s_delay_alu instid0(VALU_DEP_1) | instskip(SKIP_1) | instid1(TRANS32_DEP_1)
	v_rcp_f32_e32 v49, v48
	v_nop
	v_fma_f32 v50, -v48, v49, 1.0
	s_delay_alu instid0(VALU_DEP_1) | instskip(SKIP_1) | instid1(VALU_DEP_1)
	v_fmac_f32_e32 v49, v50, v49
	v_div_scale_f32 v50, vcc_lo, v33, v1, v33
	v_mul_f32_e32 v51, v50, v49
	s_delay_alu instid0(VALU_DEP_1) | instskip(NEXT) | instid1(VALU_DEP_1)
	v_fma_f32 v52, -v48, v51, v50
	v_fmac_f32_e32 v51, v52, v49
	s_delay_alu instid0(VALU_DEP_1) | instskip(NEXT) | instid1(VALU_DEP_1)
	v_fma_f32 v48, -v48, v51, v50
	v_div_fmas_f32 v48, v48, v49, v51
	s_delay_alu instid0(VALU_DEP_1)
	v_div_fixup_f32 v33, v48, v1, v33
.LBB62_11:
	s_or_b32 exec_lo, exec_lo, s11
	s_wait_loadcnt 0x6
	v_cvt_f32_f16_e32 v1, v46
	s_mov_b32 s11, exec_lo
	s_delay_alu instid0(VALU_DEP_1) | instskip(NEXT) | instid1(VALU_DEP_1)
	v_mul_f32_e32 v1, s13, v1
	v_cmpx_nlt_f32_e32 s14, v1
	s_cbranch_execz .LBB62_13
; %bb.12:
	v_mul_f32_e32 v48, 0x3fb8aa3b, v1
	v_cmp_ngt_f32_e32 vcc_lo, 0xc2ce8ed0, v1
	s_delay_alu instid0(VALU_DEP_2) | instskip(SKIP_1) | instid1(VALU_DEP_2)
	v_rndne_f32_e32 v49, v48
	v_fma_f32 v50, 0x3fb8aa3b, v1, -v48
	v_sub_f32_e32 v48, v48, v49
	s_delay_alu instid0(VALU_DEP_2) | instskip(SKIP_1) | instid1(VALU_DEP_2)
	v_fmamk_f32 v50, v1, 0x32a5705f, v50
	v_cvt_i32_f32_e32 v49, v49
	v_add_f32_e32 v48, v48, v50
	s_delay_alu instid0(VALU_DEP_1) | instskip(SKIP_1) | instid1(TRANS32_DEP_1)
	v_exp_f32_e32 v48, v48
	v_nop
	v_ldexp_f32 v48, v48, v49
	s_delay_alu instid0(VALU_DEP_1) | instskip(SKIP_1) | instid1(VALU_DEP_2)
	v_cndmask_b32_e32 v48, 0, v48, vcc_lo
	v_cmp_nlt_f32_e32 vcc_lo, 0x42b17218, v1
	v_cndmask_b32_e32 v1, 0x7f800000, v48, vcc_lo
	s_delay_alu instid0(VALU_DEP_1) | instskip(NEXT) | instid1(VALU_DEP_1)
	v_dual_mul_f32 v26, v26, v1 :: v_dual_add_f32 v1, 1.0, v1
	v_div_scale_f32 v48, null, v1, v1, v26
	s_delay_alu instid0(VALU_DEP_1) | instskip(SKIP_1) | instid1(TRANS32_DEP_1)
	v_rcp_f32_e32 v49, v48
	v_nop
	v_fma_f32 v50, -v48, v49, 1.0
	s_delay_alu instid0(VALU_DEP_1) | instskip(SKIP_1) | instid1(VALU_DEP_1)
	v_fmac_f32_e32 v49, v50, v49
	v_div_scale_f32 v50, vcc_lo, v26, v1, v26
	v_mul_f32_e32 v51, v50, v49
	s_delay_alu instid0(VALU_DEP_1) | instskip(NEXT) | instid1(VALU_DEP_1)
	v_fma_f32 v52, -v48, v51, v50
	v_fmac_f32_e32 v51, v52, v49
	s_delay_alu instid0(VALU_DEP_1) | instskip(NEXT) | instid1(VALU_DEP_1)
	v_fma_f32 v48, -v48, v51, v50
	v_div_fmas_f32 v48, v48, v49, v51
	s_delay_alu instid0(VALU_DEP_1)
	v_div_fixup_f32 v26, v48, v1, v26
.LBB62_13:
	s_or_b32 exec_lo, exec_lo, s11
	v_lshrrev_b32_e32 v1, 16, v46
	s_mov_b32 s11, exec_lo
	s_delay_alu instid0(VALU_DEP_1) | instskip(NEXT) | instid1(VALU_DEP_1)
	v_cvt_f32_f16_e32 v1, v1
	v_mul_f32_e32 v1, s13, v1
	s_delay_alu instid0(VALU_DEP_1)
	v_cmpx_nlt_f32_e32 s14, v1
	s_cbranch_execz .LBB62_15
; %bb.14:
	v_mul_f32_e32 v46, 0x3fb8aa3b, v1
	v_cmp_ngt_f32_e32 vcc_lo, 0xc2ce8ed0, v1
	s_delay_alu instid0(VALU_DEP_2) | instskip(SKIP_1) | instid1(VALU_DEP_1)
	v_rndne_f32_e32 v48, v46
	v_fma_f32 v49, 0x3fb8aa3b, v1, -v46
	v_dual_sub_f32 v46, v46, v48 :: v_dual_fmamk_f32 v49, v1, 0x32a5705f, v49
	v_cvt_i32_f32_e32 v48, v48
	s_delay_alu instid0(VALU_DEP_2) | instskip(NEXT) | instid1(VALU_DEP_1)
	v_add_f32_e32 v46, v46, v49
	v_exp_f32_e32 v46, v46
	v_nop
	s_delay_alu instid0(TRANS32_DEP_1) | instskip(NEXT) | instid1(VALU_DEP_1)
	v_ldexp_f32 v46, v46, v48
	v_cndmask_b32_e32 v46, 0, v46, vcc_lo
	v_cmp_nlt_f32_e32 vcc_lo, 0x42b17218, v1
	s_delay_alu instid0(VALU_DEP_2) | instskip(NEXT) | instid1(VALU_DEP_1)
	v_cndmask_b32_e32 v1, 0x7f800000, v46, vcc_lo
	v_dual_mul_f32 v27, v27, v1 :: v_dual_add_f32 v1, 1.0, v1
	s_delay_alu instid0(VALU_DEP_1) | instskip(NEXT) | instid1(VALU_DEP_1)
	v_div_scale_f32 v46, null, v1, v1, v27
	v_rcp_f32_e32 v48, v46
	v_nop
	s_delay_alu instid0(TRANS32_DEP_1) | instskip(NEXT) | instid1(VALU_DEP_1)
	v_fma_f32 v49, -v46, v48, 1.0
	v_fmac_f32_e32 v48, v49, v48
	v_div_scale_f32 v49, vcc_lo, v27, v1, v27
	s_delay_alu instid0(VALU_DEP_1) | instskip(NEXT) | instid1(VALU_DEP_1)
	v_mul_f32_e32 v50, v49, v48
	v_fma_f32 v51, -v46, v50, v49
	s_delay_alu instid0(VALU_DEP_1) | instskip(NEXT) | instid1(VALU_DEP_1)
	v_fmac_f32_e32 v50, v51, v48
	v_fma_f32 v46, -v46, v50, v49
	s_delay_alu instid0(VALU_DEP_1) | instskip(NEXT) | instid1(VALU_DEP_1)
	v_div_fmas_f32 v46, v46, v48, v50
	v_div_fixup_f32 v27, v46, v1, v27
.LBB62_15:
	s_or_b32 exec_lo, exec_lo, s11
	v_cvt_f32_f16_e32 v1, v47
	s_mov_b32 s11, exec_lo
	s_delay_alu instid0(VALU_DEP_1) | instskip(NEXT) | instid1(VALU_DEP_1)
	v_mul_f32_e32 v1, s13, v1
	v_cmpx_nlt_f32_e32 s14, v1
	s_cbranch_execz .LBB62_17
; %bb.16:
	v_mul_f32_e32 v46, 0x3fb8aa3b, v1
	v_cmp_ngt_f32_e32 vcc_lo, 0xc2ce8ed0, v1
	s_delay_alu instid0(VALU_DEP_2) | instskip(SKIP_1) | instid1(VALU_DEP_1)
	v_rndne_f32_e32 v48, v46
	v_fma_f32 v49, 0x3fb8aa3b, v1, -v46
	v_dual_sub_f32 v46, v46, v48 :: v_dual_fmamk_f32 v49, v1, 0x32a5705f, v49
	v_cvt_i32_f32_e32 v48, v48
	s_delay_alu instid0(VALU_DEP_2) | instskip(NEXT) | instid1(VALU_DEP_1)
	v_add_f32_e32 v46, v46, v49
	v_exp_f32_e32 v46, v46
	v_nop
	s_delay_alu instid0(TRANS32_DEP_1) | instskip(NEXT) | instid1(VALU_DEP_1)
	v_ldexp_f32 v46, v46, v48
	v_cndmask_b32_e32 v46, 0, v46, vcc_lo
	v_cmp_nlt_f32_e32 vcc_lo, 0x42b17218, v1
	s_delay_alu instid0(VALU_DEP_2) | instskip(NEXT) | instid1(VALU_DEP_1)
	v_cndmask_b32_e32 v1, 0x7f800000, v46, vcc_lo
	v_dual_mul_f32 v28, v28, v1 :: v_dual_add_f32 v1, 1.0, v1
	s_delay_alu instid0(VALU_DEP_1) | instskip(NEXT) | instid1(VALU_DEP_1)
	v_div_scale_f32 v46, null, v1, v1, v28
	v_rcp_f32_e32 v48, v46
	v_nop
	s_delay_alu instid0(TRANS32_DEP_1) | instskip(NEXT) | instid1(VALU_DEP_1)
	v_fma_f32 v49, -v46, v48, 1.0
	v_fmac_f32_e32 v48, v49, v48
	v_div_scale_f32 v49, vcc_lo, v28, v1, v28
	s_delay_alu instid0(VALU_DEP_1) | instskip(NEXT) | instid1(VALU_DEP_1)
	v_mul_f32_e32 v50, v49, v48
	v_fma_f32 v51, -v46, v50, v49
	s_delay_alu instid0(VALU_DEP_1) | instskip(NEXT) | instid1(VALU_DEP_1)
	v_fmac_f32_e32 v50, v51, v48
	v_fma_f32 v46, -v46, v50, v49
	s_delay_alu instid0(VALU_DEP_1) | instskip(NEXT) | instid1(VALU_DEP_1)
	v_div_fmas_f32 v46, v46, v48, v50
	v_div_fixup_f32 v28, v46, v1, v28
.LBB62_17:
	s_or_b32 exec_lo, exec_lo, s11
	v_lshrrev_b32_e32 v1, 16, v47
	s_mov_b32 s11, exec_lo
	s_delay_alu instid0(VALU_DEP_1) | instskip(NEXT) | instid1(VALU_DEP_1)
	v_cvt_f32_f16_e32 v1, v1
	v_mul_f32_e32 v1, s13, v1
	s_delay_alu instid0(VALU_DEP_1)
	v_cmpx_nlt_f32_e32 s14, v1
	s_cbranch_execz .LBB62_19
; %bb.18:
	v_mul_f32_e32 v46, 0x3fb8aa3b, v1
	v_cmp_ngt_f32_e32 vcc_lo, 0xc2ce8ed0, v1
	s_delay_alu instid0(VALU_DEP_2) | instskip(SKIP_1) | instid1(VALU_DEP_2)
	v_rndne_f32_e32 v47, v46
	v_fma_f32 v48, 0x3fb8aa3b, v1, -v46
	v_sub_f32_e32 v46, v46, v47
	s_delay_alu instid0(VALU_DEP_2) | instskip(SKIP_1) | instid1(VALU_DEP_2)
	v_fmamk_f32 v48, v1, 0x32a5705f, v48
	v_cvt_i32_f32_e32 v47, v47
	v_add_f32_e32 v46, v46, v48
	s_delay_alu instid0(VALU_DEP_1) | instskip(SKIP_1) | instid1(TRANS32_DEP_1)
	v_exp_f32_e32 v46, v46
	v_nop
	v_ldexp_f32 v46, v46, v47
	s_delay_alu instid0(VALU_DEP_1) | instskip(SKIP_1) | instid1(VALU_DEP_2)
	v_cndmask_b32_e32 v46, 0, v46, vcc_lo
	v_cmp_nlt_f32_e32 vcc_lo, 0x42b17218, v1
	v_cndmask_b32_e32 v1, 0x7f800000, v46, vcc_lo
	s_delay_alu instid0(VALU_DEP_1) | instskip(NEXT) | instid1(VALU_DEP_1)
	v_dual_mul_f32 v29, v29, v1 :: v_dual_add_f32 v1, 1.0, v1
	v_div_scale_f32 v46, null, v1, v1, v29
	s_delay_alu instid0(VALU_DEP_1) | instskip(SKIP_1) | instid1(TRANS32_DEP_1)
	v_rcp_f32_e32 v47, v46
	v_nop
	v_fma_f32 v48, -v46, v47, 1.0
	s_delay_alu instid0(VALU_DEP_1) | instskip(SKIP_1) | instid1(VALU_DEP_1)
	v_fmac_f32_e32 v47, v48, v47
	v_div_scale_f32 v48, vcc_lo, v29, v1, v29
	v_mul_f32_e32 v49, v48, v47
	s_delay_alu instid0(VALU_DEP_1) | instskip(NEXT) | instid1(VALU_DEP_1)
	v_fma_f32 v50, -v46, v49, v48
	v_fmac_f32_e32 v49, v50, v47
	s_delay_alu instid0(VALU_DEP_1) | instskip(NEXT) | instid1(VALU_DEP_1)
	v_fma_f32 v46, -v46, v49, v48
	v_div_fmas_f32 v46, v46, v47, v49
	s_delay_alu instid0(VALU_DEP_1)
	v_div_fixup_f32 v29, v46, v1, v29
.LBB62_19:
	s_or_b32 exec_lo, exec_lo, s11
	s_wait_loadcnt 0x5
	v_cvt_f32_f16_e32 v1, v44
	s_mov_b32 s11, exec_lo
	s_delay_alu instid0(VALU_DEP_1) | instskip(NEXT) | instid1(VALU_DEP_1)
	v_mul_f32_e32 v1, s13, v1
	v_cmpx_nlt_f32_e32 s14, v1
	s_cbranch_execz .LBB62_21
; %bb.20:
	v_mul_f32_e32 v46, 0x3fb8aa3b, v1
	v_cmp_ngt_f32_e32 vcc_lo, 0xc2ce8ed0, v1
	s_delay_alu instid0(VALU_DEP_2) | instskip(SKIP_1) | instid1(VALU_DEP_2)
	v_rndne_f32_e32 v47, v46
	v_fma_f32 v48, 0x3fb8aa3b, v1, -v46
	v_sub_f32_e32 v46, v46, v47
	s_delay_alu instid0(VALU_DEP_2) | instskip(SKIP_1) | instid1(VALU_DEP_2)
	v_fmamk_f32 v48, v1, 0x32a5705f, v48
	v_cvt_i32_f32_e32 v47, v47
	v_add_f32_e32 v46, v46, v48
	s_delay_alu instid0(VALU_DEP_1) | instskip(SKIP_1) | instid1(TRANS32_DEP_1)
	v_exp_f32_e32 v46, v46
	v_nop
	v_ldexp_f32 v46, v46, v47
	s_delay_alu instid0(VALU_DEP_1) | instskip(SKIP_1) | instid1(VALU_DEP_2)
	v_cndmask_b32_e32 v46, 0, v46, vcc_lo
	v_cmp_nlt_f32_e32 vcc_lo, 0x42b17218, v1
	v_cndmask_b32_e32 v1, 0x7f800000, v46, vcc_lo
	s_delay_alu instid0(VALU_DEP_1) | instskip(NEXT) | instid1(VALU_DEP_1)
	v_dual_mul_f32 v22, v22, v1 :: v_dual_add_f32 v1, 1.0, v1
	v_div_scale_f32 v46, null, v1, v1, v22
	s_delay_alu instid0(VALU_DEP_1) | instskip(SKIP_1) | instid1(TRANS32_DEP_1)
	v_rcp_f32_e32 v47, v46
	v_nop
	v_fma_f32 v48, -v46, v47, 1.0
	s_delay_alu instid0(VALU_DEP_1) | instskip(SKIP_1) | instid1(VALU_DEP_1)
	v_fmac_f32_e32 v47, v48, v47
	v_div_scale_f32 v48, vcc_lo, v22, v1, v22
	v_mul_f32_e32 v49, v48, v47
	s_delay_alu instid0(VALU_DEP_1) | instskip(NEXT) | instid1(VALU_DEP_1)
	v_fma_f32 v50, -v46, v49, v48
	v_fmac_f32_e32 v49, v50, v47
	s_delay_alu instid0(VALU_DEP_1) | instskip(NEXT) | instid1(VALU_DEP_1)
	v_fma_f32 v46, -v46, v49, v48
	v_div_fmas_f32 v46, v46, v47, v49
	s_delay_alu instid0(VALU_DEP_1)
	v_div_fixup_f32 v22, v46, v1, v22
.LBB62_21:
	s_or_b32 exec_lo, exec_lo, s11
	v_lshrrev_b32_e32 v1, 16, v44
	s_mov_b32 s11, exec_lo
	s_delay_alu instid0(VALU_DEP_1) | instskip(NEXT) | instid1(VALU_DEP_1)
	v_cvt_f32_f16_e32 v1, v1
	v_mul_f32_e32 v1, s13, v1
	s_delay_alu instid0(VALU_DEP_1)
	v_cmpx_nlt_f32_e32 s14, v1
	s_cbranch_execz .LBB62_23
; %bb.22:
	v_mul_f32_e32 v44, 0x3fb8aa3b, v1
	v_cmp_ngt_f32_e32 vcc_lo, 0xc2ce8ed0, v1
	s_delay_alu instid0(VALU_DEP_2) | instskip(SKIP_1) | instid1(VALU_DEP_1)
	v_rndne_f32_e32 v46, v44
	v_fma_f32 v47, 0x3fb8aa3b, v1, -v44
	v_dual_sub_f32 v44, v44, v46 :: v_dual_fmamk_f32 v47, v1, 0x32a5705f, v47
	v_cvt_i32_f32_e32 v46, v46
	s_delay_alu instid0(VALU_DEP_2) | instskip(NEXT) | instid1(VALU_DEP_1)
	v_add_f32_e32 v44, v44, v47
	v_exp_f32_e32 v44, v44
	v_nop
	s_delay_alu instid0(TRANS32_DEP_1) | instskip(NEXT) | instid1(VALU_DEP_1)
	v_ldexp_f32 v44, v44, v46
	v_cndmask_b32_e32 v44, 0, v44, vcc_lo
	v_cmp_nlt_f32_e32 vcc_lo, 0x42b17218, v1
	s_delay_alu instid0(VALU_DEP_2) | instskip(NEXT) | instid1(VALU_DEP_1)
	v_cndmask_b32_e32 v1, 0x7f800000, v44, vcc_lo
	v_dual_mul_f32 v23, v23, v1 :: v_dual_add_f32 v1, 1.0, v1
	s_delay_alu instid0(VALU_DEP_1) | instskip(NEXT) | instid1(VALU_DEP_1)
	v_div_scale_f32 v44, null, v1, v1, v23
	v_rcp_f32_e32 v46, v44
	v_nop
	s_delay_alu instid0(TRANS32_DEP_1) | instskip(NEXT) | instid1(VALU_DEP_1)
	v_fma_f32 v47, -v44, v46, 1.0
	v_fmac_f32_e32 v46, v47, v46
	v_div_scale_f32 v47, vcc_lo, v23, v1, v23
	s_delay_alu instid0(VALU_DEP_1) | instskip(NEXT) | instid1(VALU_DEP_1)
	v_mul_f32_e32 v48, v47, v46
	v_fma_f32 v49, -v44, v48, v47
	s_delay_alu instid0(VALU_DEP_1) | instskip(NEXT) | instid1(VALU_DEP_1)
	v_fmac_f32_e32 v48, v49, v46
	v_fma_f32 v44, -v44, v48, v47
	s_delay_alu instid0(VALU_DEP_1) | instskip(NEXT) | instid1(VALU_DEP_1)
	v_div_fmas_f32 v44, v44, v46, v48
	v_div_fixup_f32 v23, v44, v1, v23
.LBB62_23:
	s_or_b32 exec_lo, exec_lo, s11
	v_cvt_f32_f16_e32 v1, v45
	s_mov_b32 s11, exec_lo
	s_delay_alu instid0(VALU_DEP_1) | instskip(NEXT) | instid1(VALU_DEP_1)
	v_mul_f32_e32 v1, s13, v1
	v_cmpx_nlt_f32_e32 s14, v1
	s_cbranch_execz .LBB62_25
; %bb.24:
	v_mul_f32_e32 v44, 0x3fb8aa3b, v1
	v_cmp_ngt_f32_e32 vcc_lo, 0xc2ce8ed0, v1
	s_delay_alu instid0(VALU_DEP_2) | instskip(SKIP_1) | instid1(VALU_DEP_1)
	v_rndne_f32_e32 v46, v44
	v_fma_f32 v47, 0x3fb8aa3b, v1, -v44
	v_dual_sub_f32 v44, v44, v46 :: v_dual_fmamk_f32 v47, v1, 0x32a5705f, v47
	v_cvt_i32_f32_e32 v46, v46
	s_delay_alu instid0(VALU_DEP_2) | instskip(NEXT) | instid1(VALU_DEP_1)
	v_add_f32_e32 v44, v44, v47
	v_exp_f32_e32 v44, v44
	v_nop
	s_delay_alu instid0(TRANS32_DEP_1) | instskip(NEXT) | instid1(VALU_DEP_1)
	v_ldexp_f32 v44, v44, v46
	v_cndmask_b32_e32 v44, 0, v44, vcc_lo
	v_cmp_nlt_f32_e32 vcc_lo, 0x42b17218, v1
	s_delay_alu instid0(VALU_DEP_2) | instskip(NEXT) | instid1(VALU_DEP_1)
	v_cndmask_b32_e32 v1, 0x7f800000, v44, vcc_lo
	v_dual_mul_f32 v24, v24, v1 :: v_dual_add_f32 v1, 1.0, v1
	s_delay_alu instid0(VALU_DEP_1) | instskip(NEXT) | instid1(VALU_DEP_1)
	v_div_scale_f32 v44, null, v1, v1, v24
	v_rcp_f32_e32 v46, v44
	v_nop
	s_delay_alu instid0(TRANS32_DEP_1) | instskip(NEXT) | instid1(VALU_DEP_1)
	v_fma_f32 v47, -v44, v46, 1.0
	v_fmac_f32_e32 v46, v47, v46
	v_div_scale_f32 v47, vcc_lo, v24, v1, v24
	s_delay_alu instid0(VALU_DEP_1) | instskip(NEXT) | instid1(VALU_DEP_1)
	v_mul_f32_e32 v48, v47, v46
	v_fma_f32 v49, -v44, v48, v47
	s_delay_alu instid0(VALU_DEP_1) | instskip(NEXT) | instid1(VALU_DEP_1)
	v_fmac_f32_e32 v48, v49, v46
	v_fma_f32 v44, -v44, v48, v47
	s_delay_alu instid0(VALU_DEP_1) | instskip(NEXT) | instid1(VALU_DEP_1)
	v_div_fmas_f32 v44, v44, v46, v48
	v_div_fixup_f32 v24, v44, v1, v24
.LBB62_25:
	s_or_b32 exec_lo, exec_lo, s11
	v_lshrrev_b32_e32 v1, 16, v45
	s_mov_b32 s11, exec_lo
	s_delay_alu instid0(VALU_DEP_1) | instskip(NEXT) | instid1(VALU_DEP_1)
	v_cvt_f32_f16_e32 v1, v1
	v_mul_f32_e32 v1, s13, v1
	s_delay_alu instid0(VALU_DEP_1)
	v_cmpx_nlt_f32_e32 s14, v1
	s_cbranch_execz .LBB62_27
; %bb.26:
	v_mul_f32_e32 v44, 0x3fb8aa3b, v1
	v_cmp_ngt_f32_e32 vcc_lo, 0xc2ce8ed0, v1
	s_delay_alu instid0(VALU_DEP_2) | instskip(SKIP_1) | instid1(VALU_DEP_2)
	v_rndne_f32_e32 v45, v44
	v_fma_f32 v46, 0x3fb8aa3b, v1, -v44
	v_sub_f32_e32 v44, v44, v45
	s_delay_alu instid0(VALU_DEP_2) | instskip(SKIP_1) | instid1(VALU_DEP_2)
	v_fmamk_f32 v46, v1, 0x32a5705f, v46
	v_cvt_i32_f32_e32 v45, v45
	v_add_f32_e32 v44, v44, v46
	s_delay_alu instid0(VALU_DEP_1) | instskip(SKIP_1) | instid1(TRANS32_DEP_1)
	v_exp_f32_e32 v44, v44
	v_nop
	v_ldexp_f32 v44, v44, v45
	s_delay_alu instid0(VALU_DEP_1) | instskip(SKIP_1) | instid1(VALU_DEP_2)
	v_cndmask_b32_e32 v44, 0, v44, vcc_lo
	v_cmp_nlt_f32_e32 vcc_lo, 0x42b17218, v1
	v_cndmask_b32_e32 v1, 0x7f800000, v44, vcc_lo
	s_delay_alu instid0(VALU_DEP_1) | instskip(NEXT) | instid1(VALU_DEP_1)
	v_dual_mul_f32 v25, v25, v1 :: v_dual_add_f32 v1, 1.0, v1
	v_div_scale_f32 v44, null, v1, v1, v25
	s_delay_alu instid0(VALU_DEP_1) | instskip(SKIP_1) | instid1(TRANS32_DEP_1)
	v_rcp_f32_e32 v45, v44
	v_nop
	v_fma_f32 v46, -v44, v45, 1.0
	s_delay_alu instid0(VALU_DEP_1) | instskip(SKIP_1) | instid1(VALU_DEP_1)
	v_fmac_f32_e32 v45, v46, v45
	v_div_scale_f32 v46, vcc_lo, v25, v1, v25
	v_mul_f32_e32 v47, v46, v45
	s_delay_alu instid0(VALU_DEP_1) | instskip(NEXT) | instid1(VALU_DEP_1)
	v_fma_f32 v48, -v44, v47, v46
	v_fmac_f32_e32 v47, v48, v45
	s_delay_alu instid0(VALU_DEP_1) | instskip(NEXT) | instid1(VALU_DEP_1)
	v_fma_f32 v44, -v44, v47, v46
	v_div_fmas_f32 v44, v44, v45, v47
	s_delay_alu instid0(VALU_DEP_1)
	v_div_fixup_f32 v25, v44, v1, v25
.LBB62_27:
	s_or_b32 exec_lo, exec_lo, s11
	s_wait_loadcnt 0x4
	v_cvt_f32_f16_e32 v1, v42
	s_mov_b32 s11, exec_lo
	s_delay_alu instid0(VALU_DEP_1) | instskip(NEXT) | instid1(VALU_DEP_1)
	v_mul_f32_e32 v1, s13, v1
	v_cmpx_nlt_f32_e32 s14, v1
	s_cbranch_execz .LBB62_29
; %bb.28:
	v_mul_f32_e32 v44, 0x3fb8aa3b, v1
	v_cmp_ngt_f32_e32 vcc_lo, 0xc2ce8ed0, v1
	s_delay_alu instid0(VALU_DEP_2) | instskip(SKIP_1) | instid1(VALU_DEP_2)
	v_rndne_f32_e32 v45, v44
	v_fma_f32 v46, 0x3fb8aa3b, v1, -v44
	v_sub_f32_e32 v44, v44, v45
	s_delay_alu instid0(VALU_DEP_2) | instskip(SKIP_1) | instid1(VALU_DEP_2)
	v_fmamk_f32 v46, v1, 0x32a5705f, v46
	v_cvt_i32_f32_e32 v45, v45
	v_add_f32_e32 v44, v44, v46
	s_delay_alu instid0(VALU_DEP_1) | instskip(SKIP_1) | instid1(TRANS32_DEP_1)
	v_exp_f32_e32 v44, v44
	v_nop
	v_ldexp_f32 v44, v44, v45
	s_delay_alu instid0(VALU_DEP_1) | instskip(SKIP_1) | instid1(VALU_DEP_2)
	v_cndmask_b32_e32 v44, 0, v44, vcc_lo
	v_cmp_nlt_f32_e32 vcc_lo, 0x42b17218, v1
	v_cndmask_b32_e32 v1, 0x7f800000, v44, vcc_lo
	s_delay_alu instid0(VALU_DEP_1) | instskip(NEXT) | instid1(VALU_DEP_1)
	v_dual_mul_f32 v18, v18, v1 :: v_dual_add_f32 v1, 1.0, v1
	v_div_scale_f32 v44, null, v1, v1, v18
	s_delay_alu instid0(VALU_DEP_1) | instskip(SKIP_1) | instid1(TRANS32_DEP_1)
	v_rcp_f32_e32 v45, v44
	v_nop
	v_fma_f32 v46, -v44, v45, 1.0
	s_delay_alu instid0(VALU_DEP_1) | instskip(SKIP_1) | instid1(VALU_DEP_1)
	v_fmac_f32_e32 v45, v46, v45
	v_div_scale_f32 v46, vcc_lo, v18, v1, v18
	v_mul_f32_e32 v47, v46, v45
	s_delay_alu instid0(VALU_DEP_1) | instskip(NEXT) | instid1(VALU_DEP_1)
	v_fma_f32 v48, -v44, v47, v46
	v_fmac_f32_e32 v47, v48, v45
	s_delay_alu instid0(VALU_DEP_1) | instskip(NEXT) | instid1(VALU_DEP_1)
	v_fma_f32 v44, -v44, v47, v46
	v_div_fmas_f32 v44, v44, v45, v47
	s_delay_alu instid0(VALU_DEP_1)
	v_div_fixup_f32 v18, v44, v1, v18
.LBB62_29:
	s_or_b32 exec_lo, exec_lo, s11
	v_lshrrev_b32_e32 v1, 16, v42
	s_mov_b32 s11, exec_lo
	s_delay_alu instid0(VALU_DEP_1) | instskip(NEXT) | instid1(VALU_DEP_1)
	v_cvt_f32_f16_e32 v1, v1
	v_mul_f32_e32 v1, s13, v1
	s_delay_alu instid0(VALU_DEP_1)
	v_cmpx_nlt_f32_e32 s14, v1
	s_cbranch_execz .LBB62_31
; %bb.30:
	v_mul_f32_e32 v42, 0x3fb8aa3b, v1
	v_cmp_ngt_f32_e32 vcc_lo, 0xc2ce8ed0, v1
	s_delay_alu instid0(VALU_DEP_2) | instskip(SKIP_1) | instid1(VALU_DEP_1)
	v_rndne_f32_e32 v44, v42
	v_fma_f32 v45, 0x3fb8aa3b, v1, -v42
	v_dual_sub_f32 v42, v42, v44 :: v_dual_fmamk_f32 v45, v1, 0x32a5705f, v45
	v_cvt_i32_f32_e32 v44, v44
	s_delay_alu instid0(VALU_DEP_2) | instskip(NEXT) | instid1(VALU_DEP_1)
	v_add_f32_e32 v42, v42, v45
	v_exp_f32_e32 v42, v42
	v_nop
	s_delay_alu instid0(TRANS32_DEP_1) | instskip(NEXT) | instid1(VALU_DEP_1)
	v_ldexp_f32 v42, v42, v44
	v_cndmask_b32_e32 v42, 0, v42, vcc_lo
	v_cmp_nlt_f32_e32 vcc_lo, 0x42b17218, v1
	s_delay_alu instid0(VALU_DEP_2) | instskip(NEXT) | instid1(VALU_DEP_1)
	v_cndmask_b32_e32 v1, 0x7f800000, v42, vcc_lo
	v_dual_mul_f32 v19, v19, v1 :: v_dual_add_f32 v1, 1.0, v1
	s_delay_alu instid0(VALU_DEP_1) | instskip(NEXT) | instid1(VALU_DEP_1)
	v_div_scale_f32 v42, null, v1, v1, v19
	v_rcp_f32_e32 v44, v42
	v_nop
	s_delay_alu instid0(TRANS32_DEP_1) | instskip(NEXT) | instid1(VALU_DEP_1)
	v_fma_f32 v45, -v42, v44, 1.0
	v_fmac_f32_e32 v44, v45, v44
	v_div_scale_f32 v45, vcc_lo, v19, v1, v19
	s_delay_alu instid0(VALU_DEP_1) | instskip(NEXT) | instid1(VALU_DEP_1)
	v_mul_f32_e32 v46, v45, v44
	v_fma_f32 v47, -v42, v46, v45
	s_delay_alu instid0(VALU_DEP_1) | instskip(NEXT) | instid1(VALU_DEP_1)
	v_fmac_f32_e32 v46, v47, v44
	v_fma_f32 v42, -v42, v46, v45
	s_delay_alu instid0(VALU_DEP_1) | instskip(NEXT) | instid1(VALU_DEP_1)
	v_div_fmas_f32 v42, v42, v44, v46
	v_div_fixup_f32 v19, v42, v1, v19
.LBB62_31:
	s_or_b32 exec_lo, exec_lo, s11
	v_cvt_f32_f16_e32 v1, v43
	s_mov_b32 s11, exec_lo
	s_delay_alu instid0(VALU_DEP_1) | instskip(NEXT) | instid1(VALU_DEP_1)
	v_mul_f32_e32 v1, s13, v1
	v_cmpx_nlt_f32_e32 s14, v1
	s_cbranch_execz .LBB62_33
; %bb.32:
	v_mul_f32_e32 v42, 0x3fb8aa3b, v1
	v_cmp_ngt_f32_e32 vcc_lo, 0xc2ce8ed0, v1
	s_delay_alu instid0(VALU_DEP_2) | instskip(SKIP_1) | instid1(VALU_DEP_1)
	v_rndne_f32_e32 v44, v42
	v_fma_f32 v45, 0x3fb8aa3b, v1, -v42
	v_dual_sub_f32 v42, v42, v44 :: v_dual_fmamk_f32 v45, v1, 0x32a5705f, v45
	v_cvt_i32_f32_e32 v44, v44
	s_delay_alu instid0(VALU_DEP_2) | instskip(NEXT) | instid1(VALU_DEP_1)
	v_add_f32_e32 v42, v42, v45
	v_exp_f32_e32 v42, v42
	v_nop
	s_delay_alu instid0(TRANS32_DEP_1) | instskip(NEXT) | instid1(VALU_DEP_1)
	v_ldexp_f32 v42, v42, v44
	v_cndmask_b32_e32 v42, 0, v42, vcc_lo
	v_cmp_nlt_f32_e32 vcc_lo, 0x42b17218, v1
	s_delay_alu instid0(VALU_DEP_2) | instskip(NEXT) | instid1(VALU_DEP_1)
	v_cndmask_b32_e32 v1, 0x7f800000, v42, vcc_lo
	v_dual_mul_f32 v20, v20, v1 :: v_dual_add_f32 v1, 1.0, v1
	s_delay_alu instid0(VALU_DEP_1) | instskip(NEXT) | instid1(VALU_DEP_1)
	v_div_scale_f32 v42, null, v1, v1, v20
	v_rcp_f32_e32 v44, v42
	v_nop
	s_delay_alu instid0(TRANS32_DEP_1) | instskip(NEXT) | instid1(VALU_DEP_1)
	v_fma_f32 v45, -v42, v44, 1.0
	v_fmac_f32_e32 v44, v45, v44
	v_div_scale_f32 v45, vcc_lo, v20, v1, v20
	s_delay_alu instid0(VALU_DEP_1) | instskip(NEXT) | instid1(VALU_DEP_1)
	v_mul_f32_e32 v46, v45, v44
	v_fma_f32 v47, -v42, v46, v45
	s_delay_alu instid0(VALU_DEP_1) | instskip(NEXT) | instid1(VALU_DEP_1)
	v_fmac_f32_e32 v46, v47, v44
	v_fma_f32 v42, -v42, v46, v45
	s_delay_alu instid0(VALU_DEP_1) | instskip(NEXT) | instid1(VALU_DEP_1)
	v_div_fmas_f32 v42, v42, v44, v46
	v_div_fixup_f32 v20, v42, v1, v20
.LBB62_33:
	s_or_b32 exec_lo, exec_lo, s11
	v_lshrrev_b32_e32 v1, 16, v43
	s_mov_b32 s11, exec_lo
	s_delay_alu instid0(VALU_DEP_1) | instskip(NEXT) | instid1(VALU_DEP_1)
	v_cvt_f32_f16_e32 v1, v1
	v_mul_f32_e32 v1, s13, v1
	s_delay_alu instid0(VALU_DEP_1)
	v_cmpx_nlt_f32_e32 s14, v1
	s_cbranch_execz .LBB62_35
; %bb.34:
	v_mul_f32_e32 v42, 0x3fb8aa3b, v1
	v_cmp_ngt_f32_e32 vcc_lo, 0xc2ce8ed0, v1
	s_delay_alu instid0(VALU_DEP_2) | instskip(SKIP_1) | instid1(VALU_DEP_2)
	v_rndne_f32_e32 v43, v42
	v_fma_f32 v44, 0x3fb8aa3b, v1, -v42
	v_sub_f32_e32 v42, v42, v43
	s_delay_alu instid0(VALU_DEP_2) | instskip(SKIP_1) | instid1(VALU_DEP_2)
	v_fmamk_f32 v44, v1, 0x32a5705f, v44
	v_cvt_i32_f32_e32 v43, v43
	v_add_f32_e32 v42, v42, v44
	s_delay_alu instid0(VALU_DEP_1) | instskip(SKIP_1) | instid1(TRANS32_DEP_1)
	v_exp_f32_e32 v42, v42
	v_nop
	v_ldexp_f32 v42, v42, v43
	s_delay_alu instid0(VALU_DEP_1) | instskip(SKIP_1) | instid1(VALU_DEP_2)
	v_cndmask_b32_e32 v42, 0, v42, vcc_lo
	v_cmp_nlt_f32_e32 vcc_lo, 0x42b17218, v1
	v_cndmask_b32_e32 v1, 0x7f800000, v42, vcc_lo
	s_delay_alu instid0(VALU_DEP_1) | instskip(NEXT) | instid1(VALU_DEP_1)
	v_dual_mul_f32 v21, v21, v1 :: v_dual_add_f32 v1, 1.0, v1
	v_div_scale_f32 v42, null, v1, v1, v21
	s_delay_alu instid0(VALU_DEP_1) | instskip(SKIP_1) | instid1(TRANS32_DEP_1)
	v_rcp_f32_e32 v43, v42
	v_nop
	v_fma_f32 v44, -v42, v43, 1.0
	s_delay_alu instid0(VALU_DEP_1) | instskip(SKIP_1) | instid1(VALU_DEP_1)
	v_fmac_f32_e32 v43, v44, v43
	v_div_scale_f32 v44, vcc_lo, v21, v1, v21
	v_mul_f32_e32 v45, v44, v43
	s_delay_alu instid0(VALU_DEP_1) | instskip(NEXT) | instid1(VALU_DEP_1)
	v_fma_f32 v46, -v42, v45, v44
	v_fmac_f32_e32 v45, v46, v43
	s_delay_alu instid0(VALU_DEP_1) | instskip(NEXT) | instid1(VALU_DEP_1)
	v_fma_f32 v42, -v42, v45, v44
	v_div_fmas_f32 v42, v42, v43, v45
	s_delay_alu instid0(VALU_DEP_1)
	v_div_fixup_f32 v21, v42, v1, v21
.LBB62_35:
	s_or_b32 exec_lo, exec_lo, s11
	s_wait_loadcnt 0x3
	v_cvt_f32_f16_e32 v1, v40
	s_mov_b32 s11, exec_lo
	s_delay_alu instid0(VALU_DEP_1) | instskip(NEXT) | instid1(VALU_DEP_1)
	v_mul_f32_e32 v1, s13, v1
	v_cmpx_nlt_f32_e32 s14, v1
	s_cbranch_execz .LBB62_37
; %bb.36:
	v_mul_f32_e32 v42, 0x3fb8aa3b, v1
	v_cmp_ngt_f32_e32 vcc_lo, 0xc2ce8ed0, v1
	s_delay_alu instid0(VALU_DEP_2) | instskip(SKIP_1) | instid1(VALU_DEP_2)
	v_rndne_f32_e32 v43, v42
	v_fma_f32 v44, 0x3fb8aa3b, v1, -v42
	v_sub_f32_e32 v42, v42, v43
	s_delay_alu instid0(VALU_DEP_2) | instskip(SKIP_1) | instid1(VALU_DEP_2)
	v_fmamk_f32 v44, v1, 0x32a5705f, v44
	v_cvt_i32_f32_e32 v43, v43
	v_add_f32_e32 v42, v42, v44
	s_delay_alu instid0(VALU_DEP_1) | instskip(SKIP_1) | instid1(TRANS32_DEP_1)
	v_exp_f32_e32 v42, v42
	v_nop
	v_ldexp_f32 v42, v42, v43
	s_delay_alu instid0(VALU_DEP_1) | instskip(SKIP_1) | instid1(VALU_DEP_2)
	v_cndmask_b32_e32 v42, 0, v42, vcc_lo
	v_cmp_nlt_f32_e32 vcc_lo, 0x42b17218, v1
	v_cndmask_b32_e32 v1, 0x7f800000, v42, vcc_lo
	s_delay_alu instid0(VALU_DEP_1) | instskip(NEXT) | instid1(VALU_DEP_1)
	v_dual_mul_f32 v14, v14, v1 :: v_dual_add_f32 v1, 1.0, v1
	v_div_scale_f32 v42, null, v1, v1, v14
	s_delay_alu instid0(VALU_DEP_1) | instskip(SKIP_1) | instid1(TRANS32_DEP_1)
	v_rcp_f32_e32 v43, v42
	v_nop
	v_fma_f32 v44, -v42, v43, 1.0
	s_delay_alu instid0(VALU_DEP_1) | instskip(SKIP_1) | instid1(VALU_DEP_1)
	v_fmac_f32_e32 v43, v44, v43
	v_div_scale_f32 v44, vcc_lo, v14, v1, v14
	v_mul_f32_e32 v45, v44, v43
	s_delay_alu instid0(VALU_DEP_1) | instskip(NEXT) | instid1(VALU_DEP_1)
	v_fma_f32 v46, -v42, v45, v44
	v_fmac_f32_e32 v45, v46, v43
	s_delay_alu instid0(VALU_DEP_1) | instskip(NEXT) | instid1(VALU_DEP_1)
	v_fma_f32 v42, -v42, v45, v44
	v_div_fmas_f32 v42, v42, v43, v45
	s_delay_alu instid0(VALU_DEP_1)
	v_div_fixup_f32 v14, v42, v1, v14
.LBB62_37:
	s_or_b32 exec_lo, exec_lo, s11
	v_lshrrev_b32_e32 v1, 16, v40
	s_mov_b32 s11, exec_lo
	s_delay_alu instid0(VALU_DEP_1) | instskip(NEXT) | instid1(VALU_DEP_1)
	v_cvt_f32_f16_e32 v1, v1
	v_mul_f32_e32 v1, s13, v1
	s_delay_alu instid0(VALU_DEP_1)
	v_cmpx_nlt_f32_e32 s14, v1
	s_cbranch_execz .LBB62_39
; %bb.38:
	v_mul_f32_e32 v40, 0x3fb8aa3b, v1
	v_cmp_ngt_f32_e32 vcc_lo, 0xc2ce8ed0, v1
	s_delay_alu instid0(VALU_DEP_2) | instskip(SKIP_1) | instid1(VALU_DEP_1)
	v_rndne_f32_e32 v42, v40
	v_fma_f32 v43, 0x3fb8aa3b, v1, -v40
	v_dual_sub_f32 v40, v40, v42 :: v_dual_fmamk_f32 v43, v1, 0x32a5705f, v43
	v_cvt_i32_f32_e32 v42, v42
	s_delay_alu instid0(VALU_DEP_2) | instskip(NEXT) | instid1(VALU_DEP_1)
	v_add_f32_e32 v40, v40, v43
	v_exp_f32_e32 v40, v40
	v_nop
	s_delay_alu instid0(TRANS32_DEP_1) | instskip(NEXT) | instid1(VALU_DEP_1)
	v_ldexp_f32 v40, v40, v42
	v_cndmask_b32_e32 v40, 0, v40, vcc_lo
	v_cmp_nlt_f32_e32 vcc_lo, 0x42b17218, v1
	s_delay_alu instid0(VALU_DEP_2) | instskip(NEXT) | instid1(VALU_DEP_1)
	v_cndmask_b32_e32 v1, 0x7f800000, v40, vcc_lo
	v_dual_mul_f32 v15, v15, v1 :: v_dual_add_f32 v1, 1.0, v1
	s_delay_alu instid0(VALU_DEP_1) | instskip(NEXT) | instid1(VALU_DEP_1)
	v_div_scale_f32 v40, null, v1, v1, v15
	v_rcp_f32_e32 v42, v40
	v_nop
	s_delay_alu instid0(TRANS32_DEP_1) | instskip(NEXT) | instid1(VALU_DEP_1)
	v_fma_f32 v43, -v40, v42, 1.0
	v_fmac_f32_e32 v42, v43, v42
	v_div_scale_f32 v43, vcc_lo, v15, v1, v15
	s_delay_alu instid0(VALU_DEP_1) | instskip(NEXT) | instid1(VALU_DEP_1)
	v_mul_f32_e32 v44, v43, v42
	v_fma_f32 v45, -v40, v44, v43
	s_delay_alu instid0(VALU_DEP_1) | instskip(NEXT) | instid1(VALU_DEP_1)
	v_fmac_f32_e32 v44, v45, v42
	v_fma_f32 v40, -v40, v44, v43
	s_delay_alu instid0(VALU_DEP_1) | instskip(NEXT) | instid1(VALU_DEP_1)
	v_div_fmas_f32 v40, v40, v42, v44
	v_div_fixup_f32 v15, v40, v1, v15
.LBB62_39:
	s_or_b32 exec_lo, exec_lo, s11
	v_cvt_f32_f16_e32 v1, v41
	s_mov_b32 s11, exec_lo
	s_delay_alu instid0(VALU_DEP_1) | instskip(NEXT) | instid1(VALU_DEP_1)
	v_mul_f32_e32 v1, s13, v1
	v_cmpx_nlt_f32_e32 s14, v1
	s_cbranch_execz .LBB62_41
; %bb.40:
	v_mul_f32_e32 v40, 0x3fb8aa3b, v1
	v_cmp_ngt_f32_e32 vcc_lo, 0xc2ce8ed0, v1
	s_delay_alu instid0(VALU_DEP_2) | instskip(SKIP_1) | instid1(VALU_DEP_1)
	v_rndne_f32_e32 v42, v40
	v_fma_f32 v43, 0x3fb8aa3b, v1, -v40
	v_dual_sub_f32 v40, v40, v42 :: v_dual_fmamk_f32 v43, v1, 0x32a5705f, v43
	v_cvt_i32_f32_e32 v42, v42
	s_delay_alu instid0(VALU_DEP_2) | instskip(NEXT) | instid1(VALU_DEP_1)
	v_add_f32_e32 v40, v40, v43
	v_exp_f32_e32 v40, v40
	v_nop
	s_delay_alu instid0(TRANS32_DEP_1) | instskip(NEXT) | instid1(VALU_DEP_1)
	v_ldexp_f32 v40, v40, v42
	v_cndmask_b32_e32 v40, 0, v40, vcc_lo
	v_cmp_nlt_f32_e32 vcc_lo, 0x42b17218, v1
	s_delay_alu instid0(VALU_DEP_2) | instskip(NEXT) | instid1(VALU_DEP_1)
	v_cndmask_b32_e32 v1, 0x7f800000, v40, vcc_lo
	v_dual_mul_f32 v16, v16, v1 :: v_dual_add_f32 v1, 1.0, v1
	s_delay_alu instid0(VALU_DEP_1) | instskip(NEXT) | instid1(VALU_DEP_1)
	v_div_scale_f32 v40, null, v1, v1, v16
	v_rcp_f32_e32 v42, v40
	v_nop
	s_delay_alu instid0(TRANS32_DEP_1) | instskip(NEXT) | instid1(VALU_DEP_1)
	v_fma_f32 v43, -v40, v42, 1.0
	v_fmac_f32_e32 v42, v43, v42
	v_div_scale_f32 v43, vcc_lo, v16, v1, v16
	s_delay_alu instid0(VALU_DEP_1) | instskip(NEXT) | instid1(VALU_DEP_1)
	v_mul_f32_e32 v44, v43, v42
	v_fma_f32 v45, -v40, v44, v43
	s_delay_alu instid0(VALU_DEP_1) | instskip(NEXT) | instid1(VALU_DEP_1)
	v_fmac_f32_e32 v44, v45, v42
	v_fma_f32 v40, -v40, v44, v43
	s_delay_alu instid0(VALU_DEP_1) | instskip(NEXT) | instid1(VALU_DEP_1)
	v_div_fmas_f32 v40, v40, v42, v44
	v_div_fixup_f32 v16, v40, v1, v16
.LBB62_41:
	s_or_b32 exec_lo, exec_lo, s11
	v_lshrrev_b32_e32 v1, 16, v41
	s_mov_b32 s11, exec_lo
	s_delay_alu instid0(VALU_DEP_1) | instskip(NEXT) | instid1(VALU_DEP_1)
	v_cvt_f32_f16_e32 v1, v1
	v_mul_f32_e32 v1, s13, v1
	s_delay_alu instid0(VALU_DEP_1)
	v_cmpx_nlt_f32_e32 s14, v1
	s_cbranch_execz .LBB62_43
; %bb.42:
	v_mul_f32_e32 v40, 0x3fb8aa3b, v1
	v_cmp_ngt_f32_e32 vcc_lo, 0xc2ce8ed0, v1
	s_delay_alu instid0(VALU_DEP_2) | instskip(SKIP_1) | instid1(VALU_DEP_2)
	v_rndne_f32_e32 v41, v40
	v_fma_f32 v42, 0x3fb8aa3b, v1, -v40
	v_sub_f32_e32 v40, v40, v41
	s_delay_alu instid0(VALU_DEP_2) | instskip(SKIP_1) | instid1(VALU_DEP_2)
	v_fmamk_f32 v42, v1, 0x32a5705f, v42
	v_cvt_i32_f32_e32 v41, v41
	v_add_f32_e32 v40, v40, v42
	s_delay_alu instid0(VALU_DEP_1) | instskip(SKIP_1) | instid1(TRANS32_DEP_1)
	v_exp_f32_e32 v40, v40
	v_nop
	v_ldexp_f32 v40, v40, v41
	s_delay_alu instid0(VALU_DEP_1) | instskip(SKIP_1) | instid1(VALU_DEP_2)
	v_cndmask_b32_e32 v40, 0, v40, vcc_lo
	v_cmp_nlt_f32_e32 vcc_lo, 0x42b17218, v1
	v_cndmask_b32_e32 v1, 0x7f800000, v40, vcc_lo
	s_delay_alu instid0(VALU_DEP_1) | instskip(NEXT) | instid1(VALU_DEP_1)
	v_dual_mul_f32 v17, v17, v1 :: v_dual_add_f32 v1, 1.0, v1
	v_div_scale_f32 v40, null, v1, v1, v17
	s_delay_alu instid0(VALU_DEP_1) | instskip(SKIP_1) | instid1(TRANS32_DEP_1)
	v_rcp_f32_e32 v41, v40
	v_nop
	v_fma_f32 v42, -v40, v41, 1.0
	s_delay_alu instid0(VALU_DEP_1) | instskip(SKIP_1) | instid1(VALU_DEP_1)
	v_fmac_f32_e32 v41, v42, v41
	v_div_scale_f32 v42, vcc_lo, v17, v1, v17
	v_mul_f32_e32 v43, v42, v41
	s_delay_alu instid0(VALU_DEP_1) | instskip(NEXT) | instid1(VALU_DEP_1)
	v_fma_f32 v44, -v40, v43, v42
	v_fmac_f32_e32 v43, v44, v41
	s_delay_alu instid0(VALU_DEP_1) | instskip(NEXT) | instid1(VALU_DEP_1)
	v_fma_f32 v40, -v40, v43, v42
	v_div_fmas_f32 v40, v40, v41, v43
	s_delay_alu instid0(VALU_DEP_1)
	v_div_fixup_f32 v17, v40, v1, v17
.LBB62_43:
	s_or_b32 exec_lo, exec_lo, s11
	s_wait_loadcnt 0x2
	v_cvt_f32_f16_e32 v1, v38
	s_mov_b32 s11, exec_lo
	s_delay_alu instid0(VALU_DEP_1) | instskip(NEXT) | instid1(VALU_DEP_1)
	v_mul_f32_e32 v1, s13, v1
	v_cmpx_nlt_f32_e32 s14, v1
	s_cbranch_execz .LBB62_45
; %bb.44:
	v_mul_f32_e32 v40, 0x3fb8aa3b, v1
	v_cmp_ngt_f32_e32 vcc_lo, 0xc2ce8ed0, v1
	s_delay_alu instid0(VALU_DEP_2) | instskip(SKIP_1) | instid1(VALU_DEP_2)
	v_rndne_f32_e32 v41, v40
	v_fma_f32 v42, 0x3fb8aa3b, v1, -v40
	v_sub_f32_e32 v40, v40, v41
	s_delay_alu instid0(VALU_DEP_2) | instskip(SKIP_1) | instid1(VALU_DEP_2)
	v_fmamk_f32 v42, v1, 0x32a5705f, v42
	v_cvt_i32_f32_e32 v41, v41
	v_add_f32_e32 v40, v40, v42
	s_delay_alu instid0(VALU_DEP_1) | instskip(SKIP_1) | instid1(TRANS32_DEP_1)
	v_exp_f32_e32 v40, v40
	v_nop
	v_ldexp_f32 v40, v40, v41
	s_delay_alu instid0(VALU_DEP_1) | instskip(SKIP_1) | instid1(VALU_DEP_2)
	v_cndmask_b32_e32 v40, 0, v40, vcc_lo
	v_cmp_nlt_f32_e32 vcc_lo, 0x42b17218, v1
	v_cndmask_b32_e32 v1, 0x7f800000, v40, vcc_lo
	s_delay_alu instid0(VALU_DEP_1) | instskip(NEXT) | instid1(VALU_DEP_1)
	v_dual_mul_f32 v10, v10, v1 :: v_dual_add_f32 v1, 1.0, v1
	v_div_scale_f32 v40, null, v1, v1, v10
	s_delay_alu instid0(VALU_DEP_1) | instskip(SKIP_1) | instid1(TRANS32_DEP_1)
	v_rcp_f32_e32 v41, v40
	v_nop
	v_fma_f32 v42, -v40, v41, 1.0
	s_delay_alu instid0(VALU_DEP_1) | instskip(SKIP_1) | instid1(VALU_DEP_1)
	v_fmac_f32_e32 v41, v42, v41
	v_div_scale_f32 v42, vcc_lo, v10, v1, v10
	v_mul_f32_e32 v43, v42, v41
	s_delay_alu instid0(VALU_DEP_1) | instskip(NEXT) | instid1(VALU_DEP_1)
	v_fma_f32 v44, -v40, v43, v42
	v_fmac_f32_e32 v43, v44, v41
	s_delay_alu instid0(VALU_DEP_1) | instskip(NEXT) | instid1(VALU_DEP_1)
	v_fma_f32 v40, -v40, v43, v42
	v_div_fmas_f32 v40, v40, v41, v43
	s_delay_alu instid0(VALU_DEP_1)
	v_div_fixup_f32 v10, v40, v1, v10
.LBB62_45:
	s_or_b32 exec_lo, exec_lo, s11
	v_lshrrev_b32_e32 v1, 16, v38
	s_mov_b32 s11, exec_lo
	s_delay_alu instid0(VALU_DEP_1) | instskip(NEXT) | instid1(VALU_DEP_1)
	v_cvt_f32_f16_e32 v1, v1
	v_mul_f32_e32 v1, s13, v1
	s_delay_alu instid0(VALU_DEP_1)
	v_cmpx_nlt_f32_e32 s14, v1
	s_cbranch_execz .LBB62_47
; %bb.46:
	v_mul_f32_e32 v38, 0x3fb8aa3b, v1
	v_cmp_ngt_f32_e32 vcc_lo, 0xc2ce8ed0, v1
	s_delay_alu instid0(VALU_DEP_2) | instskip(SKIP_1) | instid1(VALU_DEP_1)
	v_rndne_f32_e32 v40, v38
	v_fma_f32 v41, 0x3fb8aa3b, v1, -v38
	v_dual_sub_f32 v38, v38, v40 :: v_dual_fmamk_f32 v41, v1, 0x32a5705f, v41
	v_cvt_i32_f32_e32 v40, v40
	s_delay_alu instid0(VALU_DEP_2) | instskip(NEXT) | instid1(VALU_DEP_1)
	v_add_f32_e32 v38, v38, v41
	v_exp_f32_e32 v38, v38
	v_nop
	s_delay_alu instid0(TRANS32_DEP_1) | instskip(NEXT) | instid1(VALU_DEP_1)
	v_ldexp_f32 v38, v38, v40
	v_cndmask_b32_e32 v38, 0, v38, vcc_lo
	v_cmp_nlt_f32_e32 vcc_lo, 0x42b17218, v1
	s_delay_alu instid0(VALU_DEP_2) | instskip(NEXT) | instid1(VALU_DEP_1)
	v_cndmask_b32_e32 v1, 0x7f800000, v38, vcc_lo
	v_dual_mul_f32 v11, v11, v1 :: v_dual_add_f32 v1, 1.0, v1
	s_delay_alu instid0(VALU_DEP_1) | instskip(NEXT) | instid1(VALU_DEP_1)
	v_div_scale_f32 v38, null, v1, v1, v11
	v_rcp_f32_e32 v40, v38
	v_nop
	s_delay_alu instid0(TRANS32_DEP_1) | instskip(NEXT) | instid1(VALU_DEP_1)
	v_fma_f32 v41, -v38, v40, 1.0
	v_fmac_f32_e32 v40, v41, v40
	v_div_scale_f32 v41, vcc_lo, v11, v1, v11
	s_delay_alu instid0(VALU_DEP_1) | instskip(NEXT) | instid1(VALU_DEP_1)
	v_mul_f32_e32 v42, v41, v40
	v_fma_f32 v43, -v38, v42, v41
	s_delay_alu instid0(VALU_DEP_1) | instskip(NEXT) | instid1(VALU_DEP_1)
	v_fmac_f32_e32 v42, v43, v40
	v_fma_f32 v38, -v38, v42, v41
	s_delay_alu instid0(VALU_DEP_1) | instskip(NEXT) | instid1(VALU_DEP_1)
	v_div_fmas_f32 v38, v38, v40, v42
	v_div_fixup_f32 v11, v38, v1, v11
.LBB62_47:
	s_or_b32 exec_lo, exec_lo, s11
	v_cvt_f32_f16_e32 v1, v39
	s_mov_b32 s11, exec_lo
	s_delay_alu instid0(VALU_DEP_1) | instskip(NEXT) | instid1(VALU_DEP_1)
	v_mul_f32_e32 v1, s13, v1
	v_cmpx_nlt_f32_e32 s14, v1
	s_cbranch_execz .LBB62_49
; %bb.48:
	v_mul_f32_e32 v38, 0x3fb8aa3b, v1
	v_cmp_ngt_f32_e32 vcc_lo, 0xc2ce8ed0, v1
	s_delay_alu instid0(VALU_DEP_2) | instskip(SKIP_1) | instid1(VALU_DEP_1)
	v_rndne_f32_e32 v40, v38
	v_fma_f32 v41, 0x3fb8aa3b, v1, -v38
	v_dual_sub_f32 v38, v38, v40 :: v_dual_fmamk_f32 v41, v1, 0x32a5705f, v41
	v_cvt_i32_f32_e32 v40, v40
	s_delay_alu instid0(VALU_DEP_2) | instskip(NEXT) | instid1(VALU_DEP_1)
	v_add_f32_e32 v38, v38, v41
	v_exp_f32_e32 v38, v38
	v_nop
	s_delay_alu instid0(TRANS32_DEP_1) | instskip(NEXT) | instid1(VALU_DEP_1)
	v_ldexp_f32 v38, v38, v40
	v_cndmask_b32_e32 v38, 0, v38, vcc_lo
	v_cmp_nlt_f32_e32 vcc_lo, 0x42b17218, v1
	s_delay_alu instid0(VALU_DEP_2) | instskip(NEXT) | instid1(VALU_DEP_1)
	v_cndmask_b32_e32 v1, 0x7f800000, v38, vcc_lo
	v_dual_mul_f32 v12, v12, v1 :: v_dual_add_f32 v1, 1.0, v1
	s_delay_alu instid0(VALU_DEP_1) | instskip(NEXT) | instid1(VALU_DEP_1)
	v_div_scale_f32 v38, null, v1, v1, v12
	v_rcp_f32_e32 v40, v38
	v_nop
	s_delay_alu instid0(TRANS32_DEP_1) | instskip(NEXT) | instid1(VALU_DEP_1)
	v_fma_f32 v41, -v38, v40, 1.0
	v_fmac_f32_e32 v40, v41, v40
	v_div_scale_f32 v41, vcc_lo, v12, v1, v12
	s_delay_alu instid0(VALU_DEP_1) | instskip(NEXT) | instid1(VALU_DEP_1)
	v_mul_f32_e32 v42, v41, v40
	v_fma_f32 v43, -v38, v42, v41
	s_delay_alu instid0(VALU_DEP_1) | instskip(NEXT) | instid1(VALU_DEP_1)
	v_fmac_f32_e32 v42, v43, v40
	v_fma_f32 v38, -v38, v42, v41
	s_delay_alu instid0(VALU_DEP_1) | instskip(NEXT) | instid1(VALU_DEP_1)
	v_div_fmas_f32 v38, v38, v40, v42
	v_div_fixup_f32 v12, v38, v1, v12
.LBB62_49:
	s_or_b32 exec_lo, exec_lo, s11
	v_lshrrev_b32_e32 v1, 16, v39
	s_mov_b32 s11, exec_lo
	s_delay_alu instid0(VALU_DEP_1) | instskip(NEXT) | instid1(VALU_DEP_1)
	v_cvt_f32_f16_e32 v1, v1
	v_mul_f32_e32 v1, s13, v1
	s_delay_alu instid0(VALU_DEP_1)
	v_cmpx_nlt_f32_e32 s14, v1
	s_cbranch_execz .LBB62_51
; %bb.50:
	v_mul_f32_e32 v38, 0x3fb8aa3b, v1
	v_cmp_ngt_f32_e32 vcc_lo, 0xc2ce8ed0, v1
	s_delay_alu instid0(VALU_DEP_2) | instskip(SKIP_1) | instid1(VALU_DEP_2)
	v_rndne_f32_e32 v39, v38
	v_fma_f32 v40, 0x3fb8aa3b, v1, -v38
	v_sub_f32_e32 v38, v38, v39
	s_delay_alu instid0(VALU_DEP_2) | instskip(SKIP_1) | instid1(VALU_DEP_2)
	v_fmamk_f32 v40, v1, 0x32a5705f, v40
	v_cvt_i32_f32_e32 v39, v39
	v_add_f32_e32 v38, v38, v40
	s_delay_alu instid0(VALU_DEP_1) | instskip(SKIP_1) | instid1(TRANS32_DEP_1)
	v_exp_f32_e32 v38, v38
	v_nop
	v_ldexp_f32 v38, v38, v39
	s_delay_alu instid0(VALU_DEP_1) | instskip(SKIP_1) | instid1(VALU_DEP_2)
	v_cndmask_b32_e32 v38, 0, v38, vcc_lo
	v_cmp_nlt_f32_e32 vcc_lo, 0x42b17218, v1
	v_cndmask_b32_e32 v1, 0x7f800000, v38, vcc_lo
	s_delay_alu instid0(VALU_DEP_1) | instskip(NEXT) | instid1(VALU_DEP_1)
	v_dual_mul_f32 v13, v13, v1 :: v_dual_add_f32 v1, 1.0, v1
	v_div_scale_f32 v38, null, v1, v1, v13
	s_delay_alu instid0(VALU_DEP_1) | instskip(SKIP_1) | instid1(TRANS32_DEP_1)
	v_rcp_f32_e32 v39, v38
	v_nop
	v_fma_f32 v40, -v38, v39, 1.0
	s_delay_alu instid0(VALU_DEP_1) | instskip(SKIP_1) | instid1(VALU_DEP_1)
	v_fmac_f32_e32 v39, v40, v39
	v_div_scale_f32 v40, vcc_lo, v13, v1, v13
	v_mul_f32_e32 v41, v40, v39
	s_delay_alu instid0(VALU_DEP_1) | instskip(NEXT) | instid1(VALU_DEP_1)
	v_fma_f32 v42, -v38, v41, v40
	v_fmac_f32_e32 v41, v42, v39
	s_delay_alu instid0(VALU_DEP_1) | instskip(NEXT) | instid1(VALU_DEP_1)
	v_fma_f32 v38, -v38, v41, v40
	v_div_fmas_f32 v38, v38, v39, v41
	s_delay_alu instid0(VALU_DEP_1)
	v_div_fixup_f32 v13, v38, v1, v13
.LBB62_51:
	s_or_b32 exec_lo, exec_lo, s11
	s_wait_loadcnt 0x1
	v_cvt_f32_f16_e32 v1, v36
	s_mov_b32 s11, exec_lo
	s_delay_alu instid0(VALU_DEP_1) | instskip(NEXT) | instid1(VALU_DEP_1)
	v_mul_f32_e32 v1, s13, v1
	v_cmpx_nlt_f32_e32 s14, v1
	s_cbranch_execz .LBB62_53
; %bb.52:
	v_mul_f32_e32 v38, 0x3fb8aa3b, v1
	v_cmp_ngt_f32_e32 vcc_lo, 0xc2ce8ed0, v1
	s_delay_alu instid0(VALU_DEP_2) | instskip(SKIP_1) | instid1(VALU_DEP_2)
	v_rndne_f32_e32 v39, v38
	v_fma_f32 v40, 0x3fb8aa3b, v1, -v38
	v_sub_f32_e32 v38, v38, v39
	s_delay_alu instid0(VALU_DEP_2) | instskip(SKIP_1) | instid1(VALU_DEP_2)
	v_fmamk_f32 v40, v1, 0x32a5705f, v40
	v_cvt_i32_f32_e32 v39, v39
	v_add_f32_e32 v38, v38, v40
	s_delay_alu instid0(VALU_DEP_1) | instskip(SKIP_1) | instid1(TRANS32_DEP_1)
	v_exp_f32_e32 v38, v38
	v_nop
	v_ldexp_f32 v38, v38, v39
	s_delay_alu instid0(VALU_DEP_1) | instskip(SKIP_1) | instid1(VALU_DEP_2)
	v_cndmask_b32_e32 v38, 0, v38, vcc_lo
	v_cmp_nlt_f32_e32 vcc_lo, 0x42b17218, v1
	v_cndmask_b32_e32 v1, 0x7f800000, v38, vcc_lo
	s_delay_alu instid0(VALU_DEP_1) | instskip(NEXT) | instid1(VALU_DEP_1)
	v_dual_mul_f32 v6, v6, v1 :: v_dual_add_f32 v1, 1.0, v1
	v_div_scale_f32 v38, null, v1, v1, v6
	s_delay_alu instid0(VALU_DEP_1) | instskip(SKIP_1) | instid1(TRANS32_DEP_1)
	v_rcp_f32_e32 v39, v38
	v_nop
	v_fma_f32 v40, -v38, v39, 1.0
	s_delay_alu instid0(VALU_DEP_1) | instskip(SKIP_1) | instid1(VALU_DEP_1)
	v_fmac_f32_e32 v39, v40, v39
	v_div_scale_f32 v40, vcc_lo, v6, v1, v6
	v_mul_f32_e32 v41, v40, v39
	s_delay_alu instid0(VALU_DEP_1) | instskip(NEXT) | instid1(VALU_DEP_1)
	v_fma_f32 v42, -v38, v41, v40
	v_fmac_f32_e32 v41, v42, v39
	s_delay_alu instid0(VALU_DEP_1) | instskip(NEXT) | instid1(VALU_DEP_1)
	v_fma_f32 v38, -v38, v41, v40
	v_div_fmas_f32 v38, v38, v39, v41
	s_delay_alu instid0(VALU_DEP_1)
	v_div_fixup_f32 v6, v38, v1, v6
.LBB62_53:
	s_or_b32 exec_lo, exec_lo, s11
	v_lshrrev_b32_e32 v1, 16, v36
	s_mov_b32 s11, exec_lo
	s_delay_alu instid0(VALU_DEP_1) | instskip(NEXT) | instid1(VALU_DEP_1)
	v_cvt_f32_f16_e32 v1, v1
	v_mul_f32_e32 v1, s13, v1
	s_delay_alu instid0(VALU_DEP_1)
	v_cmpx_nlt_f32_e32 s14, v1
	s_cbranch_execz .LBB62_55
; %bb.54:
	v_mul_f32_e32 v36, 0x3fb8aa3b, v1
	v_cmp_ngt_f32_e32 vcc_lo, 0xc2ce8ed0, v1
	s_delay_alu instid0(VALU_DEP_2) | instskip(SKIP_1) | instid1(VALU_DEP_1)
	v_rndne_f32_e32 v38, v36
	v_fma_f32 v39, 0x3fb8aa3b, v1, -v36
	v_dual_sub_f32 v36, v36, v38 :: v_dual_fmamk_f32 v39, v1, 0x32a5705f, v39
	v_cvt_i32_f32_e32 v38, v38
	s_delay_alu instid0(VALU_DEP_2) | instskip(NEXT) | instid1(VALU_DEP_1)
	v_add_f32_e32 v36, v36, v39
	v_exp_f32_e32 v36, v36
	v_nop
	s_delay_alu instid0(TRANS32_DEP_1) | instskip(NEXT) | instid1(VALU_DEP_1)
	v_ldexp_f32 v36, v36, v38
	v_cndmask_b32_e32 v36, 0, v36, vcc_lo
	v_cmp_nlt_f32_e32 vcc_lo, 0x42b17218, v1
	s_delay_alu instid0(VALU_DEP_2) | instskip(NEXT) | instid1(VALU_DEP_1)
	v_cndmask_b32_e32 v1, 0x7f800000, v36, vcc_lo
	v_dual_mul_f32 v7, v7, v1 :: v_dual_add_f32 v1, 1.0, v1
	s_delay_alu instid0(VALU_DEP_1) | instskip(NEXT) | instid1(VALU_DEP_1)
	v_div_scale_f32 v36, null, v1, v1, v7
	v_rcp_f32_e32 v38, v36
	v_nop
	s_delay_alu instid0(TRANS32_DEP_1) | instskip(NEXT) | instid1(VALU_DEP_1)
	v_fma_f32 v39, -v36, v38, 1.0
	v_fmac_f32_e32 v38, v39, v38
	v_div_scale_f32 v39, vcc_lo, v7, v1, v7
	s_delay_alu instid0(VALU_DEP_1) | instskip(NEXT) | instid1(VALU_DEP_1)
	v_mul_f32_e32 v40, v39, v38
	v_fma_f32 v41, -v36, v40, v39
	s_delay_alu instid0(VALU_DEP_1) | instskip(NEXT) | instid1(VALU_DEP_1)
	v_fmac_f32_e32 v40, v41, v38
	v_fma_f32 v36, -v36, v40, v39
	s_delay_alu instid0(VALU_DEP_1) | instskip(NEXT) | instid1(VALU_DEP_1)
	v_div_fmas_f32 v36, v36, v38, v40
	v_div_fixup_f32 v7, v36, v1, v7
.LBB62_55:
	s_or_b32 exec_lo, exec_lo, s11
	v_cvt_f32_f16_e32 v1, v37
	s_mov_b32 s11, exec_lo
	s_delay_alu instid0(VALU_DEP_1) | instskip(NEXT) | instid1(VALU_DEP_1)
	v_mul_f32_e32 v1, s13, v1
	v_cmpx_nlt_f32_e32 s14, v1
	s_cbranch_execz .LBB62_57
; %bb.56:
	v_mul_f32_e32 v36, 0x3fb8aa3b, v1
	v_cmp_ngt_f32_e32 vcc_lo, 0xc2ce8ed0, v1
	s_delay_alu instid0(VALU_DEP_2) | instskip(SKIP_1) | instid1(VALU_DEP_1)
	v_rndne_f32_e32 v38, v36
	v_fma_f32 v39, 0x3fb8aa3b, v1, -v36
	v_dual_sub_f32 v36, v36, v38 :: v_dual_fmamk_f32 v39, v1, 0x32a5705f, v39
	v_cvt_i32_f32_e32 v38, v38
	s_delay_alu instid0(VALU_DEP_2) | instskip(NEXT) | instid1(VALU_DEP_1)
	v_add_f32_e32 v36, v36, v39
	v_exp_f32_e32 v36, v36
	v_nop
	s_delay_alu instid0(TRANS32_DEP_1) | instskip(NEXT) | instid1(VALU_DEP_1)
	v_ldexp_f32 v36, v36, v38
	v_cndmask_b32_e32 v36, 0, v36, vcc_lo
	v_cmp_nlt_f32_e32 vcc_lo, 0x42b17218, v1
	s_delay_alu instid0(VALU_DEP_2) | instskip(NEXT) | instid1(VALU_DEP_1)
	v_cndmask_b32_e32 v1, 0x7f800000, v36, vcc_lo
	v_dual_mul_f32 v8, v8, v1 :: v_dual_add_f32 v1, 1.0, v1
	s_delay_alu instid0(VALU_DEP_1) | instskip(NEXT) | instid1(VALU_DEP_1)
	v_div_scale_f32 v36, null, v1, v1, v8
	v_rcp_f32_e32 v38, v36
	v_nop
	s_delay_alu instid0(TRANS32_DEP_1) | instskip(NEXT) | instid1(VALU_DEP_1)
	v_fma_f32 v39, -v36, v38, 1.0
	v_fmac_f32_e32 v38, v39, v38
	v_div_scale_f32 v39, vcc_lo, v8, v1, v8
	s_delay_alu instid0(VALU_DEP_1) | instskip(NEXT) | instid1(VALU_DEP_1)
	v_mul_f32_e32 v40, v39, v38
	v_fma_f32 v41, -v36, v40, v39
	s_delay_alu instid0(VALU_DEP_1) | instskip(NEXT) | instid1(VALU_DEP_1)
	v_fmac_f32_e32 v40, v41, v38
	v_fma_f32 v36, -v36, v40, v39
	s_delay_alu instid0(VALU_DEP_1) | instskip(NEXT) | instid1(VALU_DEP_1)
	v_div_fmas_f32 v36, v36, v38, v40
	v_div_fixup_f32 v8, v36, v1, v8
.LBB62_57:
	s_or_b32 exec_lo, exec_lo, s11
	v_lshrrev_b32_e32 v1, 16, v37
	s_mov_b32 s11, exec_lo
	s_delay_alu instid0(VALU_DEP_1) | instskip(NEXT) | instid1(VALU_DEP_1)
	v_cvt_f32_f16_e32 v1, v1
	v_mul_f32_e32 v1, s13, v1
	s_delay_alu instid0(VALU_DEP_1)
	v_cmpx_nlt_f32_e32 s14, v1
	s_cbranch_execz .LBB62_59
; %bb.58:
	v_mul_f32_e32 v36, 0x3fb8aa3b, v1
	v_cmp_ngt_f32_e32 vcc_lo, 0xc2ce8ed0, v1
	s_delay_alu instid0(VALU_DEP_2) | instskip(SKIP_1) | instid1(VALU_DEP_2)
	v_rndne_f32_e32 v37, v36
	v_fma_f32 v38, 0x3fb8aa3b, v1, -v36
	v_sub_f32_e32 v36, v36, v37
	s_delay_alu instid0(VALU_DEP_2) | instskip(SKIP_1) | instid1(VALU_DEP_2)
	v_fmamk_f32 v38, v1, 0x32a5705f, v38
	v_cvt_i32_f32_e32 v37, v37
	v_add_f32_e32 v36, v36, v38
	s_delay_alu instid0(VALU_DEP_1) | instskip(SKIP_1) | instid1(TRANS32_DEP_1)
	v_exp_f32_e32 v36, v36
	v_nop
	v_ldexp_f32 v36, v36, v37
	s_delay_alu instid0(VALU_DEP_1) | instskip(SKIP_1) | instid1(VALU_DEP_2)
	v_cndmask_b32_e32 v36, 0, v36, vcc_lo
	v_cmp_nlt_f32_e32 vcc_lo, 0x42b17218, v1
	v_cndmask_b32_e32 v1, 0x7f800000, v36, vcc_lo
	s_delay_alu instid0(VALU_DEP_1) | instskip(NEXT) | instid1(VALU_DEP_1)
	v_dual_mul_f32 v9, v9, v1 :: v_dual_add_f32 v1, 1.0, v1
	v_div_scale_f32 v36, null, v1, v1, v9
	s_delay_alu instid0(VALU_DEP_1) | instskip(SKIP_1) | instid1(TRANS32_DEP_1)
	v_rcp_f32_e32 v37, v36
	v_nop
	v_fma_f32 v38, -v36, v37, 1.0
	s_delay_alu instid0(VALU_DEP_1) | instskip(SKIP_1) | instid1(VALU_DEP_1)
	v_fmac_f32_e32 v37, v38, v37
	v_div_scale_f32 v38, vcc_lo, v9, v1, v9
	v_mul_f32_e32 v39, v38, v37
	s_delay_alu instid0(VALU_DEP_1) | instskip(NEXT) | instid1(VALU_DEP_1)
	v_fma_f32 v40, -v36, v39, v38
	v_fmac_f32_e32 v39, v40, v37
	s_delay_alu instid0(VALU_DEP_1) | instskip(NEXT) | instid1(VALU_DEP_1)
	v_fma_f32 v36, -v36, v39, v38
	v_div_fmas_f32 v36, v36, v37, v39
	s_delay_alu instid0(VALU_DEP_1)
	v_div_fixup_f32 v9, v36, v1, v9
.LBB62_59:
	s_or_b32 exec_lo, exec_lo, s11
	s_wait_loadcnt 0x0
	v_cvt_f32_f16_e32 v1, v34
	s_mov_b32 s11, exec_lo
	s_delay_alu instid0(VALU_DEP_1) | instskip(NEXT) | instid1(VALU_DEP_1)
	v_mul_f32_e32 v1, s13, v1
	v_cmpx_nlt_f32_e32 s14, v1
	s_cbranch_execz .LBB62_61
; %bb.60:
	v_mul_f32_e32 v36, 0x3fb8aa3b, v1
	v_cmp_ngt_f32_e32 vcc_lo, 0xc2ce8ed0, v1
	s_delay_alu instid0(VALU_DEP_2) | instskip(SKIP_1) | instid1(VALU_DEP_2)
	v_rndne_f32_e32 v37, v36
	v_fma_f32 v38, 0x3fb8aa3b, v1, -v36
	v_sub_f32_e32 v36, v36, v37
	s_delay_alu instid0(VALU_DEP_2) | instskip(SKIP_1) | instid1(VALU_DEP_2)
	v_fmamk_f32 v38, v1, 0x32a5705f, v38
	v_cvt_i32_f32_e32 v37, v37
	v_add_f32_e32 v36, v36, v38
	s_delay_alu instid0(VALU_DEP_1) | instskip(SKIP_1) | instid1(TRANS32_DEP_1)
	v_exp_f32_e32 v36, v36
	v_nop
	v_ldexp_f32 v36, v36, v37
	s_delay_alu instid0(VALU_DEP_1) | instskip(SKIP_1) | instid1(VALU_DEP_2)
	v_cndmask_b32_e32 v36, 0, v36, vcc_lo
	v_cmp_nlt_f32_e32 vcc_lo, 0x42b17218, v1
	v_cndmask_b32_e32 v1, 0x7f800000, v36, vcc_lo
	s_delay_alu instid0(VALU_DEP_1) | instskip(NEXT) | instid1(VALU_DEP_1)
	v_dual_mul_f32 v2, v2, v1 :: v_dual_add_f32 v1, 1.0, v1
	v_div_scale_f32 v36, null, v1, v1, v2
	s_delay_alu instid0(VALU_DEP_1) | instskip(SKIP_1) | instid1(TRANS32_DEP_1)
	v_rcp_f32_e32 v37, v36
	v_nop
	v_fma_f32 v38, -v36, v37, 1.0
	s_delay_alu instid0(VALU_DEP_1) | instskip(SKIP_1) | instid1(VALU_DEP_1)
	v_fmac_f32_e32 v37, v38, v37
	v_div_scale_f32 v38, vcc_lo, v2, v1, v2
	v_mul_f32_e32 v39, v38, v37
	s_delay_alu instid0(VALU_DEP_1) | instskip(NEXT) | instid1(VALU_DEP_1)
	v_fma_f32 v40, -v36, v39, v38
	v_fmac_f32_e32 v39, v40, v37
	s_delay_alu instid0(VALU_DEP_1) | instskip(NEXT) | instid1(VALU_DEP_1)
	v_fma_f32 v36, -v36, v39, v38
	v_div_fmas_f32 v36, v36, v37, v39
	s_delay_alu instid0(VALU_DEP_1)
	v_div_fixup_f32 v2, v36, v1, v2
.LBB62_61:
	s_or_b32 exec_lo, exec_lo, s11
	v_lshrrev_b32_e32 v1, 16, v34
	s_mov_b32 s11, exec_lo
	s_delay_alu instid0(VALU_DEP_1) | instskip(NEXT) | instid1(VALU_DEP_1)
	v_cvt_f32_f16_e32 v1, v1
	v_mul_f32_e32 v1, s13, v1
	s_delay_alu instid0(VALU_DEP_1)
	v_cmpx_nlt_f32_e32 s14, v1
	s_cbranch_execz .LBB62_63
; %bb.62:
	v_mul_f32_e32 v34, 0x3fb8aa3b, v1
	v_cmp_ngt_f32_e32 vcc_lo, 0xc2ce8ed0, v1
	s_delay_alu instid0(VALU_DEP_2) | instskip(SKIP_1) | instid1(VALU_DEP_1)
	v_rndne_f32_e32 v36, v34
	v_fma_f32 v37, 0x3fb8aa3b, v1, -v34
	v_dual_sub_f32 v34, v34, v36 :: v_dual_fmamk_f32 v37, v1, 0x32a5705f, v37
	v_cvt_i32_f32_e32 v36, v36
	s_delay_alu instid0(VALU_DEP_2) | instskip(NEXT) | instid1(VALU_DEP_1)
	v_add_f32_e32 v34, v34, v37
	v_exp_f32_e32 v34, v34
	v_nop
	s_delay_alu instid0(TRANS32_DEP_1) | instskip(NEXT) | instid1(VALU_DEP_1)
	v_ldexp_f32 v34, v34, v36
	v_cndmask_b32_e32 v34, 0, v34, vcc_lo
	v_cmp_nlt_f32_e32 vcc_lo, 0x42b17218, v1
	s_delay_alu instid0(VALU_DEP_2) | instskip(NEXT) | instid1(VALU_DEP_1)
	v_cndmask_b32_e32 v1, 0x7f800000, v34, vcc_lo
	v_dual_mul_f32 v3, v3, v1 :: v_dual_add_f32 v1, 1.0, v1
	s_delay_alu instid0(VALU_DEP_1) | instskip(NEXT) | instid1(VALU_DEP_1)
	v_div_scale_f32 v34, null, v1, v1, v3
	v_rcp_f32_e32 v36, v34
	v_nop
	s_delay_alu instid0(TRANS32_DEP_1) | instskip(NEXT) | instid1(VALU_DEP_1)
	v_fma_f32 v37, -v34, v36, 1.0
	v_fmac_f32_e32 v36, v37, v36
	v_div_scale_f32 v37, vcc_lo, v3, v1, v3
	s_delay_alu instid0(VALU_DEP_1) | instskip(NEXT) | instid1(VALU_DEP_1)
	v_mul_f32_e32 v38, v37, v36
	v_fma_f32 v39, -v34, v38, v37
	s_delay_alu instid0(VALU_DEP_1) | instskip(NEXT) | instid1(VALU_DEP_1)
	v_fmac_f32_e32 v38, v39, v36
	v_fma_f32 v34, -v34, v38, v37
	s_delay_alu instid0(VALU_DEP_1) | instskip(NEXT) | instid1(VALU_DEP_1)
	v_div_fmas_f32 v34, v34, v36, v38
	v_div_fixup_f32 v3, v34, v1, v3
.LBB62_63:
	s_or_b32 exec_lo, exec_lo, s11
	v_cvt_f32_f16_e32 v1, v35
	s_mov_b32 s11, exec_lo
	s_delay_alu instid0(VALU_DEP_1) | instskip(NEXT) | instid1(VALU_DEP_1)
	v_mul_f32_e32 v1, s13, v1
	v_cmpx_nlt_f32_e32 s14, v1
	s_cbranch_execz .LBB62_65
; %bb.64:
	v_mul_f32_e32 v34, 0x3fb8aa3b, v1
	v_cmp_ngt_f32_e32 vcc_lo, 0xc2ce8ed0, v1
	s_delay_alu instid0(VALU_DEP_2) | instskip(SKIP_1) | instid1(VALU_DEP_1)
	v_rndne_f32_e32 v36, v34
	v_fma_f32 v37, 0x3fb8aa3b, v1, -v34
	v_dual_sub_f32 v34, v34, v36 :: v_dual_fmamk_f32 v37, v1, 0x32a5705f, v37
	v_cvt_i32_f32_e32 v36, v36
	s_delay_alu instid0(VALU_DEP_2) | instskip(NEXT) | instid1(VALU_DEP_1)
	v_add_f32_e32 v34, v34, v37
	v_exp_f32_e32 v34, v34
	v_nop
	s_delay_alu instid0(TRANS32_DEP_1) | instskip(NEXT) | instid1(VALU_DEP_1)
	v_ldexp_f32 v34, v34, v36
	v_cndmask_b32_e32 v34, 0, v34, vcc_lo
	v_cmp_nlt_f32_e32 vcc_lo, 0x42b17218, v1
	s_delay_alu instid0(VALU_DEP_2) | instskip(NEXT) | instid1(VALU_DEP_1)
	v_cndmask_b32_e32 v1, 0x7f800000, v34, vcc_lo
	v_dual_mul_f32 v4, v4, v1 :: v_dual_add_f32 v1, 1.0, v1
	s_delay_alu instid0(VALU_DEP_1) | instskip(NEXT) | instid1(VALU_DEP_1)
	v_div_scale_f32 v34, null, v1, v1, v4
	v_rcp_f32_e32 v36, v34
	v_nop
	s_delay_alu instid0(TRANS32_DEP_1) | instskip(NEXT) | instid1(VALU_DEP_1)
	v_fma_f32 v37, -v34, v36, 1.0
	v_fmac_f32_e32 v36, v37, v36
	v_div_scale_f32 v37, vcc_lo, v4, v1, v4
	s_delay_alu instid0(VALU_DEP_1) | instskip(NEXT) | instid1(VALU_DEP_1)
	v_mul_f32_e32 v38, v37, v36
	v_fma_f32 v39, -v34, v38, v37
	s_delay_alu instid0(VALU_DEP_1) | instskip(NEXT) | instid1(VALU_DEP_1)
	v_fmac_f32_e32 v38, v39, v36
	v_fma_f32 v34, -v34, v38, v37
	s_delay_alu instid0(VALU_DEP_1) | instskip(NEXT) | instid1(VALU_DEP_1)
	v_div_fmas_f32 v34, v34, v36, v38
	v_div_fixup_f32 v4, v34, v1, v4
.LBB62_65:
	s_or_b32 exec_lo, exec_lo, s11
	v_lshrrev_b32_e32 v1, 16, v35
	s_mov_b32 s11, exec_lo
	s_delay_alu instid0(VALU_DEP_1) | instskip(NEXT) | instid1(VALU_DEP_1)
	v_cvt_f32_f16_e32 v1, v1
	v_mul_f32_e32 v1, s13, v1
	s_delay_alu instid0(VALU_DEP_1)
	v_cmpx_nlt_f32_e32 s14, v1
	s_cbranch_execz .LBB62_67
; %bb.66:
	v_mul_f32_e32 v34, 0x3fb8aa3b, v1
	v_cmp_ngt_f32_e32 vcc_lo, 0xc2ce8ed0, v1
	s_delay_alu instid0(VALU_DEP_2) | instskip(SKIP_1) | instid1(VALU_DEP_2)
	v_rndne_f32_e32 v35, v34
	v_fma_f32 v36, 0x3fb8aa3b, v1, -v34
	v_sub_f32_e32 v34, v34, v35
	s_delay_alu instid0(VALU_DEP_2) | instskip(SKIP_1) | instid1(VALU_DEP_2)
	v_fmamk_f32 v36, v1, 0x32a5705f, v36
	v_cvt_i32_f32_e32 v35, v35
	v_add_f32_e32 v34, v34, v36
	s_delay_alu instid0(VALU_DEP_1) | instskip(SKIP_1) | instid1(TRANS32_DEP_1)
	v_exp_f32_e32 v34, v34
	v_nop
	v_ldexp_f32 v34, v34, v35
	s_delay_alu instid0(VALU_DEP_1) | instskip(SKIP_1) | instid1(VALU_DEP_2)
	v_cndmask_b32_e32 v34, 0, v34, vcc_lo
	v_cmp_nlt_f32_e32 vcc_lo, 0x42b17218, v1
	v_cndmask_b32_e32 v1, 0x7f800000, v34, vcc_lo
	s_delay_alu instid0(VALU_DEP_1) | instskip(NEXT) | instid1(VALU_DEP_1)
	v_dual_mul_f32 v5, v5, v1 :: v_dual_add_f32 v1, 1.0, v1
	v_div_scale_f32 v34, null, v1, v1, v5
	s_delay_alu instid0(VALU_DEP_1) | instskip(SKIP_1) | instid1(TRANS32_DEP_1)
	v_rcp_f32_e32 v35, v34
	v_nop
	v_fma_f32 v36, -v34, v35, 1.0
	s_delay_alu instid0(VALU_DEP_1) | instskip(SKIP_1) | instid1(VALU_DEP_1)
	v_fmac_f32_e32 v35, v36, v35
	v_div_scale_f32 v36, vcc_lo, v5, v1, v5
	v_mul_f32_e32 v37, v36, v35
	s_delay_alu instid0(VALU_DEP_1) | instskip(NEXT) | instid1(VALU_DEP_1)
	v_fma_f32 v38, -v34, v37, v36
	v_fmac_f32_e32 v37, v38, v35
	s_delay_alu instid0(VALU_DEP_1) | instskip(NEXT) | instid1(VALU_DEP_1)
	v_fma_f32 v34, -v34, v37, v36
	v_div_fmas_f32 v34, v34, v35, v37
	s_delay_alu instid0(VALU_DEP_1)
	v_div_fixup_f32 v5, v34, v1, v5
.LBB62_67:
	s_or_b32 exec_lo, exec_lo, s11
	s_add_nc_u64 s[16:17], s[4:5], s[8:9]
	s_clause 0x7
	global_store_b128 v0, v[30:33], s[16:17] scale_offset
	global_store_b128 v0, v[26:29], s[16:17] offset:8192 scale_offset
	global_store_b128 v0, v[22:25], s[16:17] offset:16384 scale_offset
	;; [unrolled: 1-line block ×7, first 2 shown]
	s_branch .LBB62_2
.LBB62_68:
	s_clause 0x1
	s_load_b32 s11, s[0:1], 0x2c
	s_load_b128 s[16:19], s[0:1], 0x30
	v_dual_mov_b32 v31, v0 :: v_dual_mov_b32 v0, s13
	v_dual_mov_b32 v1, s14 :: v_dual_mov_b32 v2, s4
	;; [unrolled: 1-line block ×5, first 2 shown]
	s_add_nc_u64 s[8:9], s[0:1], 64
	s_wait_xcnt 0x0
	s_get_pc_i64 s[0:1]
	s_add_nc_u64 s[0:1], s[0:1], _ZN2at6native25elementwise_kernel_helperILb1EZZZNS0_12_GLOBAL__N_124softplus_backward_kernelERNS_18TensorIteratorBaseERKN3c106ScalarES8_ENKUlvE_clEvENKUlvE0_clEvEUlffE_NS0_6memory8policies11unroll_baseILi512ESt5arrayIPcLm3EE23TrivialOffsetCalculatorILi2EjESI_ILi1EjENSC_12LoadWithCastILi2EEENSC_13StoreWithCastILi1EEELi32ELi1EEEEEvT0_T1_@rel64+4
	s_wait_kmcnt 0x0
	s_bfe_u32 s12, s11, 0x80008
	v_dual_mov_b32 v9, s11 :: v_dual_mov_b32 v11, s16
	v_dual_mov_b32 v12, s17 :: v_dual_mov_b32 v13, s18
	;; [unrolled: 1-line block ×3, first 2 shown]
	s_swap_pc_i64 s[30:31], s[0:1]
	s_endpgm
	.section	.rodata,"a",@progbits
	.p2align	6, 0x0
	.amdhsa_kernel _ZN2at6native39vectorized_templated_elementwise_kernelILi4EZZZNS0_12_GLOBAL__N_124softplus_backward_kernelERNS_18TensorIteratorBaseERKN3c106ScalarES8_ENKUlvE_clEvENKUlvE0_clEvEUlffE_St5arrayIPcLm3EE23TrivialOffsetCalculatorILi2EjESF_ILi1EjENS0_6memory12LoadWithCastILi2EEENSI_13StoreWithCastILi1EEEfJfNS5_4HalfEEEEviT0_T1_T2_T3_T4_T5_
		.amdhsa_group_segment_fixed_size 0
		.amdhsa_private_segment_fixed_size 272
		.amdhsa_kernarg_size 320
		.amdhsa_user_sgpr_count 2
		.amdhsa_user_sgpr_dispatch_ptr 0
		.amdhsa_user_sgpr_queue_ptr 0
		.amdhsa_user_sgpr_kernarg_segment_ptr 1
		.amdhsa_user_sgpr_dispatch_id 0
		.amdhsa_user_sgpr_kernarg_preload_length 0
		.amdhsa_user_sgpr_kernarg_preload_offset 0
		.amdhsa_user_sgpr_private_segment_size 0
		.amdhsa_wavefront_size32 1
		.amdhsa_uses_dynamic_stack 0
		.amdhsa_enable_private_segment 1
		.amdhsa_system_sgpr_workgroup_id_x 1
		.amdhsa_system_sgpr_workgroup_id_y 0
		.amdhsa_system_sgpr_workgroup_id_z 0
		.amdhsa_system_sgpr_workgroup_info 0
		.amdhsa_system_vgpr_workitem_id 0
		.amdhsa_next_free_vgpr 132
		.amdhsa_next_free_sgpr 96
		.amdhsa_named_barrier_count 0
		.amdhsa_reserve_vcc 1
		.amdhsa_float_round_mode_32 0
		.amdhsa_float_round_mode_16_64 0
		.amdhsa_float_denorm_mode_32 3
		.amdhsa_float_denorm_mode_16_64 3
		.amdhsa_fp16_overflow 0
		.amdhsa_memory_ordered 1
		.amdhsa_forward_progress 1
		.amdhsa_inst_pref_size 67
		.amdhsa_round_robin_scheduling 0
		.amdhsa_exception_fp_ieee_invalid_op 0
		.amdhsa_exception_fp_denorm_src 0
		.amdhsa_exception_fp_ieee_div_zero 0
		.amdhsa_exception_fp_ieee_overflow 0
		.amdhsa_exception_fp_ieee_underflow 0
		.amdhsa_exception_fp_ieee_inexact 0
		.amdhsa_exception_int_div_zero 0
	.end_amdhsa_kernel
	.section	.text._ZN2at6native39vectorized_templated_elementwise_kernelILi4EZZZNS0_12_GLOBAL__N_124softplus_backward_kernelERNS_18TensorIteratorBaseERKN3c106ScalarES8_ENKUlvE_clEvENKUlvE0_clEvEUlffE_St5arrayIPcLm3EE23TrivialOffsetCalculatorILi2EjESF_ILi1EjENS0_6memory12LoadWithCastILi2EEENSI_13StoreWithCastILi1EEEfJfNS5_4HalfEEEEviT0_T1_T2_T3_T4_T5_,"axG",@progbits,_ZN2at6native39vectorized_templated_elementwise_kernelILi4EZZZNS0_12_GLOBAL__N_124softplus_backward_kernelERNS_18TensorIteratorBaseERKN3c106ScalarES8_ENKUlvE_clEvENKUlvE0_clEvEUlffE_St5arrayIPcLm3EE23TrivialOffsetCalculatorILi2EjESF_ILi1EjENS0_6memory12LoadWithCastILi2EEENSI_13StoreWithCastILi1EEEfJfNS5_4HalfEEEEviT0_T1_T2_T3_T4_T5_,comdat
.Lfunc_end62:
	.size	_ZN2at6native39vectorized_templated_elementwise_kernelILi4EZZZNS0_12_GLOBAL__N_124softplus_backward_kernelERNS_18TensorIteratorBaseERKN3c106ScalarES8_ENKUlvE_clEvENKUlvE0_clEvEUlffE_St5arrayIPcLm3EE23TrivialOffsetCalculatorILi2EjESF_ILi1EjENS0_6memory12LoadWithCastILi2EEENSI_13StoreWithCastILi1EEEfJfNS5_4HalfEEEEviT0_T1_T2_T3_T4_T5_, .Lfunc_end62-_ZN2at6native39vectorized_templated_elementwise_kernelILi4EZZZNS0_12_GLOBAL__N_124softplus_backward_kernelERNS_18TensorIteratorBaseERKN3c106ScalarES8_ENKUlvE_clEvENKUlvE0_clEvEUlffE_St5arrayIPcLm3EE23TrivialOffsetCalculatorILi2EjESF_ILi1EjENS0_6memory12LoadWithCastILi2EEENSI_13StoreWithCastILi1EEEfJfNS5_4HalfEEEEviT0_T1_T2_T3_T4_T5_
                                        ; -- End function
	.set _ZN2at6native39vectorized_templated_elementwise_kernelILi4EZZZNS0_12_GLOBAL__N_124softplus_backward_kernelERNS_18TensorIteratorBaseERKN3c106ScalarES8_ENKUlvE_clEvENKUlvE0_clEvEUlffE_St5arrayIPcLm3EE23TrivialOffsetCalculatorILi2EjESF_ILi1EjENS0_6memory12LoadWithCastILi2EEENSI_13StoreWithCastILi1EEEfJfNS5_4HalfEEEEviT0_T1_T2_T3_T4_T5_.num_vgpr, max(55, .L_ZN2at6native25elementwise_kernel_helperILb1EZZZNS0_12_GLOBAL__N_124softplus_backward_kernelERNS_18TensorIteratorBaseERKN3c106ScalarES8_ENKUlvE_clEvENKUlvE0_clEvEUlffE_NS0_6memory8policies11unroll_baseILi512ESt5arrayIPcLm3EE23TrivialOffsetCalculatorILi2EjESI_ILi1EjENSC_12LoadWithCastILi2EEENSC_13StoreWithCastILi1EEELi32ELi1EEEEEvT0_T1_.num_vgpr)
	.set _ZN2at6native39vectorized_templated_elementwise_kernelILi4EZZZNS0_12_GLOBAL__N_124softplus_backward_kernelERNS_18TensorIteratorBaseERKN3c106ScalarES8_ENKUlvE_clEvENKUlvE0_clEvEUlffE_St5arrayIPcLm3EE23TrivialOffsetCalculatorILi2EjESF_ILi1EjENS0_6memory12LoadWithCastILi2EEENSI_13StoreWithCastILi1EEEfJfNS5_4HalfEEEEviT0_T1_T2_T3_T4_T5_.num_agpr, max(0, .L_ZN2at6native25elementwise_kernel_helperILb1EZZZNS0_12_GLOBAL__N_124softplus_backward_kernelERNS_18TensorIteratorBaseERKN3c106ScalarES8_ENKUlvE_clEvENKUlvE0_clEvEUlffE_NS0_6memory8policies11unroll_baseILi512ESt5arrayIPcLm3EE23TrivialOffsetCalculatorILi2EjESI_ILi1EjENSC_12LoadWithCastILi2EEENSC_13StoreWithCastILi1EEELi32ELi1EEEEEvT0_T1_.num_agpr)
	.set _ZN2at6native39vectorized_templated_elementwise_kernelILi4EZZZNS0_12_GLOBAL__N_124softplus_backward_kernelERNS_18TensorIteratorBaseERKN3c106ScalarES8_ENKUlvE_clEvENKUlvE0_clEvEUlffE_St5arrayIPcLm3EE23TrivialOffsetCalculatorILi2EjESF_ILi1EjENS0_6memory12LoadWithCastILi2EEENSI_13StoreWithCastILi1EEEfJfNS5_4HalfEEEEviT0_T1_T2_T3_T4_T5_.numbered_sgpr, max(33, .L_ZN2at6native25elementwise_kernel_helperILb1EZZZNS0_12_GLOBAL__N_124softplus_backward_kernelERNS_18TensorIteratorBaseERKN3c106ScalarES8_ENKUlvE_clEvENKUlvE0_clEvEUlffE_NS0_6memory8policies11unroll_baseILi512ESt5arrayIPcLm3EE23TrivialOffsetCalculatorILi2EjESI_ILi1EjENSC_12LoadWithCastILi2EEENSC_13StoreWithCastILi1EEELi32ELi1EEEEEvT0_T1_.numbered_sgpr)
	.set _ZN2at6native39vectorized_templated_elementwise_kernelILi4EZZZNS0_12_GLOBAL__N_124softplus_backward_kernelERNS_18TensorIteratorBaseERKN3c106ScalarES8_ENKUlvE_clEvENKUlvE0_clEvEUlffE_St5arrayIPcLm3EE23TrivialOffsetCalculatorILi2EjESF_ILi1EjENS0_6memory12LoadWithCastILi2EEENSI_13StoreWithCastILi1EEEfJfNS5_4HalfEEEEviT0_T1_T2_T3_T4_T5_.num_named_barrier, max(0, .L_ZN2at6native25elementwise_kernel_helperILb1EZZZNS0_12_GLOBAL__N_124softplus_backward_kernelERNS_18TensorIteratorBaseERKN3c106ScalarES8_ENKUlvE_clEvENKUlvE0_clEvEUlffE_NS0_6memory8policies11unroll_baseILi512ESt5arrayIPcLm3EE23TrivialOffsetCalculatorILi2EjESI_ILi1EjENSC_12LoadWithCastILi2EEENSC_13StoreWithCastILi1EEELi32ELi1EEEEEvT0_T1_.num_named_barrier)
	.set _ZN2at6native39vectorized_templated_elementwise_kernelILi4EZZZNS0_12_GLOBAL__N_124softplus_backward_kernelERNS_18TensorIteratorBaseERKN3c106ScalarES8_ENKUlvE_clEvENKUlvE0_clEvEUlffE_St5arrayIPcLm3EE23TrivialOffsetCalculatorILi2EjESF_ILi1EjENS0_6memory12LoadWithCastILi2EEENSI_13StoreWithCastILi1EEEfJfNS5_4HalfEEEEviT0_T1_T2_T3_T4_T5_.private_seg_size, 0+max(.L_ZN2at6native25elementwise_kernel_helperILb1EZZZNS0_12_GLOBAL__N_124softplus_backward_kernelERNS_18TensorIteratorBaseERKN3c106ScalarES8_ENKUlvE_clEvENKUlvE0_clEvEUlffE_NS0_6memory8policies11unroll_baseILi512ESt5arrayIPcLm3EE23TrivialOffsetCalculatorILi2EjESI_ILi1EjENSC_12LoadWithCastILi2EEENSC_13StoreWithCastILi1EEELi32ELi1EEEEEvT0_T1_.private_seg_size)
	.set _ZN2at6native39vectorized_templated_elementwise_kernelILi4EZZZNS0_12_GLOBAL__N_124softplus_backward_kernelERNS_18TensorIteratorBaseERKN3c106ScalarES8_ENKUlvE_clEvENKUlvE0_clEvEUlffE_St5arrayIPcLm3EE23TrivialOffsetCalculatorILi2EjESF_ILi1EjENS0_6memory12LoadWithCastILi2EEENSI_13StoreWithCastILi1EEEfJfNS5_4HalfEEEEviT0_T1_T2_T3_T4_T5_.uses_vcc, or(1, .L_ZN2at6native25elementwise_kernel_helperILb1EZZZNS0_12_GLOBAL__N_124softplus_backward_kernelERNS_18TensorIteratorBaseERKN3c106ScalarES8_ENKUlvE_clEvENKUlvE0_clEvEUlffE_NS0_6memory8policies11unroll_baseILi512ESt5arrayIPcLm3EE23TrivialOffsetCalculatorILi2EjESI_ILi1EjENSC_12LoadWithCastILi2EEENSC_13StoreWithCastILi1EEELi32ELi1EEEEEvT0_T1_.uses_vcc)
	.set _ZN2at6native39vectorized_templated_elementwise_kernelILi4EZZZNS0_12_GLOBAL__N_124softplus_backward_kernelERNS_18TensorIteratorBaseERKN3c106ScalarES8_ENKUlvE_clEvENKUlvE0_clEvEUlffE_St5arrayIPcLm3EE23TrivialOffsetCalculatorILi2EjESF_ILi1EjENS0_6memory12LoadWithCastILi2EEENSI_13StoreWithCastILi1EEEfJfNS5_4HalfEEEEviT0_T1_T2_T3_T4_T5_.uses_flat_scratch, or(0, .L_ZN2at6native25elementwise_kernel_helperILb1EZZZNS0_12_GLOBAL__N_124softplus_backward_kernelERNS_18TensorIteratorBaseERKN3c106ScalarES8_ENKUlvE_clEvENKUlvE0_clEvEUlffE_NS0_6memory8policies11unroll_baseILi512ESt5arrayIPcLm3EE23TrivialOffsetCalculatorILi2EjESI_ILi1EjENSC_12LoadWithCastILi2EEENSC_13StoreWithCastILi1EEELi32ELi1EEEEEvT0_T1_.uses_flat_scratch)
	.set _ZN2at6native39vectorized_templated_elementwise_kernelILi4EZZZNS0_12_GLOBAL__N_124softplus_backward_kernelERNS_18TensorIteratorBaseERKN3c106ScalarES8_ENKUlvE_clEvENKUlvE0_clEvEUlffE_St5arrayIPcLm3EE23TrivialOffsetCalculatorILi2EjESF_ILi1EjENS0_6memory12LoadWithCastILi2EEENSI_13StoreWithCastILi1EEEfJfNS5_4HalfEEEEviT0_T1_T2_T3_T4_T5_.has_dyn_sized_stack, or(0, .L_ZN2at6native25elementwise_kernel_helperILb1EZZZNS0_12_GLOBAL__N_124softplus_backward_kernelERNS_18TensorIteratorBaseERKN3c106ScalarES8_ENKUlvE_clEvENKUlvE0_clEvEUlffE_NS0_6memory8policies11unroll_baseILi512ESt5arrayIPcLm3EE23TrivialOffsetCalculatorILi2EjESI_ILi1EjENSC_12LoadWithCastILi2EEENSC_13StoreWithCastILi1EEELi32ELi1EEEEEvT0_T1_.has_dyn_sized_stack)
	.set _ZN2at6native39vectorized_templated_elementwise_kernelILi4EZZZNS0_12_GLOBAL__N_124softplus_backward_kernelERNS_18TensorIteratorBaseERKN3c106ScalarES8_ENKUlvE_clEvENKUlvE0_clEvEUlffE_St5arrayIPcLm3EE23TrivialOffsetCalculatorILi2EjESF_ILi1EjENS0_6memory12LoadWithCastILi2EEENSI_13StoreWithCastILi1EEEfJfNS5_4HalfEEEEviT0_T1_T2_T3_T4_T5_.has_recursion, or(0, .L_ZN2at6native25elementwise_kernel_helperILb1EZZZNS0_12_GLOBAL__N_124softplus_backward_kernelERNS_18TensorIteratorBaseERKN3c106ScalarES8_ENKUlvE_clEvENKUlvE0_clEvEUlffE_NS0_6memory8policies11unroll_baseILi512ESt5arrayIPcLm3EE23TrivialOffsetCalculatorILi2EjESI_ILi1EjENSC_12LoadWithCastILi2EEENSC_13StoreWithCastILi1EEELi32ELi1EEEEEvT0_T1_.has_recursion)
	.set _ZN2at6native39vectorized_templated_elementwise_kernelILi4EZZZNS0_12_GLOBAL__N_124softplus_backward_kernelERNS_18TensorIteratorBaseERKN3c106ScalarES8_ENKUlvE_clEvENKUlvE0_clEvEUlffE_St5arrayIPcLm3EE23TrivialOffsetCalculatorILi2EjESF_ILi1EjENS0_6memory12LoadWithCastILi2EEENSI_13StoreWithCastILi1EEEfJfNS5_4HalfEEEEviT0_T1_T2_T3_T4_T5_.has_indirect_call, or(0, .L_ZN2at6native25elementwise_kernel_helperILb1EZZZNS0_12_GLOBAL__N_124softplus_backward_kernelERNS_18TensorIteratorBaseERKN3c106ScalarES8_ENKUlvE_clEvENKUlvE0_clEvEUlffE_NS0_6memory8policies11unroll_baseILi512ESt5arrayIPcLm3EE23TrivialOffsetCalculatorILi2EjESI_ILi1EjENSC_12LoadWithCastILi2EEENSC_13StoreWithCastILi1EEELi32ELi1EEEEEvT0_T1_.has_indirect_call)
	.section	.AMDGPU.csdata,"",@progbits
; Kernel info:
; codeLenInByte = 8456
; TotalNumSgprs: 98
; NumVgprs: 132
; ScratchSize: 272
; MemoryBound: 0
; FloatMode: 240
; IeeeMode: 1
; LDSByteSize: 0 bytes/workgroup (compile time only)
; SGPRBlocks: 0
; VGPRBlocks: 8
; NumSGPRsForWavesPerEU: 98
; NumVGPRsForWavesPerEU: 132
; NamedBarCnt: 0
; Occupancy: 7
; WaveLimiterHint : 1
; COMPUTE_PGM_RSRC2:SCRATCH_EN: 1
; COMPUTE_PGM_RSRC2:USER_SGPR: 2
; COMPUTE_PGM_RSRC2:TRAP_HANDLER: 0
; COMPUTE_PGM_RSRC2:TGID_X_EN: 1
; COMPUTE_PGM_RSRC2:TGID_Y_EN: 0
; COMPUTE_PGM_RSRC2:TGID_Z_EN: 0
; COMPUTE_PGM_RSRC2:TIDIG_COMP_CNT: 0
	.section	.text._ZN2at6native39vectorized_templated_elementwise_kernelILi2EZZZNS0_12_GLOBAL__N_124softplus_backward_kernelERNS_18TensorIteratorBaseERKN3c106ScalarES8_ENKUlvE_clEvENKUlvE0_clEvEUlffE_St5arrayIPcLm3EE23TrivialOffsetCalculatorILi2EjESF_ILi1EjENS0_6memory12LoadWithCastILi2EEENSI_13StoreWithCastILi1EEEfJfNS5_4HalfEEEEviT0_T1_T2_T3_T4_T5_,"axG",@progbits,_ZN2at6native39vectorized_templated_elementwise_kernelILi2EZZZNS0_12_GLOBAL__N_124softplus_backward_kernelERNS_18TensorIteratorBaseERKN3c106ScalarES8_ENKUlvE_clEvENKUlvE0_clEvEUlffE_St5arrayIPcLm3EE23TrivialOffsetCalculatorILi2EjESF_ILi1EjENS0_6memory12LoadWithCastILi2EEENSI_13StoreWithCastILi1EEEfJfNS5_4HalfEEEEviT0_T1_T2_T3_T4_T5_,comdat
	.globl	_ZN2at6native39vectorized_templated_elementwise_kernelILi2EZZZNS0_12_GLOBAL__N_124softplus_backward_kernelERNS_18TensorIteratorBaseERKN3c106ScalarES8_ENKUlvE_clEvENKUlvE0_clEvEUlffE_St5arrayIPcLm3EE23TrivialOffsetCalculatorILi2EjESF_ILi1EjENS0_6memory12LoadWithCastILi2EEENSI_13StoreWithCastILi1EEEfJfNS5_4HalfEEEEviT0_T1_T2_T3_T4_T5_ ; -- Begin function _ZN2at6native39vectorized_templated_elementwise_kernelILi2EZZZNS0_12_GLOBAL__N_124softplus_backward_kernelERNS_18TensorIteratorBaseERKN3c106ScalarES8_ENKUlvE_clEvENKUlvE0_clEvEUlffE_St5arrayIPcLm3EE23TrivialOffsetCalculatorILi2EjESF_ILi1EjENS0_6memory12LoadWithCastILi2EEENSI_13StoreWithCastILi1EEEfJfNS5_4HalfEEEEviT0_T1_T2_T3_T4_T5_
	.p2align	8
	.type	_ZN2at6native39vectorized_templated_elementwise_kernelILi2EZZZNS0_12_GLOBAL__N_124softplus_backward_kernelERNS_18TensorIteratorBaseERKN3c106ScalarES8_ENKUlvE_clEvENKUlvE0_clEvEUlffE_St5arrayIPcLm3EE23TrivialOffsetCalculatorILi2EjESF_ILi1EjENS0_6memory12LoadWithCastILi2EEENSI_13StoreWithCastILi1EEEfJfNS5_4HalfEEEEviT0_T1_T2_T3_T4_T5_,@function
_ZN2at6native39vectorized_templated_elementwise_kernelILi2EZZZNS0_12_GLOBAL__N_124softplus_backward_kernelERNS_18TensorIteratorBaseERKN3c106ScalarES8_ENKUlvE_clEvENKUlvE0_clEvEUlffE_St5arrayIPcLm3EE23TrivialOffsetCalculatorILi2EjESF_ILi1EjENS0_6memory12LoadWithCastILi2EEENSI_13StoreWithCastILi1EEEfJfNS5_4HalfEEEEviT0_T1_T2_T3_T4_T5_: ; @_ZN2at6native39vectorized_templated_elementwise_kernelILi2EZZZNS0_12_GLOBAL__N_124softplus_backward_kernelERNS_18TensorIteratorBaseERKN3c106ScalarES8_ENKUlvE_clEvENKUlvE0_clEvEUlffE_St5arrayIPcLm3EE23TrivialOffsetCalculatorILi2EjESF_ILi1EjENS0_6memory12LoadWithCastILi2EEENSI_13StoreWithCastILi1EEEfJfNS5_4HalfEEEEviT0_T1_T2_T3_T4_T5_
; %bb.0:
	s_clause 0x2
	s_load_b32 s8, s[0:1], 0x40
	s_load_b96 s[12:14], s[0:1], 0x0
	s_load_b64 s[2:3], s[0:1], 0x20
	s_bfe_u32 s9, ttmp6, 0x4000c
	s_load_b128 s[4:7], s[0:1], 0x10
	s_add_co_i32 s9, s9, 1
	s_and_b32 s10, ttmp6, 15
	s_mul_i32 s9, ttmp9, s9
	s_getreg_b32 s11, hwreg(HW_REG_IB_STS2, 6, 4)
	s_add_co_i32 s10, s10, s9
	s_cmp_eq_u32 s11, 0
	s_mov_b32 s32, 0
	s_cselect_b32 s9, ttmp9, s10
	s_delay_alu instid0(SALU_CYCLE_1) | instskip(SKIP_2) | instid1(SALU_CYCLE_1)
	s_not_b32 s9, s9
	s_wait_kmcnt 0x0
	s_add_co_i32 s8, s8, s9
	s_lshl_b32 s10, s8, 14
	s_mov_b32 s8, -1
	s_sub_co_i32 s12, s12, s10
	s_delay_alu instid0(SALU_CYCLE_1)
	s_cmp_gt_i32 s12, 0x3fff
	s_cbranch_scc1 .LBB63_3
; %bb.1:
	s_and_b32 vcc_lo, exec_lo, s8
	s_cbranch_vccnz .LBB63_68
.LBB63_2:
	s_sendmsg sendmsg(MSG_DEALLOC_VGPRS)
	s_endpgm
.LBB63_3:
	s_ashr_i32 s11, s10, 31
	s_delay_alu instid0(SALU_CYCLE_1)
	s_lshl_b64 s[8:9], s[10:11], 2
	s_lshl_b64 s[10:11], s[10:11], 1
	s_add_nc_u64 s[16:17], s[6:7], s[8:9]
	s_add_nc_u64 s[10:11], s[2:3], s[10:11]
	s_clause 0x1f
	global_load_b64 v[32:33], v0, s[16:17] scale_offset
	global_load_b64 v[30:31], v0, s[16:17] offset:4096 scale_offset
	global_load_b64 v[28:29], v0, s[16:17] offset:8192 scale_offset
	;; [unrolled: 1-line block ×15, first 2 shown]
	global_load_b32 v48, v0, s[10:11] scale_offset
	global_load_b32 v47, v0, s[10:11] offset:2048 scale_offset
	global_load_b32 v46, v0, s[10:11] offset:4096 scale_offset
	;; [unrolled: 1-line block ×10, first 2 shown]
	; meta instruction
	global_load_b32 v37, v0, s[10:11] offset:22528 scale_offset
	global_load_b32 v36, v0, s[10:11] offset:24576 scale_offset
	;; [unrolled: 1-line block ×5, first 2 shown]
	s_wait_xcnt 0x0
	s_mov_b32 s10, exec_lo
	s_wait_loadcnt 0xf
	v_cvt_f32_f16_e32 v49, v48
	s_delay_alu instid0(VALU_DEP_1) | instskip(NEXT) | instid1(VALU_DEP_1)
	v_mul_f32_e32 v49, s13, v49
	v_cmpx_nlt_f32_e32 s14, v49
	s_cbranch_execz .LBB63_5
; %bb.4:
	v_mul_f32_e32 v50, 0x3fb8aa3b, v49
	v_cmp_ngt_f32_e32 vcc_lo, 0xc2ce8ed0, v49
	s_delay_alu instid0(VALU_DEP_2) | instskip(SKIP_1) | instid1(VALU_DEP_2)
	v_rndne_f32_e32 v51, v50
	v_fma_f32 v52, 0x3fb8aa3b, v49, -v50
	v_sub_f32_e32 v50, v50, v51
	s_delay_alu instid0(VALU_DEP_2) | instskip(SKIP_1) | instid1(VALU_DEP_2)
	v_fmamk_f32 v52, v49, 0x32a5705f, v52
	v_cvt_i32_f32_e32 v51, v51
	v_add_f32_e32 v50, v50, v52
	s_delay_alu instid0(VALU_DEP_1) | instskip(SKIP_1) | instid1(TRANS32_DEP_1)
	v_exp_f32_e32 v50, v50
	v_nop
	v_ldexp_f32 v50, v50, v51
	s_delay_alu instid0(VALU_DEP_1) | instskip(SKIP_1) | instid1(VALU_DEP_2)
	v_cndmask_b32_e32 v50, 0, v50, vcc_lo
	v_cmp_nlt_f32_e32 vcc_lo, 0x42b17218, v49
	v_cndmask_b32_e32 v49, 0x7f800000, v50, vcc_lo
	s_delay_alu instid0(VALU_DEP_1) | instskip(NEXT) | instid1(VALU_DEP_1)
	v_dual_mul_f32 v32, v32, v49 :: v_dual_add_f32 v49, 1.0, v49
	v_div_scale_f32 v50, null, v49, v49, v32
	s_delay_alu instid0(VALU_DEP_1) | instskip(SKIP_1) | instid1(TRANS32_DEP_1)
	v_rcp_f32_e32 v51, v50
	v_nop
	v_fma_f32 v52, -v50, v51, 1.0
	s_delay_alu instid0(VALU_DEP_1) | instskip(SKIP_1) | instid1(VALU_DEP_1)
	v_fmac_f32_e32 v51, v52, v51
	v_div_scale_f32 v52, vcc_lo, v32, v49, v32
	v_mul_f32_e32 v53, v52, v51
	s_delay_alu instid0(VALU_DEP_1) | instskip(NEXT) | instid1(VALU_DEP_1)
	v_fma_f32 v54, -v50, v53, v52
	v_fmac_f32_e32 v53, v54, v51
	s_delay_alu instid0(VALU_DEP_1) | instskip(NEXT) | instid1(VALU_DEP_1)
	v_fma_f32 v50, -v50, v53, v52
	v_div_fmas_f32 v50, v50, v51, v53
	s_delay_alu instid0(VALU_DEP_1)
	v_div_fixup_f32 v32, v50, v49, v32
.LBB63_5:
	s_or_b32 exec_lo, exec_lo, s10
	v_lshrrev_b32_e32 v48, 16, v48
	s_mov_b32 s10, exec_lo
	s_delay_alu instid0(VALU_DEP_1) | instskip(NEXT) | instid1(VALU_DEP_1)
	v_cvt_f32_f16_e32 v48, v48
	v_mul_f32_e32 v48, s13, v48
	s_delay_alu instid0(VALU_DEP_1)
	v_cmpx_nlt_f32_e32 s14, v48
	s_cbranch_execz .LBB63_7
; %bb.6:
	v_mul_f32_e32 v49, 0x3fb8aa3b, v48
	v_cmp_ngt_f32_e32 vcc_lo, 0xc2ce8ed0, v48
	s_delay_alu instid0(VALU_DEP_2) | instskip(SKIP_1) | instid1(VALU_DEP_2)
	v_rndne_f32_e32 v50, v49
	v_fma_f32 v51, 0x3fb8aa3b, v48, -v49
	v_sub_f32_e32 v49, v49, v50
	s_delay_alu instid0(VALU_DEP_2) | instskip(SKIP_1) | instid1(VALU_DEP_2)
	v_fmamk_f32 v51, v48, 0x32a5705f, v51
	v_cvt_i32_f32_e32 v50, v50
	v_add_f32_e32 v49, v49, v51
	s_delay_alu instid0(VALU_DEP_1) | instskip(SKIP_1) | instid1(TRANS32_DEP_1)
	v_exp_f32_e32 v49, v49
	v_nop
	v_ldexp_f32 v49, v49, v50
	s_delay_alu instid0(VALU_DEP_1) | instskip(SKIP_1) | instid1(VALU_DEP_2)
	v_cndmask_b32_e32 v49, 0, v49, vcc_lo
	v_cmp_nlt_f32_e32 vcc_lo, 0x42b17218, v48
	v_cndmask_b32_e32 v48, 0x7f800000, v49, vcc_lo
	s_delay_alu instid0(VALU_DEP_1) | instskip(NEXT) | instid1(VALU_DEP_1)
	v_dual_mul_f32 v33, v33, v48 :: v_dual_add_f32 v48, 1.0, v48
	v_div_scale_f32 v49, null, v48, v48, v33
	s_delay_alu instid0(VALU_DEP_1) | instskip(SKIP_1) | instid1(TRANS32_DEP_1)
	v_rcp_f32_e32 v50, v49
	v_nop
	v_fma_f32 v51, -v49, v50, 1.0
	s_delay_alu instid0(VALU_DEP_1) | instskip(SKIP_1) | instid1(VALU_DEP_1)
	v_fmac_f32_e32 v50, v51, v50
	v_div_scale_f32 v51, vcc_lo, v33, v48, v33
	v_mul_f32_e32 v52, v51, v50
	s_delay_alu instid0(VALU_DEP_1) | instskip(NEXT) | instid1(VALU_DEP_1)
	v_fma_f32 v53, -v49, v52, v51
	v_fmac_f32_e32 v52, v53, v50
	s_delay_alu instid0(VALU_DEP_1) | instskip(NEXT) | instid1(VALU_DEP_1)
	v_fma_f32 v49, -v49, v52, v51
	v_div_fmas_f32 v49, v49, v50, v52
	s_delay_alu instid0(VALU_DEP_1)
	v_div_fixup_f32 v33, v49, v48, v33
.LBB63_7:
	s_or_b32 exec_lo, exec_lo, s10
	s_wait_loadcnt 0xe
	v_cvt_f32_f16_e32 v48, v47
	s_mov_b32 s10, exec_lo
	s_delay_alu instid0(VALU_DEP_1) | instskip(NEXT) | instid1(VALU_DEP_1)
	v_mul_f32_e32 v48, s13, v48
	v_cmpx_nlt_f32_e32 s14, v48
	s_cbranch_execz .LBB63_9
; %bb.8:
	v_mul_f32_e32 v49, 0x3fb8aa3b, v48
	v_cmp_ngt_f32_e32 vcc_lo, 0xc2ce8ed0, v48
	s_delay_alu instid0(VALU_DEP_2) | instskip(SKIP_1) | instid1(VALU_DEP_2)
	v_rndne_f32_e32 v50, v49
	v_fma_f32 v51, 0x3fb8aa3b, v48, -v49
	v_sub_f32_e32 v49, v49, v50
	s_delay_alu instid0(VALU_DEP_2) | instskip(SKIP_1) | instid1(VALU_DEP_2)
	v_fmamk_f32 v51, v48, 0x32a5705f, v51
	v_cvt_i32_f32_e32 v50, v50
	v_add_f32_e32 v49, v49, v51
	s_delay_alu instid0(VALU_DEP_1) | instskip(SKIP_1) | instid1(TRANS32_DEP_1)
	v_exp_f32_e32 v49, v49
	v_nop
	v_ldexp_f32 v49, v49, v50
	s_delay_alu instid0(VALU_DEP_1) | instskip(SKIP_1) | instid1(VALU_DEP_2)
	v_cndmask_b32_e32 v49, 0, v49, vcc_lo
	v_cmp_nlt_f32_e32 vcc_lo, 0x42b17218, v48
	v_cndmask_b32_e32 v48, 0x7f800000, v49, vcc_lo
	s_delay_alu instid0(VALU_DEP_1) | instskip(NEXT) | instid1(VALU_DEP_1)
	v_dual_mul_f32 v30, v30, v48 :: v_dual_add_f32 v48, 1.0, v48
	v_div_scale_f32 v49, null, v48, v48, v30
	s_delay_alu instid0(VALU_DEP_1) | instskip(SKIP_1) | instid1(TRANS32_DEP_1)
	v_rcp_f32_e32 v50, v49
	v_nop
	v_fma_f32 v51, -v49, v50, 1.0
	s_delay_alu instid0(VALU_DEP_1) | instskip(SKIP_1) | instid1(VALU_DEP_1)
	v_fmac_f32_e32 v50, v51, v50
	v_div_scale_f32 v51, vcc_lo, v30, v48, v30
	v_mul_f32_e32 v52, v51, v50
	s_delay_alu instid0(VALU_DEP_1) | instskip(NEXT) | instid1(VALU_DEP_1)
	v_fma_f32 v53, -v49, v52, v51
	v_fmac_f32_e32 v52, v53, v50
	s_delay_alu instid0(VALU_DEP_1) | instskip(NEXT) | instid1(VALU_DEP_1)
	v_fma_f32 v49, -v49, v52, v51
	v_div_fmas_f32 v49, v49, v50, v52
	s_delay_alu instid0(VALU_DEP_1)
	v_div_fixup_f32 v30, v49, v48, v30
.LBB63_9:
	s_or_b32 exec_lo, exec_lo, s10
	v_lshrrev_b32_e32 v47, 16, v47
	s_mov_b32 s10, exec_lo
	s_delay_alu instid0(VALU_DEP_1) | instskip(NEXT) | instid1(VALU_DEP_1)
	v_cvt_f32_f16_e32 v47, v47
	v_mul_f32_e32 v47, s13, v47
	s_delay_alu instid0(VALU_DEP_1)
	v_cmpx_nlt_f32_e32 s14, v47
	s_cbranch_execz .LBB63_11
; %bb.10:
	v_mul_f32_e32 v48, 0x3fb8aa3b, v47
	v_cmp_ngt_f32_e32 vcc_lo, 0xc2ce8ed0, v47
	s_delay_alu instid0(VALU_DEP_2) | instskip(SKIP_1) | instid1(VALU_DEP_2)
	v_rndne_f32_e32 v49, v48
	v_fma_f32 v50, 0x3fb8aa3b, v47, -v48
	v_sub_f32_e32 v48, v48, v49
	s_delay_alu instid0(VALU_DEP_2) | instskip(SKIP_1) | instid1(VALU_DEP_2)
	v_fmamk_f32 v50, v47, 0x32a5705f, v50
	v_cvt_i32_f32_e32 v49, v49
	v_add_f32_e32 v48, v48, v50
	s_delay_alu instid0(VALU_DEP_1) | instskip(SKIP_1) | instid1(TRANS32_DEP_1)
	v_exp_f32_e32 v48, v48
	v_nop
	v_ldexp_f32 v48, v48, v49
	s_delay_alu instid0(VALU_DEP_1) | instskip(SKIP_1) | instid1(VALU_DEP_2)
	v_cndmask_b32_e32 v48, 0, v48, vcc_lo
	v_cmp_nlt_f32_e32 vcc_lo, 0x42b17218, v47
	v_cndmask_b32_e32 v47, 0x7f800000, v48, vcc_lo
	s_delay_alu instid0(VALU_DEP_1) | instskip(NEXT) | instid1(VALU_DEP_1)
	v_dual_mul_f32 v31, v31, v47 :: v_dual_add_f32 v47, 1.0, v47
	v_div_scale_f32 v48, null, v47, v47, v31
	s_delay_alu instid0(VALU_DEP_1) | instskip(SKIP_1) | instid1(TRANS32_DEP_1)
	v_rcp_f32_e32 v49, v48
	v_nop
	v_fma_f32 v50, -v48, v49, 1.0
	s_delay_alu instid0(VALU_DEP_1) | instskip(SKIP_1) | instid1(VALU_DEP_1)
	v_fmac_f32_e32 v49, v50, v49
	v_div_scale_f32 v50, vcc_lo, v31, v47, v31
	v_mul_f32_e32 v51, v50, v49
	s_delay_alu instid0(VALU_DEP_1) | instskip(NEXT) | instid1(VALU_DEP_1)
	v_fma_f32 v52, -v48, v51, v50
	v_fmac_f32_e32 v51, v52, v49
	s_delay_alu instid0(VALU_DEP_1) | instskip(NEXT) | instid1(VALU_DEP_1)
	v_fma_f32 v48, -v48, v51, v50
	v_div_fmas_f32 v48, v48, v49, v51
	s_delay_alu instid0(VALU_DEP_1)
	v_div_fixup_f32 v31, v48, v47, v31
.LBB63_11:
	s_or_b32 exec_lo, exec_lo, s10
	s_wait_loadcnt 0xd
	v_cvt_f32_f16_e32 v47, v46
	s_mov_b32 s10, exec_lo
	s_delay_alu instid0(VALU_DEP_1) | instskip(NEXT) | instid1(VALU_DEP_1)
	v_mul_f32_e32 v47, s13, v47
	v_cmpx_nlt_f32_e32 s14, v47
	s_cbranch_execz .LBB63_13
; %bb.12:
	v_mul_f32_e32 v48, 0x3fb8aa3b, v47
	v_cmp_ngt_f32_e32 vcc_lo, 0xc2ce8ed0, v47
	s_delay_alu instid0(VALU_DEP_2) | instskip(SKIP_1) | instid1(VALU_DEP_2)
	v_rndne_f32_e32 v49, v48
	v_fma_f32 v50, 0x3fb8aa3b, v47, -v48
	v_sub_f32_e32 v48, v48, v49
	s_delay_alu instid0(VALU_DEP_2) | instskip(SKIP_1) | instid1(VALU_DEP_2)
	v_fmamk_f32 v50, v47, 0x32a5705f, v50
	v_cvt_i32_f32_e32 v49, v49
	v_add_f32_e32 v48, v48, v50
	s_delay_alu instid0(VALU_DEP_1) | instskip(SKIP_1) | instid1(TRANS32_DEP_1)
	v_exp_f32_e32 v48, v48
	v_nop
	v_ldexp_f32 v48, v48, v49
	s_delay_alu instid0(VALU_DEP_1) | instskip(SKIP_1) | instid1(VALU_DEP_2)
	v_cndmask_b32_e32 v48, 0, v48, vcc_lo
	v_cmp_nlt_f32_e32 vcc_lo, 0x42b17218, v47
	v_cndmask_b32_e32 v47, 0x7f800000, v48, vcc_lo
	s_delay_alu instid0(VALU_DEP_1) | instskip(NEXT) | instid1(VALU_DEP_1)
	v_dual_mul_f32 v28, v28, v47 :: v_dual_add_f32 v47, 1.0, v47
	v_div_scale_f32 v48, null, v47, v47, v28
	s_delay_alu instid0(VALU_DEP_1) | instskip(SKIP_1) | instid1(TRANS32_DEP_1)
	v_rcp_f32_e32 v49, v48
	v_nop
	v_fma_f32 v50, -v48, v49, 1.0
	s_delay_alu instid0(VALU_DEP_1) | instskip(SKIP_1) | instid1(VALU_DEP_1)
	v_fmac_f32_e32 v49, v50, v49
	v_div_scale_f32 v50, vcc_lo, v28, v47, v28
	v_mul_f32_e32 v51, v50, v49
	s_delay_alu instid0(VALU_DEP_1) | instskip(NEXT) | instid1(VALU_DEP_1)
	v_fma_f32 v52, -v48, v51, v50
	v_fmac_f32_e32 v51, v52, v49
	s_delay_alu instid0(VALU_DEP_1) | instskip(NEXT) | instid1(VALU_DEP_1)
	v_fma_f32 v48, -v48, v51, v50
	v_div_fmas_f32 v48, v48, v49, v51
	s_delay_alu instid0(VALU_DEP_1)
	v_div_fixup_f32 v28, v48, v47, v28
.LBB63_13:
	s_or_b32 exec_lo, exec_lo, s10
	v_lshrrev_b32_e32 v46, 16, v46
	s_mov_b32 s10, exec_lo
	s_delay_alu instid0(VALU_DEP_1) | instskip(NEXT) | instid1(VALU_DEP_1)
	v_cvt_f32_f16_e32 v46, v46
	v_mul_f32_e32 v46, s13, v46
	s_delay_alu instid0(VALU_DEP_1)
	v_cmpx_nlt_f32_e32 s14, v46
	s_cbranch_execz .LBB63_15
; %bb.14:
	v_mul_f32_e32 v47, 0x3fb8aa3b, v46
	v_cmp_ngt_f32_e32 vcc_lo, 0xc2ce8ed0, v46
	s_delay_alu instid0(VALU_DEP_2) | instskip(SKIP_1) | instid1(VALU_DEP_2)
	v_rndne_f32_e32 v48, v47
	v_fma_f32 v49, 0x3fb8aa3b, v46, -v47
	v_sub_f32_e32 v47, v47, v48
	s_delay_alu instid0(VALU_DEP_2) | instskip(SKIP_1) | instid1(VALU_DEP_2)
	v_fmamk_f32 v49, v46, 0x32a5705f, v49
	v_cvt_i32_f32_e32 v48, v48
	v_add_f32_e32 v47, v47, v49
	s_delay_alu instid0(VALU_DEP_1) | instskip(SKIP_1) | instid1(TRANS32_DEP_1)
	v_exp_f32_e32 v47, v47
	v_nop
	v_ldexp_f32 v47, v47, v48
	s_delay_alu instid0(VALU_DEP_1) | instskip(SKIP_1) | instid1(VALU_DEP_2)
	v_cndmask_b32_e32 v47, 0, v47, vcc_lo
	v_cmp_nlt_f32_e32 vcc_lo, 0x42b17218, v46
	v_cndmask_b32_e32 v46, 0x7f800000, v47, vcc_lo
	s_delay_alu instid0(VALU_DEP_1) | instskip(NEXT) | instid1(VALU_DEP_1)
	v_dual_mul_f32 v29, v29, v46 :: v_dual_add_f32 v46, 1.0, v46
	v_div_scale_f32 v47, null, v46, v46, v29
	s_delay_alu instid0(VALU_DEP_1) | instskip(SKIP_1) | instid1(TRANS32_DEP_1)
	v_rcp_f32_e32 v48, v47
	v_nop
	v_fma_f32 v49, -v47, v48, 1.0
	s_delay_alu instid0(VALU_DEP_1) | instskip(SKIP_1) | instid1(VALU_DEP_1)
	v_fmac_f32_e32 v48, v49, v48
	v_div_scale_f32 v49, vcc_lo, v29, v46, v29
	v_mul_f32_e32 v50, v49, v48
	s_delay_alu instid0(VALU_DEP_1) | instskip(NEXT) | instid1(VALU_DEP_1)
	v_fma_f32 v51, -v47, v50, v49
	v_fmac_f32_e32 v50, v51, v48
	s_delay_alu instid0(VALU_DEP_1) | instskip(NEXT) | instid1(VALU_DEP_1)
	v_fma_f32 v47, -v47, v50, v49
	v_div_fmas_f32 v47, v47, v48, v50
	s_delay_alu instid0(VALU_DEP_1)
	v_div_fixup_f32 v29, v47, v46, v29
.LBB63_15:
	s_or_b32 exec_lo, exec_lo, s10
	s_wait_loadcnt 0xc
	v_cvt_f32_f16_e32 v46, v45
	s_mov_b32 s10, exec_lo
	s_delay_alu instid0(VALU_DEP_1) | instskip(NEXT) | instid1(VALU_DEP_1)
	v_mul_f32_e32 v46, s13, v46
	v_cmpx_nlt_f32_e32 s14, v46
	s_cbranch_execz .LBB63_17
; %bb.16:
	v_mul_f32_e32 v47, 0x3fb8aa3b, v46
	v_cmp_ngt_f32_e32 vcc_lo, 0xc2ce8ed0, v46
	s_delay_alu instid0(VALU_DEP_2) | instskip(SKIP_1) | instid1(VALU_DEP_2)
	v_rndne_f32_e32 v48, v47
	v_fma_f32 v49, 0x3fb8aa3b, v46, -v47
	v_sub_f32_e32 v47, v47, v48
	s_delay_alu instid0(VALU_DEP_2) | instskip(SKIP_1) | instid1(VALU_DEP_2)
	v_fmamk_f32 v49, v46, 0x32a5705f, v49
	v_cvt_i32_f32_e32 v48, v48
	v_add_f32_e32 v47, v47, v49
	s_delay_alu instid0(VALU_DEP_1) | instskip(SKIP_1) | instid1(TRANS32_DEP_1)
	v_exp_f32_e32 v47, v47
	v_nop
	v_ldexp_f32 v47, v47, v48
	s_delay_alu instid0(VALU_DEP_1) | instskip(SKIP_1) | instid1(VALU_DEP_2)
	v_cndmask_b32_e32 v47, 0, v47, vcc_lo
	v_cmp_nlt_f32_e32 vcc_lo, 0x42b17218, v46
	v_cndmask_b32_e32 v46, 0x7f800000, v47, vcc_lo
	s_delay_alu instid0(VALU_DEP_1) | instskip(NEXT) | instid1(VALU_DEP_1)
	v_dual_mul_f32 v26, v26, v46 :: v_dual_add_f32 v46, 1.0, v46
	v_div_scale_f32 v47, null, v46, v46, v26
	s_delay_alu instid0(VALU_DEP_1) | instskip(SKIP_1) | instid1(TRANS32_DEP_1)
	v_rcp_f32_e32 v48, v47
	v_nop
	v_fma_f32 v49, -v47, v48, 1.0
	s_delay_alu instid0(VALU_DEP_1) | instskip(SKIP_1) | instid1(VALU_DEP_1)
	v_fmac_f32_e32 v48, v49, v48
	v_div_scale_f32 v49, vcc_lo, v26, v46, v26
	v_mul_f32_e32 v50, v49, v48
	s_delay_alu instid0(VALU_DEP_1) | instskip(NEXT) | instid1(VALU_DEP_1)
	v_fma_f32 v51, -v47, v50, v49
	v_fmac_f32_e32 v50, v51, v48
	s_delay_alu instid0(VALU_DEP_1) | instskip(NEXT) | instid1(VALU_DEP_1)
	v_fma_f32 v47, -v47, v50, v49
	v_div_fmas_f32 v47, v47, v48, v50
	s_delay_alu instid0(VALU_DEP_1)
	v_div_fixup_f32 v26, v47, v46, v26
.LBB63_17:
	s_or_b32 exec_lo, exec_lo, s10
	v_lshrrev_b32_e32 v45, 16, v45
	s_mov_b32 s10, exec_lo
	s_delay_alu instid0(VALU_DEP_1) | instskip(NEXT) | instid1(VALU_DEP_1)
	v_cvt_f32_f16_e32 v45, v45
	v_mul_f32_e32 v45, s13, v45
	s_delay_alu instid0(VALU_DEP_1)
	v_cmpx_nlt_f32_e32 s14, v45
	s_cbranch_execz .LBB63_19
; %bb.18:
	v_mul_f32_e32 v46, 0x3fb8aa3b, v45
	v_cmp_ngt_f32_e32 vcc_lo, 0xc2ce8ed0, v45
	s_delay_alu instid0(VALU_DEP_2) | instskip(SKIP_1) | instid1(VALU_DEP_2)
	v_rndne_f32_e32 v47, v46
	v_fma_f32 v48, 0x3fb8aa3b, v45, -v46
	v_sub_f32_e32 v46, v46, v47
	s_delay_alu instid0(VALU_DEP_2) | instskip(SKIP_1) | instid1(VALU_DEP_2)
	v_fmamk_f32 v48, v45, 0x32a5705f, v48
	v_cvt_i32_f32_e32 v47, v47
	v_add_f32_e32 v46, v46, v48
	s_delay_alu instid0(VALU_DEP_1) | instskip(SKIP_1) | instid1(TRANS32_DEP_1)
	v_exp_f32_e32 v46, v46
	v_nop
	v_ldexp_f32 v46, v46, v47
	s_delay_alu instid0(VALU_DEP_1) | instskip(SKIP_1) | instid1(VALU_DEP_2)
	v_cndmask_b32_e32 v46, 0, v46, vcc_lo
	v_cmp_nlt_f32_e32 vcc_lo, 0x42b17218, v45
	v_cndmask_b32_e32 v45, 0x7f800000, v46, vcc_lo
	s_delay_alu instid0(VALU_DEP_1) | instskip(NEXT) | instid1(VALU_DEP_1)
	v_dual_mul_f32 v27, v27, v45 :: v_dual_add_f32 v45, 1.0, v45
	v_div_scale_f32 v46, null, v45, v45, v27
	s_delay_alu instid0(VALU_DEP_1) | instskip(SKIP_1) | instid1(TRANS32_DEP_1)
	v_rcp_f32_e32 v47, v46
	v_nop
	v_fma_f32 v48, -v46, v47, 1.0
	s_delay_alu instid0(VALU_DEP_1) | instskip(SKIP_1) | instid1(VALU_DEP_1)
	v_fmac_f32_e32 v47, v48, v47
	v_div_scale_f32 v48, vcc_lo, v27, v45, v27
	v_mul_f32_e32 v49, v48, v47
	s_delay_alu instid0(VALU_DEP_1) | instskip(NEXT) | instid1(VALU_DEP_1)
	v_fma_f32 v50, -v46, v49, v48
	v_fmac_f32_e32 v49, v50, v47
	s_delay_alu instid0(VALU_DEP_1) | instskip(NEXT) | instid1(VALU_DEP_1)
	v_fma_f32 v46, -v46, v49, v48
	v_div_fmas_f32 v46, v46, v47, v49
	s_delay_alu instid0(VALU_DEP_1)
	v_div_fixup_f32 v27, v46, v45, v27
.LBB63_19:
	s_or_b32 exec_lo, exec_lo, s10
	s_wait_loadcnt 0xb
	v_cvt_f32_f16_e32 v45, v44
	s_mov_b32 s10, exec_lo
	s_delay_alu instid0(VALU_DEP_1) | instskip(NEXT) | instid1(VALU_DEP_1)
	v_mul_f32_e32 v45, s13, v45
	v_cmpx_nlt_f32_e32 s14, v45
	s_cbranch_execz .LBB63_21
; %bb.20:
	v_mul_f32_e32 v46, 0x3fb8aa3b, v45
	v_cmp_ngt_f32_e32 vcc_lo, 0xc2ce8ed0, v45
	s_delay_alu instid0(VALU_DEP_2) | instskip(SKIP_1) | instid1(VALU_DEP_2)
	v_rndne_f32_e32 v47, v46
	v_fma_f32 v48, 0x3fb8aa3b, v45, -v46
	v_sub_f32_e32 v46, v46, v47
	s_delay_alu instid0(VALU_DEP_2) | instskip(SKIP_1) | instid1(VALU_DEP_2)
	v_fmamk_f32 v48, v45, 0x32a5705f, v48
	v_cvt_i32_f32_e32 v47, v47
	v_add_f32_e32 v46, v46, v48
	s_delay_alu instid0(VALU_DEP_1) | instskip(SKIP_1) | instid1(TRANS32_DEP_1)
	v_exp_f32_e32 v46, v46
	v_nop
	v_ldexp_f32 v46, v46, v47
	s_delay_alu instid0(VALU_DEP_1) | instskip(SKIP_1) | instid1(VALU_DEP_2)
	v_cndmask_b32_e32 v46, 0, v46, vcc_lo
	v_cmp_nlt_f32_e32 vcc_lo, 0x42b17218, v45
	v_cndmask_b32_e32 v45, 0x7f800000, v46, vcc_lo
	s_delay_alu instid0(VALU_DEP_1) | instskip(NEXT) | instid1(VALU_DEP_1)
	v_dual_mul_f32 v22, v22, v45 :: v_dual_add_f32 v45, 1.0, v45
	v_div_scale_f32 v46, null, v45, v45, v22
	s_delay_alu instid0(VALU_DEP_1) | instskip(SKIP_1) | instid1(TRANS32_DEP_1)
	v_rcp_f32_e32 v47, v46
	v_nop
	v_fma_f32 v48, -v46, v47, 1.0
	s_delay_alu instid0(VALU_DEP_1) | instskip(SKIP_1) | instid1(VALU_DEP_1)
	v_fmac_f32_e32 v47, v48, v47
	v_div_scale_f32 v48, vcc_lo, v22, v45, v22
	v_mul_f32_e32 v49, v48, v47
	s_delay_alu instid0(VALU_DEP_1) | instskip(NEXT) | instid1(VALU_DEP_1)
	v_fma_f32 v50, -v46, v49, v48
	v_fmac_f32_e32 v49, v50, v47
	s_delay_alu instid0(VALU_DEP_1) | instskip(NEXT) | instid1(VALU_DEP_1)
	v_fma_f32 v46, -v46, v49, v48
	v_div_fmas_f32 v46, v46, v47, v49
	s_delay_alu instid0(VALU_DEP_1)
	v_div_fixup_f32 v22, v46, v45, v22
.LBB63_21:
	s_or_b32 exec_lo, exec_lo, s10
	v_lshrrev_b32_e32 v44, 16, v44
	s_mov_b32 s10, exec_lo
	s_delay_alu instid0(VALU_DEP_1) | instskip(NEXT) | instid1(VALU_DEP_1)
	v_cvt_f32_f16_e32 v44, v44
	v_mul_f32_e32 v44, s13, v44
	s_delay_alu instid0(VALU_DEP_1)
	v_cmpx_nlt_f32_e32 s14, v44
	s_cbranch_execz .LBB63_23
; %bb.22:
	v_mul_f32_e32 v45, 0x3fb8aa3b, v44
	v_cmp_ngt_f32_e32 vcc_lo, 0xc2ce8ed0, v44
	s_delay_alu instid0(VALU_DEP_2) | instskip(SKIP_1) | instid1(VALU_DEP_2)
	v_rndne_f32_e32 v46, v45
	v_fma_f32 v47, 0x3fb8aa3b, v44, -v45
	v_sub_f32_e32 v45, v45, v46
	s_delay_alu instid0(VALU_DEP_2) | instskip(SKIP_1) | instid1(VALU_DEP_2)
	v_fmamk_f32 v47, v44, 0x32a5705f, v47
	v_cvt_i32_f32_e32 v46, v46
	v_add_f32_e32 v45, v45, v47
	s_delay_alu instid0(VALU_DEP_1) | instskip(SKIP_1) | instid1(TRANS32_DEP_1)
	v_exp_f32_e32 v45, v45
	v_nop
	v_ldexp_f32 v45, v45, v46
	s_delay_alu instid0(VALU_DEP_1) | instskip(SKIP_1) | instid1(VALU_DEP_2)
	v_cndmask_b32_e32 v45, 0, v45, vcc_lo
	v_cmp_nlt_f32_e32 vcc_lo, 0x42b17218, v44
	v_cndmask_b32_e32 v44, 0x7f800000, v45, vcc_lo
	s_delay_alu instid0(VALU_DEP_1) | instskip(NEXT) | instid1(VALU_DEP_1)
	v_dual_mul_f32 v23, v23, v44 :: v_dual_add_f32 v44, 1.0, v44
	v_div_scale_f32 v45, null, v44, v44, v23
	s_delay_alu instid0(VALU_DEP_1) | instskip(SKIP_1) | instid1(TRANS32_DEP_1)
	v_rcp_f32_e32 v46, v45
	v_nop
	v_fma_f32 v47, -v45, v46, 1.0
	s_delay_alu instid0(VALU_DEP_1) | instskip(SKIP_1) | instid1(VALU_DEP_1)
	v_fmac_f32_e32 v46, v47, v46
	v_div_scale_f32 v47, vcc_lo, v23, v44, v23
	v_mul_f32_e32 v48, v47, v46
	s_delay_alu instid0(VALU_DEP_1) | instskip(NEXT) | instid1(VALU_DEP_1)
	v_fma_f32 v49, -v45, v48, v47
	v_fmac_f32_e32 v48, v49, v46
	s_delay_alu instid0(VALU_DEP_1) | instskip(NEXT) | instid1(VALU_DEP_1)
	v_fma_f32 v45, -v45, v48, v47
	v_div_fmas_f32 v45, v45, v46, v48
	s_delay_alu instid0(VALU_DEP_1)
	v_div_fixup_f32 v23, v45, v44, v23
.LBB63_23:
	s_or_b32 exec_lo, exec_lo, s10
	s_wait_loadcnt 0xa
	v_cvt_f32_f16_e32 v44, v43
	s_mov_b32 s10, exec_lo
	s_delay_alu instid0(VALU_DEP_1) | instskip(NEXT) | instid1(VALU_DEP_1)
	v_mul_f32_e32 v44, s13, v44
	v_cmpx_nlt_f32_e32 s14, v44
	s_cbranch_execz .LBB63_25
; %bb.24:
	v_mul_f32_e32 v45, 0x3fb8aa3b, v44
	v_cmp_ngt_f32_e32 vcc_lo, 0xc2ce8ed0, v44
	s_delay_alu instid0(VALU_DEP_2) | instskip(SKIP_1) | instid1(VALU_DEP_2)
	v_rndne_f32_e32 v46, v45
	v_fma_f32 v47, 0x3fb8aa3b, v44, -v45
	v_sub_f32_e32 v45, v45, v46
	s_delay_alu instid0(VALU_DEP_2) | instskip(SKIP_1) | instid1(VALU_DEP_2)
	v_fmamk_f32 v47, v44, 0x32a5705f, v47
	v_cvt_i32_f32_e32 v46, v46
	v_add_f32_e32 v45, v45, v47
	s_delay_alu instid0(VALU_DEP_1) | instskip(SKIP_1) | instid1(TRANS32_DEP_1)
	v_exp_f32_e32 v45, v45
	v_nop
	v_ldexp_f32 v45, v45, v46
	s_delay_alu instid0(VALU_DEP_1) | instskip(SKIP_1) | instid1(VALU_DEP_2)
	v_cndmask_b32_e32 v45, 0, v45, vcc_lo
	v_cmp_nlt_f32_e32 vcc_lo, 0x42b17218, v44
	v_cndmask_b32_e32 v44, 0x7f800000, v45, vcc_lo
	s_delay_alu instid0(VALU_DEP_1) | instskip(NEXT) | instid1(VALU_DEP_1)
	v_dual_mul_f32 v18, v18, v44 :: v_dual_add_f32 v44, 1.0, v44
	v_div_scale_f32 v45, null, v44, v44, v18
	s_delay_alu instid0(VALU_DEP_1) | instskip(SKIP_1) | instid1(TRANS32_DEP_1)
	v_rcp_f32_e32 v46, v45
	v_nop
	v_fma_f32 v47, -v45, v46, 1.0
	s_delay_alu instid0(VALU_DEP_1) | instskip(SKIP_1) | instid1(VALU_DEP_1)
	v_fmac_f32_e32 v46, v47, v46
	v_div_scale_f32 v47, vcc_lo, v18, v44, v18
	v_mul_f32_e32 v48, v47, v46
	s_delay_alu instid0(VALU_DEP_1) | instskip(NEXT) | instid1(VALU_DEP_1)
	v_fma_f32 v49, -v45, v48, v47
	v_fmac_f32_e32 v48, v49, v46
	s_delay_alu instid0(VALU_DEP_1) | instskip(NEXT) | instid1(VALU_DEP_1)
	v_fma_f32 v45, -v45, v48, v47
	v_div_fmas_f32 v45, v45, v46, v48
	s_delay_alu instid0(VALU_DEP_1)
	v_div_fixup_f32 v18, v45, v44, v18
.LBB63_25:
	s_or_b32 exec_lo, exec_lo, s10
	v_lshrrev_b32_e32 v43, 16, v43
	s_mov_b32 s10, exec_lo
	s_delay_alu instid0(VALU_DEP_1) | instskip(NEXT) | instid1(VALU_DEP_1)
	v_cvt_f32_f16_e32 v43, v43
	v_mul_f32_e32 v43, s13, v43
	s_delay_alu instid0(VALU_DEP_1)
	v_cmpx_nlt_f32_e32 s14, v43
	s_cbranch_execz .LBB63_27
; %bb.26:
	v_mul_f32_e32 v44, 0x3fb8aa3b, v43
	v_cmp_ngt_f32_e32 vcc_lo, 0xc2ce8ed0, v43
	s_delay_alu instid0(VALU_DEP_2) | instskip(SKIP_1) | instid1(VALU_DEP_2)
	v_rndne_f32_e32 v45, v44
	v_fma_f32 v46, 0x3fb8aa3b, v43, -v44
	v_sub_f32_e32 v44, v44, v45
	s_delay_alu instid0(VALU_DEP_2) | instskip(SKIP_1) | instid1(VALU_DEP_2)
	v_fmamk_f32 v46, v43, 0x32a5705f, v46
	v_cvt_i32_f32_e32 v45, v45
	v_add_f32_e32 v44, v44, v46
	s_delay_alu instid0(VALU_DEP_1) | instskip(SKIP_1) | instid1(TRANS32_DEP_1)
	v_exp_f32_e32 v44, v44
	v_nop
	v_ldexp_f32 v44, v44, v45
	s_delay_alu instid0(VALU_DEP_1) | instskip(SKIP_1) | instid1(VALU_DEP_2)
	v_cndmask_b32_e32 v44, 0, v44, vcc_lo
	v_cmp_nlt_f32_e32 vcc_lo, 0x42b17218, v43
	v_cndmask_b32_e32 v43, 0x7f800000, v44, vcc_lo
	s_delay_alu instid0(VALU_DEP_1) | instskip(NEXT) | instid1(VALU_DEP_1)
	v_dual_mul_f32 v19, v19, v43 :: v_dual_add_f32 v43, 1.0, v43
	v_div_scale_f32 v44, null, v43, v43, v19
	s_delay_alu instid0(VALU_DEP_1) | instskip(SKIP_1) | instid1(TRANS32_DEP_1)
	v_rcp_f32_e32 v45, v44
	v_nop
	v_fma_f32 v46, -v44, v45, 1.0
	s_delay_alu instid0(VALU_DEP_1) | instskip(SKIP_1) | instid1(VALU_DEP_1)
	v_fmac_f32_e32 v45, v46, v45
	v_div_scale_f32 v46, vcc_lo, v19, v43, v19
	v_mul_f32_e32 v47, v46, v45
	s_delay_alu instid0(VALU_DEP_1) | instskip(NEXT) | instid1(VALU_DEP_1)
	v_fma_f32 v48, -v44, v47, v46
	v_fmac_f32_e32 v47, v48, v45
	s_delay_alu instid0(VALU_DEP_1) | instskip(NEXT) | instid1(VALU_DEP_1)
	v_fma_f32 v44, -v44, v47, v46
	v_div_fmas_f32 v44, v44, v45, v47
	s_delay_alu instid0(VALU_DEP_1)
	v_div_fixup_f32 v19, v44, v43, v19
.LBB63_27:
	s_or_b32 exec_lo, exec_lo, s10
	s_wait_loadcnt 0x9
	v_cvt_f32_f16_e32 v43, v42
	s_mov_b32 s10, exec_lo
	s_delay_alu instid0(VALU_DEP_1) | instskip(NEXT) | instid1(VALU_DEP_1)
	v_mul_f32_e32 v43, s13, v43
	v_cmpx_nlt_f32_e32 s14, v43
	s_cbranch_execz .LBB63_29
; %bb.28:
	v_mul_f32_e32 v44, 0x3fb8aa3b, v43
	v_cmp_ngt_f32_e32 vcc_lo, 0xc2ce8ed0, v43
	s_delay_alu instid0(VALU_DEP_2) | instskip(SKIP_1) | instid1(VALU_DEP_2)
	v_rndne_f32_e32 v45, v44
	v_fma_f32 v46, 0x3fb8aa3b, v43, -v44
	v_sub_f32_e32 v44, v44, v45
	s_delay_alu instid0(VALU_DEP_2) | instskip(SKIP_1) | instid1(VALU_DEP_2)
	v_fmamk_f32 v46, v43, 0x32a5705f, v46
	v_cvt_i32_f32_e32 v45, v45
	v_add_f32_e32 v44, v44, v46
	s_delay_alu instid0(VALU_DEP_1) | instskip(SKIP_1) | instid1(TRANS32_DEP_1)
	v_exp_f32_e32 v44, v44
	v_nop
	v_ldexp_f32 v44, v44, v45
	s_delay_alu instid0(VALU_DEP_1) | instskip(SKIP_1) | instid1(VALU_DEP_2)
	v_cndmask_b32_e32 v44, 0, v44, vcc_lo
	v_cmp_nlt_f32_e32 vcc_lo, 0x42b17218, v43
	v_cndmask_b32_e32 v43, 0x7f800000, v44, vcc_lo
	s_delay_alu instid0(VALU_DEP_1) | instskip(NEXT) | instid1(VALU_DEP_1)
	v_dual_mul_f32 v14, v14, v43 :: v_dual_add_f32 v43, 1.0, v43
	v_div_scale_f32 v44, null, v43, v43, v14
	s_delay_alu instid0(VALU_DEP_1) | instskip(SKIP_1) | instid1(TRANS32_DEP_1)
	v_rcp_f32_e32 v45, v44
	v_nop
	v_fma_f32 v46, -v44, v45, 1.0
	s_delay_alu instid0(VALU_DEP_1) | instskip(SKIP_1) | instid1(VALU_DEP_1)
	v_fmac_f32_e32 v45, v46, v45
	v_div_scale_f32 v46, vcc_lo, v14, v43, v14
	v_mul_f32_e32 v47, v46, v45
	s_delay_alu instid0(VALU_DEP_1) | instskip(NEXT) | instid1(VALU_DEP_1)
	v_fma_f32 v48, -v44, v47, v46
	v_fmac_f32_e32 v47, v48, v45
	s_delay_alu instid0(VALU_DEP_1) | instskip(NEXT) | instid1(VALU_DEP_1)
	v_fma_f32 v44, -v44, v47, v46
	v_div_fmas_f32 v44, v44, v45, v47
	s_delay_alu instid0(VALU_DEP_1)
	v_div_fixup_f32 v14, v44, v43, v14
.LBB63_29:
	s_or_b32 exec_lo, exec_lo, s10
	v_lshrrev_b32_e32 v42, 16, v42
	s_mov_b32 s10, exec_lo
	s_delay_alu instid0(VALU_DEP_1) | instskip(NEXT) | instid1(VALU_DEP_1)
	v_cvt_f32_f16_e32 v42, v42
	v_mul_f32_e32 v42, s13, v42
	s_delay_alu instid0(VALU_DEP_1)
	v_cmpx_nlt_f32_e32 s14, v42
	s_cbranch_execz .LBB63_31
; %bb.30:
	v_mul_f32_e32 v43, 0x3fb8aa3b, v42
	v_cmp_ngt_f32_e32 vcc_lo, 0xc2ce8ed0, v42
	s_delay_alu instid0(VALU_DEP_2) | instskip(SKIP_1) | instid1(VALU_DEP_2)
	v_rndne_f32_e32 v44, v43
	v_fma_f32 v45, 0x3fb8aa3b, v42, -v43
	v_sub_f32_e32 v43, v43, v44
	s_delay_alu instid0(VALU_DEP_2) | instskip(SKIP_1) | instid1(VALU_DEP_2)
	v_fmamk_f32 v45, v42, 0x32a5705f, v45
	v_cvt_i32_f32_e32 v44, v44
	v_add_f32_e32 v43, v43, v45
	s_delay_alu instid0(VALU_DEP_1) | instskip(SKIP_1) | instid1(TRANS32_DEP_1)
	v_exp_f32_e32 v43, v43
	v_nop
	v_ldexp_f32 v43, v43, v44
	s_delay_alu instid0(VALU_DEP_1) | instskip(SKIP_1) | instid1(VALU_DEP_2)
	v_cndmask_b32_e32 v43, 0, v43, vcc_lo
	v_cmp_nlt_f32_e32 vcc_lo, 0x42b17218, v42
	v_cndmask_b32_e32 v42, 0x7f800000, v43, vcc_lo
	s_delay_alu instid0(VALU_DEP_1) | instskip(NEXT) | instid1(VALU_DEP_1)
	v_dual_mul_f32 v15, v15, v42 :: v_dual_add_f32 v42, 1.0, v42
	v_div_scale_f32 v43, null, v42, v42, v15
	s_delay_alu instid0(VALU_DEP_1) | instskip(SKIP_1) | instid1(TRANS32_DEP_1)
	v_rcp_f32_e32 v44, v43
	v_nop
	v_fma_f32 v45, -v43, v44, 1.0
	s_delay_alu instid0(VALU_DEP_1) | instskip(SKIP_1) | instid1(VALU_DEP_1)
	v_fmac_f32_e32 v44, v45, v44
	v_div_scale_f32 v45, vcc_lo, v15, v42, v15
	v_mul_f32_e32 v46, v45, v44
	s_delay_alu instid0(VALU_DEP_1) | instskip(NEXT) | instid1(VALU_DEP_1)
	v_fma_f32 v47, -v43, v46, v45
	v_fmac_f32_e32 v46, v47, v44
	s_delay_alu instid0(VALU_DEP_1) | instskip(NEXT) | instid1(VALU_DEP_1)
	v_fma_f32 v43, -v43, v46, v45
	v_div_fmas_f32 v43, v43, v44, v46
	s_delay_alu instid0(VALU_DEP_1)
	v_div_fixup_f32 v15, v43, v42, v15
.LBB63_31:
	s_or_b32 exec_lo, exec_lo, s10
	s_wait_loadcnt 0x8
	v_cvt_f32_f16_e32 v42, v41
	s_mov_b32 s10, exec_lo
	s_delay_alu instid0(VALU_DEP_1) | instskip(NEXT) | instid1(VALU_DEP_1)
	v_mul_f32_e32 v42, s13, v42
	v_cmpx_nlt_f32_e32 s14, v42
	s_cbranch_execz .LBB63_33
; %bb.32:
	v_mul_f32_e32 v43, 0x3fb8aa3b, v42
	v_cmp_ngt_f32_e32 vcc_lo, 0xc2ce8ed0, v42
	s_delay_alu instid0(VALU_DEP_2) | instskip(SKIP_1) | instid1(VALU_DEP_2)
	v_rndne_f32_e32 v44, v43
	v_fma_f32 v45, 0x3fb8aa3b, v42, -v43
	v_sub_f32_e32 v43, v43, v44
	s_delay_alu instid0(VALU_DEP_2) | instskip(SKIP_1) | instid1(VALU_DEP_2)
	v_fmamk_f32 v45, v42, 0x32a5705f, v45
	v_cvt_i32_f32_e32 v44, v44
	v_add_f32_e32 v43, v43, v45
	s_delay_alu instid0(VALU_DEP_1) | instskip(SKIP_1) | instid1(TRANS32_DEP_1)
	v_exp_f32_e32 v43, v43
	v_nop
	v_ldexp_f32 v43, v43, v44
	s_delay_alu instid0(VALU_DEP_1) | instskip(SKIP_1) | instid1(VALU_DEP_2)
	v_cndmask_b32_e32 v43, 0, v43, vcc_lo
	v_cmp_nlt_f32_e32 vcc_lo, 0x42b17218, v42
	v_cndmask_b32_e32 v42, 0x7f800000, v43, vcc_lo
	s_delay_alu instid0(VALU_DEP_1) | instskip(NEXT) | instid1(VALU_DEP_1)
	v_dual_mul_f32 v10, v10, v42 :: v_dual_add_f32 v42, 1.0, v42
	v_div_scale_f32 v43, null, v42, v42, v10
	s_delay_alu instid0(VALU_DEP_1) | instskip(SKIP_1) | instid1(TRANS32_DEP_1)
	v_rcp_f32_e32 v44, v43
	v_nop
	v_fma_f32 v45, -v43, v44, 1.0
	s_delay_alu instid0(VALU_DEP_1) | instskip(SKIP_1) | instid1(VALU_DEP_1)
	v_fmac_f32_e32 v44, v45, v44
	v_div_scale_f32 v45, vcc_lo, v10, v42, v10
	v_mul_f32_e32 v46, v45, v44
	s_delay_alu instid0(VALU_DEP_1) | instskip(NEXT) | instid1(VALU_DEP_1)
	v_fma_f32 v47, -v43, v46, v45
	v_fmac_f32_e32 v46, v47, v44
	s_delay_alu instid0(VALU_DEP_1) | instskip(NEXT) | instid1(VALU_DEP_1)
	v_fma_f32 v43, -v43, v46, v45
	v_div_fmas_f32 v43, v43, v44, v46
	s_delay_alu instid0(VALU_DEP_1)
	v_div_fixup_f32 v10, v43, v42, v10
.LBB63_33:
	s_or_b32 exec_lo, exec_lo, s10
	v_lshrrev_b32_e32 v41, 16, v41
	s_mov_b32 s10, exec_lo
	s_delay_alu instid0(VALU_DEP_1) | instskip(NEXT) | instid1(VALU_DEP_1)
	v_cvt_f32_f16_e32 v41, v41
	v_mul_f32_e32 v41, s13, v41
	s_delay_alu instid0(VALU_DEP_1)
	v_cmpx_nlt_f32_e32 s14, v41
	s_cbranch_execz .LBB63_35
; %bb.34:
	v_mul_f32_e32 v42, 0x3fb8aa3b, v41
	v_cmp_ngt_f32_e32 vcc_lo, 0xc2ce8ed0, v41
	s_delay_alu instid0(VALU_DEP_2) | instskip(SKIP_1) | instid1(VALU_DEP_2)
	v_rndne_f32_e32 v43, v42
	v_fma_f32 v44, 0x3fb8aa3b, v41, -v42
	v_sub_f32_e32 v42, v42, v43
	s_delay_alu instid0(VALU_DEP_2) | instskip(SKIP_1) | instid1(VALU_DEP_2)
	v_fmamk_f32 v44, v41, 0x32a5705f, v44
	v_cvt_i32_f32_e32 v43, v43
	v_add_f32_e32 v42, v42, v44
	s_delay_alu instid0(VALU_DEP_1) | instskip(SKIP_1) | instid1(TRANS32_DEP_1)
	v_exp_f32_e32 v42, v42
	v_nop
	v_ldexp_f32 v42, v42, v43
	s_delay_alu instid0(VALU_DEP_1) | instskip(SKIP_1) | instid1(VALU_DEP_2)
	v_cndmask_b32_e32 v42, 0, v42, vcc_lo
	v_cmp_nlt_f32_e32 vcc_lo, 0x42b17218, v41
	v_cndmask_b32_e32 v41, 0x7f800000, v42, vcc_lo
	s_delay_alu instid0(VALU_DEP_1) | instskip(NEXT) | instid1(VALU_DEP_1)
	v_dual_mul_f32 v11, v11, v41 :: v_dual_add_f32 v41, 1.0, v41
	v_div_scale_f32 v42, null, v41, v41, v11
	s_delay_alu instid0(VALU_DEP_1) | instskip(SKIP_1) | instid1(TRANS32_DEP_1)
	v_rcp_f32_e32 v43, v42
	v_nop
	v_fma_f32 v44, -v42, v43, 1.0
	s_delay_alu instid0(VALU_DEP_1) | instskip(SKIP_1) | instid1(VALU_DEP_1)
	v_fmac_f32_e32 v43, v44, v43
	v_div_scale_f32 v44, vcc_lo, v11, v41, v11
	v_mul_f32_e32 v45, v44, v43
	s_delay_alu instid0(VALU_DEP_1) | instskip(NEXT) | instid1(VALU_DEP_1)
	v_fma_f32 v46, -v42, v45, v44
	v_fmac_f32_e32 v45, v46, v43
	s_delay_alu instid0(VALU_DEP_1) | instskip(NEXT) | instid1(VALU_DEP_1)
	v_fma_f32 v42, -v42, v45, v44
	v_div_fmas_f32 v42, v42, v43, v45
	s_delay_alu instid0(VALU_DEP_1)
	v_div_fixup_f32 v11, v42, v41, v11
.LBB63_35:
	s_or_b32 exec_lo, exec_lo, s10
	s_wait_loadcnt 0x7
	v_cvt_f32_f16_e32 v41, v40
	s_mov_b32 s10, exec_lo
	s_delay_alu instid0(VALU_DEP_1) | instskip(NEXT) | instid1(VALU_DEP_1)
	v_mul_f32_e32 v41, s13, v41
	v_cmpx_nlt_f32_e32 s14, v41
	s_cbranch_execz .LBB63_37
; %bb.36:
	v_mul_f32_e32 v42, 0x3fb8aa3b, v41
	v_cmp_ngt_f32_e32 vcc_lo, 0xc2ce8ed0, v41
	s_delay_alu instid0(VALU_DEP_2) | instskip(SKIP_1) | instid1(VALU_DEP_2)
	v_rndne_f32_e32 v43, v42
	v_fma_f32 v44, 0x3fb8aa3b, v41, -v42
	v_sub_f32_e32 v42, v42, v43
	s_delay_alu instid0(VALU_DEP_2) | instskip(SKIP_1) | instid1(VALU_DEP_2)
	v_fmamk_f32 v44, v41, 0x32a5705f, v44
	v_cvt_i32_f32_e32 v43, v43
	v_add_f32_e32 v42, v42, v44
	s_delay_alu instid0(VALU_DEP_1) | instskip(SKIP_1) | instid1(TRANS32_DEP_1)
	v_exp_f32_e32 v42, v42
	v_nop
	v_ldexp_f32 v42, v42, v43
	s_delay_alu instid0(VALU_DEP_1) | instskip(SKIP_1) | instid1(VALU_DEP_2)
	v_cndmask_b32_e32 v42, 0, v42, vcc_lo
	v_cmp_nlt_f32_e32 vcc_lo, 0x42b17218, v41
	v_cndmask_b32_e32 v41, 0x7f800000, v42, vcc_lo
	s_delay_alu instid0(VALU_DEP_1) | instskip(NEXT) | instid1(VALU_DEP_1)
	v_dual_mul_f32 v24, v24, v41 :: v_dual_add_f32 v41, 1.0, v41
	v_div_scale_f32 v42, null, v41, v41, v24
	s_delay_alu instid0(VALU_DEP_1) | instskip(SKIP_1) | instid1(TRANS32_DEP_1)
	v_rcp_f32_e32 v43, v42
	v_nop
	v_fma_f32 v44, -v42, v43, 1.0
	s_delay_alu instid0(VALU_DEP_1) | instskip(SKIP_1) | instid1(VALU_DEP_1)
	v_fmac_f32_e32 v43, v44, v43
	v_div_scale_f32 v44, vcc_lo, v24, v41, v24
	v_mul_f32_e32 v45, v44, v43
	s_delay_alu instid0(VALU_DEP_1) | instskip(NEXT) | instid1(VALU_DEP_1)
	v_fma_f32 v46, -v42, v45, v44
	v_fmac_f32_e32 v45, v46, v43
	s_delay_alu instid0(VALU_DEP_1) | instskip(NEXT) | instid1(VALU_DEP_1)
	v_fma_f32 v42, -v42, v45, v44
	v_div_fmas_f32 v42, v42, v43, v45
	s_delay_alu instid0(VALU_DEP_1)
	v_div_fixup_f32 v24, v42, v41, v24
.LBB63_37:
	s_or_b32 exec_lo, exec_lo, s10
	v_lshrrev_b32_e32 v40, 16, v40
	s_mov_b32 s10, exec_lo
	s_delay_alu instid0(VALU_DEP_1) | instskip(NEXT) | instid1(VALU_DEP_1)
	v_cvt_f32_f16_e32 v40, v40
	v_mul_f32_e32 v40, s13, v40
	s_delay_alu instid0(VALU_DEP_1)
	v_cmpx_nlt_f32_e32 s14, v40
	s_cbranch_execz .LBB63_39
; %bb.38:
	v_mul_f32_e32 v41, 0x3fb8aa3b, v40
	v_cmp_ngt_f32_e32 vcc_lo, 0xc2ce8ed0, v40
	s_delay_alu instid0(VALU_DEP_2) | instskip(SKIP_1) | instid1(VALU_DEP_2)
	v_rndne_f32_e32 v42, v41
	v_fma_f32 v43, 0x3fb8aa3b, v40, -v41
	v_sub_f32_e32 v41, v41, v42
	s_delay_alu instid0(VALU_DEP_2) | instskip(SKIP_1) | instid1(VALU_DEP_2)
	v_fmamk_f32 v43, v40, 0x32a5705f, v43
	v_cvt_i32_f32_e32 v42, v42
	v_add_f32_e32 v41, v41, v43
	s_delay_alu instid0(VALU_DEP_1) | instskip(SKIP_1) | instid1(TRANS32_DEP_1)
	v_exp_f32_e32 v41, v41
	v_nop
	v_ldexp_f32 v41, v41, v42
	s_delay_alu instid0(VALU_DEP_1) | instskip(SKIP_1) | instid1(VALU_DEP_2)
	v_cndmask_b32_e32 v41, 0, v41, vcc_lo
	v_cmp_nlt_f32_e32 vcc_lo, 0x42b17218, v40
	v_cndmask_b32_e32 v40, 0x7f800000, v41, vcc_lo
	s_delay_alu instid0(VALU_DEP_1) | instskip(NEXT) | instid1(VALU_DEP_1)
	v_dual_mul_f32 v25, v25, v40 :: v_dual_add_f32 v40, 1.0, v40
	v_div_scale_f32 v41, null, v40, v40, v25
	s_delay_alu instid0(VALU_DEP_1) | instskip(SKIP_1) | instid1(TRANS32_DEP_1)
	v_rcp_f32_e32 v42, v41
	v_nop
	v_fma_f32 v43, -v41, v42, 1.0
	s_delay_alu instid0(VALU_DEP_1) | instskip(SKIP_1) | instid1(VALU_DEP_1)
	v_fmac_f32_e32 v42, v43, v42
	v_div_scale_f32 v43, vcc_lo, v25, v40, v25
	v_mul_f32_e32 v44, v43, v42
	s_delay_alu instid0(VALU_DEP_1) | instskip(NEXT) | instid1(VALU_DEP_1)
	v_fma_f32 v45, -v41, v44, v43
	v_fmac_f32_e32 v44, v45, v42
	s_delay_alu instid0(VALU_DEP_1) | instskip(NEXT) | instid1(VALU_DEP_1)
	v_fma_f32 v41, -v41, v44, v43
	v_div_fmas_f32 v41, v41, v42, v44
	s_delay_alu instid0(VALU_DEP_1)
	v_div_fixup_f32 v25, v41, v40, v25
.LBB63_39:
	s_or_b32 exec_lo, exec_lo, s10
	s_wait_loadcnt 0x6
	v_cvt_f32_f16_e32 v40, v39
	s_mov_b32 s10, exec_lo
	s_delay_alu instid0(VALU_DEP_1) | instskip(NEXT) | instid1(VALU_DEP_1)
	v_mul_f32_e32 v40, s13, v40
	v_cmpx_nlt_f32_e32 s14, v40
	s_cbranch_execz .LBB63_41
; %bb.40:
	v_mul_f32_e32 v41, 0x3fb8aa3b, v40
	v_cmp_ngt_f32_e32 vcc_lo, 0xc2ce8ed0, v40
	s_delay_alu instid0(VALU_DEP_2) | instskip(SKIP_1) | instid1(VALU_DEP_2)
	v_rndne_f32_e32 v42, v41
	v_fma_f32 v43, 0x3fb8aa3b, v40, -v41
	v_sub_f32_e32 v41, v41, v42
	s_delay_alu instid0(VALU_DEP_2) | instskip(SKIP_1) | instid1(VALU_DEP_2)
	v_fmamk_f32 v43, v40, 0x32a5705f, v43
	v_cvt_i32_f32_e32 v42, v42
	v_add_f32_e32 v41, v41, v43
	s_delay_alu instid0(VALU_DEP_1) | instskip(SKIP_1) | instid1(TRANS32_DEP_1)
	v_exp_f32_e32 v41, v41
	v_nop
	v_ldexp_f32 v41, v41, v42
	s_delay_alu instid0(VALU_DEP_1) | instskip(SKIP_1) | instid1(VALU_DEP_2)
	v_cndmask_b32_e32 v41, 0, v41, vcc_lo
	v_cmp_nlt_f32_e32 vcc_lo, 0x42b17218, v40
	v_cndmask_b32_e32 v40, 0x7f800000, v41, vcc_lo
	s_delay_alu instid0(VALU_DEP_1) | instskip(NEXT) | instid1(VALU_DEP_1)
	v_dual_mul_f32 v20, v20, v40 :: v_dual_add_f32 v40, 1.0, v40
	v_div_scale_f32 v41, null, v40, v40, v20
	s_delay_alu instid0(VALU_DEP_1) | instskip(SKIP_1) | instid1(TRANS32_DEP_1)
	v_rcp_f32_e32 v42, v41
	v_nop
	v_fma_f32 v43, -v41, v42, 1.0
	s_delay_alu instid0(VALU_DEP_1) | instskip(SKIP_1) | instid1(VALU_DEP_1)
	v_fmac_f32_e32 v42, v43, v42
	v_div_scale_f32 v43, vcc_lo, v20, v40, v20
	v_mul_f32_e32 v44, v43, v42
	s_delay_alu instid0(VALU_DEP_1) | instskip(NEXT) | instid1(VALU_DEP_1)
	v_fma_f32 v45, -v41, v44, v43
	v_fmac_f32_e32 v44, v45, v42
	s_delay_alu instid0(VALU_DEP_1) | instskip(NEXT) | instid1(VALU_DEP_1)
	v_fma_f32 v41, -v41, v44, v43
	v_div_fmas_f32 v41, v41, v42, v44
	s_delay_alu instid0(VALU_DEP_1)
	v_div_fixup_f32 v20, v41, v40, v20
.LBB63_41:
	s_or_b32 exec_lo, exec_lo, s10
	v_lshrrev_b32_e32 v39, 16, v39
	s_mov_b32 s10, exec_lo
	s_delay_alu instid0(VALU_DEP_1) | instskip(NEXT) | instid1(VALU_DEP_1)
	v_cvt_f32_f16_e32 v39, v39
	v_mul_f32_e32 v39, s13, v39
	s_delay_alu instid0(VALU_DEP_1)
	v_cmpx_nlt_f32_e32 s14, v39
	s_cbranch_execz .LBB63_43
; %bb.42:
	v_mul_f32_e32 v40, 0x3fb8aa3b, v39
	v_cmp_ngt_f32_e32 vcc_lo, 0xc2ce8ed0, v39
	s_delay_alu instid0(VALU_DEP_2) | instskip(SKIP_1) | instid1(VALU_DEP_2)
	v_rndne_f32_e32 v41, v40
	v_fma_f32 v42, 0x3fb8aa3b, v39, -v40
	v_sub_f32_e32 v40, v40, v41
	s_delay_alu instid0(VALU_DEP_2) | instskip(SKIP_1) | instid1(VALU_DEP_2)
	v_fmamk_f32 v42, v39, 0x32a5705f, v42
	v_cvt_i32_f32_e32 v41, v41
	v_add_f32_e32 v40, v40, v42
	s_delay_alu instid0(VALU_DEP_1) | instskip(SKIP_1) | instid1(TRANS32_DEP_1)
	v_exp_f32_e32 v40, v40
	v_nop
	v_ldexp_f32 v40, v40, v41
	s_delay_alu instid0(VALU_DEP_1) | instskip(SKIP_1) | instid1(VALU_DEP_2)
	v_cndmask_b32_e32 v40, 0, v40, vcc_lo
	v_cmp_nlt_f32_e32 vcc_lo, 0x42b17218, v39
	v_cndmask_b32_e32 v39, 0x7f800000, v40, vcc_lo
	s_delay_alu instid0(VALU_DEP_1) | instskip(NEXT) | instid1(VALU_DEP_1)
	v_dual_mul_f32 v21, v21, v39 :: v_dual_add_f32 v39, 1.0, v39
	v_div_scale_f32 v40, null, v39, v39, v21
	s_delay_alu instid0(VALU_DEP_1) | instskip(SKIP_1) | instid1(TRANS32_DEP_1)
	v_rcp_f32_e32 v41, v40
	v_nop
	v_fma_f32 v42, -v40, v41, 1.0
	s_delay_alu instid0(VALU_DEP_1) | instskip(SKIP_1) | instid1(VALU_DEP_1)
	v_fmac_f32_e32 v41, v42, v41
	v_div_scale_f32 v42, vcc_lo, v21, v39, v21
	v_mul_f32_e32 v43, v42, v41
	s_delay_alu instid0(VALU_DEP_1) | instskip(NEXT) | instid1(VALU_DEP_1)
	v_fma_f32 v44, -v40, v43, v42
	v_fmac_f32_e32 v43, v44, v41
	s_delay_alu instid0(VALU_DEP_1) | instskip(NEXT) | instid1(VALU_DEP_1)
	v_fma_f32 v40, -v40, v43, v42
	v_div_fmas_f32 v40, v40, v41, v43
	s_delay_alu instid0(VALU_DEP_1)
	v_div_fixup_f32 v21, v40, v39, v21
.LBB63_43:
	s_or_b32 exec_lo, exec_lo, s10
	s_wait_loadcnt 0x5
	v_cvt_f32_f16_e32 v39, v38
	s_mov_b32 s10, exec_lo
	s_delay_alu instid0(VALU_DEP_1) | instskip(NEXT) | instid1(VALU_DEP_1)
	v_mul_f32_e32 v39, s13, v39
	v_cmpx_nlt_f32_e32 s14, v39
	s_cbranch_execz .LBB63_45
; %bb.44:
	v_mul_f32_e32 v40, 0x3fb8aa3b, v39
	v_cmp_ngt_f32_e32 vcc_lo, 0xc2ce8ed0, v39
	s_delay_alu instid0(VALU_DEP_2) | instskip(SKIP_1) | instid1(VALU_DEP_2)
	v_rndne_f32_e32 v41, v40
	v_fma_f32 v42, 0x3fb8aa3b, v39, -v40
	v_sub_f32_e32 v40, v40, v41
	s_delay_alu instid0(VALU_DEP_2) | instskip(SKIP_1) | instid1(VALU_DEP_2)
	v_fmamk_f32 v42, v39, 0x32a5705f, v42
	v_cvt_i32_f32_e32 v41, v41
	v_add_f32_e32 v40, v40, v42
	s_delay_alu instid0(VALU_DEP_1) | instskip(SKIP_1) | instid1(TRANS32_DEP_1)
	v_exp_f32_e32 v40, v40
	v_nop
	v_ldexp_f32 v40, v40, v41
	s_delay_alu instid0(VALU_DEP_1) | instskip(SKIP_1) | instid1(VALU_DEP_2)
	v_cndmask_b32_e32 v40, 0, v40, vcc_lo
	v_cmp_nlt_f32_e32 vcc_lo, 0x42b17218, v39
	v_cndmask_b32_e32 v39, 0x7f800000, v40, vcc_lo
	s_delay_alu instid0(VALU_DEP_1) | instskip(NEXT) | instid1(VALU_DEP_1)
	v_dual_mul_f32 v16, v16, v39 :: v_dual_add_f32 v39, 1.0, v39
	v_div_scale_f32 v40, null, v39, v39, v16
	s_delay_alu instid0(VALU_DEP_1) | instskip(SKIP_1) | instid1(TRANS32_DEP_1)
	v_rcp_f32_e32 v41, v40
	v_nop
	v_fma_f32 v42, -v40, v41, 1.0
	s_delay_alu instid0(VALU_DEP_1) | instskip(SKIP_1) | instid1(VALU_DEP_1)
	v_fmac_f32_e32 v41, v42, v41
	v_div_scale_f32 v42, vcc_lo, v16, v39, v16
	v_mul_f32_e32 v43, v42, v41
	s_delay_alu instid0(VALU_DEP_1) | instskip(NEXT) | instid1(VALU_DEP_1)
	v_fma_f32 v44, -v40, v43, v42
	v_fmac_f32_e32 v43, v44, v41
	s_delay_alu instid0(VALU_DEP_1) | instskip(NEXT) | instid1(VALU_DEP_1)
	v_fma_f32 v40, -v40, v43, v42
	v_div_fmas_f32 v40, v40, v41, v43
	s_delay_alu instid0(VALU_DEP_1)
	v_div_fixup_f32 v16, v40, v39, v16
.LBB63_45:
	s_or_b32 exec_lo, exec_lo, s10
	v_lshrrev_b32_e32 v38, 16, v38
	s_mov_b32 s10, exec_lo
	s_delay_alu instid0(VALU_DEP_1) | instskip(NEXT) | instid1(VALU_DEP_1)
	v_cvt_f32_f16_e32 v38, v38
	v_mul_f32_e32 v38, s13, v38
	s_delay_alu instid0(VALU_DEP_1)
	v_cmpx_nlt_f32_e32 s14, v38
	s_cbranch_execz .LBB63_47
; %bb.46:
	v_mul_f32_e32 v39, 0x3fb8aa3b, v38
	v_cmp_ngt_f32_e32 vcc_lo, 0xc2ce8ed0, v38
	s_delay_alu instid0(VALU_DEP_2) | instskip(SKIP_1) | instid1(VALU_DEP_2)
	v_rndne_f32_e32 v40, v39
	v_fma_f32 v41, 0x3fb8aa3b, v38, -v39
	v_sub_f32_e32 v39, v39, v40
	s_delay_alu instid0(VALU_DEP_2) | instskip(SKIP_1) | instid1(VALU_DEP_2)
	v_fmamk_f32 v41, v38, 0x32a5705f, v41
	v_cvt_i32_f32_e32 v40, v40
	v_add_f32_e32 v39, v39, v41
	s_delay_alu instid0(VALU_DEP_1) | instskip(SKIP_1) | instid1(TRANS32_DEP_1)
	v_exp_f32_e32 v39, v39
	v_nop
	v_ldexp_f32 v39, v39, v40
	s_delay_alu instid0(VALU_DEP_1) | instskip(SKIP_1) | instid1(VALU_DEP_2)
	v_cndmask_b32_e32 v39, 0, v39, vcc_lo
	v_cmp_nlt_f32_e32 vcc_lo, 0x42b17218, v38
	v_cndmask_b32_e32 v38, 0x7f800000, v39, vcc_lo
	s_delay_alu instid0(VALU_DEP_1) | instskip(NEXT) | instid1(VALU_DEP_1)
	v_dual_mul_f32 v17, v17, v38 :: v_dual_add_f32 v38, 1.0, v38
	v_div_scale_f32 v39, null, v38, v38, v17
	s_delay_alu instid0(VALU_DEP_1) | instskip(SKIP_1) | instid1(TRANS32_DEP_1)
	v_rcp_f32_e32 v40, v39
	v_nop
	v_fma_f32 v41, -v39, v40, 1.0
	s_delay_alu instid0(VALU_DEP_1) | instskip(SKIP_1) | instid1(VALU_DEP_1)
	v_fmac_f32_e32 v40, v41, v40
	v_div_scale_f32 v41, vcc_lo, v17, v38, v17
	v_mul_f32_e32 v42, v41, v40
	s_delay_alu instid0(VALU_DEP_1) | instskip(NEXT) | instid1(VALU_DEP_1)
	v_fma_f32 v43, -v39, v42, v41
	v_fmac_f32_e32 v42, v43, v40
	s_delay_alu instid0(VALU_DEP_1) | instskip(NEXT) | instid1(VALU_DEP_1)
	v_fma_f32 v39, -v39, v42, v41
	v_div_fmas_f32 v39, v39, v40, v42
	s_delay_alu instid0(VALU_DEP_1)
	v_div_fixup_f32 v17, v39, v38, v17
.LBB63_47:
	s_or_b32 exec_lo, exec_lo, s10
	s_wait_loadcnt 0x4
	v_cvt_f32_f16_e32 v38, v37
	s_mov_b32 s10, exec_lo
	s_delay_alu instid0(VALU_DEP_1) | instskip(NEXT) | instid1(VALU_DEP_1)
	v_mul_f32_e32 v38, s13, v38
	v_cmpx_nlt_f32_e32 s14, v38
	s_cbranch_execz .LBB63_49
; %bb.48:
	v_mul_f32_e32 v39, 0x3fb8aa3b, v38
	v_cmp_ngt_f32_e32 vcc_lo, 0xc2ce8ed0, v38
	s_delay_alu instid0(VALU_DEP_2) | instskip(SKIP_1) | instid1(VALU_DEP_2)
	v_rndne_f32_e32 v40, v39
	v_fma_f32 v41, 0x3fb8aa3b, v38, -v39
	v_sub_f32_e32 v39, v39, v40
	s_delay_alu instid0(VALU_DEP_2) | instskip(SKIP_1) | instid1(VALU_DEP_2)
	v_fmamk_f32 v41, v38, 0x32a5705f, v41
	v_cvt_i32_f32_e32 v40, v40
	v_add_f32_e32 v39, v39, v41
	s_delay_alu instid0(VALU_DEP_1) | instskip(SKIP_1) | instid1(TRANS32_DEP_1)
	v_exp_f32_e32 v39, v39
	v_nop
	v_ldexp_f32 v39, v39, v40
	s_delay_alu instid0(VALU_DEP_1) | instskip(SKIP_1) | instid1(VALU_DEP_2)
	v_cndmask_b32_e32 v39, 0, v39, vcc_lo
	v_cmp_nlt_f32_e32 vcc_lo, 0x42b17218, v38
	v_cndmask_b32_e32 v38, 0x7f800000, v39, vcc_lo
	s_delay_alu instid0(VALU_DEP_1) | instskip(NEXT) | instid1(VALU_DEP_1)
	v_dual_mul_f32 v12, v12, v38 :: v_dual_add_f32 v38, 1.0, v38
	v_div_scale_f32 v39, null, v38, v38, v12
	s_delay_alu instid0(VALU_DEP_1) | instskip(SKIP_1) | instid1(TRANS32_DEP_1)
	v_rcp_f32_e32 v40, v39
	v_nop
	v_fma_f32 v41, -v39, v40, 1.0
	s_delay_alu instid0(VALU_DEP_1) | instskip(SKIP_1) | instid1(VALU_DEP_1)
	v_fmac_f32_e32 v40, v41, v40
	v_div_scale_f32 v41, vcc_lo, v12, v38, v12
	v_mul_f32_e32 v42, v41, v40
	s_delay_alu instid0(VALU_DEP_1) | instskip(NEXT) | instid1(VALU_DEP_1)
	v_fma_f32 v43, -v39, v42, v41
	v_fmac_f32_e32 v42, v43, v40
	s_delay_alu instid0(VALU_DEP_1) | instskip(NEXT) | instid1(VALU_DEP_1)
	v_fma_f32 v39, -v39, v42, v41
	v_div_fmas_f32 v39, v39, v40, v42
	s_delay_alu instid0(VALU_DEP_1)
	v_div_fixup_f32 v12, v39, v38, v12
.LBB63_49:
	s_or_b32 exec_lo, exec_lo, s10
	v_lshrrev_b32_e32 v37, 16, v37
	s_mov_b32 s10, exec_lo
	s_delay_alu instid0(VALU_DEP_1) | instskip(NEXT) | instid1(VALU_DEP_1)
	v_cvt_f32_f16_e32 v37, v37
	v_mul_f32_e32 v37, s13, v37
	s_delay_alu instid0(VALU_DEP_1)
	v_cmpx_nlt_f32_e32 s14, v37
	s_cbranch_execz .LBB63_51
; %bb.50:
	v_mul_f32_e32 v38, 0x3fb8aa3b, v37
	v_cmp_ngt_f32_e32 vcc_lo, 0xc2ce8ed0, v37
	s_delay_alu instid0(VALU_DEP_2) | instskip(SKIP_1) | instid1(VALU_DEP_2)
	v_rndne_f32_e32 v39, v38
	v_fma_f32 v40, 0x3fb8aa3b, v37, -v38
	v_sub_f32_e32 v38, v38, v39
	s_delay_alu instid0(VALU_DEP_2) | instskip(SKIP_1) | instid1(VALU_DEP_2)
	v_fmamk_f32 v40, v37, 0x32a5705f, v40
	v_cvt_i32_f32_e32 v39, v39
	v_add_f32_e32 v38, v38, v40
	s_delay_alu instid0(VALU_DEP_1) | instskip(SKIP_1) | instid1(TRANS32_DEP_1)
	v_exp_f32_e32 v38, v38
	v_nop
	v_ldexp_f32 v38, v38, v39
	s_delay_alu instid0(VALU_DEP_1) | instskip(SKIP_1) | instid1(VALU_DEP_2)
	v_cndmask_b32_e32 v38, 0, v38, vcc_lo
	v_cmp_nlt_f32_e32 vcc_lo, 0x42b17218, v37
	v_cndmask_b32_e32 v37, 0x7f800000, v38, vcc_lo
	s_delay_alu instid0(VALU_DEP_1) | instskip(NEXT) | instid1(VALU_DEP_1)
	v_dual_mul_f32 v13, v13, v37 :: v_dual_add_f32 v37, 1.0, v37
	v_div_scale_f32 v38, null, v37, v37, v13
	s_delay_alu instid0(VALU_DEP_1) | instskip(SKIP_1) | instid1(TRANS32_DEP_1)
	v_rcp_f32_e32 v39, v38
	v_nop
	v_fma_f32 v40, -v38, v39, 1.0
	s_delay_alu instid0(VALU_DEP_1) | instskip(SKIP_1) | instid1(VALU_DEP_1)
	v_fmac_f32_e32 v39, v40, v39
	v_div_scale_f32 v40, vcc_lo, v13, v37, v13
	v_mul_f32_e32 v41, v40, v39
	s_delay_alu instid0(VALU_DEP_1) | instskip(NEXT) | instid1(VALU_DEP_1)
	v_fma_f32 v42, -v38, v41, v40
	v_fmac_f32_e32 v41, v42, v39
	s_delay_alu instid0(VALU_DEP_1) | instskip(NEXT) | instid1(VALU_DEP_1)
	v_fma_f32 v38, -v38, v41, v40
	v_div_fmas_f32 v38, v38, v39, v41
	s_delay_alu instid0(VALU_DEP_1)
	v_div_fixup_f32 v13, v38, v37, v13
.LBB63_51:
	s_or_b32 exec_lo, exec_lo, s10
	s_wait_loadcnt 0x3
	v_cvt_f32_f16_e32 v37, v36
	s_mov_b32 s10, exec_lo
	s_delay_alu instid0(VALU_DEP_1) | instskip(NEXT) | instid1(VALU_DEP_1)
	v_mul_f32_e32 v37, s13, v37
	v_cmpx_nlt_f32_e32 s14, v37
	s_cbranch_execz .LBB63_53
; %bb.52:
	v_mul_f32_e32 v38, 0x3fb8aa3b, v37
	v_cmp_ngt_f32_e32 vcc_lo, 0xc2ce8ed0, v37
	s_delay_alu instid0(VALU_DEP_2) | instskip(SKIP_1) | instid1(VALU_DEP_2)
	v_rndne_f32_e32 v39, v38
	v_fma_f32 v40, 0x3fb8aa3b, v37, -v38
	v_sub_f32_e32 v38, v38, v39
	s_delay_alu instid0(VALU_DEP_2) | instskip(SKIP_1) | instid1(VALU_DEP_2)
	v_fmamk_f32 v40, v37, 0x32a5705f, v40
	v_cvt_i32_f32_e32 v39, v39
	v_add_f32_e32 v38, v38, v40
	s_delay_alu instid0(VALU_DEP_1) | instskip(SKIP_1) | instid1(TRANS32_DEP_1)
	v_exp_f32_e32 v38, v38
	v_nop
	v_ldexp_f32 v38, v38, v39
	s_delay_alu instid0(VALU_DEP_1) | instskip(SKIP_1) | instid1(VALU_DEP_2)
	v_cndmask_b32_e32 v38, 0, v38, vcc_lo
	v_cmp_nlt_f32_e32 vcc_lo, 0x42b17218, v37
	v_cndmask_b32_e32 v37, 0x7f800000, v38, vcc_lo
	s_delay_alu instid0(VALU_DEP_1) | instskip(NEXT) | instid1(VALU_DEP_1)
	v_dual_mul_f32 v8, v8, v37 :: v_dual_add_f32 v37, 1.0, v37
	v_div_scale_f32 v38, null, v37, v37, v8
	s_delay_alu instid0(VALU_DEP_1) | instskip(SKIP_1) | instid1(TRANS32_DEP_1)
	v_rcp_f32_e32 v39, v38
	v_nop
	v_fma_f32 v40, -v38, v39, 1.0
	s_delay_alu instid0(VALU_DEP_1) | instskip(SKIP_1) | instid1(VALU_DEP_1)
	v_fmac_f32_e32 v39, v40, v39
	v_div_scale_f32 v40, vcc_lo, v8, v37, v8
	v_mul_f32_e32 v41, v40, v39
	s_delay_alu instid0(VALU_DEP_1) | instskip(NEXT) | instid1(VALU_DEP_1)
	v_fma_f32 v42, -v38, v41, v40
	v_fmac_f32_e32 v41, v42, v39
	s_delay_alu instid0(VALU_DEP_1) | instskip(NEXT) | instid1(VALU_DEP_1)
	v_fma_f32 v38, -v38, v41, v40
	v_div_fmas_f32 v38, v38, v39, v41
	s_delay_alu instid0(VALU_DEP_1)
	v_div_fixup_f32 v8, v38, v37, v8
.LBB63_53:
	s_or_b32 exec_lo, exec_lo, s10
	v_lshrrev_b32_e32 v36, 16, v36
	s_mov_b32 s10, exec_lo
	s_delay_alu instid0(VALU_DEP_1) | instskip(NEXT) | instid1(VALU_DEP_1)
	v_cvt_f32_f16_e32 v36, v36
	v_mul_f32_e32 v36, s13, v36
	s_delay_alu instid0(VALU_DEP_1)
	v_cmpx_nlt_f32_e32 s14, v36
	s_cbranch_execz .LBB63_55
; %bb.54:
	v_mul_f32_e32 v37, 0x3fb8aa3b, v36
	v_cmp_ngt_f32_e32 vcc_lo, 0xc2ce8ed0, v36
	s_delay_alu instid0(VALU_DEP_2) | instskip(SKIP_1) | instid1(VALU_DEP_2)
	v_rndne_f32_e32 v38, v37
	v_fma_f32 v39, 0x3fb8aa3b, v36, -v37
	v_sub_f32_e32 v37, v37, v38
	s_delay_alu instid0(VALU_DEP_2) | instskip(SKIP_1) | instid1(VALU_DEP_2)
	v_fmamk_f32 v39, v36, 0x32a5705f, v39
	v_cvt_i32_f32_e32 v38, v38
	v_add_f32_e32 v37, v37, v39
	s_delay_alu instid0(VALU_DEP_1) | instskip(SKIP_1) | instid1(TRANS32_DEP_1)
	v_exp_f32_e32 v37, v37
	v_nop
	v_ldexp_f32 v37, v37, v38
	s_delay_alu instid0(VALU_DEP_1) | instskip(SKIP_1) | instid1(VALU_DEP_2)
	v_cndmask_b32_e32 v37, 0, v37, vcc_lo
	v_cmp_nlt_f32_e32 vcc_lo, 0x42b17218, v36
	v_cndmask_b32_e32 v36, 0x7f800000, v37, vcc_lo
	s_delay_alu instid0(VALU_DEP_1) | instskip(NEXT) | instid1(VALU_DEP_1)
	v_dual_mul_f32 v9, v9, v36 :: v_dual_add_f32 v36, 1.0, v36
	v_div_scale_f32 v37, null, v36, v36, v9
	s_delay_alu instid0(VALU_DEP_1) | instskip(SKIP_1) | instid1(TRANS32_DEP_1)
	v_rcp_f32_e32 v38, v37
	v_nop
	v_fma_f32 v39, -v37, v38, 1.0
	s_delay_alu instid0(VALU_DEP_1) | instskip(SKIP_1) | instid1(VALU_DEP_1)
	v_fmac_f32_e32 v38, v39, v38
	v_div_scale_f32 v39, vcc_lo, v9, v36, v9
	v_mul_f32_e32 v40, v39, v38
	s_delay_alu instid0(VALU_DEP_1) | instskip(NEXT) | instid1(VALU_DEP_1)
	v_fma_f32 v41, -v37, v40, v39
	v_fmac_f32_e32 v40, v41, v38
	s_delay_alu instid0(VALU_DEP_1) | instskip(NEXT) | instid1(VALU_DEP_1)
	v_fma_f32 v37, -v37, v40, v39
	v_div_fmas_f32 v37, v37, v38, v40
	s_delay_alu instid0(VALU_DEP_1)
	v_div_fixup_f32 v9, v37, v36, v9
.LBB63_55:
	s_or_b32 exec_lo, exec_lo, s10
	s_wait_loadcnt 0x2
	v_cvt_f32_f16_e32 v36, v35
	s_mov_b32 s10, exec_lo
	s_delay_alu instid0(VALU_DEP_1) | instskip(NEXT) | instid1(VALU_DEP_1)
	v_mul_f32_e32 v36, s13, v36
	v_cmpx_nlt_f32_e32 s14, v36
	s_cbranch_execz .LBB63_57
; %bb.56:
	v_mul_f32_e32 v37, 0x3fb8aa3b, v36
	v_cmp_ngt_f32_e32 vcc_lo, 0xc2ce8ed0, v36
	s_delay_alu instid0(VALU_DEP_2) | instskip(SKIP_1) | instid1(VALU_DEP_2)
	v_rndne_f32_e32 v38, v37
	v_fma_f32 v39, 0x3fb8aa3b, v36, -v37
	v_sub_f32_e32 v37, v37, v38
	s_delay_alu instid0(VALU_DEP_2) | instskip(SKIP_1) | instid1(VALU_DEP_2)
	v_fmamk_f32 v39, v36, 0x32a5705f, v39
	v_cvt_i32_f32_e32 v38, v38
	v_add_f32_e32 v37, v37, v39
	s_delay_alu instid0(VALU_DEP_1) | instskip(SKIP_1) | instid1(TRANS32_DEP_1)
	v_exp_f32_e32 v37, v37
	v_nop
	v_ldexp_f32 v37, v37, v38
	s_delay_alu instid0(VALU_DEP_1) | instskip(SKIP_1) | instid1(VALU_DEP_2)
	v_cndmask_b32_e32 v37, 0, v37, vcc_lo
	v_cmp_nlt_f32_e32 vcc_lo, 0x42b17218, v36
	v_cndmask_b32_e32 v36, 0x7f800000, v37, vcc_lo
	s_delay_alu instid0(VALU_DEP_1) | instskip(NEXT) | instid1(VALU_DEP_1)
	v_dual_mul_f32 v6, v6, v36 :: v_dual_add_f32 v36, 1.0, v36
	v_div_scale_f32 v37, null, v36, v36, v6
	s_delay_alu instid0(VALU_DEP_1) | instskip(SKIP_1) | instid1(TRANS32_DEP_1)
	v_rcp_f32_e32 v38, v37
	v_nop
	v_fma_f32 v39, -v37, v38, 1.0
	s_delay_alu instid0(VALU_DEP_1) | instskip(SKIP_1) | instid1(VALU_DEP_1)
	v_fmac_f32_e32 v38, v39, v38
	v_div_scale_f32 v39, vcc_lo, v6, v36, v6
	v_mul_f32_e32 v40, v39, v38
	s_delay_alu instid0(VALU_DEP_1) | instskip(NEXT) | instid1(VALU_DEP_1)
	v_fma_f32 v41, -v37, v40, v39
	v_fmac_f32_e32 v40, v41, v38
	s_delay_alu instid0(VALU_DEP_1) | instskip(NEXT) | instid1(VALU_DEP_1)
	v_fma_f32 v37, -v37, v40, v39
	v_div_fmas_f32 v37, v37, v38, v40
	s_delay_alu instid0(VALU_DEP_1)
	v_div_fixup_f32 v6, v37, v36, v6
.LBB63_57:
	s_or_b32 exec_lo, exec_lo, s10
	v_lshrrev_b32_e32 v35, 16, v35
	s_mov_b32 s10, exec_lo
	s_delay_alu instid0(VALU_DEP_1) | instskip(NEXT) | instid1(VALU_DEP_1)
	v_cvt_f32_f16_e32 v35, v35
	v_mul_f32_e32 v35, s13, v35
	s_delay_alu instid0(VALU_DEP_1)
	v_cmpx_nlt_f32_e32 s14, v35
	s_cbranch_execz .LBB63_59
; %bb.58:
	v_mul_f32_e32 v36, 0x3fb8aa3b, v35
	v_cmp_ngt_f32_e32 vcc_lo, 0xc2ce8ed0, v35
	s_delay_alu instid0(VALU_DEP_2) | instskip(SKIP_1) | instid1(VALU_DEP_2)
	v_rndne_f32_e32 v37, v36
	v_fma_f32 v38, 0x3fb8aa3b, v35, -v36
	v_sub_f32_e32 v36, v36, v37
	s_delay_alu instid0(VALU_DEP_2) | instskip(SKIP_1) | instid1(VALU_DEP_2)
	v_fmamk_f32 v38, v35, 0x32a5705f, v38
	v_cvt_i32_f32_e32 v37, v37
	v_add_f32_e32 v36, v36, v38
	s_delay_alu instid0(VALU_DEP_1) | instskip(SKIP_1) | instid1(TRANS32_DEP_1)
	v_exp_f32_e32 v36, v36
	v_nop
	v_ldexp_f32 v36, v36, v37
	s_delay_alu instid0(VALU_DEP_1) | instskip(SKIP_1) | instid1(VALU_DEP_2)
	v_cndmask_b32_e32 v36, 0, v36, vcc_lo
	v_cmp_nlt_f32_e32 vcc_lo, 0x42b17218, v35
	v_cndmask_b32_e32 v35, 0x7f800000, v36, vcc_lo
	s_delay_alu instid0(VALU_DEP_1) | instskip(NEXT) | instid1(VALU_DEP_1)
	v_dual_mul_f32 v7, v7, v35 :: v_dual_add_f32 v35, 1.0, v35
	v_div_scale_f32 v36, null, v35, v35, v7
	s_delay_alu instid0(VALU_DEP_1) | instskip(SKIP_1) | instid1(TRANS32_DEP_1)
	v_rcp_f32_e32 v37, v36
	v_nop
	v_fma_f32 v38, -v36, v37, 1.0
	s_delay_alu instid0(VALU_DEP_1) | instskip(SKIP_1) | instid1(VALU_DEP_1)
	v_fmac_f32_e32 v37, v38, v37
	v_div_scale_f32 v38, vcc_lo, v7, v35, v7
	v_mul_f32_e32 v39, v38, v37
	s_delay_alu instid0(VALU_DEP_1) | instskip(NEXT) | instid1(VALU_DEP_1)
	v_fma_f32 v40, -v36, v39, v38
	v_fmac_f32_e32 v39, v40, v37
	s_delay_alu instid0(VALU_DEP_1) | instskip(NEXT) | instid1(VALU_DEP_1)
	v_fma_f32 v36, -v36, v39, v38
	v_div_fmas_f32 v36, v36, v37, v39
	s_delay_alu instid0(VALU_DEP_1)
	v_div_fixup_f32 v7, v36, v35, v7
.LBB63_59:
	s_or_b32 exec_lo, exec_lo, s10
	s_wait_loadcnt 0x1
	v_cvt_f32_f16_e32 v35, v34
	s_mov_b32 s10, exec_lo
	s_delay_alu instid0(VALU_DEP_1) | instskip(NEXT) | instid1(VALU_DEP_1)
	v_mul_f32_e32 v35, s13, v35
	v_cmpx_nlt_f32_e32 s14, v35
	s_cbranch_execz .LBB63_61
; %bb.60:
	v_mul_f32_e32 v36, 0x3fb8aa3b, v35
	v_cmp_ngt_f32_e32 vcc_lo, 0xc2ce8ed0, v35
	s_delay_alu instid0(VALU_DEP_2) | instskip(SKIP_1) | instid1(VALU_DEP_2)
	v_rndne_f32_e32 v37, v36
	v_fma_f32 v38, 0x3fb8aa3b, v35, -v36
	v_sub_f32_e32 v36, v36, v37
	s_delay_alu instid0(VALU_DEP_2) | instskip(SKIP_1) | instid1(VALU_DEP_2)
	v_fmamk_f32 v38, v35, 0x32a5705f, v38
	v_cvt_i32_f32_e32 v37, v37
	v_add_f32_e32 v36, v36, v38
	s_delay_alu instid0(VALU_DEP_1) | instskip(SKIP_1) | instid1(TRANS32_DEP_1)
	v_exp_f32_e32 v36, v36
	v_nop
	v_ldexp_f32 v36, v36, v37
	s_delay_alu instid0(VALU_DEP_1) | instskip(SKIP_1) | instid1(VALU_DEP_2)
	v_cndmask_b32_e32 v36, 0, v36, vcc_lo
	v_cmp_nlt_f32_e32 vcc_lo, 0x42b17218, v35
	v_cndmask_b32_e32 v35, 0x7f800000, v36, vcc_lo
	s_delay_alu instid0(VALU_DEP_1) | instskip(NEXT) | instid1(VALU_DEP_1)
	v_dual_mul_f32 v4, v4, v35 :: v_dual_add_f32 v35, 1.0, v35
	v_div_scale_f32 v36, null, v35, v35, v4
	s_delay_alu instid0(VALU_DEP_1) | instskip(SKIP_1) | instid1(TRANS32_DEP_1)
	v_rcp_f32_e32 v37, v36
	v_nop
	v_fma_f32 v38, -v36, v37, 1.0
	s_delay_alu instid0(VALU_DEP_1) | instskip(SKIP_1) | instid1(VALU_DEP_1)
	v_fmac_f32_e32 v37, v38, v37
	v_div_scale_f32 v38, vcc_lo, v4, v35, v4
	v_mul_f32_e32 v39, v38, v37
	s_delay_alu instid0(VALU_DEP_1) | instskip(NEXT) | instid1(VALU_DEP_1)
	v_fma_f32 v40, -v36, v39, v38
	v_fmac_f32_e32 v39, v40, v37
	s_delay_alu instid0(VALU_DEP_1) | instskip(NEXT) | instid1(VALU_DEP_1)
	v_fma_f32 v36, -v36, v39, v38
	v_div_fmas_f32 v36, v36, v37, v39
	s_delay_alu instid0(VALU_DEP_1)
	v_div_fixup_f32 v4, v36, v35, v4
.LBB63_61:
	s_or_b32 exec_lo, exec_lo, s10
	v_lshrrev_b32_e32 v34, 16, v34
	s_mov_b32 s10, exec_lo
	s_delay_alu instid0(VALU_DEP_1) | instskip(NEXT) | instid1(VALU_DEP_1)
	v_cvt_f32_f16_e32 v34, v34
	v_mul_f32_e32 v34, s13, v34
	s_delay_alu instid0(VALU_DEP_1)
	v_cmpx_nlt_f32_e32 s14, v34
	s_cbranch_execz .LBB63_63
; %bb.62:
	v_mul_f32_e32 v35, 0x3fb8aa3b, v34
	v_cmp_ngt_f32_e32 vcc_lo, 0xc2ce8ed0, v34
	s_delay_alu instid0(VALU_DEP_2) | instskip(SKIP_1) | instid1(VALU_DEP_2)
	v_rndne_f32_e32 v36, v35
	v_fma_f32 v37, 0x3fb8aa3b, v34, -v35
	v_sub_f32_e32 v35, v35, v36
	s_delay_alu instid0(VALU_DEP_2) | instskip(SKIP_1) | instid1(VALU_DEP_2)
	v_fmamk_f32 v37, v34, 0x32a5705f, v37
	v_cvt_i32_f32_e32 v36, v36
	v_add_f32_e32 v35, v35, v37
	s_delay_alu instid0(VALU_DEP_1) | instskip(SKIP_1) | instid1(TRANS32_DEP_1)
	v_exp_f32_e32 v35, v35
	v_nop
	v_ldexp_f32 v35, v35, v36
	s_delay_alu instid0(VALU_DEP_1) | instskip(SKIP_1) | instid1(VALU_DEP_2)
	v_cndmask_b32_e32 v35, 0, v35, vcc_lo
	v_cmp_nlt_f32_e32 vcc_lo, 0x42b17218, v34
	v_cndmask_b32_e32 v34, 0x7f800000, v35, vcc_lo
	s_delay_alu instid0(VALU_DEP_1) | instskip(NEXT) | instid1(VALU_DEP_1)
	v_dual_mul_f32 v5, v5, v34 :: v_dual_add_f32 v34, 1.0, v34
	v_div_scale_f32 v35, null, v34, v34, v5
	s_delay_alu instid0(VALU_DEP_1) | instskip(SKIP_1) | instid1(TRANS32_DEP_1)
	v_rcp_f32_e32 v36, v35
	v_nop
	v_fma_f32 v37, -v35, v36, 1.0
	s_delay_alu instid0(VALU_DEP_1) | instskip(SKIP_1) | instid1(VALU_DEP_1)
	v_fmac_f32_e32 v36, v37, v36
	v_div_scale_f32 v37, vcc_lo, v5, v34, v5
	v_mul_f32_e32 v38, v37, v36
	s_delay_alu instid0(VALU_DEP_1) | instskip(NEXT) | instid1(VALU_DEP_1)
	v_fma_f32 v39, -v35, v38, v37
	v_fmac_f32_e32 v38, v39, v36
	s_delay_alu instid0(VALU_DEP_1) | instskip(NEXT) | instid1(VALU_DEP_1)
	v_fma_f32 v35, -v35, v38, v37
	v_div_fmas_f32 v35, v35, v36, v38
	s_delay_alu instid0(VALU_DEP_1)
	v_div_fixup_f32 v5, v35, v34, v5
.LBB63_63:
	s_or_b32 exec_lo, exec_lo, s10
	s_wait_loadcnt 0x0
	v_cvt_f32_f16_e32 v34, v1
	s_mov_b32 s10, exec_lo
	s_delay_alu instid0(VALU_DEP_1) | instskip(NEXT) | instid1(VALU_DEP_1)
	v_mul_f32_e32 v34, s13, v34
	v_cmpx_nlt_f32_e32 s14, v34
	s_cbranch_execz .LBB63_65
; %bb.64:
	v_mul_f32_e32 v35, 0x3fb8aa3b, v34
	v_cmp_ngt_f32_e32 vcc_lo, 0xc2ce8ed0, v34
	s_delay_alu instid0(VALU_DEP_2) | instskip(SKIP_1) | instid1(VALU_DEP_2)
	v_rndne_f32_e32 v36, v35
	v_fma_f32 v37, 0x3fb8aa3b, v34, -v35
	v_sub_f32_e32 v35, v35, v36
	s_delay_alu instid0(VALU_DEP_2) | instskip(SKIP_1) | instid1(VALU_DEP_2)
	v_fmamk_f32 v37, v34, 0x32a5705f, v37
	v_cvt_i32_f32_e32 v36, v36
	v_add_f32_e32 v35, v35, v37
	s_delay_alu instid0(VALU_DEP_1) | instskip(SKIP_1) | instid1(TRANS32_DEP_1)
	v_exp_f32_e32 v35, v35
	v_nop
	v_ldexp_f32 v35, v35, v36
	s_delay_alu instid0(VALU_DEP_1) | instskip(SKIP_1) | instid1(VALU_DEP_2)
	v_cndmask_b32_e32 v35, 0, v35, vcc_lo
	v_cmp_nlt_f32_e32 vcc_lo, 0x42b17218, v34
	v_cndmask_b32_e32 v34, 0x7f800000, v35, vcc_lo
	s_delay_alu instid0(VALU_DEP_1) | instskip(NEXT) | instid1(VALU_DEP_1)
	v_dual_mul_f32 v2, v2, v34 :: v_dual_add_f32 v34, 1.0, v34
	v_div_scale_f32 v35, null, v34, v34, v2
	s_delay_alu instid0(VALU_DEP_1) | instskip(SKIP_1) | instid1(TRANS32_DEP_1)
	v_rcp_f32_e32 v36, v35
	v_nop
	v_fma_f32 v37, -v35, v36, 1.0
	s_delay_alu instid0(VALU_DEP_1) | instskip(SKIP_1) | instid1(VALU_DEP_1)
	v_fmac_f32_e32 v36, v37, v36
	v_div_scale_f32 v37, vcc_lo, v2, v34, v2
	v_mul_f32_e32 v38, v37, v36
	s_delay_alu instid0(VALU_DEP_1) | instskip(NEXT) | instid1(VALU_DEP_1)
	v_fma_f32 v39, -v35, v38, v37
	v_fmac_f32_e32 v38, v39, v36
	s_delay_alu instid0(VALU_DEP_1) | instskip(NEXT) | instid1(VALU_DEP_1)
	v_fma_f32 v35, -v35, v38, v37
	v_div_fmas_f32 v35, v35, v36, v38
	s_delay_alu instid0(VALU_DEP_1)
	v_div_fixup_f32 v2, v35, v34, v2
.LBB63_65:
	s_or_b32 exec_lo, exec_lo, s10
	v_lshrrev_b32_e32 v1, 16, v1
	s_mov_b32 s10, exec_lo
	s_delay_alu instid0(VALU_DEP_1) | instskip(NEXT) | instid1(VALU_DEP_1)
	v_cvt_f32_f16_e32 v1, v1
	v_mul_f32_e32 v1, s13, v1
	s_delay_alu instid0(VALU_DEP_1)
	v_cmpx_nlt_f32_e32 s14, v1
	s_cbranch_execz .LBB63_67
; %bb.66:
	v_mul_f32_e32 v34, 0x3fb8aa3b, v1
	v_cmp_ngt_f32_e32 vcc_lo, 0xc2ce8ed0, v1
	s_delay_alu instid0(VALU_DEP_2) | instskip(SKIP_1) | instid1(VALU_DEP_2)
	v_rndne_f32_e32 v35, v34
	v_fma_f32 v36, 0x3fb8aa3b, v1, -v34
	v_sub_f32_e32 v34, v34, v35
	s_delay_alu instid0(VALU_DEP_2) | instskip(SKIP_1) | instid1(VALU_DEP_2)
	v_fmamk_f32 v36, v1, 0x32a5705f, v36
	v_cvt_i32_f32_e32 v35, v35
	v_add_f32_e32 v34, v34, v36
	s_delay_alu instid0(VALU_DEP_1) | instskip(SKIP_1) | instid1(TRANS32_DEP_1)
	v_exp_f32_e32 v34, v34
	v_nop
	v_ldexp_f32 v34, v34, v35
	s_delay_alu instid0(VALU_DEP_1) | instskip(SKIP_1) | instid1(VALU_DEP_2)
	v_cndmask_b32_e32 v34, 0, v34, vcc_lo
	v_cmp_nlt_f32_e32 vcc_lo, 0x42b17218, v1
	v_cndmask_b32_e32 v1, 0x7f800000, v34, vcc_lo
	s_delay_alu instid0(VALU_DEP_1) | instskip(NEXT) | instid1(VALU_DEP_1)
	v_dual_mul_f32 v3, v3, v1 :: v_dual_add_f32 v1, 1.0, v1
	v_div_scale_f32 v34, null, v1, v1, v3
	s_delay_alu instid0(VALU_DEP_1) | instskip(SKIP_1) | instid1(TRANS32_DEP_1)
	v_rcp_f32_e32 v35, v34
	v_nop
	v_fma_f32 v36, -v34, v35, 1.0
	s_delay_alu instid0(VALU_DEP_1) | instskip(SKIP_1) | instid1(VALU_DEP_1)
	v_fmac_f32_e32 v35, v36, v35
	v_div_scale_f32 v36, vcc_lo, v3, v1, v3
	v_mul_f32_e32 v37, v36, v35
	s_delay_alu instid0(VALU_DEP_1) | instskip(NEXT) | instid1(VALU_DEP_1)
	v_fma_f32 v38, -v34, v37, v36
	v_fmac_f32_e32 v37, v38, v35
	s_delay_alu instid0(VALU_DEP_1) | instskip(NEXT) | instid1(VALU_DEP_1)
	v_fma_f32 v34, -v34, v37, v36
	v_div_fmas_f32 v34, v34, v35, v37
	s_delay_alu instid0(VALU_DEP_1)
	v_div_fixup_f32 v3, v34, v1, v3
.LBB63_67:
	s_or_b32 exec_lo, exec_lo, s10
	s_add_nc_u64 s[10:11], s[4:5], s[8:9]
	s_clause 0xf
	global_store_b64 v0, v[32:33], s[10:11] scale_offset
	global_store_b64 v0, v[30:31], s[10:11] offset:4096 scale_offset
	global_store_b64 v0, v[28:29], s[10:11] offset:8192 scale_offset
	;; [unrolled: 1-line block ×15, first 2 shown]
	s_branch .LBB63_2
.LBB63_68:
	s_wait_xcnt 0x0
	s_clause 0x1
	s_load_b32 s10, s[0:1], 0x2c
	s_load_b128 s[16:19], s[0:1], 0x30
	v_dual_mov_b32 v31, v0 :: v_dual_mov_b32 v0, s13
	v_dual_mov_b32 v1, s14 :: v_dual_mov_b32 v2, s4
	;; [unrolled: 1-line block ×5, first 2 shown]
	s_add_nc_u64 s[8:9], s[0:1], 64
	s_wait_xcnt 0x0
	s_get_pc_i64 s[0:1]
	s_add_nc_u64 s[0:1], s[0:1], _ZN2at6native25elementwise_kernel_helperILb1EZZZNS0_12_GLOBAL__N_124softplus_backward_kernelERNS_18TensorIteratorBaseERKN3c106ScalarES8_ENKUlvE_clEvENKUlvE0_clEvEUlffE_NS0_6memory8policies11unroll_baseILi512ESt5arrayIPcLm3EE23TrivialOffsetCalculatorILi2EjESI_ILi1EjENSC_12LoadWithCastILi2EEENSC_13StoreWithCastILi1EEELi32ELi1EEEEEvT0_T1_@rel64+4
	s_wait_kmcnt 0x0
	s_bfe_u32 s11, s10, 0x80008
	v_dual_mov_b32 v9, s10 :: v_dual_mov_b32 v11, s16
	v_dual_mov_b32 v12, s17 :: v_dual_mov_b32 v13, s18
	;; [unrolled: 1-line block ×3, first 2 shown]
	s_swap_pc_i64 s[30:31], s[0:1]
	s_endpgm
	.section	.rodata,"a",@progbits
	.p2align	6, 0x0
	.amdhsa_kernel _ZN2at6native39vectorized_templated_elementwise_kernelILi2EZZZNS0_12_GLOBAL__N_124softplus_backward_kernelERNS_18TensorIteratorBaseERKN3c106ScalarES8_ENKUlvE_clEvENKUlvE0_clEvEUlffE_St5arrayIPcLm3EE23TrivialOffsetCalculatorILi2EjESF_ILi1EjENS0_6memory12LoadWithCastILi2EEENSI_13StoreWithCastILi1EEEfJfNS5_4HalfEEEEviT0_T1_T2_T3_T4_T5_
		.amdhsa_group_segment_fixed_size 0
		.amdhsa_private_segment_fixed_size 272
		.amdhsa_kernarg_size 320
		.amdhsa_user_sgpr_count 2
		.amdhsa_user_sgpr_dispatch_ptr 0
		.amdhsa_user_sgpr_queue_ptr 0
		.amdhsa_user_sgpr_kernarg_segment_ptr 1
		.amdhsa_user_sgpr_dispatch_id 0
		.amdhsa_user_sgpr_kernarg_preload_length 0
		.amdhsa_user_sgpr_kernarg_preload_offset 0
		.amdhsa_user_sgpr_private_segment_size 0
		.amdhsa_wavefront_size32 1
		.amdhsa_uses_dynamic_stack 0
		.amdhsa_enable_private_segment 1
		.amdhsa_system_sgpr_workgroup_id_x 1
		.amdhsa_system_sgpr_workgroup_id_y 0
		.amdhsa_system_sgpr_workgroup_id_z 0
		.amdhsa_system_sgpr_workgroup_info 0
		.amdhsa_system_vgpr_workitem_id 0
		.amdhsa_next_free_vgpr 132
		.amdhsa_next_free_sgpr 96
		.amdhsa_named_barrier_count 0
		.amdhsa_reserve_vcc 1
		.amdhsa_float_round_mode_32 0
		.amdhsa_float_round_mode_16_64 0
		.amdhsa_float_denorm_mode_32 3
		.amdhsa_float_denorm_mode_16_64 3
		.amdhsa_fp16_overflow 0
		.amdhsa_memory_ordered 1
		.amdhsa_forward_progress 1
		.amdhsa_inst_pref_size 69
		.amdhsa_round_robin_scheduling 0
		.amdhsa_exception_fp_ieee_invalid_op 0
		.amdhsa_exception_fp_denorm_src 0
		.amdhsa_exception_fp_ieee_div_zero 0
		.amdhsa_exception_fp_ieee_overflow 0
		.amdhsa_exception_fp_ieee_underflow 0
		.amdhsa_exception_fp_ieee_inexact 0
		.amdhsa_exception_int_div_zero 0
	.end_amdhsa_kernel
	.section	.text._ZN2at6native39vectorized_templated_elementwise_kernelILi2EZZZNS0_12_GLOBAL__N_124softplus_backward_kernelERNS_18TensorIteratorBaseERKN3c106ScalarES8_ENKUlvE_clEvENKUlvE0_clEvEUlffE_St5arrayIPcLm3EE23TrivialOffsetCalculatorILi2EjESF_ILi1EjENS0_6memory12LoadWithCastILi2EEENSI_13StoreWithCastILi1EEEfJfNS5_4HalfEEEEviT0_T1_T2_T3_T4_T5_,"axG",@progbits,_ZN2at6native39vectorized_templated_elementwise_kernelILi2EZZZNS0_12_GLOBAL__N_124softplus_backward_kernelERNS_18TensorIteratorBaseERKN3c106ScalarES8_ENKUlvE_clEvENKUlvE0_clEvEUlffE_St5arrayIPcLm3EE23TrivialOffsetCalculatorILi2EjESF_ILi1EjENS0_6memory12LoadWithCastILi2EEENSI_13StoreWithCastILi1EEEfJfNS5_4HalfEEEEviT0_T1_T2_T3_T4_T5_,comdat
.Lfunc_end63:
	.size	_ZN2at6native39vectorized_templated_elementwise_kernelILi2EZZZNS0_12_GLOBAL__N_124softplus_backward_kernelERNS_18TensorIteratorBaseERKN3c106ScalarES8_ENKUlvE_clEvENKUlvE0_clEvEUlffE_St5arrayIPcLm3EE23TrivialOffsetCalculatorILi2EjESF_ILi1EjENS0_6memory12LoadWithCastILi2EEENSI_13StoreWithCastILi1EEEfJfNS5_4HalfEEEEviT0_T1_T2_T3_T4_T5_, .Lfunc_end63-_ZN2at6native39vectorized_templated_elementwise_kernelILi2EZZZNS0_12_GLOBAL__N_124softplus_backward_kernelERNS_18TensorIteratorBaseERKN3c106ScalarES8_ENKUlvE_clEvENKUlvE0_clEvEUlffE_St5arrayIPcLm3EE23TrivialOffsetCalculatorILi2EjESF_ILi1EjENS0_6memory12LoadWithCastILi2EEENSI_13StoreWithCastILi1EEEfJfNS5_4HalfEEEEviT0_T1_T2_T3_T4_T5_
                                        ; -- End function
	.set _ZN2at6native39vectorized_templated_elementwise_kernelILi2EZZZNS0_12_GLOBAL__N_124softplus_backward_kernelERNS_18TensorIteratorBaseERKN3c106ScalarES8_ENKUlvE_clEvENKUlvE0_clEvEUlffE_St5arrayIPcLm3EE23TrivialOffsetCalculatorILi2EjESF_ILi1EjENS0_6memory12LoadWithCastILi2EEENSI_13StoreWithCastILi1EEEfJfNS5_4HalfEEEEviT0_T1_T2_T3_T4_T5_.num_vgpr, max(55, .L_ZN2at6native25elementwise_kernel_helperILb1EZZZNS0_12_GLOBAL__N_124softplus_backward_kernelERNS_18TensorIteratorBaseERKN3c106ScalarES8_ENKUlvE_clEvENKUlvE0_clEvEUlffE_NS0_6memory8policies11unroll_baseILi512ESt5arrayIPcLm3EE23TrivialOffsetCalculatorILi2EjESI_ILi1EjENSC_12LoadWithCastILi2EEENSC_13StoreWithCastILi1EEELi32ELi1EEEEEvT0_T1_.num_vgpr)
	.set _ZN2at6native39vectorized_templated_elementwise_kernelILi2EZZZNS0_12_GLOBAL__N_124softplus_backward_kernelERNS_18TensorIteratorBaseERKN3c106ScalarES8_ENKUlvE_clEvENKUlvE0_clEvEUlffE_St5arrayIPcLm3EE23TrivialOffsetCalculatorILi2EjESF_ILi1EjENS0_6memory12LoadWithCastILi2EEENSI_13StoreWithCastILi1EEEfJfNS5_4HalfEEEEviT0_T1_T2_T3_T4_T5_.num_agpr, max(0, .L_ZN2at6native25elementwise_kernel_helperILb1EZZZNS0_12_GLOBAL__N_124softplus_backward_kernelERNS_18TensorIteratorBaseERKN3c106ScalarES8_ENKUlvE_clEvENKUlvE0_clEvEUlffE_NS0_6memory8policies11unroll_baseILi512ESt5arrayIPcLm3EE23TrivialOffsetCalculatorILi2EjESI_ILi1EjENSC_12LoadWithCastILi2EEENSC_13StoreWithCastILi1EEELi32ELi1EEEEEvT0_T1_.num_agpr)
	.set _ZN2at6native39vectorized_templated_elementwise_kernelILi2EZZZNS0_12_GLOBAL__N_124softplus_backward_kernelERNS_18TensorIteratorBaseERKN3c106ScalarES8_ENKUlvE_clEvENKUlvE0_clEvEUlffE_St5arrayIPcLm3EE23TrivialOffsetCalculatorILi2EjESF_ILi1EjENS0_6memory12LoadWithCastILi2EEENSI_13StoreWithCastILi1EEEfJfNS5_4HalfEEEEviT0_T1_T2_T3_T4_T5_.numbered_sgpr, max(33, .L_ZN2at6native25elementwise_kernel_helperILb1EZZZNS0_12_GLOBAL__N_124softplus_backward_kernelERNS_18TensorIteratorBaseERKN3c106ScalarES8_ENKUlvE_clEvENKUlvE0_clEvEUlffE_NS0_6memory8policies11unroll_baseILi512ESt5arrayIPcLm3EE23TrivialOffsetCalculatorILi2EjESI_ILi1EjENSC_12LoadWithCastILi2EEENSC_13StoreWithCastILi1EEELi32ELi1EEEEEvT0_T1_.numbered_sgpr)
	.set _ZN2at6native39vectorized_templated_elementwise_kernelILi2EZZZNS0_12_GLOBAL__N_124softplus_backward_kernelERNS_18TensorIteratorBaseERKN3c106ScalarES8_ENKUlvE_clEvENKUlvE0_clEvEUlffE_St5arrayIPcLm3EE23TrivialOffsetCalculatorILi2EjESF_ILi1EjENS0_6memory12LoadWithCastILi2EEENSI_13StoreWithCastILi1EEEfJfNS5_4HalfEEEEviT0_T1_T2_T3_T4_T5_.num_named_barrier, max(0, .L_ZN2at6native25elementwise_kernel_helperILb1EZZZNS0_12_GLOBAL__N_124softplus_backward_kernelERNS_18TensorIteratorBaseERKN3c106ScalarES8_ENKUlvE_clEvENKUlvE0_clEvEUlffE_NS0_6memory8policies11unroll_baseILi512ESt5arrayIPcLm3EE23TrivialOffsetCalculatorILi2EjESI_ILi1EjENSC_12LoadWithCastILi2EEENSC_13StoreWithCastILi1EEELi32ELi1EEEEEvT0_T1_.num_named_barrier)
	.set _ZN2at6native39vectorized_templated_elementwise_kernelILi2EZZZNS0_12_GLOBAL__N_124softplus_backward_kernelERNS_18TensorIteratorBaseERKN3c106ScalarES8_ENKUlvE_clEvENKUlvE0_clEvEUlffE_St5arrayIPcLm3EE23TrivialOffsetCalculatorILi2EjESF_ILi1EjENS0_6memory12LoadWithCastILi2EEENSI_13StoreWithCastILi1EEEfJfNS5_4HalfEEEEviT0_T1_T2_T3_T4_T5_.private_seg_size, 0+max(.L_ZN2at6native25elementwise_kernel_helperILb1EZZZNS0_12_GLOBAL__N_124softplus_backward_kernelERNS_18TensorIteratorBaseERKN3c106ScalarES8_ENKUlvE_clEvENKUlvE0_clEvEUlffE_NS0_6memory8policies11unroll_baseILi512ESt5arrayIPcLm3EE23TrivialOffsetCalculatorILi2EjESI_ILi1EjENSC_12LoadWithCastILi2EEENSC_13StoreWithCastILi1EEELi32ELi1EEEEEvT0_T1_.private_seg_size)
	.set _ZN2at6native39vectorized_templated_elementwise_kernelILi2EZZZNS0_12_GLOBAL__N_124softplus_backward_kernelERNS_18TensorIteratorBaseERKN3c106ScalarES8_ENKUlvE_clEvENKUlvE0_clEvEUlffE_St5arrayIPcLm3EE23TrivialOffsetCalculatorILi2EjESF_ILi1EjENS0_6memory12LoadWithCastILi2EEENSI_13StoreWithCastILi1EEEfJfNS5_4HalfEEEEviT0_T1_T2_T3_T4_T5_.uses_vcc, or(1, .L_ZN2at6native25elementwise_kernel_helperILb1EZZZNS0_12_GLOBAL__N_124softplus_backward_kernelERNS_18TensorIteratorBaseERKN3c106ScalarES8_ENKUlvE_clEvENKUlvE0_clEvEUlffE_NS0_6memory8policies11unroll_baseILi512ESt5arrayIPcLm3EE23TrivialOffsetCalculatorILi2EjESI_ILi1EjENSC_12LoadWithCastILi2EEENSC_13StoreWithCastILi1EEELi32ELi1EEEEEvT0_T1_.uses_vcc)
	.set _ZN2at6native39vectorized_templated_elementwise_kernelILi2EZZZNS0_12_GLOBAL__N_124softplus_backward_kernelERNS_18TensorIteratorBaseERKN3c106ScalarES8_ENKUlvE_clEvENKUlvE0_clEvEUlffE_St5arrayIPcLm3EE23TrivialOffsetCalculatorILi2EjESF_ILi1EjENS0_6memory12LoadWithCastILi2EEENSI_13StoreWithCastILi1EEEfJfNS5_4HalfEEEEviT0_T1_T2_T3_T4_T5_.uses_flat_scratch, or(0, .L_ZN2at6native25elementwise_kernel_helperILb1EZZZNS0_12_GLOBAL__N_124softplus_backward_kernelERNS_18TensorIteratorBaseERKN3c106ScalarES8_ENKUlvE_clEvENKUlvE0_clEvEUlffE_NS0_6memory8policies11unroll_baseILi512ESt5arrayIPcLm3EE23TrivialOffsetCalculatorILi2EjESI_ILi1EjENSC_12LoadWithCastILi2EEENSC_13StoreWithCastILi1EEELi32ELi1EEEEEvT0_T1_.uses_flat_scratch)
	.set _ZN2at6native39vectorized_templated_elementwise_kernelILi2EZZZNS0_12_GLOBAL__N_124softplus_backward_kernelERNS_18TensorIteratorBaseERKN3c106ScalarES8_ENKUlvE_clEvENKUlvE0_clEvEUlffE_St5arrayIPcLm3EE23TrivialOffsetCalculatorILi2EjESF_ILi1EjENS0_6memory12LoadWithCastILi2EEENSI_13StoreWithCastILi1EEEfJfNS5_4HalfEEEEviT0_T1_T2_T3_T4_T5_.has_dyn_sized_stack, or(0, .L_ZN2at6native25elementwise_kernel_helperILb1EZZZNS0_12_GLOBAL__N_124softplus_backward_kernelERNS_18TensorIteratorBaseERKN3c106ScalarES8_ENKUlvE_clEvENKUlvE0_clEvEUlffE_NS0_6memory8policies11unroll_baseILi512ESt5arrayIPcLm3EE23TrivialOffsetCalculatorILi2EjESI_ILi1EjENSC_12LoadWithCastILi2EEENSC_13StoreWithCastILi1EEELi32ELi1EEEEEvT0_T1_.has_dyn_sized_stack)
	.set _ZN2at6native39vectorized_templated_elementwise_kernelILi2EZZZNS0_12_GLOBAL__N_124softplus_backward_kernelERNS_18TensorIteratorBaseERKN3c106ScalarES8_ENKUlvE_clEvENKUlvE0_clEvEUlffE_St5arrayIPcLm3EE23TrivialOffsetCalculatorILi2EjESF_ILi1EjENS0_6memory12LoadWithCastILi2EEENSI_13StoreWithCastILi1EEEfJfNS5_4HalfEEEEviT0_T1_T2_T3_T4_T5_.has_recursion, or(0, .L_ZN2at6native25elementwise_kernel_helperILb1EZZZNS0_12_GLOBAL__N_124softplus_backward_kernelERNS_18TensorIteratorBaseERKN3c106ScalarES8_ENKUlvE_clEvENKUlvE0_clEvEUlffE_NS0_6memory8policies11unroll_baseILi512ESt5arrayIPcLm3EE23TrivialOffsetCalculatorILi2EjESI_ILi1EjENSC_12LoadWithCastILi2EEENSC_13StoreWithCastILi1EEELi32ELi1EEEEEvT0_T1_.has_recursion)
	.set _ZN2at6native39vectorized_templated_elementwise_kernelILi2EZZZNS0_12_GLOBAL__N_124softplus_backward_kernelERNS_18TensorIteratorBaseERKN3c106ScalarES8_ENKUlvE_clEvENKUlvE0_clEvEUlffE_St5arrayIPcLm3EE23TrivialOffsetCalculatorILi2EjESF_ILi1EjENS0_6memory12LoadWithCastILi2EEENSI_13StoreWithCastILi1EEEfJfNS5_4HalfEEEEviT0_T1_T2_T3_T4_T5_.has_indirect_call, or(0, .L_ZN2at6native25elementwise_kernel_helperILb1EZZZNS0_12_GLOBAL__N_124softplus_backward_kernelERNS_18TensorIteratorBaseERKN3c106ScalarES8_ENKUlvE_clEvENKUlvE0_clEvEUlffE_NS0_6memory8policies11unroll_baseILi512ESt5arrayIPcLm3EE23TrivialOffsetCalculatorILi2EjESI_ILi1EjENSC_12LoadWithCastILi2EEENSC_13StoreWithCastILi1EEELi32ELi1EEEEEvT0_T1_.has_indirect_call)
	.section	.AMDGPU.csdata,"",@progbits
; Kernel info:
; codeLenInByte = 8832
; TotalNumSgprs: 98
; NumVgprs: 132
; ScratchSize: 272
; MemoryBound: 0
; FloatMode: 240
; IeeeMode: 1
; LDSByteSize: 0 bytes/workgroup (compile time only)
; SGPRBlocks: 0
; VGPRBlocks: 8
; NumSGPRsForWavesPerEU: 98
; NumVGPRsForWavesPerEU: 132
; NamedBarCnt: 0
; Occupancy: 7
; WaveLimiterHint : 1
; COMPUTE_PGM_RSRC2:SCRATCH_EN: 1
; COMPUTE_PGM_RSRC2:USER_SGPR: 2
; COMPUTE_PGM_RSRC2:TRAP_HANDLER: 0
; COMPUTE_PGM_RSRC2:TGID_X_EN: 1
; COMPUTE_PGM_RSRC2:TGID_Y_EN: 0
; COMPUTE_PGM_RSRC2:TGID_Z_EN: 0
; COMPUTE_PGM_RSRC2:TIDIG_COMP_CNT: 0
	.section	.text._ZN2at6native39vectorized_templated_elementwise_kernelILi8EZZZNS0_12_GLOBAL__N_124softplus_backward_kernelERNS_18TensorIteratorBaseERKN3c106ScalarES8_ENKUlvE_clEvENKUlvE0_clEvEUlffE_St5arrayIPcLm3EE23TrivialOffsetCalculatorILi2EjESF_ILi1EjENS0_6memory12LoadWithCastILi2EEENSI_13StoreWithCastILi1EEEfJNS5_4HalfEfEEEviT0_T1_T2_T3_T4_T5_,"axG",@progbits,_ZN2at6native39vectorized_templated_elementwise_kernelILi8EZZZNS0_12_GLOBAL__N_124softplus_backward_kernelERNS_18TensorIteratorBaseERKN3c106ScalarES8_ENKUlvE_clEvENKUlvE0_clEvEUlffE_St5arrayIPcLm3EE23TrivialOffsetCalculatorILi2EjESF_ILi1EjENS0_6memory12LoadWithCastILi2EEENSI_13StoreWithCastILi1EEEfJNS5_4HalfEfEEEviT0_T1_T2_T3_T4_T5_,comdat
	.globl	_ZN2at6native39vectorized_templated_elementwise_kernelILi8EZZZNS0_12_GLOBAL__N_124softplus_backward_kernelERNS_18TensorIteratorBaseERKN3c106ScalarES8_ENKUlvE_clEvENKUlvE0_clEvEUlffE_St5arrayIPcLm3EE23TrivialOffsetCalculatorILi2EjESF_ILi1EjENS0_6memory12LoadWithCastILi2EEENSI_13StoreWithCastILi1EEEfJNS5_4HalfEfEEEviT0_T1_T2_T3_T4_T5_ ; -- Begin function _ZN2at6native39vectorized_templated_elementwise_kernelILi8EZZZNS0_12_GLOBAL__N_124softplus_backward_kernelERNS_18TensorIteratorBaseERKN3c106ScalarES8_ENKUlvE_clEvENKUlvE0_clEvEUlffE_St5arrayIPcLm3EE23TrivialOffsetCalculatorILi2EjESF_ILi1EjENS0_6memory12LoadWithCastILi2EEENSI_13StoreWithCastILi1EEEfJNS5_4HalfEfEEEviT0_T1_T2_T3_T4_T5_
	.p2align	8
	.type	_ZN2at6native39vectorized_templated_elementwise_kernelILi8EZZZNS0_12_GLOBAL__N_124softplus_backward_kernelERNS_18TensorIteratorBaseERKN3c106ScalarES8_ENKUlvE_clEvENKUlvE0_clEvEUlffE_St5arrayIPcLm3EE23TrivialOffsetCalculatorILi2EjESF_ILi1EjENS0_6memory12LoadWithCastILi2EEENSI_13StoreWithCastILi1EEEfJNS5_4HalfEfEEEviT0_T1_T2_T3_T4_T5_,@function
_ZN2at6native39vectorized_templated_elementwise_kernelILi8EZZZNS0_12_GLOBAL__N_124softplus_backward_kernelERNS_18TensorIteratorBaseERKN3c106ScalarES8_ENKUlvE_clEvENKUlvE0_clEvEUlffE_St5arrayIPcLm3EE23TrivialOffsetCalculatorILi2EjESF_ILi1EjENS0_6memory12LoadWithCastILi2EEENSI_13StoreWithCastILi1EEEfJNS5_4HalfEfEEEviT0_T1_T2_T3_T4_T5_: ; @_ZN2at6native39vectorized_templated_elementwise_kernelILi8EZZZNS0_12_GLOBAL__N_124softplus_backward_kernelERNS_18TensorIteratorBaseERKN3c106ScalarES8_ENKUlvE_clEvENKUlvE0_clEvEUlffE_St5arrayIPcLm3EE23TrivialOffsetCalculatorILi2EjESF_ILi1EjENS0_6memory12LoadWithCastILi2EEENSI_13StoreWithCastILi1EEEfJNS5_4HalfEfEEEviT0_T1_T2_T3_T4_T5_
; %bb.0:
	s_clause 0x2
	s_load_b32 s8, s[0:1], 0x40
	s_load_b96 s[12:14], s[0:1], 0x0
	s_load_b64 s[2:3], s[0:1], 0x20
	s_bfe_u32 s9, ttmp6, 0x4000c
	s_load_b128 s[4:7], s[0:1], 0x10
	s_add_co_i32 s9, s9, 1
	s_and_b32 s10, ttmp6, 15
	s_mul_i32 s9, ttmp9, s9
	s_getreg_b32 s11, hwreg(HW_REG_IB_STS2, 6, 4)
	s_add_co_i32 s10, s10, s9
	s_cmp_eq_u32 s11, 0
	s_mov_b32 s32, 0
	s_cselect_b32 s9, ttmp9, s10
	s_delay_alu instid0(SALU_CYCLE_1) | instskip(SKIP_2) | instid1(SALU_CYCLE_1)
	s_not_b32 s9, s9
	s_wait_kmcnt 0x0
	s_add_co_i32 s8, s8, s9
	s_lshl_b32 s10, s8, 14
	s_mov_b32 s8, -1
	s_sub_co_i32 s12, s12, s10
	s_delay_alu instid0(SALU_CYCLE_1)
	s_cmp_gt_i32 s12, 0x3fff
	s_cbranch_scc1 .LBB64_3
; %bb.1:
	s_and_b32 vcc_lo, exec_lo, s8
	s_cbranch_vccnz .LBB64_68
.LBB64_2:
	s_sendmsg sendmsg(MSG_DEALLOC_VGPRS)
	s_endpgm
.LBB64_3:
	s_ashr_i32 s11, s10, 31
	v_lshlrev_b32_e32 v1, 5, v0
	s_lshl_b64 s[8:9], s[10:11], 2
	s_lshl_b64 s[10:11], s[10:11], 1
	s_add_nc_u64 s[16:17], s[2:3], s[8:9]
	s_add_nc_u64 s[10:11], s[6:7], s[10:11]
	s_clause 0x1
	global_load_b128 v[14:17], v1, s[16:17] offset:16
	global_load_b128 v[2:5], v1, s[16:17]
	s_clause 0x3
	global_load_b128 v[46:49], v0, s[10:11] scale_offset
	global_load_b128 v[34:37], v0, s[10:11] offset:8192 scale_offset
	global_load_b128 v[26:29], v0, s[10:11] offset:16384 scale_offset
	global_load_b128 v[6:9], v0, s[10:11] offset:24576 scale_offset
	s_clause 0x5
	global_load_b128 v[42:45], v1, s[16:17] offset:16400
	global_load_b128 v[22:25], v1, s[16:17] offset:16384
	;; [unrolled: 1-line block ×6, first 2 shown]
	s_wait_xcnt 0x6
	s_mov_b32 s10, exec_lo
	s_wait_loadcnt 0xa
	v_mul_f32_e32 v50, s13, v2
	s_wait_loadcnt 0x9
	v_cvt_f32_f16_e32 v2, v46
	s_wait_xcnt 0x0
	s_delay_alu instid0(VALU_DEP_2)
	v_cmpx_nlt_f32_e32 s14, v50
	s_cbranch_execz .LBB64_5
; %bb.4:
	v_mul_f32_e32 v51, 0x3fb8aa3b, v50
	v_cmp_ngt_f32_e32 vcc_lo, 0xc2ce8ed0, v50
	s_delay_alu instid0(VALU_DEP_2) | instskip(SKIP_1) | instid1(VALU_DEP_2)
	v_rndne_f32_e32 v52, v51
	v_fma_f32 v53, 0x3fb8aa3b, v50, -v51
	v_sub_f32_e32 v51, v51, v52
	s_delay_alu instid0(VALU_DEP_2) | instskip(SKIP_1) | instid1(VALU_DEP_2)
	v_fmamk_f32 v53, v50, 0x32a5705f, v53
	v_cvt_i32_f32_e32 v52, v52
	v_add_f32_e32 v51, v51, v53
	s_delay_alu instid0(VALU_DEP_1) | instskip(SKIP_1) | instid1(TRANS32_DEP_1)
	v_exp_f32_e32 v51, v51
	v_nop
	v_ldexp_f32 v51, v51, v52
	s_delay_alu instid0(VALU_DEP_1) | instskip(SKIP_1) | instid1(VALU_DEP_2)
	v_cndmask_b32_e32 v51, 0, v51, vcc_lo
	v_cmp_nlt_f32_e32 vcc_lo, 0x42b17218, v50
	v_cndmask_b32_e32 v50, 0x7f800000, v51, vcc_lo
	s_delay_alu instid0(VALU_DEP_1) | instskip(SKIP_1) | instid1(VALU_DEP_1)
	v_mul_f32_e32 v2, v50, v2
	v_add_f32_e32 v50, 1.0, v50
	v_div_scale_f32 v51, null, v50, v50, v2
	s_delay_alu instid0(VALU_DEP_1) | instskip(SKIP_1) | instid1(TRANS32_DEP_1)
	v_rcp_f32_e32 v52, v51
	v_nop
	v_fma_f32 v53, -v51, v52, 1.0
	s_delay_alu instid0(VALU_DEP_1) | instskip(SKIP_1) | instid1(VALU_DEP_1)
	v_fmac_f32_e32 v52, v53, v52
	v_div_scale_f32 v53, vcc_lo, v2, v50, v2
	v_mul_f32_e32 v54, v53, v52
	s_delay_alu instid0(VALU_DEP_1) | instskip(NEXT) | instid1(VALU_DEP_1)
	v_fma_f32 v55, -v51, v54, v53
	v_fmac_f32_e32 v54, v55, v52
	s_delay_alu instid0(VALU_DEP_1) | instskip(NEXT) | instid1(VALU_DEP_1)
	v_fma_f32 v51, -v51, v54, v53
	v_div_fmas_f32 v51, v51, v52, v54
	s_delay_alu instid0(VALU_DEP_1)
	v_div_fixup_f32 v2, v51, v50, v2
.LBB64_5:
	s_or_b32 exec_lo, exec_lo, s10
	v_dual_lshrrev_b32 v50, 16, v46 :: v_dual_mul_f32 v46, s13, v3
	s_mov_b32 s10, exec_lo
	s_delay_alu instid0(VALU_DEP_1) | instskip(NEXT) | instid1(VALU_DEP_2)
	v_cvt_f32_f16_e32 v3, v50
	v_cmpx_nlt_f32_e32 s14, v46
	s_cbranch_execz .LBB64_7
; %bb.6:
	v_mul_f32_e32 v50, 0x3fb8aa3b, v46
	v_cmp_ngt_f32_e32 vcc_lo, 0xc2ce8ed0, v46
	s_delay_alu instid0(VALU_DEP_2) | instskip(SKIP_1) | instid1(VALU_DEP_2)
	v_rndne_f32_e32 v51, v50
	v_fma_f32 v52, 0x3fb8aa3b, v46, -v50
	v_sub_f32_e32 v50, v50, v51
	s_delay_alu instid0(VALU_DEP_2) | instskip(SKIP_1) | instid1(VALU_DEP_2)
	v_fmamk_f32 v52, v46, 0x32a5705f, v52
	v_cvt_i32_f32_e32 v51, v51
	v_add_f32_e32 v50, v50, v52
	s_delay_alu instid0(VALU_DEP_1) | instskip(SKIP_1) | instid1(TRANS32_DEP_1)
	v_exp_f32_e32 v50, v50
	v_nop
	v_ldexp_f32 v50, v50, v51
	s_delay_alu instid0(VALU_DEP_1) | instskip(SKIP_1) | instid1(VALU_DEP_2)
	v_cndmask_b32_e32 v50, 0, v50, vcc_lo
	v_cmp_nlt_f32_e32 vcc_lo, 0x42b17218, v46
	v_cndmask_b32_e32 v46, 0x7f800000, v50, vcc_lo
	s_delay_alu instid0(VALU_DEP_1) | instskip(NEXT) | instid1(VALU_DEP_1)
	v_dual_mul_f32 v3, v46, v3 :: v_dual_add_f32 v46, 1.0, v46
	v_div_scale_f32 v50, null, v46, v46, v3
	s_delay_alu instid0(VALU_DEP_1) | instskip(SKIP_1) | instid1(TRANS32_DEP_1)
	v_rcp_f32_e32 v51, v50
	v_nop
	v_fma_f32 v52, -v50, v51, 1.0
	s_delay_alu instid0(VALU_DEP_1) | instskip(SKIP_1) | instid1(VALU_DEP_1)
	v_fmac_f32_e32 v51, v52, v51
	v_div_scale_f32 v52, vcc_lo, v3, v46, v3
	v_mul_f32_e32 v53, v52, v51
	s_delay_alu instid0(VALU_DEP_1) | instskip(NEXT) | instid1(VALU_DEP_1)
	v_fma_f32 v54, -v50, v53, v52
	v_fmac_f32_e32 v53, v54, v51
	s_delay_alu instid0(VALU_DEP_1) | instskip(NEXT) | instid1(VALU_DEP_1)
	v_fma_f32 v50, -v50, v53, v52
	v_div_fmas_f32 v50, v50, v51, v53
	s_delay_alu instid0(VALU_DEP_1)
	v_div_fixup_f32 v3, v50, v46, v3
.LBB64_7:
	s_or_b32 exec_lo, exec_lo, s10
	v_mul_f32_e32 v46, s13, v4
	v_cvt_f32_f16_e32 v4, v47
	s_mov_b32 s10, exec_lo
	s_delay_alu instid0(VALU_DEP_2)
	v_cmpx_nlt_f32_e32 s14, v46
	s_cbranch_execz .LBB64_9
; %bb.8:
	v_mul_f32_e32 v50, 0x3fb8aa3b, v46
	v_cmp_ngt_f32_e32 vcc_lo, 0xc2ce8ed0, v46
	s_delay_alu instid0(VALU_DEP_2) | instskip(SKIP_1) | instid1(VALU_DEP_2)
	v_rndne_f32_e32 v51, v50
	v_fma_f32 v52, 0x3fb8aa3b, v46, -v50
	v_sub_f32_e32 v50, v50, v51
	s_delay_alu instid0(VALU_DEP_2) | instskip(SKIP_1) | instid1(VALU_DEP_2)
	v_fmamk_f32 v52, v46, 0x32a5705f, v52
	v_cvt_i32_f32_e32 v51, v51
	v_add_f32_e32 v50, v50, v52
	s_delay_alu instid0(VALU_DEP_1) | instskip(SKIP_1) | instid1(TRANS32_DEP_1)
	v_exp_f32_e32 v50, v50
	v_nop
	v_ldexp_f32 v50, v50, v51
	s_delay_alu instid0(VALU_DEP_1) | instskip(SKIP_1) | instid1(VALU_DEP_2)
	v_cndmask_b32_e32 v50, 0, v50, vcc_lo
	v_cmp_nlt_f32_e32 vcc_lo, 0x42b17218, v46
	v_cndmask_b32_e32 v46, 0x7f800000, v50, vcc_lo
	s_delay_alu instid0(VALU_DEP_1) | instskip(NEXT) | instid1(VALU_DEP_1)
	v_dual_mul_f32 v4, v46, v4 :: v_dual_add_f32 v46, 1.0, v46
	v_div_scale_f32 v50, null, v46, v46, v4
	s_delay_alu instid0(VALU_DEP_1) | instskip(SKIP_1) | instid1(TRANS32_DEP_1)
	v_rcp_f32_e32 v51, v50
	v_nop
	v_fma_f32 v52, -v50, v51, 1.0
	s_delay_alu instid0(VALU_DEP_1) | instskip(SKIP_1) | instid1(VALU_DEP_1)
	v_fmac_f32_e32 v51, v52, v51
	v_div_scale_f32 v52, vcc_lo, v4, v46, v4
	v_mul_f32_e32 v53, v52, v51
	s_delay_alu instid0(VALU_DEP_1) | instskip(NEXT) | instid1(VALU_DEP_1)
	v_fma_f32 v54, -v50, v53, v52
	v_fmac_f32_e32 v53, v54, v51
	s_delay_alu instid0(VALU_DEP_1) | instskip(NEXT) | instid1(VALU_DEP_1)
	v_fma_f32 v50, -v50, v53, v52
	v_div_fmas_f32 v50, v50, v51, v53
	s_delay_alu instid0(VALU_DEP_1)
	v_div_fixup_f32 v4, v50, v46, v4
.LBB64_9:
	s_or_b32 exec_lo, exec_lo, s10
	v_dual_mul_f32 v46, s13, v5 :: v_dual_lshrrev_b32 v47, 16, v47
	s_mov_b32 s10, exec_lo
	s_delay_alu instid0(VALU_DEP_1) | instskip(NEXT) | instid1(VALU_DEP_2)
	v_cvt_f32_f16_e32 v5, v47
	v_cmpx_nlt_f32_e32 s14, v46
	s_cbranch_execz .LBB64_11
; %bb.10:
	v_mul_f32_e32 v47, 0x3fb8aa3b, v46
	v_cmp_ngt_f32_e32 vcc_lo, 0xc2ce8ed0, v46
	s_delay_alu instid0(VALU_DEP_2) | instskip(SKIP_1) | instid1(VALU_DEP_2)
	v_rndne_f32_e32 v50, v47
	v_fma_f32 v51, 0x3fb8aa3b, v46, -v47
	v_sub_f32_e32 v47, v47, v50
	s_delay_alu instid0(VALU_DEP_2) | instskip(SKIP_1) | instid1(VALU_DEP_2)
	v_fmamk_f32 v51, v46, 0x32a5705f, v51
	v_cvt_i32_f32_e32 v50, v50
	v_add_f32_e32 v47, v47, v51
	s_delay_alu instid0(VALU_DEP_1) | instskip(SKIP_1) | instid1(TRANS32_DEP_1)
	v_exp_f32_e32 v47, v47
	v_nop
	v_ldexp_f32 v47, v47, v50
	s_delay_alu instid0(VALU_DEP_1) | instskip(SKIP_1) | instid1(VALU_DEP_2)
	v_cndmask_b32_e32 v47, 0, v47, vcc_lo
	v_cmp_nlt_f32_e32 vcc_lo, 0x42b17218, v46
	v_cndmask_b32_e32 v46, 0x7f800000, v47, vcc_lo
	s_delay_alu instid0(VALU_DEP_1) | instskip(NEXT) | instid1(VALU_DEP_1)
	v_dual_mul_f32 v5, v46, v5 :: v_dual_add_f32 v46, 1.0, v46
	v_div_scale_f32 v47, null, v46, v46, v5
	s_delay_alu instid0(VALU_DEP_1) | instskip(SKIP_1) | instid1(TRANS32_DEP_1)
	v_rcp_f32_e32 v50, v47
	v_nop
	v_fma_f32 v51, -v47, v50, 1.0
	s_delay_alu instid0(VALU_DEP_1) | instskip(SKIP_1) | instid1(VALU_DEP_1)
	v_fmac_f32_e32 v50, v51, v50
	v_div_scale_f32 v51, vcc_lo, v5, v46, v5
	v_mul_f32_e32 v52, v51, v50
	s_delay_alu instid0(VALU_DEP_1) | instskip(NEXT) | instid1(VALU_DEP_1)
	v_fma_f32 v53, -v47, v52, v51
	v_fmac_f32_e32 v52, v53, v50
	s_delay_alu instid0(VALU_DEP_1) | instskip(NEXT) | instid1(VALU_DEP_1)
	v_fma_f32 v47, -v47, v52, v51
	v_div_fmas_f32 v47, v47, v50, v52
	s_delay_alu instid0(VALU_DEP_1)
	v_div_fixup_f32 v5, v47, v46, v5
.LBB64_11:
	s_or_b32 exec_lo, exec_lo, s10
	v_mul_f32_e32 v46, s13, v14
	v_cvt_f32_f16_e32 v14, v48
	s_mov_b32 s10, exec_lo
	s_delay_alu instid0(VALU_DEP_2)
	v_cmpx_nlt_f32_e32 s14, v46
	s_cbranch_execz .LBB64_13
; %bb.12:
	v_mul_f32_e32 v47, 0x3fb8aa3b, v46
	v_cmp_ngt_f32_e32 vcc_lo, 0xc2ce8ed0, v46
	s_delay_alu instid0(VALU_DEP_2) | instskip(SKIP_1) | instid1(VALU_DEP_2)
	v_rndne_f32_e32 v50, v47
	v_fma_f32 v51, 0x3fb8aa3b, v46, -v47
	v_sub_f32_e32 v47, v47, v50
	s_delay_alu instid0(VALU_DEP_2) | instskip(SKIP_1) | instid1(VALU_DEP_2)
	v_fmamk_f32 v51, v46, 0x32a5705f, v51
	v_cvt_i32_f32_e32 v50, v50
	v_add_f32_e32 v47, v47, v51
	s_delay_alu instid0(VALU_DEP_1) | instskip(SKIP_1) | instid1(TRANS32_DEP_1)
	v_exp_f32_e32 v47, v47
	v_nop
	v_ldexp_f32 v47, v47, v50
	s_delay_alu instid0(VALU_DEP_1) | instskip(SKIP_1) | instid1(VALU_DEP_2)
	v_cndmask_b32_e32 v47, 0, v47, vcc_lo
	v_cmp_nlt_f32_e32 vcc_lo, 0x42b17218, v46
	v_cndmask_b32_e32 v46, 0x7f800000, v47, vcc_lo
	s_delay_alu instid0(VALU_DEP_1) | instskip(SKIP_1) | instid1(VALU_DEP_1)
	v_mul_f32_e32 v14, v46, v14
	v_add_f32_e32 v46, 1.0, v46
	v_div_scale_f32 v47, null, v46, v46, v14
	s_delay_alu instid0(VALU_DEP_1) | instskip(SKIP_1) | instid1(TRANS32_DEP_1)
	v_rcp_f32_e32 v50, v47
	v_nop
	v_fma_f32 v51, -v47, v50, 1.0
	s_delay_alu instid0(VALU_DEP_1) | instskip(SKIP_1) | instid1(VALU_DEP_1)
	v_fmac_f32_e32 v50, v51, v50
	v_div_scale_f32 v51, vcc_lo, v14, v46, v14
	v_mul_f32_e32 v52, v51, v50
	s_delay_alu instid0(VALU_DEP_1) | instskip(NEXT) | instid1(VALU_DEP_1)
	v_fma_f32 v53, -v47, v52, v51
	v_fmac_f32_e32 v52, v53, v50
	s_delay_alu instid0(VALU_DEP_1) | instskip(NEXT) | instid1(VALU_DEP_1)
	v_fma_f32 v47, -v47, v52, v51
	v_div_fmas_f32 v47, v47, v50, v52
	s_delay_alu instid0(VALU_DEP_1)
	v_div_fixup_f32 v14, v47, v46, v14
.LBB64_13:
	s_or_b32 exec_lo, exec_lo, s10
	v_dual_mul_f32 v46, s13, v15 :: v_dual_lshrrev_b32 v47, 16, v48
	s_mov_b32 s10, exec_lo
	s_delay_alu instid0(VALU_DEP_1) | instskip(NEXT) | instid1(VALU_DEP_2)
	v_cvt_f32_f16_e32 v15, v47
	v_cmpx_nlt_f32_e32 s14, v46
	s_cbranch_execz .LBB64_15
; %bb.14:
	v_mul_f32_e32 v47, 0x3fb8aa3b, v46
	v_cmp_ngt_f32_e32 vcc_lo, 0xc2ce8ed0, v46
	s_delay_alu instid0(VALU_DEP_2) | instskip(SKIP_1) | instid1(VALU_DEP_1)
	v_rndne_f32_e32 v48, v47
	v_fma_f32 v50, 0x3fb8aa3b, v46, -v47
	v_dual_sub_f32 v47, v47, v48 :: v_dual_fmamk_f32 v50, v46, 0x32a5705f, v50
	v_cvt_i32_f32_e32 v48, v48
	s_delay_alu instid0(VALU_DEP_2) | instskip(NEXT) | instid1(VALU_DEP_1)
	v_add_f32_e32 v47, v47, v50
	v_exp_f32_e32 v47, v47
	v_nop
	s_delay_alu instid0(TRANS32_DEP_1) | instskip(NEXT) | instid1(VALU_DEP_1)
	v_ldexp_f32 v47, v47, v48
	v_cndmask_b32_e32 v47, 0, v47, vcc_lo
	v_cmp_nlt_f32_e32 vcc_lo, 0x42b17218, v46
	s_delay_alu instid0(VALU_DEP_2) | instskip(NEXT) | instid1(VALU_DEP_1)
	v_cndmask_b32_e32 v46, 0x7f800000, v47, vcc_lo
	v_dual_mul_f32 v15, v46, v15 :: v_dual_add_f32 v46, 1.0, v46
	s_delay_alu instid0(VALU_DEP_1) | instskip(NEXT) | instid1(VALU_DEP_1)
	v_div_scale_f32 v47, null, v46, v46, v15
	v_rcp_f32_e32 v48, v47
	v_nop
	s_delay_alu instid0(TRANS32_DEP_1) | instskip(NEXT) | instid1(VALU_DEP_1)
	v_fma_f32 v50, -v47, v48, 1.0
	v_fmac_f32_e32 v48, v50, v48
	v_div_scale_f32 v50, vcc_lo, v15, v46, v15
	s_delay_alu instid0(VALU_DEP_1) | instskip(NEXT) | instid1(VALU_DEP_1)
	v_mul_f32_e32 v51, v50, v48
	v_fma_f32 v52, -v47, v51, v50
	s_delay_alu instid0(VALU_DEP_1) | instskip(NEXT) | instid1(VALU_DEP_1)
	v_fmac_f32_e32 v51, v52, v48
	v_fma_f32 v47, -v47, v51, v50
	s_delay_alu instid0(VALU_DEP_1) | instskip(NEXT) | instid1(VALU_DEP_1)
	v_div_fmas_f32 v47, v47, v48, v51
	v_div_fixup_f32 v15, v47, v46, v15
.LBB64_15:
	s_or_b32 exec_lo, exec_lo, s10
	v_mul_f32_e32 v46, s13, v16
	v_cvt_f32_f16_e32 v16, v49
	s_mov_b32 s10, exec_lo
	s_delay_alu instid0(VALU_DEP_2)
	v_cmpx_nlt_f32_e32 s14, v46
	s_cbranch_execz .LBB64_17
; %bb.16:
	v_mul_f32_e32 v47, 0x3fb8aa3b, v46
	v_cmp_ngt_f32_e32 vcc_lo, 0xc2ce8ed0, v46
	s_delay_alu instid0(VALU_DEP_2) | instskip(SKIP_1) | instid1(VALU_DEP_1)
	v_rndne_f32_e32 v48, v47
	v_fma_f32 v50, 0x3fb8aa3b, v46, -v47
	v_dual_sub_f32 v47, v47, v48 :: v_dual_fmamk_f32 v50, v46, 0x32a5705f, v50
	v_cvt_i32_f32_e32 v48, v48
	s_delay_alu instid0(VALU_DEP_2) | instskip(NEXT) | instid1(VALU_DEP_1)
	v_add_f32_e32 v47, v47, v50
	v_exp_f32_e32 v47, v47
	v_nop
	s_delay_alu instid0(TRANS32_DEP_1) | instskip(NEXT) | instid1(VALU_DEP_1)
	v_ldexp_f32 v47, v47, v48
	v_cndmask_b32_e32 v47, 0, v47, vcc_lo
	v_cmp_nlt_f32_e32 vcc_lo, 0x42b17218, v46
	s_delay_alu instid0(VALU_DEP_2) | instskip(NEXT) | instid1(VALU_DEP_1)
	v_cndmask_b32_e32 v46, 0x7f800000, v47, vcc_lo
	v_dual_mul_f32 v16, v46, v16 :: v_dual_add_f32 v46, 1.0, v46
	s_delay_alu instid0(VALU_DEP_1) | instskip(NEXT) | instid1(VALU_DEP_1)
	v_div_scale_f32 v47, null, v46, v46, v16
	v_rcp_f32_e32 v48, v47
	v_nop
	s_delay_alu instid0(TRANS32_DEP_1) | instskip(NEXT) | instid1(VALU_DEP_1)
	v_fma_f32 v50, -v47, v48, 1.0
	v_fmac_f32_e32 v48, v50, v48
	v_div_scale_f32 v50, vcc_lo, v16, v46, v16
	s_delay_alu instid0(VALU_DEP_1) | instskip(NEXT) | instid1(VALU_DEP_1)
	v_mul_f32_e32 v51, v50, v48
	v_fma_f32 v52, -v47, v51, v50
	s_delay_alu instid0(VALU_DEP_1) | instskip(NEXT) | instid1(VALU_DEP_1)
	v_fmac_f32_e32 v51, v52, v48
	v_fma_f32 v47, -v47, v51, v50
	s_delay_alu instid0(VALU_DEP_1) | instskip(NEXT) | instid1(VALU_DEP_1)
	v_div_fmas_f32 v47, v47, v48, v51
	v_div_fixup_f32 v16, v47, v46, v16
.LBB64_17:
	s_or_b32 exec_lo, exec_lo, s10
	v_lshrrev_b32_e32 v47, 16, v49
	v_mul_f32_e32 v46, s13, v17
	s_mov_b32 s10, exec_lo
	s_delay_alu instid0(VALU_DEP_2) | instskip(NEXT) | instid1(VALU_DEP_2)
	v_cvt_f32_f16_e32 v17, v47
	v_cmpx_nlt_f32_e32 s14, v46
	s_cbranch_execz .LBB64_19
; %bb.18:
	v_mul_f32_e32 v47, 0x3fb8aa3b, v46
	v_cmp_ngt_f32_e32 vcc_lo, 0xc2ce8ed0, v46
	s_delay_alu instid0(VALU_DEP_2) | instskip(SKIP_1) | instid1(VALU_DEP_2)
	v_rndne_f32_e32 v48, v47
	v_fma_f32 v49, 0x3fb8aa3b, v46, -v47
	v_sub_f32_e32 v47, v47, v48
	s_delay_alu instid0(VALU_DEP_2) | instskip(SKIP_1) | instid1(VALU_DEP_2)
	v_fmamk_f32 v49, v46, 0x32a5705f, v49
	v_cvt_i32_f32_e32 v48, v48
	v_add_f32_e32 v47, v47, v49
	s_delay_alu instid0(VALU_DEP_1) | instskip(SKIP_1) | instid1(TRANS32_DEP_1)
	v_exp_f32_e32 v47, v47
	v_nop
	v_ldexp_f32 v47, v47, v48
	s_delay_alu instid0(VALU_DEP_1) | instskip(SKIP_1) | instid1(VALU_DEP_2)
	v_cndmask_b32_e32 v47, 0, v47, vcc_lo
	v_cmp_nlt_f32_e32 vcc_lo, 0x42b17218, v46
	v_cndmask_b32_e32 v46, 0x7f800000, v47, vcc_lo
	s_delay_alu instid0(VALU_DEP_1) | instskip(NEXT) | instid1(VALU_DEP_1)
	v_dual_mul_f32 v17, v46, v17 :: v_dual_add_f32 v46, 1.0, v46
	v_div_scale_f32 v47, null, v46, v46, v17
	s_delay_alu instid0(VALU_DEP_1) | instskip(SKIP_1) | instid1(TRANS32_DEP_1)
	v_rcp_f32_e32 v48, v47
	v_nop
	v_fma_f32 v49, -v47, v48, 1.0
	s_delay_alu instid0(VALU_DEP_1) | instskip(SKIP_1) | instid1(VALU_DEP_1)
	v_fmac_f32_e32 v48, v49, v48
	v_div_scale_f32 v49, vcc_lo, v17, v46, v17
	v_mul_f32_e32 v50, v49, v48
	s_delay_alu instid0(VALU_DEP_1) | instskip(NEXT) | instid1(VALU_DEP_1)
	v_fma_f32 v51, -v47, v50, v49
	v_fmac_f32_e32 v50, v51, v48
	s_delay_alu instid0(VALU_DEP_1) | instskip(NEXT) | instid1(VALU_DEP_1)
	v_fma_f32 v47, -v47, v50, v49
	v_div_fmas_f32 v47, v47, v48, v50
	s_delay_alu instid0(VALU_DEP_1)
	v_div_fixup_f32 v17, v47, v46, v17
.LBB64_19:
	s_or_b32 exec_lo, exec_lo, s10
	s_wait_loadcnt 0x4
	v_mul_f32_e32 v46, s13, v22
	v_cvt_f32_f16_e32 v22, v34
	s_mov_b32 s10, exec_lo
	s_delay_alu instid0(VALU_DEP_2)
	v_cmpx_nlt_f32_e32 s14, v46
	s_cbranch_execz .LBB64_21
; %bb.20:
	v_mul_f32_e32 v47, 0x3fb8aa3b, v46
	v_cmp_ngt_f32_e32 vcc_lo, 0xc2ce8ed0, v46
	s_delay_alu instid0(VALU_DEP_2) | instskip(SKIP_1) | instid1(VALU_DEP_2)
	v_rndne_f32_e32 v48, v47
	v_fma_f32 v49, 0x3fb8aa3b, v46, -v47
	v_sub_f32_e32 v47, v47, v48
	s_delay_alu instid0(VALU_DEP_2) | instskip(SKIP_1) | instid1(VALU_DEP_2)
	v_fmamk_f32 v49, v46, 0x32a5705f, v49
	v_cvt_i32_f32_e32 v48, v48
	v_add_f32_e32 v47, v47, v49
	s_delay_alu instid0(VALU_DEP_1) | instskip(SKIP_1) | instid1(TRANS32_DEP_1)
	v_exp_f32_e32 v47, v47
	v_nop
	v_ldexp_f32 v47, v47, v48
	s_delay_alu instid0(VALU_DEP_1) | instskip(SKIP_1) | instid1(VALU_DEP_2)
	v_cndmask_b32_e32 v47, 0, v47, vcc_lo
	v_cmp_nlt_f32_e32 vcc_lo, 0x42b17218, v46
	v_cndmask_b32_e32 v46, 0x7f800000, v47, vcc_lo
	s_delay_alu instid0(VALU_DEP_1) | instskip(SKIP_1) | instid1(VALU_DEP_1)
	v_mul_f32_e32 v22, v46, v22
	v_add_f32_e32 v46, 1.0, v46
	v_div_scale_f32 v47, null, v46, v46, v22
	s_delay_alu instid0(VALU_DEP_1) | instskip(SKIP_1) | instid1(TRANS32_DEP_1)
	v_rcp_f32_e32 v48, v47
	v_nop
	v_fma_f32 v49, -v47, v48, 1.0
	s_delay_alu instid0(VALU_DEP_1) | instskip(SKIP_1) | instid1(VALU_DEP_1)
	v_fmac_f32_e32 v48, v49, v48
	v_div_scale_f32 v49, vcc_lo, v22, v46, v22
	v_mul_f32_e32 v50, v49, v48
	s_delay_alu instid0(VALU_DEP_1) | instskip(NEXT) | instid1(VALU_DEP_1)
	v_fma_f32 v51, -v47, v50, v49
	v_fmac_f32_e32 v50, v51, v48
	s_delay_alu instid0(VALU_DEP_1) | instskip(NEXT) | instid1(VALU_DEP_1)
	v_fma_f32 v47, -v47, v50, v49
	v_div_fmas_f32 v47, v47, v48, v50
	s_delay_alu instid0(VALU_DEP_1)
	v_div_fixup_f32 v22, v47, v46, v22
.LBB64_21:
	s_or_b32 exec_lo, exec_lo, s10
	v_dual_lshrrev_b32 v46, 16, v34 :: v_dual_mul_f32 v34, s13, v23
	s_mov_b32 s10, exec_lo
	s_delay_alu instid0(VALU_DEP_1) | instskip(NEXT) | instid1(VALU_DEP_2)
	v_cvt_f32_f16_e32 v23, v46
	v_cmpx_nlt_f32_e32 s14, v34
	s_cbranch_execz .LBB64_23
; %bb.22:
	v_mul_f32_e32 v46, 0x3fb8aa3b, v34
	v_cmp_ngt_f32_e32 vcc_lo, 0xc2ce8ed0, v34
	s_delay_alu instid0(VALU_DEP_2) | instskip(SKIP_1) | instid1(VALU_DEP_2)
	v_rndne_f32_e32 v47, v46
	v_fma_f32 v48, 0x3fb8aa3b, v34, -v46
	v_sub_f32_e32 v46, v46, v47
	s_delay_alu instid0(VALU_DEP_2) | instskip(SKIP_1) | instid1(VALU_DEP_2)
	v_fmamk_f32 v48, v34, 0x32a5705f, v48
	v_cvt_i32_f32_e32 v47, v47
	v_add_f32_e32 v46, v46, v48
	s_delay_alu instid0(VALU_DEP_1) | instskip(SKIP_1) | instid1(TRANS32_DEP_1)
	v_exp_f32_e32 v46, v46
	v_nop
	v_ldexp_f32 v46, v46, v47
	s_delay_alu instid0(VALU_DEP_1) | instskip(SKIP_1) | instid1(VALU_DEP_2)
	v_cndmask_b32_e32 v46, 0, v46, vcc_lo
	v_cmp_nlt_f32_e32 vcc_lo, 0x42b17218, v34
	v_cndmask_b32_e32 v34, 0x7f800000, v46, vcc_lo
	s_delay_alu instid0(VALU_DEP_1) | instskip(NEXT) | instid1(VALU_DEP_1)
	v_dual_mul_f32 v23, v34, v23 :: v_dual_add_f32 v34, 1.0, v34
	v_div_scale_f32 v46, null, v34, v34, v23
	s_delay_alu instid0(VALU_DEP_1) | instskip(SKIP_1) | instid1(TRANS32_DEP_1)
	v_rcp_f32_e32 v47, v46
	v_nop
	v_fma_f32 v48, -v46, v47, 1.0
	s_delay_alu instid0(VALU_DEP_1) | instskip(SKIP_1) | instid1(VALU_DEP_1)
	v_fmac_f32_e32 v47, v48, v47
	v_div_scale_f32 v48, vcc_lo, v23, v34, v23
	v_mul_f32_e32 v49, v48, v47
	s_delay_alu instid0(VALU_DEP_1) | instskip(NEXT) | instid1(VALU_DEP_1)
	v_fma_f32 v50, -v46, v49, v48
	v_fmac_f32_e32 v49, v50, v47
	s_delay_alu instid0(VALU_DEP_1) | instskip(NEXT) | instid1(VALU_DEP_1)
	v_fma_f32 v46, -v46, v49, v48
	v_div_fmas_f32 v46, v46, v47, v49
	s_delay_alu instid0(VALU_DEP_1)
	v_div_fixup_f32 v23, v46, v34, v23
.LBB64_23:
	s_or_b32 exec_lo, exec_lo, s10
	v_mul_f32_e32 v34, s13, v24
	v_cvt_f32_f16_e32 v24, v35
	s_mov_b32 s10, exec_lo
	s_delay_alu instid0(VALU_DEP_2)
	v_cmpx_nlt_f32_e32 s14, v34
	s_cbranch_execz .LBB64_25
; %bb.24:
	v_mul_f32_e32 v46, 0x3fb8aa3b, v34
	v_cmp_ngt_f32_e32 vcc_lo, 0xc2ce8ed0, v34
	s_delay_alu instid0(VALU_DEP_2) | instskip(SKIP_1) | instid1(VALU_DEP_2)
	v_rndne_f32_e32 v47, v46
	v_fma_f32 v48, 0x3fb8aa3b, v34, -v46
	v_sub_f32_e32 v46, v46, v47
	s_delay_alu instid0(VALU_DEP_2) | instskip(SKIP_1) | instid1(VALU_DEP_2)
	v_fmamk_f32 v48, v34, 0x32a5705f, v48
	v_cvt_i32_f32_e32 v47, v47
	v_add_f32_e32 v46, v46, v48
	s_delay_alu instid0(VALU_DEP_1) | instskip(SKIP_1) | instid1(TRANS32_DEP_1)
	v_exp_f32_e32 v46, v46
	v_nop
	v_ldexp_f32 v46, v46, v47
	s_delay_alu instid0(VALU_DEP_1) | instskip(SKIP_1) | instid1(VALU_DEP_2)
	v_cndmask_b32_e32 v46, 0, v46, vcc_lo
	v_cmp_nlt_f32_e32 vcc_lo, 0x42b17218, v34
	v_cndmask_b32_e32 v34, 0x7f800000, v46, vcc_lo
	s_delay_alu instid0(VALU_DEP_1) | instskip(NEXT) | instid1(VALU_DEP_1)
	v_dual_mul_f32 v24, v34, v24 :: v_dual_add_f32 v34, 1.0, v34
	v_div_scale_f32 v46, null, v34, v34, v24
	s_delay_alu instid0(VALU_DEP_1) | instskip(SKIP_1) | instid1(TRANS32_DEP_1)
	v_rcp_f32_e32 v47, v46
	v_nop
	v_fma_f32 v48, -v46, v47, 1.0
	s_delay_alu instid0(VALU_DEP_1) | instskip(SKIP_1) | instid1(VALU_DEP_1)
	v_fmac_f32_e32 v47, v48, v47
	v_div_scale_f32 v48, vcc_lo, v24, v34, v24
	v_mul_f32_e32 v49, v48, v47
	s_delay_alu instid0(VALU_DEP_1) | instskip(NEXT) | instid1(VALU_DEP_1)
	v_fma_f32 v50, -v46, v49, v48
	v_fmac_f32_e32 v49, v50, v47
	s_delay_alu instid0(VALU_DEP_1) | instskip(NEXT) | instid1(VALU_DEP_1)
	v_fma_f32 v46, -v46, v49, v48
	v_div_fmas_f32 v46, v46, v47, v49
	s_delay_alu instid0(VALU_DEP_1)
	v_div_fixup_f32 v24, v46, v34, v24
.LBB64_25:
	s_or_b32 exec_lo, exec_lo, s10
	v_dual_mul_f32 v34, s13, v25 :: v_dual_lshrrev_b32 v35, 16, v35
	s_mov_b32 s10, exec_lo
	s_delay_alu instid0(VALU_DEP_1) | instskip(NEXT) | instid1(VALU_DEP_2)
	v_cvt_f32_f16_e32 v25, v35
	v_cmpx_nlt_f32_e32 s14, v34
	s_cbranch_execz .LBB64_27
; %bb.26:
	v_mul_f32_e32 v35, 0x3fb8aa3b, v34
	v_cmp_ngt_f32_e32 vcc_lo, 0xc2ce8ed0, v34
	s_delay_alu instid0(VALU_DEP_2) | instskip(SKIP_1) | instid1(VALU_DEP_2)
	v_rndne_f32_e32 v46, v35
	v_fma_f32 v47, 0x3fb8aa3b, v34, -v35
	v_sub_f32_e32 v35, v35, v46
	s_delay_alu instid0(VALU_DEP_2) | instskip(SKIP_1) | instid1(VALU_DEP_2)
	v_fmamk_f32 v47, v34, 0x32a5705f, v47
	v_cvt_i32_f32_e32 v46, v46
	v_add_f32_e32 v35, v35, v47
	s_delay_alu instid0(VALU_DEP_1) | instskip(SKIP_1) | instid1(TRANS32_DEP_1)
	v_exp_f32_e32 v35, v35
	v_nop
	v_ldexp_f32 v35, v35, v46
	s_delay_alu instid0(VALU_DEP_1) | instskip(SKIP_1) | instid1(VALU_DEP_2)
	v_cndmask_b32_e32 v35, 0, v35, vcc_lo
	v_cmp_nlt_f32_e32 vcc_lo, 0x42b17218, v34
	v_cndmask_b32_e32 v34, 0x7f800000, v35, vcc_lo
	s_delay_alu instid0(VALU_DEP_1) | instskip(NEXT) | instid1(VALU_DEP_1)
	v_dual_mul_f32 v25, v34, v25 :: v_dual_add_f32 v34, 1.0, v34
	v_div_scale_f32 v35, null, v34, v34, v25
	s_delay_alu instid0(VALU_DEP_1) | instskip(SKIP_1) | instid1(TRANS32_DEP_1)
	v_rcp_f32_e32 v46, v35
	v_nop
	v_fma_f32 v47, -v35, v46, 1.0
	s_delay_alu instid0(VALU_DEP_1) | instskip(SKIP_1) | instid1(VALU_DEP_1)
	v_fmac_f32_e32 v46, v47, v46
	v_div_scale_f32 v47, vcc_lo, v25, v34, v25
	v_mul_f32_e32 v48, v47, v46
	s_delay_alu instid0(VALU_DEP_1) | instskip(NEXT) | instid1(VALU_DEP_1)
	v_fma_f32 v49, -v35, v48, v47
	v_fmac_f32_e32 v48, v49, v46
	s_delay_alu instid0(VALU_DEP_1) | instskip(NEXT) | instid1(VALU_DEP_1)
	v_fma_f32 v35, -v35, v48, v47
	v_div_fmas_f32 v35, v35, v46, v48
	s_delay_alu instid0(VALU_DEP_1)
	v_div_fixup_f32 v25, v35, v34, v25
.LBB64_27:
	s_or_b32 exec_lo, exec_lo, s10
	v_mul_f32_e32 v35, s13, v42
	v_cvt_f32_f16_e32 v34, v36
	s_mov_b32 s10, exec_lo
	s_delay_alu instid0(VALU_DEP_2)
	v_cmpx_nlt_f32_e32 s14, v35
	s_cbranch_execz .LBB64_29
; %bb.28:
	v_mul_f32_e32 v42, 0x3fb8aa3b, v35
	v_cmp_ngt_f32_e32 vcc_lo, 0xc2ce8ed0, v35
	s_delay_alu instid0(VALU_DEP_2) | instskip(SKIP_1) | instid1(VALU_DEP_1)
	v_rndne_f32_e32 v46, v42
	v_fma_f32 v47, 0x3fb8aa3b, v35, -v42
	v_dual_sub_f32 v42, v42, v46 :: v_dual_fmamk_f32 v47, v35, 0x32a5705f, v47
	v_cvt_i32_f32_e32 v46, v46
	s_delay_alu instid0(VALU_DEP_2) | instskip(NEXT) | instid1(VALU_DEP_1)
	v_add_f32_e32 v42, v42, v47
	v_exp_f32_e32 v42, v42
	v_nop
	s_delay_alu instid0(TRANS32_DEP_1) | instskip(NEXT) | instid1(VALU_DEP_1)
	v_ldexp_f32 v42, v42, v46
	v_cndmask_b32_e32 v42, 0, v42, vcc_lo
	v_cmp_nlt_f32_e32 vcc_lo, 0x42b17218, v35
	s_delay_alu instid0(VALU_DEP_2) | instskip(NEXT) | instid1(VALU_DEP_1)
	v_cndmask_b32_e32 v35, 0x7f800000, v42, vcc_lo
	v_dual_mul_f32 v34, v35, v34 :: v_dual_add_f32 v35, 1.0, v35
	s_delay_alu instid0(VALU_DEP_1) | instskip(NEXT) | instid1(VALU_DEP_1)
	v_div_scale_f32 v42, null, v35, v35, v34
	v_rcp_f32_e32 v46, v42
	v_nop
	s_delay_alu instid0(TRANS32_DEP_1) | instskip(NEXT) | instid1(VALU_DEP_1)
	v_fma_f32 v47, -v42, v46, 1.0
	v_fmac_f32_e32 v46, v47, v46
	v_div_scale_f32 v47, vcc_lo, v34, v35, v34
	s_delay_alu instid0(VALU_DEP_1) | instskip(NEXT) | instid1(VALU_DEP_1)
	v_mul_f32_e32 v48, v47, v46
	v_fma_f32 v49, -v42, v48, v47
	s_delay_alu instid0(VALU_DEP_1) | instskip(NEXT) | instid1(VALU_DEP_1)
	v_fmac_f32_e32 v48, v49, v46
	v_fma_f32 v42, -v42, v48, v47
	s_delay_alu instid0(VALU_DEP_1) | instskip(NEXT) | instid1(VALU_DEP_1)
	v_div_fmas_f32 v42, v42, v46, v48
	v_div_fixup_f32 v34, v42, v35, v34
.LBB64_29:
	s_or_b32 exec_lo, exec_lo, s10
	v_dual_mul_f32 v36, s13, v43 :: v_dual_lshrrev_b32 v35, 16, v36
	s_mov_b32 s10, exec_lo
	s_delay_alu instid0(VALU_DEP_1) | instskip(NEXT) | instid1(VALU_DEP_2)
	v_cvt_f32_f16_e32 v35, v35
	v_cmpx_nlt_f32_e32 s14, v36
	s_cbranch_execz .LBB64_31
; %bb.30:
	v_mul_f32_e32 v42, 0x3fb8aa3b, v36
	v_cmp_ngt_f32_e32 vcc_lo, 0xc2ce8ed0, v36
	s_delay_alu instid0(VALU_DEP_2) | instskip(SKIP_1) | instid1(VALU_DEP_2)
	v_rndne_f32_e32 v43, v42
	v_fma_f32 v46, 0x3fb8aa3b, v36, -v42
	v_sub_f32_e32 v42, v42, v43
	s_delay_alu instid0(VALU_DEP_2) | instskip(SKIP_1) | instid1(VALU_DEP_2)
	v_fmamk_f32 v46, v36, 0x32a5705f, v46
	v_cvt_i32_f32_e32 v43, v43
	v_add_f32_e32 v42, v42, v46
	s_delay_alu instid0(VALU_DEP_1) | instskip(SKIP_1) | instid1(TRANS32_DEP_1)
	v_exp_f32_e32 v42, v42
	v_nop
	v_ldexp_f32 v42, v42, v43
	s_delay_alu instid0(VALU_DEP_1) | instskip(SKIP_1) | instid1(VALU_DEP_2)
	v_cndmask_b32_e32 v42, 0, v42, vcc_lo
	v_cmp_nlt_f32_e32 vcc_lo, 0x42b17218, v36
	v_cndmask_b32_e32 v36, 0x7f800000, v42, vcc_lo
	s_delay_alu instid0(VALU_DEP_1) | instskip(NEXT) | instid1(VALU_DEP_1)
	v_dual_mul_f32 v35, v36, v35 :: v_dual_add_f32 v36, 1.0, v36
	v_div_scale_f32 v42, null, v36, v36, v35
	s_delay_alu instid0(VALU_DEP_1) | instskip(SKIP_1) | instid1(TRANS32_DEP_1)
	v_rcp_f32_e32 v43, v42
	v_nop
	v_fma_f32 v46, -v42, v43, 1.0
	s_delay_alu instid0(VALU_DEP_1) | instskip(SKIP_1) | instid1(VALU_DEP_1)
	v_fmac_f32_e32 v43, v46, v43
	v_div_scale_f32 v46, vcc_lo, v35, v36, v35
	v_mul_f32_e32 v47, v46, v43
	s_delay_alu instid0(VALU_DEP_1) | instskip(NEXT) | instid1(VALU_DEP_1)
	v_fma_f32 v48, -v42, v47, v46
	v_fmac_f32_e32 v47, v48, v43
	s_delay_alu instid0(VALU_DEP_1) | instskip(NEXT) | instid1(VALU_DEP_1)
	v_fma_f32 v42, -v42, v47, v46
	v_div_fmas_f32 v42, v42, v43, v47
	s_delay_alu instid0(VALU_DEP_1)
	v_div_fixup_f32 v35, v42, v36, v35
.LBB64_31:
	s_or_b32 exec_lo, exec_lo, s10
	v_mul_f32_e32 v42, s13, v44
	v_cvt_f32_f16_e32 v36, v37
	s_mov_b32 s10, exec_lo
	s_delay_alu instid0(VALU_DEP_2)
	v_cmpx_nlt_f32_e32 s14, v42
	s_cbranch_execz .LBB64_33
; %bb.32:
	v_mul_f32_e32 v43, 0x3fb8aa3b, v42
	v_cmp_ngt_f32_e32 vcc_lo, 0xc2ce8ed0, v42
	s_delay_alu instid0(VALU_DEP_2) | instskip(SKIP_1) | instid1(VALU_DEP_1)
	v_rndne_f32_e32 v44, v43
	v_fma_f32 v46, 0x3fb8aa3b, v42, -v43
	v_dual_sub_f32 v43, v43, v44 :: v_dual_fmamk_f32 v46, v42, 0x32a5705f, v46
	v_cvt_i32_f32_e32 v44, v44
	s_delay_alu instid0(VALU_DEP_2) | instskip(NEXT) | instid1(VALU_DEP_1)
	v_add_f32_e32 v43, v43, v46
	v_exp_f32_e32 v43, v43
	v_nop
	s_delay_alu instid0(TRANS32_DEP_1) | instskip(NEXT) | instid1(VALU_DEP_1)
	v_ldexp_f32 v43, v43, v44
	v_cndmask_b32_e32 v43, 0, v43, vcc_lo
	v_cmp_nlt_f32_e32 vcc_lo, 0x42b17218, v42
	s_delay_alu instid0(VALU_DEP_2) | instskip(NEXT) | instid1(VALU_DEP_1)
	v_cndmask_b32_e32 v42, 0x7f800000, v43, vcc_lo
	v_dual_mul_f32 v36, v42, v36 :: v_dual_add_f32 v42, 1.0, v42
	s_delay_alu instid0(VALU_DEP_1) | instskip(NEXT) | instid1(VALU_DEP_1)
	v_div_scale_f32 v43, null, v42, v42, v36
	v_rcp_f32_e32 v44, v43
	v_nop
	s_delay_alu instid0(TRANS32_DEP_1) | instskip(NEXT) | instid1(VALU_DEP_1)
	v_fma_f32 v46, -v43, v44, 1.0
	v_fmac_f32_e32 v44, v46, v44
	v_div_scale_f32 v46, vcc_lo, v36, v42, v36
	s_delay_alu instid0(VALU_DEP_1) | instskip(NEXT) | instid1(VALU_DEP_1)
	v_mul_f32_e32 v47, v46, v44
	v_fma_f32 v48, -v43, v47, v46
	s_delay_alu instid0(VALU_DEP_1) | instskip(NEXT) | instid1(VALU_DEP_1)
	v_fmac_f32_e32 v47, v48, v44
	v_fma_f32 v43, -v43, v47, v46
	s_delay_alu instid0(VALU_DEP_1) | instskip(NEXT) | instid1(VALU_DEP_1)
	v_div_fmas_f32 v43, v43, v44, v47
	v_div_fixup_f32 v36, v43, v42, v36
.LBB64_33:
	s_or_b32 exec_lo, exec_lo, s10
	v_lshrrev_b32_e32 v37, 16, v37
	v_mul_f32_e32 v42, s13, v45
	s_mov_b32 s10, exec_lo
	s_delay_alu instid0(VALU_DEP_2) | instskip(NEXT) | instid1(VALU_DEP_2)
	v_cvt_f32_f16_e32 v37, v37
	v_cmpx_nlt_f32_e32 s14, v42
	s_cbranch_execz .LBB64_35
; %bb.34:
	v_mul_f32_e32 v43, 0x3fb8aa3b, v42
	v_cmp_ngt_f32_e32 vcc_lo, 0xc2ce8ed0, v42
	s_delay_alu instid0(VALU_DEP_2) | instskip(SKIP_1) | instid1(VALU_DEP_2)
	v_rndne_f32_e32 v44, v43
	v_fma_f32 v45, 0x3fb8aa3b, v42, -v43
	v_sub_f32_e32 v43, v43, v44
	s_delay_alu instid0(VALU_DEP_2) | instskip(SKIP_1) | instid1(VALU_DEP_2)
	v_fmamk_f32 v45, v42, 0x32a5705f, v45
	v_cvt_i32_f32_e32 v44, v44
	v_add_f32_e32 v43, v43, v45
	s_delay_alu instid0(VALU_DEP_1) | instskip(SKIP_1) | instid1(TRANS32_DEP_1)
	v_exp_f32_e32 v43, v43
	v_nop
	v_ldexp_f32 v43, v43, v44
	s_delay_alu instid0(VALU_DEP_1) | instskip(SKIP_1) | instid1(VALU_DEP_2)
	v_cndmask_b32_e32 v43, 0, v43, vcc_lo
	v_cmp_nlt_f32_e32 vcc_lo, 0x42b17218, v42
	v_cndmask_b32_e32 v42, 0x7f800000, v43, vcc_lo
	s_delay_alu instid0(VALU_DEP_1) | instskip(NEXT) | instid1(VALU_DEP_1)
	v_dual_mul_f32 v37, v42, v37 :: v_dual_add_f32 v42, 1.0, v42
	v_div_scale_f32 v43, null, v42, v42, v37
	s_delay_alu instid0(VALU_DEP_1) | instskip(SKIP_1) | instid1(TRANS32_DEP_1)
	v_rcp_f32_e32 v44, v43
	v_nop
	v_fma_f32 v45, -v43, v44, 1.0
	s_delay_alu instid0(VALU_DEP_1) | instskip(SKIP_1) | instid1(VALU_DEP_1)
	v_fmac_f32_e32 v44, v45, v44
	v_div_scale_f32 v45, vcc_lo, v37, v42, v37
	v_mul_f32_e32 v46, v45, v44
	s_delay_alu instid0(VALU_DEP_1) | instskip(NEXT) | instid1(VALU_DEP_1)
	v_fma_f32 v47, -v43, v46, v45
	v_fmac_f32_e32 v46, v47, v44
	s_delay_alu instid0(VALU_DEP_1) | instskip(NEXT) | instid1(VALU_DEP_1)
	v_fma_f32 v43, -v43, v46, v45
	v_div_fmas_f32 v43, v43, v44, v46
	s_delay_alu instid0(VALU_DEP_1)
	v_div_fixup_f32 v37, v43, v42, v37
.LBB64_35:
	s_or_b32 exec_lo, exec_lo, s10
	s_wait_loadcnt 0x2
	v_mul_f32_e32 v42, s13, v38
	v_cvt_f32_f16_e32 v38, v26
	s_mov_b32 s10, exec_lo
	s_delay_alu instid0(VALU_DEP_2)
	v_cmpx_nlt_f32_e32 s14, v42
	s_cbranch_execz .LBB64_37
; %bb.36:
	v_mul_f32_e32 v43, 0x3fb8aa3b, v42
	v_cmp_ngt_f32_e32 vcc_lo, 0xc2ce8ed0, v42
	s_delay_alu instid0(VALU_DEP_2) | instskip(SKIP_1) | instid1(VALU_DEP_2)
	v_rndne_f32_e32 v44, v43
	v_fma_f32 v45, 0x3fb8aa3b, v42, -v43
	v_sub_f32_e32 v43, v43, v44
	s_delay_alu instid0(VALU_DEP_2) | instskip(SKIP_1) | instid1(VALU_DEP_2)
	v_fmamk_f32 v45, v42, 0x32a5705f, v45
	v_cvt_i32_f32_e32 v44, v44
	v_add_f32_e32 v43, v43, v45
	s_delay_alu instid0(VALU_DEP_1) | instskip(SKIP_1) | instid1(TRANS32_DEP_1)
	v_exp_f32_e32 v43, v43
	v_nop
	v_ldexp_f32 v43, v43, v44
	s_delay_alu instid0(VALU_DEP_1) | instskip(SKIP_1) | instid1(VALU_DEP_2)
	v_cndmask_b32_e32 v43, 0, v43, vcc_lo
	v_cmp_nlt_f32_e32 vcc_lo, 0x42b17218, v42
	v_cndmask_b32_e32 v42, 0x7f800000, v43, vcc_lo
	s_delay_alu instid0(VALU_DEP_1) | instskip(SKIP_1) | instid1(VALU_DEP_1)
	v_mul_f32_e32 v38, v42, v38
	v_add_f32_e32 v42, 1.0, v42
	v_div_scale_f32 v43, null, v42, v42, v38
	s_delay_alu instid0(VALU_DEP_1) | instskip(SKIP_1) | instid1(TRANS32_DEP_1)
	v_rcp_f32_e32 v44, v43
	v_nop
	v_fma_f32 v45, -v43, v44, 1.0
	s_delay_alu instid0(VALU_DEP_1) | instskip(SKIP_1) | instid1(VALU_DEP_1)
	v_fmac_f32_e32 v44, v45, v44
	v_div_scale_f32 v45, vcc_lo, v38, v42, v38
	v_mul_f32_e32 v46, v45, v44
	s_delay_alu instid0(VALU_DEP_1) | instskip(NEXT) | instid1(VALU_DEP_1)
	v_fma_f32 v47, -v43, v46, v45
	v_fmac_f32_e32 v46, v47, v44
	s_delay_alu instid0(VALU_DEP_1) | instskip(NEXT) | instid1(VALU_DEP_1)
	v_fma_f32 v43, -v43, v46, v45
	v_div_fmas_f32 v43, v43, v44, v46
	s_delay_alu instid0(VALU_DEP_1)
	v_div_fixup_f32 v38, v43, v42, v38
.LBB64_37:
	s_or_b32 exec_lo, exec_lo, s10
	v_dual_lshrrev_b32 v42, 16, v26 :: v_dual_mul_f32 v26, s13, v39
	s_mov_b32 s10, exec_lo
	s_delay_alu instid0(VALU_DEP_1) | instskip(NEXT) | instid1(VALU_DEP_2)
	v_cvt_f32_f16_e32 v39, v42
	v_cmpx_nlt_f32_e32 s14, v26
	s_cbranch_execz .LBB64_39
; %bb.38:
	v_mul_f32_e32 v42, 0x3fb8aa3b, v26
	v_cmp_ngt_f32_e32 vcc_lo, 0xc2ce8ed0, v26
	s_delay_alu instid0(VALU_DEP_2) | instskip(SKIP_1) | instid1(VALU_DEP_2)
	v_rndne_f32_e32 v43, v42
	v_fma_f32 v44, 0x3fb8aa3b, v26, -v42
	v_sub_f32_e32 v42, v42, v43
	s_delay_alu instid0(VALU_DEP_2) | instskip(SKIP_1) | instid1(VALU_DEP_2)
	v_fmamk_f32 v44, v26, 0x32a5705f, v44
	v_cvt_i32_f32_e32 v43, v43
	v_add_f32_e32 v42, v42, v44
	s_delay_alu instid0(VALU_DEP_1) | instskip(SKIP_1) | instid1(TRANS32_DEP_1)
	v_exp_f32_e32 v42, v42
	v_nop
	v_ldexp_f32 v42, v42, v43
	s_delay_alu instid0(VALU_DEP_1) | instskip(SKIP_1) | instid1(VALU_DEP_2)
	v_cndmask_b32_e32 v42, 0, v42, vcc_lo
	v_cmp_nlt_f32_e32 vcc_lo, 0x42b17218, v26
	v_cndmask_b32_e32 v26, 0x7f800000, v42, vcc_lo
	s_delay_alu instid0(VALU_DEP_1) | instskip(NEXT) | instid1(VALU_DEP_1)
	v_dual_mul_f32 v39, v26, v39 :: v_dual_add_f32 v26, 1.0, v26
	v_div_scale_f32 v42, null, v26, v26, v39
	s_delay_alu instid0(VALU_DEP_1) | instskip(SKIP_1) | instid1(TRANS32_DEP_1)
	v_rcp_f32_e32 v43, v42
	v_nop
	v_fma_f32 v44, -v42, v43, 1.0
	s_delay_alu instid0(VALU_DEP_1) | instskip(SKIP_1) | instid1(VALU_DEP_1)
	v_fmac_f32_e32 v43, v44, v43
	v_div_scale_f32 v44, vcc_lo, v39, v26, v39
	v_mul_f32_e32 v45, v44, v43
	s_delay_alu instid0(VALU_DEP_1) | instskip(NEXT) | instid1(VALU_DEP_1)
	v_fma_f32 v46, -v42, v45, v44
	v_fmac_f32_e32 v45, v46, v43
	s_delay_alu instid0(VALU_DEP_1) | instskip(NEXT) | instid1(VALU_DEP_1)
	v_fma_f32 v42, -v42, v45, v44
	v_div_fmas_f32 v42, v42, v43, v45
	s_delay_alu instid0(VALU_DEP_1)
	v_div_fixup_f32 v39, v42, v26, v39
.LBB64_39:
	s_or_b32 exec_lo, exec_lo, s10
	v_mul_f32_e32 v26, s13, v40
	v_cvt_f32_f16_e32 v40, v27
	s_mov_b32 s10, exec_lo
	s_delay_alu instid0(VALU_DEP_2)
	v_cmpx_nlt_f32_e32 s14, v26
	s_cbranch_execz .LBB64_41
; %bb.40:
	v_mul_f32_e32 v42, 0x3fb8aa3b, v26
	v_cmp_ngt_f32_e32 vcc_lo, 0xc2ce8ed0, v26
	s_delay_alu instid0(VALU_DEP_2) | instskip(SKIP_1) | instid1(VALU_DEP_2)
	v_rndne_f32_e32 v43, v42
	v_fma_f32 v44, 0x3fb8aa3b, v26, -v42
	v_sub_f32_e32 v42, v42, v43
	s_delay_alu instid0(VALU_DEP_2) | instskip(SKIP_1) | instid1(VALU_DEP_2)
	v_fmamk_f32 v44, v26, 0x32a5705f, v44
	v_cvt_i32_f32_e32 v43, v43
	v_add_f32_e32 v42, v42, v44
	s_delay_alu instid0(VALU_DEP_1) | instskip(SKIP_1) | instid1(TRANS32_DEP_1)
	v_exp_f32_e32 v42, v42
	v_nop
	v_ldexp_f32 v42, v42, v43
	s_delay_alu instid0(VALU_DEP_1) | instskip(SKIP_1) | instid1(VALU_DEP_2)
	v_cndmask_b32_e32 v42, 0, v42, vcc_lo
	v_cmp_nlt_f32_e32 vcc_lo, 0x42b17218, v26
	v_cndmask_b32_e32 v26, 0x7f800000, v42, vcc_lo
	s_delay_alu instid0(VALU_DEP_1) | instskip(NEXT) | instid1(VALU_DEP_1)
	v_dual_mul_f32 v40, v26, v40 :: v_dual_add_f32 v26, 1.0, v26
	v_div_scale_f32 v42, null, v26, v26, v40
	s_delay_alu instid0(VALU_DEP_1) | instskip(SKIP_1) | instid1(TRANS32_DEP_1)
	v_rcp_f32_e32 v43, v42
	v_nop
	v_fma_f32 v44, -v42, v43, 1.0
	s_delay_alu instid0(VALU_DEP_1) | instskip(SKIP_1) | instid1(VALU_DEP_1)
	v_fmac_f32_e32 v43, v44, v43
	v_div_scale_f32 v44, vcc_lo, v40, v26, v40
	v_mul_f32_e32 v45, v44, v43
	s_delay_alu instid0(VALU_DEP_1) | instskip(NEXT) | instid1(VALU_DEP_1)
	v_fma_f32 v46, -v42, v45, v44
	v_fmac_f32_e32 v45, v46, v43
	s_delay_alu instid0(VALU_DEP_1) | instskip(NEXT) | instid1(VALU_DEP_1)
	v_fma_f32 v42, -v42, v45, v44
	v_div_fmas_f32 v42, v42, v43, v45
	s_delay_alu instid0(VALU_DEP_1)
	v_div_fixup_f32 v40, v42, v26, v40
.LBB64_41:
	s_or_b32 exec_lo, exec_lo, s10
	v_dual_mul_f32 v26, s13, v41 :: v_dual_lshrrev_b32 v27, 16, v27
	s_mov_b32 s10, exec_lo
	s_delay_alu instid0(VALU_DEP_1) | instskip(NEXT) | instid1(VALU_DEP_2)
	v_cvt_f32_f16_e32 v41, v27
	v_cmpx_nlt_f32_e32 s14, v26
	s_cbranch_execz .LBB64_43
; %bb.42:
	v_mul_f32_e32 v27, 0x3fb8aa3b, v26
	v_cmp_ngt_f32_e32 vcc_lo, 0xc2ce8ed0, v26
	s_delay_alu instid0(VALU_DEP_2) | instskip(SKIP_1) | instid1(VALU_DEP_2)
	v_rndne_f32_e32 v42, v27
	v_fma_f32 v43, 0x3fb8aa3b, v26, -v27
	v_sub_f32_e32 v27, v27, v42
	s_delay_alu instid0(VALU_DEP_2) | instskip(SKIP_1) | instid1(VALU_DEP_2)
	v_fmamk_f32 v43, v26, 0x32a5705f, v43
	v_cvt_i32_f32_e32 v42, v42
	v_add_f32_e32 v27, v27, v43
	s_delay_alu instid0(VALU_DEP_1) | instskip(SKIP_1) | instid1(TRANS32_DEP_1)
	v_exp_f32_e32 v27, v27
	v_nop
	v_ldexp_f32 v27, v27, v42
	s_delay_alu instid0(VALU_DEP_1) | instskip(SKIP_1) | instid1(VALU_DEP_2)
	v_cndmask_b32_e32 v27, 0, v27, vcc_lo
	v_cmp_nlt_f32_e32 vcc_lo, 0x42b17218, v26
	v_cndmask_b32_e32 v26, 0x7f800000, v27, vcc_lo
	s_delay_alu instid0(VALU_DEP_1) | instskip(NEXT) | instid1(VALU_DEP_1)
	v_dual_mul_f32 v27, v26, v41 :: v_dual_add_f32 v26, 1.0, v26
	v_div_scale_f32 v41, null, v26, v26, v27
	s_delay_alu instid0(VALU_DEP_1) | instskip(SKIP_1) | instid1(TRANS32_DEP_1)
	v_rcp_f32_e32 v42, v41
	v_nop
	v_fma_f32 v43, -v41, v42, 1.0
	s_delay_alu instid0(VALU_DEP_1) | instskip(SKIP_1) | instid1(VALU_DEP_1)
	v_fmac_f32_e32 v42, v43, v42
	v_div_scale_f32 v43, vcc_lo, v27, v26, v27
	v_mul_f32_e32 v44, v43, v42
	s_delay_alu instid0(VALU_DEP_1) | instskip(NEXT) | instid1(VALU_DEP_1)
	v_fma_f32 v45, -v41, v44, v43
	v_fmac_f32_e32 v44, v45, v42
	s_delay_alu instid0(VALU_DEP_1) | instskip(NEXT) | instid1(VALU_DEP_1)
	v_fma_f32 v41, -v41, v44, v43
	v_div_fmas_f32 v41, v41, v42, v44
	s_delay_alu instid0(VALU_DEP_1)
	v_div_fixup_f32 v41, v41, v26, v27
.LBB64_43:
	s_or_b32 exec_lo, exec_lo, s10
	v_mul_f32_e32 v27, s13, v30
	v_cvt_f32_f16_e32 v26, v28
	s_mov_b32 s10, exec_lo
	s_delay_alu instid0(VALU_DEP_2)
	v_cmpx_nlt_f32_e32 s14, v27
	s_cbranch_execz .LBB64_45
; %bb.44:
	v_mul_f32_e32 v30, 0x3fb8aa3b, v27
	v_cmp_ngt_f32_e32 vcc_lo, 0xc2ce8ed0, v27
	s_delay_alu instid0(VALU_DEP_2) | instskip(SKIP_1) | instid1(VALU_DEP_1)
	v_rndne_f32_e32 v42, v30
	v_fma_f32 v43, 0x3fb8aa3b, v27, -v30
	v_dual_sub_f32 v30, v30, v42 :: v_dual_fmamk_f32 v43, v27, 0x32a5705f, v43
	v_cvt_i32_f32_e32 v42, v42
	s_delay_alu instid0(VALU_DEP_2) | instskip(NEXT) | instid1(VALU_DEP_1)
	v_add_f32_e32 v30, v30, v43
	v_exp_f32_e32 v30, v30
	v_nop
	s_delay_alu instid0(TRANS32_DEP_1) | instskip(NEXT) | instid1(VALU_DEP_1)
	v_ldexp_f32 v30, v30, v42
	v_cndmask_b32_e32 v30, 0, v30, vcc_lo
	v_cmp_nlt_f32_e32 vcc_lo, 0x42b17218, v27
	s_delay_alu instid0(VALU_DEP_2) | instskip(NEXT) | instid1(VALU_DEP_1)
	v_cndmask_b32_e32 v27, 0x7f800000, v30, vcc_lo
	v_dual_mul_f32 v26, v27, v26 :: v_dual_add_f32 v27, 1.0, v27
	s_delay_alu instid0(VALU_DEP_1) | instskip(NEXT) | instid1(VALU_DEP_1)
	v_div_scale_f32 v30, null, v27, v27, v26
	v_rcp_f32_e32 v42, v30
	v_nop
	s_delay_alu instid0(TRANS32_DEP_1) | instskip(NEXT) | instid1(VALU_DEP_1)
	v_fma_f32 v43, -v30, v42, 1.0
	v_fmac_f32_e32 v42, v43, v42
	v_div_scale_f32 v43, vcc_lo, v26, v27, v26
	s_delay_alu instid0(VALU_DEP_1) | instskip(NEXT) | instid1(VALU_DEP_1)
	v_mul_f32_e32 v44, v43, v42
	v_fma_f32 v45, -v30, v44, v43
	s_delay_alu instid0(VALU_DEP_1) | instskip(NEXT) | instid1(VALU_DEP_1)
	v_fmac_f32_e32 v44, v45, v42
	v_fma_f32 v30, -v30, v44, v43
	s_delay_alu instid0(VALU_DEP_1) | instskip(NEXT) | instid1(VALU_DEP_1)
	v_div_fmas_f32 v30, v30, v42, v44
	v_div_fixup_f32 v26, v30, v27, v26
.LBB64_45:
	s_or_b32 exec_lo, exec_lo, s10
	v_dual_mul_f32 v28, s13, v31 :: v_dual_lshrrev_b32 v27, 16, v28
	s_mov_b32 s10, exec_lo
	s_delay_alu instid0(VALU_DEP_1) | instskip(NEXT) | instid1(VALU_DEP_2)
	v_cvt_f32_f16_e32 v27, v27
	v_cmpx_nlt_f32_e32 s14, v28
	s_cbranch_execz .LBB64_47
; %bb.46:
	v_mul_f32_e32 v30, 0x3fb8aa3b, v28
	v_cmp_ngt_f32_e32 vcc_lo, 0xc2ce8ed0, v28
	s_delay_alu instid0(VALU_DEP_2) | instskip(SKIP_1) | instid1(VALU_DEP_2)
	v_rndne_f32_e32 v31, v30
	v_fma_f32 v42, 0x3fb8aa3b, v28, -v30
	v_sub_f32_e32 v30, v30, v31
	s_delay_alu instid0(VALU_DEP_2) | instskip(SKIP_1) | instid1(VALU_DEP_2)
	v_fmamk_f32 v42, v28, 0x32a5705f, v42
	v_cvt_i32_f32_e32 v31, v31
	v_add_f32_e32 v30, v30, v42
	s_delay_alu instid0(VALU_DEP_1) | instskip(SKIP_1) | instid1(TRANS32_DEP_1)
	v_exp_f32_e32 v30, v30
	v_nop
	v_ldexp_f32 v30, v30, v31
	s_delay_alu instid0(VALU_DEP_1) | instskip(SKIP_1) | instid1(VALU_DEP_2)
	v_cndmask_b32_e32 v30, 0, v30, vcc_lo
	v_cmp_nlt_f32_e32 vcc_lo, 0x42b17218, v28
	v_cndmask_b32_e32 v28, 0x7f800000, v30, vcc_lo
	s_delay_alu instid0(VALU_DEP_1) | instskip(NEXT) | instid1(VALU_DEP_1)
	v_dual_mul_f32 v27, v28, v27 :: v_dual_add_f32 v28, 1.0, v28
	v_div_scale_f32 v30, null, v28, v28, v27
	s_delay_alu instid0(VALU_DEP_1) | instskip(SKIP_1) | instid1(TRANS32_DEP_1)
	v_rcp_f32_e32 v31, v30
	v_nop
	v_fma_f32 v42, -v30, v31, 1.0
	s_delay_alu instid0(VALU_DEP_1) | instskip(SKIP_1) | instid1(VALU_DEP_1)
	v_fmac_f32_e32 v31, v42, v31
	v_div_scale_f32 v42, vcc_lo, v27, v28, v27
	v_mul_f32_e32 v43, v42, v31
	s_delay_alu instid0(VALU_DEP_1) | instskip(NEXT) | instid1(VALU_DEP_1)
	v_fma_f32 v44, -v30, v43, v42
	v_fmac_f32_e32 v43, v44, v31
	s_delay_alu instid0(VALU_DEP_1) | instskip(NEXT) | instid1(VALU_DEP_1)
	v_fma_f32 v30, -v30, v43, v42
	v_div_fmas_f32 v30, v30, v31, v43
	s_delay_alu instid0(VALU_DEP_1)
	v_div_fixup_f32 v27, v30, v28, v27
.LBB64_47:
	s_or_b32 exec_lo, exec_lo, s10
	v_mul_f32_e32 v30, s13, v32
	v_cvt_f32_f16_e32 v28, v29
	s_mov_b32 s10, exec_lo
	s_delay_alu instid0(VALU_DEP_2)
	v_cmpx_nlt_f32_e32 s14, v30
	s_cbranch_execz .LBB64_49
; %bb.48:
	v_mul_f32_e32 v31, 0x3fb8aa3b, v30
	v_cmp_ngt_f32_e32 vcc_lo, 0xc2ce8ed0, v30
	s_delay_alu instid0(VALU_DEP_2) | instskip(SKIP_1) | instid1(VALU_DEP_1)
	v_rndne_f32_e32 v32, v31
	v_fma_f32 v42, 0x3fb8aa3b, v30, -v31
	v_dual_sub_f32 v31, v31, v32 :: v_dual_fmamk_f32 v42, v30, 0x32a5705f, v42
	v_cvt_i32_f32_e32 v32, v32
	s_delay_alu instid0(VALU_DEP_2) | instskip(NEXT) | instid1(VALU_DEP_1)
	v_add_f32_e32 v31, v31, v42
	v_exp_f32_e32 v31, v31
	v_nop
	s_delay_alu instid0(TRANS32_DEP_1) | instskip(NEXT) | instid1(VALU_DEP_1)
	v_ldexp_f32 v31, v31, v32
	v_cndmask_b32_e32 v31, 0, v31, vcc_lo
	v_cmp_nlt_f32_e32 vcc_lo, 0x42b17218, v30
	s_delay_alu instid0(VALU_DEP_2) | instskip(NEXT) | instid1(VALU_DEP_1)
	v_cndmask_b32_e32 v30, 0x7f800000, v31, vcc_lo
	v_dual_mul_f32 v28, v30, v28 :: v_dual_add_f32 v30, 1.0, v30
	s_delay_alu instid0(VALU_DEP_1) | instskip(NEXT) | instid1(VALU_DEP_1)
	v_div_scale_f32 v31, null, v30, v30, v28
	v_rcp_f32_e32 v32, v31
	v_nop
	s_delay_alu instid0(TRANS32_DEP_1) | instskip(NEXT) | instid1(VALU_DEP_1)
	v_fma_f32 v42, -v31, v32, 1.0
	v_fmac_f32_e32 v32, v42, v32
	v_div_scale_f32 v42, vcc_lo, v28, v30, v28
	s_delay_alu instid0(VALU_DEP_1) | instskip(NEXT) | instid1(VALU_DEP_1)
	v_mul_f32_e32 v43, v42, v32
	v_fma_f32 v44, -v31, v43, v42
	s_delay_alu instid0(VALU_DEP_1) | instskip(NEXT) | instid1(VALU_DEP_1)
	v_fmac_f32_e32 v43, v44, v32
	v_fma_f32 v31, -v31, v43, v42
	s_delay_alu instid0(VALU_DEP_1) | instskip(NEXT) | instid1(VALU_DEP_1)
	v_div_fmas_f32 v31, v31, v32, v43
	v_div_fixup_f32 v28, v31, v30, v28
.LBB64_49:
	s_or_b32 exec_lo, exec_lo, s10
	v_lshrrev_b32_e32 v29, 16, v29
	v_mul_f32_e32 v30, s13, v33
	s_mov_b32 s10, exec_lo
	s_delay_alu instid0(VALU_DEP_2) | instskip(NEXT) | instid1(VALU_DEP_2)
	v_cvt_f32_f16_e32 v29, v29
	v_cmpx_nlt_f32_e32 s14, v30
	s_cbranch_execz .LBB64_51
; %bb.50:
	v_mul_f32_e32 v31, 0x3fb8aa3b, v30
	v_cmp_ngt_f32_e32 vcc_lo, 0xc2ce8ed0, v30
	s_delay_alu instid0(VALU_DEP_2) | instskip(SKIP_1) | instid1(VALU_DEP_2)
	v_rndne_f32_e32 v32, v31
	v_fma_f32 v33, 0x3fb8aa3b, v30, -v31
	v_sub_f32_e32 v31, v31, v32
	s_delay_alu instid0(VALU_DEP_2) | instskip(SKIP_1) | instid1(VALU_DEP_2)
	v_fmamk_f32 v33, v30, 0x32a5705f, v33
	v_cvt_i32_f32_e32 v32, v32
	v_add_f32_e32 v31, v31, v33
	s_delay_alu instid0(VALU_DEP_1) | instskip(SKIP_1) | instid1(TRANS32_DEP_1)
	v_exp_f32_e32 v31, v31
	v_nop
	v_ldexp_f32 v31, v31, v32
	s_delay_alu instid0(VALU_DEP_1) | instskip(SKIP_1) | instid1(VALU_DEP_2)
	v_cndmask_b32_e32 v31, 0, v31, vcc_lo
	v_cmp_nlt_f32_e32 vcc_lo, 0x42b17218, v30
	v_cndmask_b32_e32 v30, 0x7f800000, v31, vcc_lo
	s_delay_alu instid0(VALU_DEP_1) | instskip(NEXT) | instid1(VALU_DEP_1)
	v_dual_mul_f32 v29, v30, v29 :: v_dual_add_f32 v30, 1.0, v30
	v_div_scale_f32 v31, null, v30, v30, v29
	s_delay_alu instid0(VALU_DEP_1) | instskip(SKIP_1) | instid1(TRANS32_DEP_1)
	v_rcp_f32_e32 v32, v31
	v_nop
	v_fma_f32 v33, -v31, v32, 1.0
	s_delay_alu instid0(VALU_DEP_1) | instskip(SKIP_1) | instid1(VALU_DEP_1)
	v_fmac_f32_e32 v32, v33, v32
	v_div_scale_f32 v33, vcc_lo, v29, v30, v29
	v_mul_f32_e32 v42, v33, v32
	s_delay_alu instid0(VALU_DEP_1) | instskip(NEXT) | instid1(VALU_DEP_1)
	v_fma_f32 v43, -v31, v42, v33
	v_fmac_f32_e32 v42, v43, v32
	s_delay_alu instid0(VALU_DEP_1) | instskip(NEXT) | instid1(VALU_DEP_1)
	v_fma_f32 v31, -v31, v42, v33
	v_div_fmas_f32 v31, v31, v32, v42
	s_delay_alu instid0(VALU_DEP_1)
	v_div_fixup_f32 v29, v31, v30, v29
.LBB64_51:
	s_or_b32 exec_lo, exec_lo, s10
	s_wait_loadcnt 0x0
	v_mul_f32_e32 v30, s13, v18
	v_cvt_f32_f16_e32 v18, v6
	s_mov_b32 s10, exec_lo
	s_delay_alu instid0(VALU_DEP_2)
	v_cmpx_nlt_f32_e32 s14, v30
	s_cbranch_execz .LBB64_53
; %bb.52:
	v_mul_f32_e32 v31, 0x3fb8aa3b, v30
	v_cmp_ngt_f32_e32 vcc_lo, 0xc2ce8ed0, v30
	s_delay_alu instid0(VALU_DEP_2) | instskip(SKIP_1) | instid1(VALU_DEP_2)
	v_rndne_f32_e32 v32, v31
	v_fma_f32 v33, 0x3fb8aa3b, v30, -v31
	v_sub_f32_e32 v31, v31, v32
	s_delay_alu instid0(VALU_DEP_2) | instskip(SKIP_1) | instid1(VALU_DEP_2)
	v_fmamk_f32 v33, v30, 0x32a5705f, v33
	v_cvt_i32_f32_e32 v32, v32
	v_add_f32_e32 v31, v31, v33
	s_delay_alu instid0(VALU_DEP_1) | instskip(SKIP_1) | instid1(TRANS32_DEP_1)
	v_exp_f32_e32 v31, v31
	v_nop
	v_ldexp_f32 v31, v31, v32
	s_delay_alu instid0(VALU_DEP_1) | instskip(SKIP_1) | instid1(VALU_DEP_2)
	v_cndmask_b32_e32 v31, 0, v31, vcc_lo
	v_cmp_nlt_f32_e32 vcc_lo, 0x42b17218, v30
	v_cndmask_b32_e32 v30, 0x7f800000, v31, vcc_lo
	s_delay_alu instid0(VALU_DEP_1) | instskip(SKIP_1) | instid1(VALU_DEP_1)
	v_mul_f32_e32 v18, v30, v18
	v_add_f32_e32 v30, 1.0, v30
	v_div_scale_f32 v31, null, v30, v30, v18
	s_delay_alu instid0(VALU_DEP_1) | instskip(SKIP_1) | instid1(TRANS32_DEP_1)
	v_rcp_f32_e32 v32, v31
	v_nop
	v_fma_f32 v33, -v31, v32, 1.0
	s_delay_alu instid0(VALU_DEP_1) | instskip(SKIP_1) | instid1(VALU_DEP_1)
	v_fmac_f32_e32 v32, v33, v32
	v_div_scale_f32 v33, vcc_lo, v18, v30, v18
	v_mul_f32_e32 v42, v33, v32
	s_delay_alu instid0(VALU_DEP_1) | instskip(NEXT) | instid1(VALU_DEP_1)
	v_fma_f32 v43, -v31, v42, v33
	v_fmac_f32_e32 v42, v43, v32
	s_delay_alu instid0(VALU_DEP_1) | instskip(NEXT) | instid1(VALU_DEP_1)
	v_fma_f32 v31, -v31, v42, v33
	v_div_fmas_f32 v31, v31, v32, v42
	s_delay_alu instid0(VALU_DEP_1)
	v_div_fixup_f32 v18, v31, v30, v18
.LBB64_53:
	s_or_b32 exec_lo, exec_lo, s10
	v_dual_lshrrev_b32 v30, 16, v6 :: v_dual_mul_f32 v6, s13, v19
	s_mov_b32 s10, exec_lo
	s_delay_alu instid0(VALU_DEP_1) | instskip(NEXT) | instid1(VALU_DEP_2)
	v_cvt_f32_f16_e32 v19, v30
	v_cmpx_nlt_f32_e32 s14, v6
	s_cbranch_execz .LBB64_55
; %bb.54:
	v_mul_f32_e32 v30, 0x3fb8aa3b, v6
	v_cmp_ngt_f32_e32 vcc_lo, 0xc2ce8ed0, v6
	s_delay_alu instid0(VALU_DEP_2) | instskip(SKIP_1) | instid1(VALU_DEP_2)
	v_rndne_f32_e32 v31, v30
	v_fma_f32 v32, 0x3fb8aa3b, v6, -v30
	v_sub_f32_e32 v30, v30, v31
	s_delay_alu instid0(VALU_DEP_2) | instskip(SKIP_1) | instid1(VALU_DEP_2)
	v_fmamk_f32 v32, v6, 0x32a5705f, v32
	v_cvt_i32_f32_e32 v31, v31
	v_add_f32_e32 v30, v30, v32
	s_delay_alu instid0(VALU_DEP_1) | instskip(SKIP_1) | instid1(TRANS32_DEP_1)
	v_exp_f32_e32 v30, v30
	v_nop
	v_ldexp_f32 v30, v30, v31
	s_delay_alu instid0(VALU_DEP_1) | instskip(SKIP_1) | instid1(VALU_DEP_2)
	v_cndmask_b32_e32 v30, 0, v30, vcc_lo
	v_cmp_nlt_f32_e32 vcc_lo, 0x42b17218, v6
	v_cndmask_b32_e32 v6, 0x7f800000, v30, vcc_lo
	s_delay_alu instid0(VALU_DEP_1) | instskip(NEXT) | instid1(VALU_DEP_1)
	v_dual_mul_f32 v19, v6, v19 :: v_dual_add_f32 v6, 1.0, v6
	v_div_scale_f32 v30, null, v6, v6, v19
	s_delay_alu instid0(VALU_DEP_1) | instskip(SKIP_1) | instid1(TRANS32_DEP_1)
	v_rcp_f32_e32 v31, v30
	v_nop
	v_fma_f32 v32, -v30, v31, 1.0
	s_delay_alu instid0(VALU_DEP_1) | instskip(SKIP_1) | instid1(VALU_DEP_1)
	v_fmac_f32_e32 v31, v32, v31
	v_div_scale_f32 v32, vcc_lo, v19, v6, v19
	v_mul_f32_e32 v33, v32, v31
	s_delay_alu instid0(VALU_DEP_1) | instskip(NEXT) | instid1(VALU_DEP_1)
	v_fma_f32 v42, -v30, v33, v32
	v_fmac_f32_e32 v33, v42, v31
	s_delay_alu instid0(VALU_DEP_1) | instskip(NEXT) | instid1(VALU_DEP_1)
	v_fma_f32 v30, -v30, v33, v32
	v_div_fmas_f32 v30, v30, v31, v33
	s_delay_alu instid0(VALU_DEP_1)
	v_div_fixup_f32 v19, v30, v6, v19
.LBB64_55:
	s_or_b32 exec_lo, exec_lo, s10
	v_mul_f32_e32 v6, s13, v20
	v_cvt_f32_f16_e32 v20, v7
	s_mov_b32 s10, exec_lo
	s_delay_alu instid0(VALU_DEP_2)
	v_cmpx_nlt_f32_e32 s14, v6
	s_cbranch_execz .LBB64_57
; %bb.56:
	v_mul_f32_e32 v30, 0x3fb8aa3b, v6
	v_cmp_ngt_f32_e32 vcc_lo, 0xc2ce8ed0, v6
	s_delay_alu instid0(VALU_DEP_2) | instskip(SKIP_1) | instid1(VALU_DEP_2)
	v_rndne_f32_e32 v31, v30
	v_fma_f32 v32, 0x3fb8aa3b, v6, -v30
	v_sub_f32_e32 v30, v30, v31
	s_delay_alu instid0(VALU_DEP_2) | instskip(SKIP_1) | instid1(VALU_DEP_2)
	v_fmamk_f32 v32, v6, 0x32a5705f, v32
	v_cvt_i32_f32_e32 v31, v31
	v_add_f32_e32 v30, v30, v32
	s_delay_alu instid0(VALU_DEP_1) | instskip(SKIP_1) | instid1(TRANS32_DEP_1)
	v_exp_f32_e32 v30, v30
	v_nop
	v_ldexp_f32 v30, v30, v31
	s_delay_alu instid0(VALU_DEP_1) | instskip(SKIP_1) | instid1(VALU_DEP_2)
	v_cndmask_b32_e32 v30, 0, v30, vcc_lo
	v_cmp_nlt_f32_e32 vcc_lo, 0x42b17218, v6
	v_cndmask_b32_e32 v6, 0x7f800000, v30, vcc_lo
	s_delay_alu instid0(VALU_DEP_1) | instskip(NEXT) | instid1(VALU_DEP_1)
	v_dual_mul_f32 v20, v6, v20 :: v_dual_add_f32 v6, 1.0, v6
	v_div_scale_f32 v30, null, v6, v6, v20
	s_delay_alu instid0(VALU_DEP_1) | instskip(SKIP_1) | instid1(TRANS32_DEP_1)
	v_rcp_f32_e32 v31, v30
	v_nop
	v_fma_f32 v32, -v30, v31, 1.0
	s_delay_alu instid0(VALU_DEP_1) | instskip(SKIP_1) | instid1(VALU_DEP_1)
	v_fmac_f32_e32 v31, v32, v31
	v_div_scale_f32 v32, vcc_lo, v20, v6, v20
	v_mul_f32_e32 v33, v32, v31
	s_delay_alu instid0(VALU_DEP_1) | instskip(NEXT) | instid1(VALU_DEP_1)
	v_fma_f32 v42, -v30, v33, v32
	v_fmac_f32_e32 v33, v42, v31
	s_delay_alu instid0(VALU_DEP_1) | instskip(NEXT) | instid1(VALU_DEP_1)
	v_fma_f32 v30, -v30, v33, v32
	v_div_fmas_f32 v30, v30, v31, v33
	s_delay_alu instid0(VALU_DEP_1)
	v_div_fixup_f32 v20, v30, v6, v20
.LBB64_57:
	s_or_b32 exec_lo, exec_lo, s10
	v_dual_mul_f32 v6, s13, v21 :: v_dual_lshrrev_b32 v7, 16, v7
	s_mov_b32 s10, exec_lo
	s_delay_alu instid0(VALU_DEP_1) | instskip(NEXT) | instid1(VALU_DEP_2)
	v_cvt_f32_f16_e32 v21, v7
	v_cmpx_nlt_f32_e32 s14, v6
	s_cbranch_execz .LBB64_59
; %bb.58:
	v_mul_f32_e32 v7, 0x3fb8aa3b, v6
	v_cmp_ngt_f32_e32 vcc_lo, 0xc2ce8ed0, v6
	s_delay_alu instid0(VALU_DEP_2) | instskip(SKIP_1) | instid1(VALU_DEP_2)
	v_rndne_f32_e32 v30, v7
	v_fma_f32 v31, 0x3fb8aa3b, v6, -v7
	v_sub_f32_e32 v7, v7, v30
	s_delay_alu instid0(VALU_DEP_2) | instskip(SKIP_1) | instid1(VALU_DEP_2)
	v_fmamk_f32 v31, v6, 0x32a5705f, v31
	v_cvt_i32_f32_e32 v30, v30
	v_add_f32_e32 v7, v7, v31
	s_delay_alu instid0(VALU_DEP_1) | instskip(SKIP_1) | instid1(TRANS32_DEP_1)
	v_exp_f32_e32 v7, v7
	v_nop
	v_ldexp_f32 v7, v7, v30
	s_delay_alu instid0(VALU_DEP_1) | instskip(SKIP_1) | instid1(VALU_DEP_2)
	v_cndmask_b32_e32 v7, 0, v7, vcc_lo
	v_cmp_nlt_f32_e32 vcc_lo, 0x42b17218, v6
	v_cndmask_b32_e32 v6, 0x7f800000, v7, vcc_lo
	s_delay_alu instid0(VALU_DEP_1) | instskip(NEXT) | instid1(VALU_DEP_1)
	v_dual_mul_f32 v7, v6, v21 :: v_dual_add_f32 v6, 1.0, v6
	v_div_scale_f32 v21, null, v6, v6, v7
	s_delay_alu instid0(VALU_DEP_1) | instskip(SKIP_1) | instid1(TRANS32_DEP_1)
	v_rcp_f32_e32 v30, v21
	v_nop
	v_fma_f32 v31, -v21, v30, 1.0
	s_delay_alu instid0(VALU_DEP_1) | instskip(SKIP_1) | instid1(VALU_DEP_1)
	v_fmac_f32_e32 v30, v31, v30
	v_div_scale_f32 v31, vcc_lo, v7, v6, v7
	v_mul_f32_e32 v32, v31, v30
	s_delay_alu instid0(VALU_DEP_1) | instskip(NEXT) | instid1(VALU_DEP_1)
	v_fma_f32 v33, -v21, v32, v31
	v_fmac_f32_e32 v32, v33, v30
	s_delay_alu instid0(VALU_DEP_1) | instskip(NEXT) | instid1(VALU_DEP_1)
	v_fma_f32 v21, -v21, v32, v31
	v_div_fmas_f32 v21, v21, v30, v32
	s_delay_alu instid0(VALU_DEP_1)
	v_div_fixup_f32 v21, v21, v6, v7
.LBB64_59:
	s_or_b32 exec_lo, exec_lo, s10
	v_mul_f32_e32 v7, s13, v10
	v_cvt_f32_f16_e32 v6, v8
	s_mov_b32 s10, exec_lo
	s_delay_alu instid0(VALU_DEP_2)
	v_cmpx_nlt_f32_e32 s14, v7
	s_cbranch_execz .LBB64_61
; %bb.60:
	v_mul_f32_e32 v10, 0x3fb8aa3b, v7
	v_cmp_ngt_f32_e32 vcc_lo, 0xc2ce8ed0, v7
	s_delay_alu instid0(VALU_DEP_2) | instskip(SKIP_1) | instid1(VALU_DEP_1)
	v_rndne_f32_e32 v30, v10
	v_fma_f32 v31, 0x3fb8aa3b, v7, -v10
	v_dual_sub_f32 v10, v10, v30 :: v_dual_fmamk_f32 v31, v7, 0x32a5705f, v31
	v_cvt_i32_f32_e32 v30, v30
	s_delay_alu instid0(VALU_DEP_2) | instskip(NEXT) | instid1(VALU_DEP_1)
	v_add_f32_e32 v10, v10, v31
	v_exp_f32_e32 v10, v10
	v_nop
	s_delay_alu instid0(TRANS32_DEP_1) | instskip(NEXT) | instid1(VALU_DEP_1)
	v_ldexp_f32 v10, v10, v30
	v_cndmask_b32_e32 v10, 0, v10, vcc_lo
	v_cmp_nlt_f32_e32 vcc_lo, 0x42b17218, v7
	s_delay_alu instid0(VALU_DEP_2) | instskip(NEXT) | instid1(VALU_DEP_1)
	v_cndmask_b32_e32 v7, 0x7f800000, v10, vcc_lo
	v_dual_mul_f32 v6, v7, v6 :: v_dual_add_f32 v7, 1.0, v7
	s_delay_alu instid0(VALU_DEP_1) | instskip(NEXT) | instid1(VALU_DEP_1)
	v_div_scale_f32 v10, null, v7, v7, v6
	v_rcp_f32_e32 v30, v10
	v_nop
	s_delay_alu instid0(TRANS32_DEP_1) | instskip(NEXT) | instid1(VALU_DEP_1)
	v_fma_f32 v31, -v10, v30, 1.0
	v_fmac_f32_e32 v30, v31, v30
	v_div_scale_f32 v31, vcc_lo, v6, v7, v6
	s_delay_alu instid0(VALU_DEP_1) | instskip(NEXT) | instid1(VALU_DEP_1)
	v_mul_f32_e32 v32, v31, v30
	v_fma_f32 v33, -v10, v32, v31
	s_delay_alu instid0(VALU_DEP_1) | instskip(NEXT) | instid1(VALU_DEP_1)
	v_fmac_f32_e32 v32, v33, v30
	v_fma_f32 v10, -v10, v32, v31
	s_delay_alu instid0(VALU_DEP_1) | instskip(NEXT) | instid1(VALU_DEP_1)
	v_div_fmas_f32 v10, v10, v30, v32
	v_div_fixup_f32 v6, v10, v7, v6
.LBB64_61:
	s_or_b32 exec_lo, exec_lo, s10
	v_dual_mul_f32 v8, s13, v11 :: v_dual_lshrrev_b32 v7, 16, v8
	s_mov_b32 s10, exec_lo
	s_delay_alu instid0(VALU_DEP_1) | instskip(NEXT) | instid1(VALU_DEP_2)
	v_cvt_f32_f16_e32 v7, v7
	v_cmpx_nlt_f32_e32 s14, v8
	s_cbranch_execz .LBB64_63
; %bb.62:
	v_mul_f32_e32 v10, 0x3fb8aa3b, v8
	v_cmp_ngt_f32_e32 vcc_lo, 0xc2ce8ed0, v8
	s_delay_alu instid0(VALU_DEP_2) | instskip(SKIP_1) | instid1(VALU_DEP_2)
	v_rndne_f32_e32 v11, v10
	v_fma_f32 v30, 0x3fb8aa3b, v8, -v10
	v_sub_f32_e32 v10, v10, v11
	s_delay_alu instid0(VALU_DEP_2) | instskip(SKIP_1) | instid1(VALU_DEP_2)
	v_fmamk_f32 v30, v8, 0x32a5705f, v30
	v_cvt_i32_f32_e32 v11, v11
	v_add_f32_e32 v10, v10, v30
	s_delay_alu instid0(VALU_DEP_1) | instskip(SKIP_1) | instid1(TRANS32_DEP_1)
	v_exp_f32_e32 v10, v10
	v_nop
	v_ldexp_f32 v10, v10, v11
	s_delay_alu instid0(VALU_DEP_1) | instskip(SKIP_1) | instid1(VALU_DEP_2)
	v_cndmask_b32_e32 v10, 0, v10, vcc_lo
	v_cmp_nlt_f32_e32 vcc_lo, 0x42b17218, v8
	v_cndmask_b32_e32 v8, 0x7f800000, v10, vcc_lo
	s_delay_alu instid0(VALU_DEP_1) | instskip(NEXT) | instid1(VALU_DEP_1)
	v_dual_mul_f32 v7, v8, v7 :: v_dual_add_f32 v8, 1.0, v8
	v_div_scale_f32 v10, null, v8, v8, v7
	s_delay_alu instid0(VALU_DEP_1) | instskip(SKIP_1) | instid1(TRANS32_DEP_1)
	v_rcp_f32_e32 v11, v10
	v_nop
	v_fma_f32 v30, -v10, v11, 1.0
	s_delay_alu instid0(VALU_DEP_1) | instskip(SKIP_1) | instid1(VALU_DEP_1)
	v_fmac_f32_e32 v11, v30, v11
	v_div_scale_f32 v30, vcc_lo, v7, v8, v7
	v_mul_f32_e32 v31, v30, v11
	s_delay_alu instid0(VALU_DEP_1) | instskip(NEXT) | instid1(VALU_DEP_1)
	v_fma_f32 v32, -v10, v31, v30
	v_fmac_f32_e32 v31, v32, v11
	s_delay_alu instid0(VALU_DEP_1) | instskip(NEXT) | instid1(VALU_DEP_1)
	v_fma_f32 v10, -v10, v31, v30
	v_div_fmas_f32 v10, v10, v11, v31
	s_delay_alu instid0(VALU_DEP_1)
	v_div_fixup_f32 v7, v10, v8, v7
.LBB64_63:
	s_or_b32 exec_lo, exec_lo, s10
	v_mul_f32_e32 v10, s13, v12
	v_cvt_f32_f16_e32 v8, v9
	s_mov_b32 s10, exec_lo
	s_delay_alu instid0(VALU_DEP_2)
	v_cmpx_nlt_f32_e32 s14, v10
	s_cbranch_execz .LBB64_65
; %bb.64:
	v_mul_f32_e32 v11, 0x3fb8aa3b, v10
	v_cmp_ngt_f32_e32 vcc_lo, 0xc2ce8ed0, v10
	s_delay_alu instid0(VALU_DEP_2) | instskip(SKIP_1) | instid1(VALU_DEP_1)
	v_rndne_f32_e32 v12, v11
	v_fma_f32 v30, 0x3fb8aa3b, v10, -v11
	v_dual_sub_f32 v11, v11, v12 :: v_dual_fmamk_f32 v30, v10, 0x32a5705f, v30
	v_cvt_i32_f32_e32 v12, v12
	s_delay_alu instid0(VALU_DEP_2) | instskip(NEXT) | instid1(VALU_DEP_1)
	v_add_f32_e32 v11, v11, v30
	v_exp_f32_e32 v11, v11
	v_nop
	s_delay_alu instid0(TRANS32_DEP_1) | instskip(NEXT) | instid1(VALU_DEP_1)
	v_ldexp_f32 v11, v11, v12
	v_cndmask_b32_e32 v11, 0, v11, vcc_lo
	v_cmp_nlt_f32_e32 vcc_lo, 0x42b17218, v10
	s_delay_alu instid0(VALU_DEP_2) | instskip(NEXT) | instid1(VALU_DEP_1)
	v_cndmask_b32_e32 v10, 0x7f800000, v11, vcc_lo
	v_dual_mul_f32 v8, v10, v8 :: v_dual_add_f32 v10, 1.0, v10
	s_delay_alu instid0(VALU_DEP_1) | instskip(NEXT) | instid1(VALU_DEP_1)
	v_div_scale_f32 v11, null, v10, v10, v8
	v_rcp_f32_e32 v12, v11
	v_nop
	s_delay_alu instid0(TRANS32_DEP_1) | instskip(NEXT) | instid1(VALU_DEP_1)
	v_fma_f32 v30, -v11, v12, 1.0
	v_fmac_f32_e32 v12, v30, v12
	v_div_scale_f32 v30, vcc_lo, v8, v10, v8
	s_delay_alu instid0(VALU_DEP_1) | instskip(NEXT) | instid1(VALU_DEP_1)
	v_mul_f32_e32 v31, v30, v12
	v_fma_f32 v32, -v11, v31, v30
	s_delay_alu instid0(VALU_DEP_1) | instskip(NEXT) | instid1(VALU_DEP_1)
	v_fmac_f32_e32 v31, v32, v12
	v_fma_f32 v11, -v11, v31, v30
	s_delay_alu instid0(VALU_DEP_1) | instskip(NEXT) | instid1(VALU_DEP_1)
	v_div_fmas_f32 v11, v11, v12, v31
	v_div_fixup_f32 v8, v11, v10, v8
.LBB64_65:
	s_or_b32 exec_lo, exec_lo, s10
	v_lshrrev_b32_e32 v9, 16, v9
	v_mul_f32_e32 v10, s13, v13
	s_mov_b32 s10, exec_lo
	s_delay_alu instid0(VALU_DEP_2) | instskip(NEXT) | instid1(VALU_DEP_2)
	v_cvt_f32_f16_e32 v9, v9
	v_cmpx_nlt_f32_e32 s14, v10
	s_cbranch_execz .LBB64_67
; %bb.66:
	v_mul_f32_e32 v11, 0x3fb8aa3b, v10
	v_cmp_ngt_f32_e32 vcc_lo, 0xc2ce8ed0, v10
	s_delay_alu instid0(VALU_DEP_2) | instskip(SKIP_1) | instid1(VALU_DEP_2)
	v_rndne_f32_e32 v12, v11
	v_fma_f32 v13, 0x3fb8aa3b, v10, -v11
	v_sub_f32_e32 v11, v11, v12
	s_delay_alu instid0(VALU_DEP_2) | instskip(SKIP_1) | instid1(VALU_DEP_2)
	v_fmamk_f32 v13, v10, 0x32a5705f, v13
	v_cvt_i32_f32_e32 v12, v12
	v_add_f32_e32 v11, v11, v13
	s_delay_alu instid0(VALU_DEP_1) | instskip(SKIP_1) | instid1(TRANS32_DEP_1)
	v_exp_f32_e32 v11, v11
	v_nop
	v_ldexp_f32 v11, v11, v12
	s_delay_alu instid0(VALU_DEP_1) | instskip(SKIP_1) | instid1(VALU_DEP_2)
	v_cndmask_b32_e32 v11, 0, v11, vcc_lo
	v_cmp_nlt_f32_e32 vcc_lo, 0x42b17218, v10
	v_cndmask_b32_e32 v10, 0x7f800000, v11, vcc_lo
	s_delay_alu instid0(VALU_DEP_1) | instskip(NEXT) | instid1(VALU_DEP_1)
	v_dual_mul_f32 v9, v10, v9 :: v_dual_add_f32 v10, 1.0, v10
	v_div_scale_f32 v11, null, v10, v10, v9
	s_delay_alu instid0(VALU_DEP_1) | instskip(SKIP_1) | instid1(TRANS32_DEP_1)
	v_rcp_f32_e32 v12, v11
	v_nop
	v_fma_f32 v13, -v11, v12, 1.0
	s_delay_alu instid0(VALU_DEP_1) | instskip(SKIP_1) | instid1(VALU_DEP_1)
	v_fmac_f32_e32 v12, v13, v12
	v_div_scale_f32 v13, vcc_lo, v9, v10, v9
	v_mul_f32_e32 v30, v13, v12
	s_delay_alu instid0(VALU_DEP_1) | instskip(NEXT) | instid1(VALU_DEP_1)
	v_fma_f32 v31, -v11, v30, v13
	v_fmac_f32_e32 v30, v31, v12
	s_delay_alu instid0(VALU_DEP_1) | instskip(NEXT) | instid1(VALU_DEP_1)
	v_fma_f32 v11, -v11, v30, v13
	v_div_fmas_f32 v11, v11, v12, v30
	s_delay_alu instid0(VALU_DEP_1)
	v_div_fixup_f32 v9, v11, v10, v9
.LBB64_67:
	s_or_b32 exec_lo, exec_lo, s10
	s_add_nc_u64 s[10:11], s[4:5], s[8:9]
	s_clause 0x7
	global_store_b128 v1, v[2:5], s[10:11]
	global_store_b128 v1, v[14:17], s[10:11] offset:16
	global_store_b128 v1, v[22:25], s[10:11] offset:16384
	;; [unrolled: 1-line block ×7, first 2 shown]
	s_branch .LBB64_2
.LBB64_68:
	s_wait_xcnt 0x0
	s_clause 0x1
	s_load_b32 s10, s[0:1], 0x2c
	s_load_b128 s[16:19], s[0:1], 0x30
	v_dual_mov_b32 v31, v0 :: v_dual_mov_b32 v0, s13
	v_dual_mov_b32 v1, s14 :: v_dual_mov_b32 v2, s4
	;; [unrolled: 1-line block ×5, first 2 shown]
	s_add_nc_u64 s[8:9], s[0:1], 64
	s_wait_xcnt 0x0
	s_get_pc_i64 s[0:1]
	s_add_nc_u64 s[0:1], s[0:1], _ZN2at6native25elementwise_kernel_helperILb1EZZZNS0_12_GLOBAL__N_124softplus_backward_kernelERNS_18TensorIteratorBaseERKN3c106ScalarES8_ENKUlvE_clEvENKUlvE0_clEvEUlffE_NS0_6memory8policies11unroll_baseILi512ESt5arrayIPcLm3EE23TrivialOffsetCalculatorILi2EjESI_ILi1EjENSC_12LoadWithCastILi2EEENSC_13StoreWithCastILi1EEELi32ELi1EEEEEvT0_T1_@rel64+4
	s_wait_kmcnt 0x0
	s_bfe_u32 s11, s10, 0x80008
	v_dual_mov_b32 v9, s10 :: v_dual_mov_b32 v11, s16
	v_dual_mov_b32 v12, s17 :: v_dual_mov_b32 v13, s18
	;; [unrolled: 1-line block ×3, first 2 shown]
	s_swap_pc_i64 s[30:31], s[0:1]
	s_endpgm
	.section	.rodata,"a",@progbits
	.p2align	6, 0x0
	.amdhsa_kernel _ZN2at6native39vectorized_templated_elementwise_kernelILi8EZZZNS0_12_GLOBAL__N_124softplus_backward_kernelERNS_18TensorIteratorBaseERKN3c106ScalarES8_ENKUlvE_clEvENKUlvE0_clEvEUlffE_St5arrayIPcLm3EE23TrivialOffsetCalculatorILi2EjESF_ILi1EjENS0_6memory12LoadWithCastILi2EEENSI_13StoreWithCastILi1EEEfJNS5_4HalfEfEEEviT0_T1_T2_T3_T4_T5_
		.amdhsa_group_segment_fixed_size 0
		.amdhsa_private_segment_fixed_size 272
		.amdhsa_kernarg_size 320
		.amdhsa_user_sgpr_count 2
		.amdhsa_user_sgpr_dispatch_ptr 0
		.amdhsa_user_sgpr_queue_ptr 0
		.amdhsa_user_sgpr_kernarg_segment_ptr 1
		.amdhsa_user_sgpr_dispatch_id 0
		.amdhsa_user_sgpr_kernarg_preload_length 0
		.amdhsa_user_sgpr_kernarg_preload_offset 0
		.amdhsa_user_sgpr_private_segment_size 0
		.amdhsa_wavefront_size32 1
		.amdhsa_uses_dynamic_stack 0
		.amdhsa_enable_private_segment 1
		.amdhsa_system_sgpr_workgroup_id_x 1
		.amdhsa_system_sgpr_workgroup_id_y 0
		.amdhsa_system_sgpr_workgroup_id_z 0
		.amdhsa_system_sgpr_workgroup_info 0
		.amdhsa_system_vgpr_workitem_id 0
		.amdhsa_next_free_vgpr 132
		.amdhsa_next_free_sgpr 96
		.amdhsa_named_barrier_count 0
		.amdhsa_reserve_vcc 1
		.amdhsa_float_round_mode_32 0
		.amdhsa_float_round_mode_16_64 0
		.amdhsa_float_denorm_mode_32 3
		.amdhsa_float_denorm_mode_16_64 3
		.amdhsa_fp16_overflow 0
		.amdhsa_memory_ordered 1
		.amdhsa_forward_progress 1
		.amdhsa_inst_pref_size 66
		.amdhsa_round_robin_scheduling 0
		.amdhsa_exception_fp_ieee_invalid_op 0
		.amdhsa_exception_fp_denorm_src 0
		.amdhsa_exception_fp_ieee_div_zero 0
		.amdhsa_exception_fp_ieee_overflow 0
		.amdhsa_exception_fp_ieee_underflow 0
		.amdhsa_exception_fp_ieee_inexact 0
		.amdhsa_exception_int_div_zero 0
	.end_amdhsa_kernel
	.section	.text._ZN2at6native39vectorized_templated_elementwise_kernelILi8EZZZNS0_12_GLOBAL__N_124softplus_backward_kernelERNS_18TensorIteratorBaseERKN3c106ScalarES8_ENKUlvE_clEvENKUlvE0_clEvEUlffE_St5arrayIPcLm3EE23TrivialOffsetCalculatorILi2EjESF_ILi1EjENS0_6memory12LoadWithCastILi2EEENSI_13StoreWithCastILi1EEEfJNS5_4HalfEfEEEviT0_T1_T2_T3_T4_T5_,"axG",@progbits,_ZN2at6native39vectorized_templated_elementwise_kernelILi8EZZZNS0_12_GLOBAL__N_124softplus_backward_kernelERNS_18TensorIteratorBaseERKN3c106ScalarES8_ENKUlvE_clEvENKUlvE0_clEvEUlffE_St5arrayIPcLm3EE23TrivialOffsetCalculatorILi2EjESF_ILi1EjENS0_6memory12LoadWithCastILi2EEENSI_13StoreWithCastILi1EEEfJNS5_4HalfEfEEEviT0_T1_T2_T3_T4_T5_,comdat
.Lfunc_end64:
	.size	_ZN2at6native39vectorized_templated_elementwise_kernelILi8EZZZNS0_12_GLOBAL__N_124softplus_backward_kernelERNS_18TensorIteratorBaseERKN3c106ScalarES8_ENKUlvE_clEvENKUlvE0_clEvEUlffE_St5arrayIPcLm3EE23TrivialOffsetCalculatorILi2EjESF_ILi1EjENS0_6memory12LoadWithCastILi2EEENSI_13StoreWithCastILi1EEEfJNS5_4HalfEfEEEviT0_T1_T2_T3_T4_T5_, .Lfunc_end64-_ZN2at6native39vectorized_templated_elementwise_kernelILi8EZZZNS0_12_GLOBAL__N_124softplus_backward_kernelERNS_18TensorIteratorBaseERKN3c106ScalarES8_ENKUlvE_clEvENKUlvE0_clEvEUlffE_St5arrayIPcLm3EE23TrivialOffsetCalculatorILi2EjESF_ILi1EjENS0_6memory12LoadWithCastILi2EEENSI_13StoreWithCastILi1EEEfJNS5_4HalfEfEEEviT0_T1_T2_T3_T4_T5_
                                        ; -- End function
	.set _ZN2at6native39vectorized_templated_elementwise_kernelILi8EZZZNS0_12_GLOBAL__N_124softplus_backward_kernelERNS_18TensorIteratorBaseERKN3c106ScalarES8_ENKUlvE_clEvENKUlvE0_clEvEUlffE_St5arrayIPcLm3EE23TrivialOffsetCalculatorILi2EjESF_ILi1EjENS0_6memory12LoadWithCastILi2EEENSI_13StoreWithCastILi1EEEfJNS5_4HalfEfEEEviT0_T1_T2_T3_T4_T5_.num_vgpr, max(56, .L_ZN2at6native25elementwise_kernel_helperILb1EZZZNS0_12_GLOBAL__N_124softplus_backward_kernelERNS_18TensorIteratorBaseERKN3c106ScalarES8_ENKUlvE_clEvENKUlvE0_clEvEUlffE_NS0_6memory8policies11unroll_baseILi512ESt5arrayIPcLm3EE23TrivialOffsetCalculatorILi2EjESI_ILi1EjENSC_12LoadWithCastILi2EEENSC_13StoreWithCastILi1EEELi32ELi1EEEEEvT0_T1_.num_vgpr)
	.set _ZN2at6native39vectorized_templated_elementwise_kernelILi8EZZZNS0_12_GLOBAL__N_124softplus_backward_kernelERNS_18TensorIteratorBaseERKN3c106ScalarES8_ENKUlvE_clEvENKUlvE0_clEvEUlffE_St5arrayIPcLm3EE23TrivialOffsetCalculatorILi2EjESF_ILi1EjENS0_6memory12LoadWithCastILi2EEENSI_13StoreWithCastILi1EEEfJNS5_4HalfEfEEEviT0_T1_T2_T3_T4_T5_.num_agpr, max(0, .L_ZN2at6native25elementwise_kernel_helperILb1EZZZNS0_12_GLOBAL__N_124softplus_backward_kernelERNS_18TensorIteratorBaseERKN3c106ScalarES8_ENKUlvE_clEvENKUlvE0_clEvEUlffE_NS0_6memory8policies11unroll_baseILi512ESt5arrayIPcLm3EE23TrivialOffsetCalculatorILi2EjESI_ILi1EjENSC_12LoadWithCastILi2EEENSC_13StoreWithCastILi1EEELi32ELi1EEEEEvT0_T1_.num_agpr)
	.set _ZN2at6native39vectorized_templated_elementwise_kernelILi8EZZZNS0_12_GLOBAL__N_124softplus_backward_kernelERNS_18TensorIteratorBaseERKN3c106ScalarES8_ENKUlvE_clEvENKUlvE0_clEvEUlffE_St5arrayIPcLm3EE23TrivialOffsetCalculatorILi2EjESF_ILi1EjENS0_6memory12LoadWithCastILi2EEENSI_13StoreWithCastILi1EEEfJNS5_4HalfEfEEEviT0_T1_T2_T3_T4_T5_.numbered_sgpr, max(33, .L_ZN2at6native25elementwise_kernel_helperILb1EZZZNS0_12_GLOBAL__N_124softplus_backward_kernelERNS_18TensorIteratorBaseERKN3c106ScalarES8_ENKUlvE_clEvENKUlvE0_clEvEUlffE_NS0_6memory8policies11unroll_baseILi512ESt5arrayIPcLm3EE23TrivialOffsetCalculatorILi2EjESI_ILi1EjENSC_12LoadWithCastILi2EEENSC_13StoreWithCastILi1EEELi32ELi1EEEEEvT0_T1_.numbered_sgpr)
	.set _ZN2at6native39vectorized_templated_elementwise_kernelILi8EZZZNS0_12_GLOBAL__N_124softplus_backward_kernelERNS_18TensorIteratorBaseERKN3c106ScalarES8_ENKUlvE_clEvENKUlvE0_clEvEUlffE_St5arrayIPcLm3EE23TrivialOffsetCalculatorILi2EjESF_ILi1EjENS0_6memory12LoadWithCastILi2EEENSI_13StoreWithCastILi1EEEfJNS5_4HalfEfEEEviT0_T1_T2_T3_T4_T5_.num_named_barrier, max(0, .L_ZN2at6native25elementwise_kernel_helperILb1EZZZNS0_12_GLOBAL__N_124softplus_backward_kernelERNS_18TensorIteratorBaseERKN3c106ScalarES8_ENKUlvE_clEvENKUlvE0_clEvEUlffE_NS0_6memory8policies11unroll_baseILi512ESt5arrayIPcLm3EE23TrivialOffsetCalculatorILi2EjESI_ILi1EjENSC_12LoadWithCastILi2EEENSC_13StoreWithCastILi1EEELi32ELi1EEEEEvT0_T1_.num_named_barrier)
	.set _ZN2at6native39vectorized_templated_elementwise_kernelILi8EZZZNS0_12_GLOBAL__N_124softplus_backward_kernelERNS_18TensorIteratorBaseERKN3c106ScalarES8_ENKUlvE_clEvENKUlvE0_clEvEUlffE_St5arrayIPcLm3EE23TrivialOffsetCalculatorILi2EjESF_ILi1EjENS0_6memory12LoadWithCastILi2EEENSI_13StoreWithCastILi1EEEfJNS5_4HalfEfEEEviT0_T1_T2_T3_T4_T5_.private_seg_size, 0+max(.L_ZN2at6native25elementwise_kernel_helperILb1EZZZNS0_12_GLOBAL__N_124softplus_backward_kernelERNS_18TensorIteratorBaseERKN3c106ScalarES8_ENKUlvE_clEvENKUlvE0_clEvEUlffE_NS0_6memory8policies11unroll_baseILi512ESt5arrayIPcLm3EE23TrivialOffsetCalculatorILi2EjESI_ILi1EjENSC_12LoadWithCastILi2EEENSC_13StoreWithCastILi1EEELi32ELi1EEEEEvT0_T1_.private_seg_size)
	.set _ZN2at6native39vectorized_templated_elementwise_kernelILi8EZZZNS0_12_GLOBAL__N_124softplus_backward_kernelERNS_18TensorIteratorBaseERKN3c106ScalarES8_ENKUlvE_clEvENKUlvE0_clEvEUlffE_St5arrayIPcLm3EE23TrivialOffsetCalculatorILi2EjESF_ILi1EjENS0_6memory12LoadWithCastILi2EEENSI_13StoreWithCastILi1EEEfJNS5_4HalfEfEEEviT0_T1_T2_T3_T4_T5_.uses_vcc, or(1, .L_ZN2at6native25elementwise_kernel_helperILb1EZZZNS0_12_GLOBAL__N_124softplus_backward_kernelERNS_18TensorIteratorBaseERKN3c106ScalarES8_ENKUlvE_clEvENKUlvE0_clEvEUlffE_NS0_6memory8policies11unroll_baseILi512ESt5arrayIPcLm3EE23TrivialOffsetCalculatorILi2EjESI_ILi1EjENSC_12LoadWithCastILi2EEENSC_13StoreWithCastILi1EEELi32ELi1EEEEEvT0_T1_.uses_vcc)
	.set _ZN2at6native39vectorized_templated_elementwise_kernelILi8EZZZNS0_12_GLOBAL__N_124softplus_backward_kernelERNS_18TensorIteratorBaseERKN3c106ScalarES8_ENKUlvE_clEvENKUlvE0_clEvEUlffE_St5arrayIPcLm3EE23TrivialOffsetCalculatorILi2EjESF_ILi1EjENS0_6memory12LoadWithCastILi2EEENSI_13StoreWithCastILi1EEEfJNS5_4HalfEfEEEviT0_T1_T2_T3_T4_T5_.uses_flat_scratch, or(0, .L_ZN2at6native25elementwise_kernel_helperILb1EZZZNS0_12_GLOBAL__N_124softplus_backward_kernelERNS_18TensorIteratorBaseERKN3c106ScalarES8_ENKUlvE_clEvENKUlvE0_clEvEUlffE_NS0_6memory8policies11unroll_baseILi512ESt5arrayIPcLm3EE23TrivialOffsetCalculatorILi2EjESI_ILi1EjENSC_12LoadWithCastILi2EEENSC_13StoreWithCastILi1EEELi32ELi1EEEEEvT0_T1_.uses_flat_scratch)
	.set _ZN2at6native39vectorized_templated_elementwise_kernelILi8EZZZNS0_12_GLOBAL__N_124softplus_backward_kernelERNS_18TensorIteratorBaseERKN3c106ScalarES8_ENKUlvE_clEvENKUlvE0_clEvEUlffE_St5arrayIPcLm3EE23TrivialOffsetCalculatorILi2EjESF_ILi1EjENS0_6memory12LoadWithCastILi2EEENSI_13StoreWithCastILi1EEEfJNS5_4HalfEfEEEviT0_T1_T2_T3_T4_T5_.has_dyn_sized_stack, or(0, .L_ZN2at6native25elementwise_kernel_helperILb1EZZZNS0_12_GLOBAL__N_124softplus_backward_kernelERNS_18TensorIteratorBaseERKN3c106ScalarES8_ENKUlvE_clEvENKUlvE0_clEvEUlffE_NS0_6memory8policies11unroll_baseILi512ESt5arrayIPcLm3EE23TrivialOffsetCalculatorILi2EjESI_ILi1EjENSC_12LoadWithCastILi2EEENSC_13StoreWithCastILi1EEELi32ELi1EEEEEvT0_T1_.has_dyn_sized_stack)
	.set _ZN2at6native39vectorized_templated_elementwise_kernelILi8EZZZNS0_12_GLOBAL__N_124softplus_backward_kernelERNS_18TensorIteratorBaseERKN3c106ScalarES8_ENKUlvE_clEvENKUlvE0_clEvEUlffE_St5arrayIPcLm3EE23TrivialOffsetCalculatorILi2EjESF_ILi1EjENS0_6memory12LoadWithCastILi2EEENSI_13StoreWithCastILi1EEEfJNS5_4HalfEfEEEviT0_T1_T2_T3_T4_T5_.has_recursion, or(0, .L_ZN2at6native25elementwise_kernel_helperILb1EZZZNS0_12_GLOBAL__N_124softplus_backward_kernelERNS_18TensorIteratorBaseERKN3c106ScalarES8_ENKUlvE_clEvENKUlvE0_clEvEUlffE_NS0_6memory8policies11unroll_baseILi512ESt5arrayIPcLm3EE23TrivialOffsetCalculatorILi2EjESI_ILi1EjENSC_12LoadWithCastILi2EEENSC_13StoreWithCastILi1EEELi32ELi1EEEEEvT0_T1_.has_recursion)
	.set _ZN2at6native39vectorized_templated_elementwise_kernelILi8EZZZNS0_12_GLOBAL__N_124softplus_backward_kernelERNS_18TensorIteratorBaseERKN3c106ScalarES8_ENKUlvE_clEvENKUlvE0_clEvEUlffE_St5arrayIPcLm3EE23TrivialOffsetCalculatorILi2EjESF_ILi1EjENS0_6memory12LoadWithCastILi2EEENSI_13StoreWithCastILi1EEEfJNS5_4HalfEfEEEviT0_T1_T2_T3_T4_T5_.has_indirect_call, or(0, .L_ZN2at6native25elementwise_kernel_helperILb1EZZZNS0_12_GLOBAL__N_124softplus_backward_kernelERNS_18TensorIteratorBaseERKN3c106ScalarES8_ENKUlvE_clEvENKUlvE0_clEvEUlffE_NS0_6memory8policies11unroll_baseILi512ESt5arrayIPcLm3EE23TrivialOffsetCalculatorILi2EjESI_ILi1EjENSC_12LoadWithCastILi2EEENSC_13StoreWithCastILi1EEELi32ELi1EEEEEvT0_T1_.has_indirect_call)
	.section	.AMDGPU.csdata,"",@progbits
; Kernel info:
; codeLenInByte = 8352
; TotalNumSgprs: 98
; NumVgprs: 132
; ScratchSize: 272
; MemoryBound: 0
; FloatMode: 240
; IeeeMode: 1
; LDSByteSize: 0 bytes/workgroup (compile time only)
; SGPRBlocks: 0
; VGPRBlocks: 8
; NumSGPRsForWavesPerEU: 98
; NumVGPRsForWavesPerEU: 132
; NamedBarCnt: 0
; Occupancy: 7
; WaveLimiterHint : 1
; COMPUTE_PGM_RSRC2:SCRATCH_EN: 1
; COMPUTE_PGM_RSRC2:USER_SGPR: 2
; COMPUTE_PGM_RSRC2:TRAP_HANDLER: 0
; COMPUTE_PGM_RSRC2:TGID_X_EN: 1
; COMPUTE_PGM_RSRC2:TGID_Y_EN: 0
; COMPUTE_PGM_RSRC2:TGID_Z_EN: 0
; COMPUTE_PGM_RSRC2:TIDIG_COMP_CNT: 0
	.section	.text._ZN2at6native39vectorized_templated_elementwise_kernelILi4EZZZNS0_12_GLOBAL__N_124softplus_backward_kernelERNS_18TensorIteratorBaseERKN3c106ScalarES8_ENKUlvE_clEvENKUlvE0_clEvEUlffE_St5arrayIPcLm3EE23TrivialOffsetCalculatorILi2EjESF_ILi1EjENS0_6memory12LoadWithCastILi2EEENSI_13StoreWithCastILi1EEEfJNS5_4HalfEfEEEviT0_T1_T2_T3_T4_T5_,"axG",@progbits,_ZN2at6native39vectorized_templated_elementwise_kernelILi4EZZZNS0_12_GLOBAL__N_124softplus_backward_kernelERNS_18TensorIteratorBaseERKN3c106ScalarES8_ENKUlvE_clEvENKUlvE0_clEvEUlffE_St5arrayIPcLm3EE23TrivialOffsetCalculatorILi2EjESF_ILi1EjENS0_6memory12LoadWithCastILi2EEENSI_13StoreWithCastILi1EEEfJNS5_4HalfEfEEEviT0_T1_T2_T3_T4_T5_,comdat
	.globl	_ZN2at6native39vectorized_templated_elementwise_kernelILi4EZZZNS0_12_GLOBAL__N_124softplus_backward_kernelERNS_18TensorIteratorBaseERKN3c106ScalarES8_ENKUlvE_clEvENKUlvE0_clEvEUlffE_St5arrayIPcLm3EE23TrivialOffsetCalculatorILi2EjESF_ILi1EjENS0_6memory12LoadWithCastILi2EEENSI_13StoreWithCastILi1EEEfJNS5_4HalfEfEEEviT0_T1_T2_T3_T4_T5_ ; -- Begin function _ZN2at6native39vectorized_templated_elementwise_kernelILi4EZZZNS0_12_GLOBAL__N_124softplus_backward_kernelERNS_18TensorIteratorBaseERKN3c106ScalarES8_ENKUlvE_clEvENKUlvE0_clEvEUlffE_St5arrayIPcLm3EE23TrivialOffsetCalculatorILi2EjESF_ILi1EjENS0_6memory12LoadWithCastILi2EEENSI_13StoreWithCastILi1EEEfJNS5_4HalfEfEEEviT0_T1_T2_T3_T4_T5_
	.p2align	8
	.type	_ZN2at6native39vectorized_templated_elementwise_kernelILi4EZZZNS0_12_GLOBAL__N_124softplus_backward_kernelERNS_18TensorIteratorBaseERKN3c106ScalarES8_ENKUlvE_clEvENKUlvE0_clEvEUlffE_St5arrayIPcLm3EE23TrivialOffsetCalculatorILi2EjESF_ILi1EjENS0_6memory12LoadWithCastILi2EEENSI_13StoreWithCastILi1EEEfJNS5_4HalfEfEEEviT0_T1_T2_T3_T4_T5_,@function
_ZN2at6native39vectorized_templated_elementwise_kernelILi4EZZZNS0_12_GLOBAL__N_124softplus_backward_kernelERNS_18TensorIteratorBaseERKN3c106ScalarES8_ENKUlvE_clEvENKUlvE0_clEvEUlffE_St5arrayIPcLm3EE23TrivialOffsetCalculatorILi2EjESF_ILi1EjENS0_6memory12LoadWithCastILi2EEENSI_13StoreWithCastILi1EEEfJNS5_4HalfEfEEEviT0_T1_T2_T3_T4_T5_: ; @_ZN2at6native39vectorized_templated_elementwise_kernelILi4EZZZNS0_12_GLOBAL__N_124softplus_backward_kernelERNS_18TensorIteratorBaseERKN3c106ScalarES8_ENKUlvE_clEvENKUlvE0_clEvEUlffE_St5arrayIPcLm3EE23TrivialOffsetCalculatorILi2EjESF_ILi1EjENS0_6memory12LoadWithCastILi2EEENSI_13StoreWithCastILi1EEEfJNS5_4HalfEfEEEviT0_T1_T2_T3_T4_T5_
; %bb.0:
	s_clause 0x2
	s_load_b32 s8, s[0:1], 0x40
	s_load_b96 s[12:14], s[0:1], 0x0
	s_load_b64 s[2:3], s[0:1], 0x20
	s_bfe_u32 s9, ttmp6, 0x4000c
	s_load_b128 s[4:7], s[0:1], 0x10
	s_add_co_i32 s9, s9, 1
	s_and_b32 s10, ttmp6, 15
	s_mul_i32 s9, ttmp9, s9
	s_getreg_b32 s11, hwreg(HW_REG_IB_STS2, 6, 4)
	s_add_co_i32 s10, s10, s9
	s_cmp_eq_u32 s11, 0
	s_mov_b32 s32, 0
	s_cselect_b32 s9, ttmp9, s10
	s_delay_alu instid0(SALU_CYCLE_1) | instskip(SKIP_4) | instid1(SALU_CYCLE_1)
	s_not_b32 s9, s9
	s_wait_kmcnt 0x0
	s_add_co_i32 s8, s8, s9
	s_mov_b32 s9, -1
	s_lshl_b32 s8, s8, 14
	s_sub_co_i32 s10, s12, s8
	s_delay_alu instid0(SALU_CYCLE_1)
	s_cmp_gt_i32 s10, 0x3fff
	s_cbranch_scc1 .LBB65_3
; %bb.1:
	s_and_b32 vcc_lo, exec_lo, s9
	s_cbranch_vccnz .LBB65_68
.LBB65_2:
	s_sendmsg sendmsg(MSG_DEALLOC_VGPRS)
	s_endpgm
.LBB65_3:
	s_ashr_i32 s9, s8, 31
	s_mov_b32 s11, exec_lo
	s_lshl_b64 s[16:17], s[8:9], 1
	s_lshl_b64 s[8:9], s[8:9], 2
	s_add_nc_u64 s[16:17], s[6:7], s[16:17]
	s_add_nc_u64 s[18:19], s[2:3], s[8:9]
	s_clause 0xf
	global_load_b64 v[48:49], v0, s[16:17] scale_offset
	global_load_b64 v[46:47], v0, s[16:17] offset:4096 scale_offset
	global_load_b64 v[44:45], v0, s[16:17] offset:8192 scale_offset
	;; [unrolled: 1-line block ×3, first 2 shown]
	global_load_b128 v[2:5], v0, s[18:19] scale_offset
	global_load_b64 v[40:41], v0, s[16:17] offset:16384 scale_offset
	global_load_b64 v[38:39], v0, s[16:17] offset:20480 scale_offset
	;; [unrolled: 1-line block ×4, first 2 shown]
	global_load_b128 v[10:13], v0, s[18:19] offset:8192 scale_offset
	global_load_b128 v[18:21], v0, s[18:19] offset:16384 scale_offset
	;; [unrolled: 1-line block ×6, first 2 shown]
	; meta instruction
	global_load_b128 v[6:9], v0, s[18:19] offset:57344 scale_offset
	s_wait_loadcnt 0xb
	v_mul_f32_e32 v1, s13, v2
	v_cvt_f32_f16_e32 v2, v48
	s_wait_xcnt 0x0
	s_delay_alu instid0(VALU_DEP_2)
	v_cmpx_nlt_f32_e32 s14, v1
	s_cbranch_execz .LBB65_5
; %bb.4:
	v_mul_f32_e32 v50, 0x3fb8aa3b, v1
	v_cmp_ngt_f32_e32 vcc_lo, 0xc2ce8ed0, v1
	s_delay_alu instid0(VALU_DEP_2) | instskip(SKIP_1) | instid1(VALU_DEP_2)
	v_rndne_f32_e32 v51, v50
	v_fma_f32 v52, 0x3fb8aa3b, v1, -v50
	v_sub_f32_e32 v50, v50, v51
	s_delay_alu instid0(VALU_DEP_2) | instskip(SKIP_1) | instid1(VALU_DEP_2)
	v_fmamk_f32 v52, v1, 0x32a5705f, v52
	v_cvt_i32_f32_e32 v51, v51
	v_add_f32_e32 v50, v50, v52
	s_delay_alu instid0(VALU_DEP_1) | instskip(SKIP_1) | instid1(TRANS32_DEP_1)
	v_exp_f32_e32 v50, v50
	v_nop
	v_ldexp_f32 v50, v50, v51
	s_delay_alu instid0(VALU_DEP_1) | instskip(SKIP_1) | instid1(VALU_DEP_2)
	v_cndmask_b32_e32 v50, 0, v50, vcc_lo
	v_cmp_nlt_f32_e32 vcc_lo, 0x42b17218, v1
	v_cndmask_b32_e32 v1, 0x7f800000, v50, vcc_lo
	s_delay_alu instid0(VALU_DEP_1) | instskip(NEXT) | instid1(VALU_DEP_1)
	v_dual_mul_f32 v2, v1, v2 :: v_dual_add_f32 v1, 1.0, v1
	v_div_scale_f32 v50, null, v1, v1, v2
	s_delay_alu instid0(VALU_DEP_1) | instskip(SKIP_1) | instid1(TRANS32_DEP_1)
	v_rcp_f32_e32 v51, v50
	v_nop
	v_fma_f32 v52, -v50, v51, 1.0
	s_delay_alu instid0(VALU_DEP_1) | instskip(SKIP_1) | instid1(VALU_DEP_1)
	v_fmac_f32_e32 v51, v52, v51
	v_div_scale_f32 v52, vcc_lo, v2, v1, v2
	v_mul_f32_e32 v53, v52, v51
	s_delay_alu instid0(VALU_DEP_1) | instskip(NEXT) | instid1(VALU_DEP_1)
	v_fma_f32 v54, -v50, v53, v52
	v_fmac_f32_e32 v53, v54, v51
	s_delay_alu instid0(VALU_DEP_1) | instskip(NEXT) | instid1(VALU_DEP_1)
	v_fma_f32 v50, -v50, v53, v52
	v_div_fmas_f32 v50, v50, v51, v53
	s_delay_alu instid0(VALU_DEP_1)
	v_div_fixup_f32 v2, v50, v1, v2
.LBB65_5:
	s_or_b32 exec_lo, exec_lo, s11
	v_dual_mul_f32 v1, s13, v3 :: v_dual_lshrrev_b32 v48, 16, v48
	s_mov_b32 s11, exec_lo
	s_delay_alu instid0(VALU_DEP_1) | instskip(NEXT) | instid1(VALU_DEP_2)
	v_cvt_f32_f16_e32 v3, v48
	v_cmpx_nlt_f32_e32 s14, v1
	s_cbranch_execz .LBB65_7
; %bb.6:
	v_mul_f32_e32 v48, 0x3fb8aa3b, v1
	v_cmp_ngt_f32_e32 vcc_lo, 0xc2ce8ed0, v1
	s_delay_alu instid0(VALU_DEP_2) | instskip(SKIP_1) | instid1(VALU_DEP_1)
	v_rndne_f32_e32 v50, v48
	v_fma_f32 v51, 0x3fb8aa3b, v1, -v48
	v_dual_sub_f32 v48, v48, v50 :: v_dual_fmamk_f32 v51, v1, 0x32a5705f, v51
	v_cvt_i32_f32_e32 v50, v50
	s_delay_alu instid0(VALU_DEP_2) | instskip(NEXT) | instid1(VALU_DEP_1)
	v_add_f32_e32 v48, v48, v51
	v_exp_f32_e32 v48, v48
	v_nop
	s_delay_alu instid0(TRANS32_DEP_1) | instskip(NEXT) | instid1(VALU_DEP_1)
	v_ldexp_f32 v48, v48, v50
	v_cndmask_b32_e32 v48, 0, v48, vcc_lo
	v_cmp_nlt_f32_e32 vcc_lo, 0x42b17218, v1
	s_delay_alu instid0(VALU_DEP_2) | instskip(NEXT) | instid1(VALU_DEP_1)
	v_cndmask_b32_e32 v1, 0x7f800000, v48, vcc_lo
	v_dual_mul_f32 v3, v1, v3 :: v_dual_add_f32 v1, 1.0, v1
	s_delay_alu instid0(VALU_DEP_1) | instskip(NEXT) | instid1(VALU_DEP_1)
	v_div_scale_f32 v48, null, v1, v1, v3
	v_rcp_f32_e32 v50, v48
	v_nop
	s_delay_alu instid0(TRANS32_DEP_1) | instskip(NEXT) | instid1(VALU_DEP_1)
	v_fma_f32 v51, -v48, v50, 1.0
	v_fmac_f32_e32 v50, v51, v50
	v_div_scale_f32 v51, vcc_lo, v3, v1, v3
	s_delay_alu instid0(VALU_DEP_1) | instskip(NEXT) | instid1(VALU_DEP_1)
	v_mul_f32_e32 v52, v51, v50
	v_fma_f32 v53, -v48, v52, v51
	s_delay_alu instid0(VALU_DEP_1) | instskip(NEXT) | instid1(VALU_DEP_1)
	v_fmac_f32_e32 v52, v53, v50
	v_fma_f32 v48, -v48, v52, v51
	s_delay_alu instid0(VALU_DEP_1) | instskip(NEXT) | instid1(VALU_DEP_1)
	v_div_fmas_f32 v48, v48, v50, v52
	v_div_fixup_f32 v3, v48, v1, v3
.LBB65_7:
	s_or_b32 exec_lo, exec_lo, s11
	v_mul_f32_e32 v1, s13, v4
	v_cvt_f32_f16_e32 v4, v49
	s_mov_b32 s11, exec_lo
	s_delay_alu instid0(VALU_DEP_2)
	v_cmpx_nlt_f32_e32 s14, v1
	s_cbranch_execz .LBB65_9
; %bb.8:
	v_mul_f32_e32 v48, 0x3fb8aa3b, v1
	v_cmp_ngt_f32_e32 vcc_lo, 0xc2ce8ed0, v1
	s_delay_alu instid0(VALU_DEP_2) | instskip(SKIP_1) | instid1(VALU_DEP_1)
	v_rndne_f32_e32 v50, v48
	v_fma_f32 v51, 0x3fb8aa3b, v1, -v48
	v_dual_sub_f32 v48, v48, v50 :: v_dual_fmamk_f32 v51, v1, 0x32a5705f, v51
	v_cvt_i32_f32_e32 v50, v50
	s_delay_alu instid0(VALU_DEP_2) | instskip(NEXT) | instid1(VALU_DEP_1)
	v_add_f32_e32 v48, v48, v51
	v_exp_f32_e32 v48, v48
	v_nop
	s_delay_alu instid0(TRANS32_DEP_1) | instskip(NEXT) | instid1(VALU_DEP_1)
	v_ldexp_f32 v48, v48, v50
	v_cndmask_b32_e32 v48, 0, v48, vcc_lo
	v_cmp_nlt_f32_e32 vcc_lo, 0x42b17218, v1
	s_delay_alu instid0(VALU_DEP_2) | instskip(NEXT) | instid1(VALU_DEP_1)
	v_cndmask_b32_e32 v1, 0x7f800000, v48, vcc_lo
	v_dual_mul_f32 v4, v1, v4 :: v_dual_add_f32 v1, 1.0, v1
	s_delay_alu instid0(VALU_DEP_1) | instskip(NEXT) | instid1(VALU_DEP_1)
	v_div_scale_f32 v48, null, v1, v1, v4
	v_rcp_f32_e32 v50, v48
	v_nop
	s_delay_alu instid0(TRANS32_DEP_1) | instskip(NEXT) | instid1(VALU_DEP_1)
	v_fma_f32 v51, -v48, v50, 1.0
	v_fmac_f32_e32 v50, v51, v50
	v_div_scale_f32 v51, vcc_lo, v4, v1, v4
	s_delay_alu instid0(VALU_DEP_1) | instskip(NEXT) | instid1(VALU_DEP_1)
	v_mul_f32_e32 v52, v51, v50
	v_fma_f32 v53, -v48, v52, v51
	s_delay_alu instid0(VALU_DEP_1) | instskip(NEXT) | instid1(VALU_DEP_1)
	v_fmac_f32_e32 v52, v53, v50
	v_fma_f32 v48, -v48, v52, v51
	s_delay_alu instid0(VALU_DEP_1) | instskip(NEXT) | instid1(VALU_DEP_1)
	v_div_fmas_f32 v48, v48, v50, v52
	v_div_fixup_f32 v4, v48, v1, v4
.LBB65_9:
	s_or_b32 exec_lo, exec_lo, s11
	v_lshrrev_b32_e32 v48, 16, v49
	v_mul_f32_e32 v1, s13, v5
	s_mov_b32 s11, exec_lo
	s_delay_alu instid0(VALU_DEP_2) | instskip(NEXT) | instid1(VALU_DEP_2)
	v_cvt_f32_f16_e32 v5, v48
	v_cmpx_nlt_f32_e32 s14, v1
	s_cbranch_execz .LBB65_11
; %bb.10:
	v_mul_f32_e32 v48, 0x3fb8aa3b, v1
	v_cmp_ngt_f32_e32 vcc_lo, 0xc2ce8ed0, v1
	s_delay_alu instid0(VALU_DEP_2) | instskip(SKIP_1) | instid1(VALU_DEP_2)
	v_rndne_f32_e32 v49, v48
	v_fma_f32 v50, 0x3fb8aa3b, v1, -v48
	v_sub_f32_e32 v48, v48, v49
	s_delay_alu instid0(VALU_DEP_2) | instskip(SKIP_1) | instid1(VALU_DEP_2)
	v_fmamk_f32 v50, v1, 0x32a5705f, v50
	v_cvt_i32_f32_e32 v49, v49
	v_add_f32_e32 v48, v48, v50
	s_delay_alu instid0(VALU_DEP_1) | instskip(SKIP_1) | instid1(TRANS32_DEP_1)
	v_exp_f32_e32 v48, v48
	v_nop
	v_ldexp_f32 v48, v48, v49
	s_delay_alu instid0(VALU_DEP_1) | instskip(SKIP_1) | instid1(VALU_DEP_2)
	v_cndmask_b32_e32 v48, 0, v48, vcc_lo
	v_cmp_nlt_f32_e32 vcc_lo, 0x42b17218, v1
	v_cndmask_b32_e32 v1, 0x7f800000, v48, vcc_lo
	s_delay_alu instid0(VALU_DEP_1) | instskip(SKIP_1) | instid1(VALU_DEP_1)
	v_mul_f32_e32 v5, v1, v5
	v_add_f32_e32 v1, 1.0, v1
	v_div_scale_f32 v48, null, v1, v1, v5
	s_delay_alu instid0(VALU_DEP_1) | instskip(SKIP_1) | instid1(TRANS32_DEP_1)
	v_rcp_f32_e32 v49, v48
	v_nop
	v_fma_f32 v50, -v48, v49, 1.0
	s_delay_alu instid0(VALU_DEP_1) | instskip(SKIP_1) | instid1(VALU_DEP_1)
	v_fmac_f32_e32 v49, v50, v49
	v_div_scale_f32 v50, vcc_lo, v5, v1, v5
	v_mul_f32_e32 v51, v50, v49
	s_delay_alu instid0(VALU_DEP_1) | instskip(NEXT) | instid1(VALU_DEP_1)
	v_fma_f32 v52, -v48, v51, v50
	v_fmac_f32_e32 v51, v52, v49
	s_delay_alu instid0(VALU_DEP_1) | instskip(NEXT) | instid1(VALU_DEP_1)
	v_fma_f32 v48, -v48, v51, v50
	v_div_fmas_f32 v48, v48, v49, v51
	s_delay_alu instid0(VALU_DEP_1)
	v_div_fixup_f32 v5, v48, v1, v5
.LBB65_11:
	s_or_b32 exec_lo, exec_lo, s11
	s_wait_loadcnt 0x6
	v_mul_f32_e32 v1, s13, v10
	v_cvt_f32_f16_e32 v10, v46
	s_mov_b32 s11, exec_lo
	s_delay_alu instid0(VALU_DEP_2)
	v_cmpx_nlt_f32_e32 s14, v1
	s_cbranch_execz .LBB65_13
; %bb.12:
	v_mul_f32_e32 v48, 0x3fb8aa3b, v1
	v_cmp_ngt_f32_e32 vcc_lo, 0xc2ce8ed0, v1
	s_delay_alu instid0(VALU_DEP_2) | instskip(SKIP_1) | instid1(VALU_DEP_2)
	v_rndne_f32_e32 v49, v48
	v_fma_f32 v50, 0x3fb8aa3b, v1, -v48
	v_sub_f32_e32 v48, v48, v49
	s_delay_alu instid0(VALU_DEP_2) | instskip(SKIP_1) | instid1(VALU_DEP_2)
	v_fmamk_f32 v50, v1, 0x32a5705f, v50
	v_cvt_i32_f32_e32 v49, v49
	v_add_f32_e32 v48, v48, v50
	s_delay_alu instid0(VALU_DEP_1) | instskip(SKIP_1) | instid1(TRANS32_DEP_1)
	v_exp_f32_e32 v48, v48
	v_nop
	v_ldexp_f32 v48, v48, v49
	s_delay_alu instid0(VALU_DEP_1) | instskip(SKIP_1) | instid1(VALU_DEP_2)
	v_cndmask_b32_e32 v48, 0, v48, vcc_lo
	v_cmp_nlt_f32_e32 vcc_lo, 0x42b17218, v1
	v_cndmask_b32_e32 v1, 0x7f800000, v48, vcc_lo
	s_delay_alu instid0(VALU_DEP_1) | instskip(NEXT) | instid1(VALU_DEP_1)
	v_dual_mul_f32 v10, v1, v10 :: v_dual_add_f32 v1, 1.0, v1
	v_div_scale_f32 v48, null, v1, v1, v10
	s_delay_alu instid0(VALU_DEP_1) | instskip(SKIP_1) | instid1(TRANS32_DEP_1)
	v_rcp_f32_e32 v49, v48
	v_nop
	v_fma_f32 v50, -v48, v49, 1.0
	s_delay_alu instid0(VALU_DEP_1) | instskip(SKIP_1) | instid1(VALU_DEP_1)
	v_fmac_f32_e32 v49, v50, v49
	v_div_scale_f32 v50, vcc_lo, v10, v1, v10
	v_mul_f32_e32 v51, v50, v49
	s_delay_alu instid0(VALU_DEP_1) | instskip(NEXT) | instid1(VALU_DEP_1)
	v_fma_f32 v52, -v48, v51, v50
	v_fmac_f32_e32 v51, v52, v49
	s_delay_alu instid0(VALU_DEP_1) | instskip(NEXT) | instid1(VALU_DEP_1)
	v_fma_f32 v48, -v48, v51, v50
	v_div_fmas_f32 v48, v48, v49, v51
	s_delay_alu instid0(VALU_DEP_1)
	v_div_fixup_f32 v10, v48, v1, v10
.LBB65_13:
	s_or_b32 exec_lo, exec_lo, s11
	v_dual_mul_f32 v1, s13, v11 :: v_dual_lshrrev_b32 v46, 16, v46
	s_mov_b32 s11, exec_lo
	s_delay_alu instid0(VALU_DEP_1) | instskip(NEXT) | instid1(VALU_DEP_2)
	v_cvt_f32_f16_e32 v11, v46
	v_cmpx_nlt_f32_e32 s14, v1
	s_cbranch_execz .LBB65_15
; %bb.14:
	v_mul_f32_e32 v46, 0x3fb8aa3b, v1
	v_cmp_ngt_f32_e32 vcc_lo, 0xc2ce8ed0, v1
	s_delay_alu instid0(VALU_DEP_2) | instskip(SKIP_1) | instid1(VALU_DEP_1)
	v_rndne_f32_e32 v48, v46
	v_fma_f32 v49, 0x3fb8aa3b, v1, -v46
	v_dual_sub_f32 v46, v46, v48 :: v_dual_fmamk_f32 v49, v1, 0x32a5705f, v49
	v_cvt_i32_f32_e32 v48, v48
	s_delay_alu instid0(VALU_DEP_2) | instskip(NEXT) | instid1(VALU_DEP_1)
	v_add_f32_e32 v46, v46, v49
	v_exp_f32_e32 v46, v46
	v_nop
	s_delay_alu instid0(TRANS32_DEP_1) | instskip(NEXT) | instid1(VALU_DEP_1)
	v_ldexp_f32 v46, v46, v48
	v_cndmask_b32_e32 v46, 0, v46, vcc_lo
	v_cmp_nlt_f32_e32 vcc_lo, 0x42b17218, v1
	s_delay_alu instid0(VALU_DEP_2) | instskip(NEXT) | instid1(VALU_DEP_1)
	v_cndmask_b32_e32 v1, 0x7f800000, v46, vcc_lo
	v_dual_mul_f32 v11, v1, v11 :: v_dual_add_f32 v1, 1.0, v1
	s_delay_alu instid0(VALU_DEP_1) | instskip(NEXT) | instid1(VALU_DEP_1)
	v_div_scale_f32 v46, null, v1, v1, v11
	v_rcp_f32_e32 v48, v46
	v_nop
	s_delay_alu instid0(TRANS32_DEP_1) | instskip(NEXT) | instid1(VALU_DEP_1)
	v_fma_f32 v49, -v46, v48, 1.0
	v_fmac_f32_e32 v48, v49, v48
	v_div_scale_f32 v49, vcc_lo, v11, v1, v11
	s_delay_alu instid0(VALU_DEP_1) | instskip(NEXT) | instid1(VALU_DEP_1)
	v_mul_f32_e32 v50, v49, v48
	v_fma_f32 v51, -v46, v50, v49
	s_delay_alu instid0(VALU_DEP_1) | instskip(NEXT) | instid1(VALU_DEP_1)
	v_fmac_f32_e32 v50, v51, v48
	v_fma_f32 v46, -v46, v50, v49
	s_delay_alu instid0(VALU_DEP_1) | instskip(NEXT) | instid1(VALU_DEP_1)
	v_div_fmas_f32 v46, v46, v48, v50
	v_div_fixup_f32 v11, v46, v1, v11
.LBB65_15:
	s_or_b32 exec_lo, exec_lo, s11
	v_mul_f32_e32 v1, s13, v12
	v_cvt_f32_f16_e32 v12, v47
	s_mov_b32 s11, exec_lo
	s_delay_alu instid0(VALU_DEP_2)
	v_cmpx_nlt_f32_e32 s14, v1
	s_cbranch_execz .LBB65_17
; %bb.16:
	v_mul_f32_e32 v46, 0x3fb8aa3b, v1
	v_cmp_ngt_f32_e32 vcc_lo, 0xc2ce8ed0, v1
	s_delay_alu instid0(VALU_DEP_2) | instskip(SKIP_1) | instid1(VALU_DEP_1)
	v_rndne_f32_e32 v48, v46
	v_fma_f32 v49, 0x3fb8aa3b, v1, -v46
	v_dual_sub_f32 v46, v46, v48 :: v_dual_fmamk_f32 v49, v1, 0x32a5705f, v49
	v_cvt_i32_f32_e32 v48, v48
	s_delay_alu instid0(VALU_DEP_2) | instskip(NEXT) | instid1(VALU_DEP_1)
	v_add_f32_e32 v46, v46, v49
	v_exp_f32_e32 v46, v46
	v_nop
	s_delay_alu instid0(TRANS32_DEP_1) | instskip(NEXT) | instid1(VALU_DEP_1)
	v_ldexp_f32 v46, v46, v48
	v_cndmask_b32_e32 v46, 0, v46, vcc_lo
	v_cmp_nlt_f32_e32 vcc_lo, 0x42b17218, v1
	s_delay_alu instid0(VALU_DEP_2) | instskip(NEXT) | instid1(VALU_DEP_1)
	v_cndmask_b32_e32 v1, 0x7f800000, v46, vcc_lo
	v_dual_mul_f32 v12, v1, v12 :: v_dual_add_f32 v1, 1.0, v1
	s_delay_alu instid0(VALU_DEP_1) | instskip(NEXT) | instid1(VALU_DEP_1)
	v_div_scale_f32 v46, null, v1, v1, v12
	v_rcp_f32_e32 v48, v46
	v_nop
	s_delay_alu instid0(TRANS32_DEP_1) | instskip(NEXT) | instid1(VALU_DEP_1)
	v_fma_f32 v49, -v46, v48, 1.0
	v_fmac_f32_e32 v48, v49, v48
	v_div_scale_f32 v49, vcc_lo, v12, v1, v12
	s_delay_alu instid0(VALU_DEP_1) | instskip(NEXT) | instid1(VALU_DEP_1)
	v_mul_f32_e32 v50, v49, v48
	v_fma_f32 v51, -v46, v50, v49
	s_delay_alu instid0(VALU_DEP_1) | instskip(NEXT) | instid1(VALU_DEP_1)
	v_fmac_f32_e32 v50, v51, v48
	v_fma_f32 v46, -v46, v50, v49
	s_delay_alu instid0(VALU_DEP_1) | instskip(NEXT) | instid1(VALU_DEP_1)
	v_div_fmas_f32 v46, v46, v48, v50
	v_div_fixup_f32 v12, v46, v1, v12
.LBB65_17:
	s_or_b32 exec_lo, exec_lo, s11
	v_dual_mul_f32 v1, s13, v13 :: v_dual_lshrrev_b32 v46, 16, v47
	s_mov_b32 s11, exec_lo
	s_delay_alu instid0(VALU_DEP_1) | instskip(NEXT) | instid1(VALU_DEP_2)
	v_cvt_f32_f16_e32 v13, v46
	v_cmpx_nlt_f32_e32 s14, v1
	s_cbranch_execz .LBB65_19
; %bb.18:
	v_mul_f32_e32 v46, 0x3fb8aa3b, v1
	v_cmp_ngt_f32_e32 vcc_lo, 0xc2ce8ed0, v1
	s_delay_alu instid0(VALU_DEP_2) | instskip(SKIP_1) | instid1(VALU_DEP_2)
	v_rndne_f32_e32 v47, v46
	v_fma_f32 v48, 0x3fb8aa3b, v1, -v46
	v_sub_f32_e32 v46, v46, v47
	s_delay_alu instid0(VALU_DEP_2) | instskip(SKIP_1) | instid1(VALU_DEP_2)
	v_fmamk_f32 v48, v1, 0x32a5705f, v48
	v_cvt_i32_f32_e32 v47, v47
	v_add_f32_e32 v46, v46, v48
	s_delay_alu instid0(VALU_DEP_1) | instskip(SKIP_1) | instid1(TRANS32_DEP_1)
	v_exp_f32_e32 v46, v46
	v_nop
	v_ldexp_f32 v46, v46, v47
	s_delay_alu instid0(VALU_DEP_1) | instskip(SKIP_1) | instid1(VALU_DEP_2)
	v_cndmask_b32_e32 v46, 0, v46, vcc_lo
	v_cmp_nlt_f32_e32 vcc_lo, 0x42b17218, v1
	v_cndmask_b32_e32 v1, 0x7f800000, v46, vcc_lo
	s_delay_alu instid0(VALU_DEP_1) | instskip(SKIP_1) | instid1(VALU_DEP_1)
	v_mul_f32_e32 v13, v1, v13
	v_add_f32_e32 v1, 1.0, v1
	v_div_scale_f32 v46, null, v1, v1, v13
	s_delay_alu instid0(VALU_DEP_1) | instskip(SKIP_1) | instid1(TRANS32_DEP_1)
	v_rcp_f32_e32 v47, v46
	v_nop
	v_fma_f32 v48, -v46, v47, 1.0
	s_delay_alu instid0(VALU_DEP_1) | instskip(SKIP_1) | instid1(VALU_DEP_1)
	v_fmac_f32_e32 v47, v48, v47
	v_div_scale_f32 v48, vcc_lo, v13, v1, v13
	v_mul_f32_e32 v49, v48, v47
	s_delay_alu instid0(VALU_DEP_1) | instskip(NEXT) | instid1(VALU_DEP_1)
	v_fma_f32 v50, -v46, v49, v48
	v_fmac_f32_e32 v49, v50, v47
	s_delay_alu instid0(VALU_DEP_1) | instskip(NEXT) | instid1(VALU_DEP_1)
	v_fma_f32 v46, -v46, v49, v48
	v_div_fmas_f32 v46, v46, v47, v49
	s_delay_alu instid0(VALU_DEP_1)
	v_div_fixup_f32 v13, v46, v1, v13
.LBB65_19:
	s_or_b32 exec_lo, exec_lo, s11
	s_wait_loadcnt 0x5
	v_mul_f32_e32 v1, s13, v18
	v_cvt_f32_f16_e32 v18, v44
	s_mov_b32 s11, exec_lo
	s_delay_alu instid0(VALU_DEP_2)
	v_cmpx_nlt_f32_e32 s14, v1
	s_cbranch_execz .LBB65_21
; %bb.20:
	v_mul_f32_e32 v46, 0x3fb8aa3b, v1
	v_cmp_ngt_f32_e32 vcc_lo, 0xc2ce8ed0, v1
	s_delay_alu instid0(VALU_DEP_2) | instskip(SKIP_1) | instid1(VALU_DEP_2)
	v_rndne_f32_e32 v47, v46
	v_fma_f32 v48, 0x3fb8aa3b, v1, -v46
	v_sub_f32_e32 v46, v46, v47
	s_delay_alu instid0(VALU_DEP_2) | instskip(SKIP_1) | instid1(VALU_DEP_2)
	v_fmamk_f32 v48, v1, 0x32a5705f, v48
	v_cvt_i32_f32_e32 v47, v47
	v_add_f32_e32 v46, v46, v48
	s_delay_alu instid0(VALU_DEP_1) | instskip(SKIP_1) | instid1(TRANS32_DEP_1)
	v_exp_f32_e32 v46, v46
	v_nop
	v_ldexp_f32 v46, v46, v47
	s_delay_alu instid0(VALU_DEP_1) | instskip(SKIP_1) | instid1(VALU_DEP_2)
	v_cndmask_b32_e32 v46, 0, v46, vcc_lo
	v_cmp_nlt_f32_e32 vcc_lo, 0x42b17218, v1
	v_cndmask_b32_e32 v1, 0x7f800000, v46, vcc_lo
	s_delay_alu instid0(VALU_DEP_1) | instskip(NEXT) | instid1(VALU_DEP_1)
	v_dual_mul_f32 v18, v1, v18 :: v_dual_add_f32 v1, 1.0, v1
	v_div_scale_f32 v46, null, v1, v1, v18
	s_delay_alu instid0(VALU_DEP_1) | instskip(SKIP_1) | instid1(TRANS32_DEP_1)
	v_rcp_f32_e32 v47, v46
	v_nop
	v_fma_f32 v48, -v46, v47, 1.0
	s_delay_alu instid0(VALU_DEP_1) | instskip(SKIP_1) | instid1(VALU_DEP_1)
	v_fmac_f32_e32 v47, v48, v47
	v_div_scale_f32 v48, vcc_lo, v18, v1, v18
	v_mul_f32_e32 v49, v48, v47
	s_delay_alu instid0(VALU_DEP_1) | instskip(NEXT) | instid1(VALU_DEP_1)
	v_fma_f32 v50, -v46, v49, v48
	v_fmac_f32_e32 v49, v50, v47
	s_delay_alu instid0(VALU_DEP_1) | instskip(NEXT) | instid1(VALU_DEP_1)
	v_fma_f32 v46, -v46, v49, v48
	v_div_fmas_f32 v46, v46, v47, v49
	s_delay_alu instid0(VALU_DEP_1)
	v_div_fixup_f32 v18, v46, v1, v18
.LBB65_21:
	s_or_b32 exec_lo, exec_lo, s11
	v_dual_mul_f32 v1, s13, v19 :: v_dual_lshrrev_b32 v44, 16, v44
	s_mov_b32 s11, exec_lo
	s_delay_alu instid0(VALU_DEP_1) | instskip(NEXT) | instid1(VALU_DEP_2)
	v_cvt_f32_f16_e32 v19, v44
	v_cmpx_nlt_f32_e32 s14, v1
	s_cbranch_execz .LBB65_23
; %bb.22:
	v_mul_f32_e32 v44, 0x3fb8aa3b, v1
	v_cmp_ngt_f32_e32 vcc_lo, 0xc2ce8ed0, v1
	s_delay_alu instid0(VALU_DEP_2) | instskip(SKIP_1) | instid1(VALU_DEP_1)
	v_rndne_f32_e32 v46, v44
	v_fma_f32 v47, 0x3fb8aa3b, v1, -v44
	v_dual_sub_f32 v44, v44, v46 :: v_dual_fmamk_f32 v47, v1, 0x32a5705f, v47
	v_cvt_i32_f32_e32 v46, v46
	s_delay_alu instid0(VALU_DEP_2) | instskip(NEXT) | instid1(VALU_DEP_1)
	v_add_f32_e32 v44, v44, v47
	v_exp_f32_e32 v44, v44
	v_nop
	s_delay_alu instid0(TRANS32_DEP_1) | instskip(NEXT) | instid1(VALU_DEP_1)
	v_ldexp_f32 v44, v44, v46
	v_cndmask_b32_e32 v44, 0, v44, vcc_lo
	v_cmp_nlt_f32_e32 vcc_lo, 0x42b17218, v1
	s_delay_alu instid0(VALU_DEP_2) | instskip(NEXT) | instid1(VALU_DEP_1)
	v_cndmask_b32_e32 v1, 0x7f800000, v44, vcc_lo
	v_dual_mul_f32 v19, v1, v19 :: v_dual_add_f32 v1, 1.0, v1
	s_delay_alu instid0(VALU_DEP_1) | instskip(NEXT) | instid1(VALU_DEP_1)
	v_div_scale_f32 v44, null, v1, v1, v19
	v_rcp_f32_e32 v46, v44
	v_nop
	s_delay_alu instid0(TRANS32_DEP_1) | instskip(NEXT) | instid1(VALU_DEP_1)
	v_fma_f32 v47, -v44, v46, 1.0
	v_fmac_f32_e32 v46, v47, v46
	v_div_scale_f32 v47, vcc_lo, v19, v1, v19
	s_delay_alu instid0(VALU_DEP_1) | instskip(NEXT) | instid1(VALU_DEP_1)
	v_mul_f32_e32 v48, v47, v46
	v_fma_f32 v49, -v44, v48, v47
	s_delay_alu instid0(VALU_DEP_1) | instskip(NEXT) | instid1(VALU_DEP_1)
	v_fmac_f32_e32 v48, v49, v46
	v_fma_f32 v44, -v44, v48, v47
	s_delay_alu instid0(VALU_DEP_1) | instskip(NEXT) | instid1(VALU_DEP_1)
	v_div_fmas_f32 v44, v44, v46, v48
	v_div_fixup_f32 v19, v44, v1, v19
.LBB65_23:
	s_or_b32 exec_lo, exec_lo, s11
	v_mul_f32_e32 v1, s13, v20
	v_cvt_f32_f16_e32 v20, v45
	s_mov_b32 s11, exec_lo
	s_delay_alu instid0(VALU_DEP_2)
	v_cmpx_nlt_f32_e32 s14, v1
	s_cbranch_execz .LBB65_25
; %bb.24:
	v_mul_f32_e32 v44, 0x3fb8aa3b, v1
	v_cmp_ngt_f32_e32 vcc_lo, 0xc2ce8ed0, v1
	s_delay_alu instid0(VALU_DEP_2) | instskip(SKIP_1) | instid1(VALU_DEP_1)
	v_rndne_f32_e32 v46, v44
	v_fma_f32 v47, 0x3fb8aa3b, v1, -v44
	v_dual_sub_f32 v44, v44, v46 :: v_dual_fmamk_f32 v47, v1, 0x32a5705f, v47
	v_cvt_i32_f32_e32 v46, v46
	s_delay_alu instid0(VALU_DEP_2) | instskip(NEXT) | instid1(VALU_DEP_1)
	v_add_f32_e32 v44, v44, v47
	v_exp_f32_e32 v44, v44
	v_nop
	s_delay_alu instid0(TRANS32_DEP_1) | instskip(NEXT) | instid1(VALU_DEP_1)
	v_ldexp_f32 v44, v44, v46
	v_cndmask_b32_e32 v44, 0, v44, vcc_lo
	v_cmp_nlt_f32_e32 vcc_lo, 0x42b17218, v1
	s_delay_alu instid0(VALU_DEP_2) | instskip(NEXT) | instid1(VALU_DEP_1)
	v_cndmask_b32_e32 v1, 0x7f800000, v44, vcc_lo
	v_dual_mul_f32 v20, v1, v20 :: v_dual_add_f32 v1, 1.0, v1
	s_delay_alu instid0(VALU_DEP_1) | instskip(NEXT) | instid1(VALU_DEP_1)
	v_div_scale_f32 v44, null, v1, v1, v20
	v_rcp_f32_e32 v46, v44
	v_nop
	s_delay_alu instid0(TRANS32_DEP_1) | instskip(NEXT) | instid1(VALU_DEP_1)
	v_fma_f32 v47, -v44, v46, 1.0
	v_fmac_f32_e32 v46, v47, v46
	v_div_scale_f32 v47, vcc_lo, v20, v1, v20
	s_delay_alu instid0(VALU_DEP_1) | instskip(NEXT) | instid1(VALU_DEP_1)
	v_mul_f32_e32 v48, v47, v46
	v_fma_f32 v49, -v44, v48, v47
	s_delay_alu instid0(VALU_DEP_1) | instskip(NEXT) | instid1(VALU_DEP_1)
	v_fmac_f32_e32 v48, v49, v46
	v_fma_f32 v44, -v44, v48, v47
	s_delay_alu instid0(VALU_DEP_1) | instskip(NEXT) | instid1(VALU_DEP_1)
	v_div_fmas_f32 v44, v44, v46, v48
	v_div_fixup_f32 v20, v44, v1, v20
.LBB65_25:
	s_or_b32 exec_lo, exec_lo, s11
	v_lshrrev_b32_e32 v44, 16, v45
	v_mul_f32_e32 v1, s13, v21
	s_mov_b32 s11, exec_lo
	s_delay_alu instid0(VALU_DEP_2) | instskip(NEXT) | instid1(VALU_DEP_2)
	v_cvt_f32_f16_e32 v21, v44
	v_cmpx_nlt_f32_e32 s14, v1
	s_cbranch_execz .LBB65_27
; %bb.26:
	v_mul_f32_e32 v44, 0x3fb8aa3b, v1
	v_cmp_ngt_f32_e32 vcc_lo, 0xc2ce8ed0, v1
	s_delay_alu instid0(VALU_DEP_2) | instskip(SKIP_1) | instid1(VALU_DEP_2)
	v_rndne_f32_e32 v45, v44
	v_fma_f32 v46, 0x3fb8aa3b, v1, -v44
	v_sub_f32_e32 v44, v44, v45
	s_delay_alu instid0(VALU_DEP_2) | instskip(SKIP_1) | instid1(VALU_DEP_2)
	v_fmamk_f32 v46, v1, 0x32a5705f, v46
	v_cvt_i32_f32_e32 v45, v45
	v_add_f32_e32 v44, v44, v46
	s_delay_alu instid0(VALU_DEP_1) | instskip(SKIP_1) | instid1(TRANS32_DEP_1)
	v_exp_f32_e32 v44, v44
	v_nop
	v_ldexp_f32 v44, v44, v45
	s_delay_alu instid0(VALU_DEP_1) | instskip(SKIP_1) | instid1(VALU_DEP_2)
	v_cndmask_b32_e32 v44, 0, v44, vcc_lo
	v_cmp_nlt_f32_e32 vcc_lo, 0x42b17218, v1
	v_cndmask_b32_e32 v1, 0x7f800000, v44, vcc_lo
	s_delay_alu instid0(VALU_DEP_1) | instskip(SKIP_1) | instid1(VALU_DEP_1)
	v_mul_f32_e32 v21, v1, v21
	v_add_f32_e32 v1, 1.0, v1
	v_div_scale_f32 v44, null, v1, v1, v21
	s_delay_alu instid0(VALU_DEP_1) | instskip(SKIP_1) | instid1(TRANS32_DEP_1)
	v_rcp_f32_e32 v45, v44
	v_nop
	v_fma_f32 v46, -v44, v45, 1.0
	s_delay_alu instid0(VALU_DEP_1) | instskip(SKIP_1) | instid1(VALU_DEP_1)
	v_fmac_f32_e32 v45, v46, v45
	v_div_scale_f32 v46, vcc_lo, v21, v1, v21
	v_mul_f32_e32 v47, v46, v45
	s_delay_alu instid0(VALU_DEP_1) | instskip(NEXT) | instid1(VALU_DEP_1)
	v_fma_f32 v48, -v44, v47, v46
	v_fmac_f32_e32 v47, v48, v45
	s_delay_alu instid0(VALU_DEP_1) | instskip(NEXT) | instid1(VALU_DEP_1)
	v_fma_f32 v44, -v44, v47, v46
	v_div_fmas_f32 v44, v44, v45, v47
	s_delay_alu instid0(VALU_DEP_1)
	v_div_fixup_f32 v21, v44, v1, v21
.LBB65_27:
	s_or_b32 exec_lo, exec_lo, s11
	s_wait_loadcnt 0x4
	v_mul_f32_e32 v1, s13, v26
	v_cvt_f32_f16_e32 v26, v42
	s_mov_b32 s11, exec_lo
	s_delay_alu instid0(VALU_DEP_2)
	v_cmpx_nlt_f32_e32 s14, v1
	s_cbranch_execz .LBB65_29
; %bb.28:
	v_mul_f32_e32 v44, 0x3fb8aa3b, v1
	v_cmp_ngt_f32_e32 vcc_lo, 0xc2ce8ed0, v1
	s_delay_alu instid0(VALU_DEP_2) | instskip(SKIP_1) | instid1(VALU_DEP_2)
	v_rndne_f32_e32 v45, v44
	v_fma_f32 v46, 0x3fb8aa3b, v1, -v44
	v_sub_f32_e32 v44, v44, v45
	s_delay_alu instid0(VALU_DEP_2) | instskip(SKIP_1) | instid1(VALU_DEP_2)
	v_fmamk_f32 v46, v1, 0x32a5705f, v46
	v_cvt_i32_f32_e32 v45, v45
	v_add_f32_e32 v44, v44, v46
	s_delay_alu instid0(VALU_DEP_1) | instskip(SKIP_1) | instid1(TRANS32_DEP_1)
	v_exp_f32_e32 v44, v44
	v_nop
	v_ldexp_f32 v44, v44, v45
	s_delay_alu instid0(VALU_DEP_1) | instskip(SKIP_1) | instid1(VALU_DEP_2)
	v_cndmask_b32_e32 v44, 0, v44, vcc_lo
	v_cmp_nlt_f32_e32 vcc_lo, 0x42b17218, v1
	v_cndmask_b32_e32 v1, 0x7f800000, v44, vcc_lo
	s_delay_alu instid0(VALU_DEP_1) | instskip(NEXT) | instid1(VALU_DEP_1)
	v_dual_mul_f32 v26, v1, v26 :: v_dual_add_f32 v1, 1.0, v1
	v_div_scale_f32 v44, null, v1, v1, v26
	s_delay_alu instid0(VALU_DEP_1) | instskip(SKIP_1) | instid1(TRANS32_DEP_1)
	v_rcp_f32_e32 v45, v44
	v_nop
	v_fma_f32 v46, -v44, v45, 1.0
	s_delay_alu instid0(VALU_DEP_1) | instskip(SKIP_1) | instid1(VALU_DEP_1)
	v_fmac_f32_e32 v45, v46, v45
	v_div_scale_f32 v46, vcc_lo, v26, v1, v26
	v_mul_f32_e32 v47, v46, v45
	s_delay_alu instid0(VALU_DEP_1) | instskip(NEXT) | instid1(VALU_DEP_1)
	v_fma_f32 v48, -v44, v47, v46
	v_fmac_f32_e32 v47, v48, v45
	s_delay_alu instid0(VALU_DEP_1) | instskip(NEXT) | instid1(VALU_DEP_1)
	v_fma_f32 v44, -v44, v47, v46
	v_div_fmas_f32 v44, v44, v45, v47
	s_delay_alu instid0(VALU_DEP_1)
	v_div_fixup_f32 v26, v44, v1, v26
.LBB65_29:
	s_or_b32 exec_lo, exec_lo, s11
	v_dual_mul_f32 v1, s13, v27 :: v_dual_lshrrev_b32 v42, 16, v42
	s_mov_b32 s11, exec_lo
	s_delay_alu instid0(VALU_DEP_1) | instskip(NEXT) | instid1(VALU_DEP_2)
	v_cvt_f32_f16_e32 v27, v42
	v_cmpx_nlt_f32_e32 s14, v1
	s_cbranch_execz .LBB65_31
; %bb.30:
	v_mul_f32_e32 v42, 0x3fb8aa3b, v1
	v_cmp_ngt_f32_e32 vcc_lo, 0xc2ce8ed0, v1
	s_delay_alu instid0(VALU_DEP_2) | instskip(SKIP_1) | instid1(VALU_DEP_1)
	v_rndne_f32_e32 v44, v42
	v_fma_f32 v45, 0x3fb8aa3b, v1, -v42
	v_dual_sub_f32 v42, v42, v44 :: v_dual_fmamk_f32 v45, v1, 0x32a5705f, v45
	v_cvt_i32_f32_e32 v44, v44
	s_delay_alu instid0(VALU_DEP_2) | instskip(NEXT) | instid1(VALU_DEP_1)
	v_add_f32_e32 v42, v42, v45
	v_exp_f32_e32 v42, v42
	v_nop
	s_delay_alu instid0(TRANS32_DEP_1) | instskip(NEXT) | instid1(VALU_DEP_1)
	v_ldexp_f32 v42, v42, v44
	v_cndmask_b32_e32 v42, 0, v42, vcc_lo
	v_cmp_nlt_f32_e32 vcc_lo, 0x42b17218, v1
	s_delay_alu instid0(VALU_DEP_2) | instskip(NEXT) | instid1(VALU_DEP_1)
	v_cndmask_b32_e32 v1, 0x7f800000, v42, vcc_lo
	v_dual_mul_f32 v27, v1, v27 :: v_dual_add_f32 v1, 1.0, v1
	s_delay_alu instid0(VALU_DEP_1) | instskip(NEXT) | instid1(VALU_DEP_1)
	v_div_scale_f32 v42, null, v1, v1, v27
	v_rcp_f32_e32 v44, v42
	v_nop
	s_delay_alu instid0(TRANS32_DEP_1) | instskip(NEXT) | instid1(VALU_DEP_1)
	v_fma_f32 v45, -v42, v44, 1.0
	v_fmac_f32_e32 v44, v45, v44
	v_div_scale_f32 v45, vcc_lo, v27, v1, v27
	s_delay_alu instid0(VALU_DEP_1) | instskip(NEXT) | instid1(VALU_DEP_1)
	v_mul_f32_e32 v46, v45, v44
	v_fma_f32 v47, -v42, v46, v45
	s_delay_alu instid0(VALU_DEP_1) | instskip(NEXT) | instid1(VALU_DEP_1)
	v_fmac_f32_e32 v46, v47, v44
	v_fma_f32 v42, -v42, v46, v45
	s_delay_alu instid0(VALU_DEP_1) | instskip(NEXT) | instid1(VALU_DEP_1)
	v_div_fmas_f32 v42, v42, v44, v46
	v_div_fixup_f32 v27, v42, v1, v27
.LBB65_31:
	s_or_b32 exec_lo, exec_lo, s11
	v_mul_f32_e32 v1, s13, v28
	v_cvt_f32_f16_e32 v28, v43
	s_mov_b32 s11, exec_lo
	s_delay_alu instid0(VALU_DEP_2)
	v_cmpx_nlt_f32_e32 s14, v1
	s_cbranch_execz .LBB65_33
; %bb.32:
	v_mul_f32_e32 v42, 0x3fb8aa3b, v1
	v_cmp_ngt_f32_e32 vcc_lo, 0xc2ce8ed0, v1
	s_delay_alu instid0(VALU_DEP_2) | instskip(SKIP_1) | instid1(VALU_DEP_1)
	v_rndne_f32_e32 v44, v42
	v_fma_f32 v45, 0x3fb8aa3b, v1, -v42
	v_dual_sub_f32 v42, v42, v44 :: v_dual_fmamk_f32 v45, v1, 0x32a5705f, v45
	v_cvt_i32_f32_e32 v44, v44
	s_delay_alu instid0(VALU_DEP_2) | instskip(NEXT) | instid1(VALU_DEP_1)
	v_add_f32_e32 v42, v42, v45
	v_exp_f32_e32 v42, v42
	v_nop
	s_delay_alu instid0(TRANS32_DEP_1) | instskip(NEXT) | instid1(VALU_DEP_1)
	v_ldexp_f32 v42, v42, v44
	v_cndmask_b32_e32 v42, 0, v42, vcc_lo
	v_cmp_nlt_f32_e32 vcc_lo, 0x42b17218, v1
	s_delay_alu instid0(VALU_DEP_2) | instskip(NEXT) | instid1(VALU_DEP_1)
	v_cndmask_b32_e32 v1, 0x7f800000, v42, vcc_lo
	v_dual_mul_f32 v28, v1, v28 :: v_dual_add_f32 v1, 1.0, v1
	s_delay_alu instid0(VALU_DEP_1) | instskip(NEXT) | instid1(VALU_DEP_1)
	v_div_scale_f32 v42, null, v1, v1, v28
	v_rcp_f32_e32 v44, v42
	v_nop
	s_delay_alu instid0(TRANS32_DEP_1) | instskip(NEXT) | instid1(VALU_DEP_1)
	v_fma_f32 v45, -v42, v44, 1.0
	v_fmac_f32_e32 v44, v45, v44
	v_div_scale_f32 v45, vcc_lo, v28, v1, v28
	s_delay_alu instid0(VALU_DEP_1) | instskip(NEXT) | instid1(VALU_DEP_1)
	v_mul_f32_e32 v46, v45, v44
	v_fma_f32 v47, -v42, v46, v45
	s_delay_alu instid0(VALU_DEP_1) | instskip(NEXT) | instid1(VALU_DEP_1)
	v_fmac_f32_e32 v46, v47, v44
	v_fma_f32 v42, -v42, v46, v45
	s_delay_alu instid0(VALU_DEP_1) | instskip(NEXT) | instid1(VALU_DEP_1)
	v_div_fmas_f32 v42, v42, v44, v46
	v_div_fixup_f32 v28, v42, v1, v28
.LBB65_33:
	s_or_b32 exec_lo, exec_lo, s11
	v_dual_mul_f32 v1, s13, v29 :: v_dual_lshrrev_b32 v42, 16, v43
	s_mov_b32 s11, exec_lo
	s_delay_alu instid0(VALU_DEP_1) | instskip(NEXT) | instid1(VALU_DEP_2)
	v_cvt_f32_f16_e32 v29, v42
	v_cmpx_nlt_f32_e32 s14, v1
	s_cbranch_execz .LBB65_35
; %bb.34:
	v_mul_f32_e32 v42, 0x3fb8aa3b, v1
	v_cmp_ngt_f32_e32 vcc_lo, 0xc2ce8ed0, v1
	s_delay_alu instid0(VALU_DEP_2) | instskip(SKIP_1) | instid1(VALU_DEP_2)
	v_rndne_f32_e32 v43, v42
	v_fma_f32 v44, 0x3fb8aa3b, v1, -v42
	v_sub_f32_e32 v42, v42, v43
	s_delay_alu instid0(VALU_DEP_2) | instskip(SKIP_1) | instid1(VALU_DEP_2)
	v_fmamk_f32 v44, v1, 0x32a5705f, v44
	v_cvt_i32_f32_e32 v43, v43
	v_add_f32_e32 v42, v42, v44
	s_delay_alu instid0(VALU_DEP_1) | instskip(SKIP_1) | instid1(TRANS32_DEP_1)
	v_exp_f32_e32 v42, v42
	v_nop
	v_ldexp_f32 v42, v42, v43
	s_delay_alu instid0(VALU_DEP_1) | instskip(SKIP_1) | instid1(VALU_DEP_2)
	v_cndmask_b32_e32 v42, 0, v42, vcc_lo
	v_cmp_nlt_f32_e32 vcc_lo, 0x42b17218, v1
	v_cndmask_b32_e32 v1, 0x7f800000, v42, vcc_lo
	s_delay_alu instid0(VALU_DEP_1) | instskip(SKIP_1) | instid1(VALU_DEP_1)
	v_mul_f32_e32 v29, v1, v29
	v_add_f32_e32 v1, 1.0, v1
	v_div_scale_f32 v42, null, v1, v1, v29
	s_delay_alu instid0(VALU_DEP_1) | instskip(SKIP_1) | instid1(TRANS32_DEP_1)
	v_rcp_f32_e32 v43, v42
	v_nop
	v_fma_f32 v44, -v42, v43, 1.0
	s_delay_alu instid0(VALU_DEP_1) | instskip(SKIP_1) | instid1(VALU_DEP_1)
	v_fmac_f32_e32 v43, v44, v43
	v_div_scale_f32 v44, vcc_lo, v29, v1, v29
	v_mul_f32_e32 v45, v44, v43
	s_delay_alu instid0(VALU_DEP_1) | instskip(NEXT) | instid1(VALU_DEP_1)
	v_fma_f32 v46, -v42, v45, v44
	v_fmac_f32_e32 v45, v46, v43
	s_delay_alu instid0(VALU_DEP_1) | instskip(NEXT) | instid1(VALU_DEP_1)
	v_fma_f32 v42, -v42, v45, v44
	v_div_fmas_f32 v42, v42, v43, v45
	s_delay_alu instid0(VALU_DEP_1)
	v_div_fixup_f32 v29, v42, v1, v29
.LBB65_35:
	s_or_b32 exec_lo, exec_lo, s11
	s_wait_loadcnt 0x3
	v_mul_f32_e32 v1, s13, v30
	v_cvt_f32_f16_e32 v30, v40
	s_mov_b32 s11, exec_lo
	s_delay_alu instid0(VALU_DEP_2)
	v_cmpx_nlt_f32_e32 s14, v1
	s_cbranch_execz .LBB65_37
; %bb.36:
	v_mul_f32_e32 v42, 0x3fb8aa3b, v1
	v_cmp_ngt_f32_e32 vcc_lo, 0xc2ce8ed0, v1
	s_delay_alu instid0(VALU_DEP_2) | instskip(SKIP_1) | instid1(VALU_DEP_2)
	v_rndne_f32_e32 v43, v42
	v_fma_f32 v44, 0x3fb8aa3b, v1, -v42
	v_sub_f32_e32 v42, v42, v43
	s_delay_alu instid0(VALU_DEP_2) | instskip(SKIP_1) | instid1(VALU_DEP_2)
	v_fmamk_f32 v44, v1, 0x32a5705f, v44
	v_cvt_i32_f32_e32 v43, v43
	v_add_f32_e32 v42, v42, v44
	s_delay_alu instid0(VALU_DEP_1) | instskip(SKIP_1) | instid1(TRANS32_DEP_1)
	v_exp_f32_e32 v42, v42
	v_nop
	v_ldexp_f32 v42, v42, v43
	s_delay_alu instid0(VALU_DEP_1) | instskip(SKIP_1) | instid1(VALU_DEP_2)
	v_cndmask_b32_e32 v42, 0, v42, vcc_lo
	v_cmp_nlt_f32_e32 vcc_lo, 0x42b17218, v1
	v_cndmask_b32_e32 v1, 0x7f800000, v42, vcc_lo
	s_delay_alu instid0(VALU_DEP_1) | instskip(NEXT) | instid1(VALU_DEP_1)
	v_dual_mul_f32 v30, v1, v30 :: v_dual_add_f32 v1, 1.0, v1
	v_div_scale_f32 v42, null, v1, v1, v30
	s_delay_alu instid0(VALU_DEP_1) | instskip(SKIP_1) | instid1(TRANS32_DEP_1)
	v_rcp_f32_e32 v43, v42
	v_nop
	v_fma_f32 v44, -v42, v43, 1.0
	s_delay_alu instid0(VALU_DEP_1) | instskip(SKIP_1) | instid1(VALU_DEP_1)
	v_fmac_f32_e32 v43, v44, v43
	v_div_scale_f32 v44, vcc_lo, v30, v1, v30
	v_mul_f32_e32 v45, v44, v43
	s_delay_alu instid0(VALU_DEP_1) | instskip(NEXT) | instid1(VALU_DEP_1)
	v_fma_f32 v46, -v42, v45, v44
	v_fmac_f32_e32 v45, v46, v43
	s_delay_alu instid0(VALU_DEP_1) | instskip(NEXT) | instid1(VALU_DEP_1)
	v_fma_f32 v42, -v42, v45, v44
	v_div_fmas_f32 v42, v42, v43, v45
	s_delay_alu instid0(VALU_DEP_1)
	v_div_fixup_f32 v30, v42, v1, v30
.LBB65_37:
	s_or_b32 exec_lo, exec_lo, s11
	v_dual_mul_f32 v1, s13, v31 :: v_dual_lshrrev_b32 v40, 16, v40
	s_mov_b32 s11, exec_lo
	s_delay_alu instid0(VALU_DEP_1) | instskip(NEXT) | instid1(VALU_DEP_2)
	v_cvt_f32_f16_e32 v31, v40
	v_cmpx_nlt_f32_e32 s14, v1
	s_cbranch_execz .LBB65_39
; %bb.38:
	v_mul_f32_e32 v40, 0x3fb8aa3b, v1
	v_cmp_ngt_f32_e32 vcc_lo, 0xc2ce8ed0, v1
	s_delay_alu instid0(VALU_DEP_2) | instskip(SKIP_1) | instid1(VALU_DEP_1)
	v_rndne_f32_e32 v42, v40
	v_fma_f32 v43, 0x3fb8aa3b, v1, -v40
	v_dual_sub_f32 v40, v40, v42 :: v_dual_fmamk_f32 v43, v1, 0x32a5705f, v43
	v_cvt_i32_f32_e32 v42, v42
	s_delay_alu instid0(VALU_DEP_2) | instskip(NEXT) | instid1(VALU_DEP_1)
	v_add_f32_e32 v40, v40, v43
	v_exp_f32_e32 v40, v40
	v_nop
	s_delay_alu instid0(TRANS32_DEP_1) | instskip(NEXT) | instid1(VALU_DEP_1)
	v_ldexp_f32 v40, v40, v42
	v_cndmask_b32_e32 v40, 0, v40, vcc_lo
	v_cmp_nlt_f32_e32 vcc_lo, 0x42b17218, v1
	s_delay_alu instid0(VALU_DEP_2) | instskip(NEXT) | instid1(VALU_DEP_1)
	v_cndmask_b32_e32 v1, 0x7f800000, v40, vcc_lo
	v_dual_mul_f32 v31, v1, v31 :: v_dual_add_f32 v1, 1.0, v1
	s_delay_alu instid0(VALU_DEP_1) | instskip(NEXT) | instid1(VALU_DEP_1)
	v_div_scale_f32 v40, null, v1, v1, v31
	v_rcp_f32_e32 v42, v40
	v_nop
	s_delay_alu instid0(TRANS32_DEP_1) | instskip(NEXT) | instid1(VALU_DEP_1)
	v_fma_f32 v43, -v40, v42, 1.0
	v_fmac_f32_e32 v42, v43, v42
	v_div_scale_f32 v43, vcc_lo, v31, v1, v31
	s_delay_alu instid0(VALU_DEP_1) | instskip(NEXT) | instid1(VALU_DEP_1)
	v_mul_f32_e32 v44, v43, v42
	v_fma_f32 v45, -v40, v44, v43
	s_delay_alu instid0(VALU_DEP_1) | instskip(NEXT) | instid1(VALU_DEP_1)
	v_fmac_f32_e32 v44, v45, v42
	v_fma_f32 v40, -v40, v44, v43
	s_delay_alu instid0(VALU_DEP_1) | instskip(NEXT) | instid1(VALU_DEP_1)
	v_div_fmas_f32 v40, v40, v42, v44
	v_div_fixup_f32 v31, v40, v1, v31
.LBB65_39:
	s_or_b32 exec_lo, exec_lo, s11
	v_mul_f32_e32 v1, s13, v32
	v_cvt_f32_f16_e32 v32, v41
	s_mov_b32 s11, exec_lo
	s_delay_alu instid0(VALU_DEP_2)
	v_cmpx_nlt_f32_e32 s14, v1
	s_cbranch_execz .LBB65_41
; %bb.40:
	v_mul_f32_e32 v40, 0x3fb8aa3b, v1
	v_cmp_ngt_f32_e32 vcc_lo, 0xc2ce8ed0, v1
	s_delay_alu instid0(VALU_DEP_2) | instskip(SKIP_1) | instid1(VALU_DEP_1)
	v_rndne_f32_e32 v42, v40
	v_fma_f32 v43, 0x3fb8aa3b, v1, -v40
	v_dual_sub_f32 v40, v40, v42 :: v_dual_fmamk_f32 v43, v1, 0x32a5705f, v43
	v_cvt_i32_f32_e32 v42, v42
	s_delay_alu instid0(VALU_DEP_2) | instskip(NEXT) | instid1(VALU_DEP_1)
	v_add_f32_e32 v40, v40, v43
	v_exp_f32_e32 v40, v40
	v_nop
	s_delay_alu instid0(TRANS32_DEP_1) | instskip(NEXT) | instid1(VALU_DEP_1)
	v_ldexp_f32 v40, v40, v42
	v_cndmask_b32_e32 v40, 0, v40, vcc_lo
	v_cmp_nlt_f32_e32 vcc_lo, 0x42b17218, v1
	s_delay_alu instid0(VALU_DEP_2) | instskip(NEXT) | instid1(VALU_DEP_1)
	v_cndmask_b32_e32 v1, 0x7f800000, v40, vcc_lo
	v_dual_mul_f32 v32, v1, v32 :: v_dual_add_f32 v1, 1.0, v1
	s_delay_alu instid0(VALU_DEP_1) | instskip(NEXT) | instid1(VALU_DEP_1)
	v_div_scale_f32 v40, null, v1, v1, v32
	v_rcp_f32_e32 v42, v40
	v_nop
	s_delay_alu instid0(TRANS32_DEP_1) | instskip(NEXT) | instid1(VALU_DEP_1)
	v_fma_f32 v43, -v40, v42, 1.0
	v_fmac_f32_e32 v42, v43, v42
	v_div_scale_f32 v43, vcc_lo, v32, v1, v32
	s_delay_alu instid0(VALU_DEP_1) | instskip(NEXT) | instid1(VALU_DEP_1)
	v_mul_f32_e32 v44, v43, v42
	v_fma_f32 v45, -v40, v44, v43
	s_delay_alu instid0(VALU_DEP_1) | instskip(NEXT) | instid1(VALU_DEP_1)
	v_fmac_f32_e32 v44, v45, v42
	v_fma_f32 v40, -v40, v44, v43
	s_delay_alu instid0(VALU_DEP_1) | instskip(NEXT) | instid1(VALU_DEP_1)
	v_div_fmas_f32 v40, v40, v42, v44
	v_div_fixup_f32 v32, v40, v1, v32
.LBB65_41:
	s_or_b32 exec_lo, exec_lo, s11
	v_lshrrev_b32_e32 v40, 16, v41
	v_mul_f32_e32 v1, s13, v33
	s_mov_b32 s11, exec_lo
	s_delay_alu instid0(VALU_DEP_2) | instskip(NEXT) | instid1(VALU_DEP_2)
	v_cvt_f32_f16_e32 v33, v40
	v_cmpx_nlt_f32_e32 s14, v1
	s_cbranch_execz .LBB65_43
; %bb.42:
	v_mul_f32_e32 v40, 0x3fb8aa3b, v1
	v_cmp_ngt_f32_e32 vcc_lo, 0xc2ce8ed0, v1
	s_delay_alu instid0(VALU_DEP_2) | instskip(SKIP_1) | instid1(VALU_DEP_2)
	v_rndne_f32_e32 v41, v40
	v_fma_f32 v42, 0x3fb8aa3b, v1, -v40
	v_sub_f32_e32 v40, v40, v41
	s_delay_alu instid0(VALU_DEP_2) | instskip(SKIP_1) | instid1(VALU_DEP_2)
	v_fmamk_f32 v42, v1, 0x32a5705f, v42
	v_cvt_i32_f32_e32 v41, v41
	v_add_f32_e32 v40, v40, v42
	s_delay_alu instid0(VALU_DEP_1) | instskip(SKIP_1) | instid1(TRANS32_DEP_1)
	v_exp_f32_e32 v40, v40
	v_nop
	v_ldexp_f32 v40, v40, v41
	s_delay_alu instid0(VALU_DEP_1) | instskip(SKIP_1) | instid1(VALU_DEP_2)
	v_cndmask_b32_e32 v40, 0, v40, vcc_lo
	v_cmp_nlt_f32_e32 vcc_lo, 0x42b17218, v1
	v_cndmask_b32_e32 v1, 0x7f800000, v40, vcc_lo
	s_delay_alu instid0(VALU_DEP_1) | instskip(SKIP_1) | instid1(VALU_DEP_1)
	v_mul_f32_e32 v33, v1, v33
	v_add_f32_e32 v1, 1.0, v1
	v_div_scale_f32 v40, null, v1, v1, v33
	s_delay_alu instid0(VALU_DEP_1) | instskip(SKIP_1) | instid1(TRANS32_DEP_1)
	v_rcp_f32_e32 v41, v40
	v_nop
	v_fma_f32 v42, -v40, v41, 1.0
	s_delay_alu instid0(VALU_DEP_1) | instskip(SKIP_1) | instid1(VALU_DEP_1)
	v_fmac_f32_e32 v41, v42, v41
	v_div_scale_f32 v42, vcc_lo, v33, v1, v33
	v_mul_f32_e32 v43, v42, v41
	s_delay_alu instid0(VALU_DEP_1) | instskip(NEXT) | instid1(VALU_DEP_1)
	v_fma_f32 v44, -v40, v43, v42
	v_fmac_f32_e32 v43, v44, v41
	s_delay_alu instid0(VALU_DEP_1) | instskip(NEXT) | instid1(VALU_DEP_1)
	v_fma_f32 v40, -v40, v43, v42
	v_div_fmas_f32 v40, v40, v41, v43
	s_delay_alu instid0(VALU_DEP_1)
	v_div_fixup_f32 v33, v40, v1, v33
.LBB65_43:
	s_or_b32 exec_lo, exec_lo, s11
	s_wait_loadcnt 0x2
	v_mul_f32_e32 v1, s13, v22
	v_cvt_f32_f16_e32 v22, v38
	s_mov_b32 s11, exec_lo
	s_delay_alu instid0(VALU_DEP_2)
	v_cmpx_nlt_f32_e32 s14, v1
	s_cbranch_execz .LBB65_45
; %bb.44:
	v_mul_f32_e32 v40, 0x3fb8aa3b, v1
	v_cmp_ngt_f32_e32 vcc_lo, 0xc2ce8ed0, v1
	s_delay_alu instid0(VALU_DEP_2) | instskip(SKIP_1) | instid1(VALU_DEP_2)
	v_rndne_f32_e32 v41, v40
	v_fma_f32 v42, 0x3fb8aa3b, v1, -v40
	v_sub_f32_e32 v40, v40, v41
	s_delay_alu instid0(VALU_DEP_2) | instskip(SKIP_1) | instid1(VALU_DEP_2)
	v_fmamk_f32 v42, v1, 0x32a5705f, v42
	v_cvt_i32_f32_e32 v41, v41
	v_add_f32_e32 v40, v40, v42
	s_delay_alu instid0(VALU_DEP_1) | instskip(SKIP_1) | instid1(TRANS32_DEP_1)
	v_exp_f32_e32 v40, v40
	v_nop
	v_ldexp_f32 v40, v40, v41
	s_delay_alu instid0(VALU_DEP_1) | instskip(SKIP_1) | instid1(VALU_DEP_2)
	v_cndmask_b32_e32 v40, 0, v40, vcc_lo
	v_cmp_nlt_f32_e32 vcc_lo, 0x42b17218, v1
	v_cndmask_b32_e32 v1, 0x7f800000, v40, vcc_lo
	s_delay_alu instid0(VALU_DEP_1) | instskip(NEXT) | instid1(VALU_DEP_1)
	v_dual_mul_f32 v22, v1, v22 :: v_dual_add_f32 v1, 1.0, v1
	v_div_scale_f32 v40, null, v1, v1, v22
	s_delay_alu instid0(VALU_DEP_1) | instskip(SKIP_1) | instid1(TRANS32_DEP_1)
	v_rcp_f32_e32 v41, v40
	v_nop
	v_fma_f32 v42, -v40, v41, 1.0
	s_delay_alu instid0(VALU_DEP_1) | instskip(SKIP_1) | instid1(VALU_DEP_1)
	v_fmac_f32_e32 v41, v42, v41
	v_div_scale_f32 v42, vcc_lo, v22, v1, v22
	v_mul_f32_e32 v43, v42, v41
	s_delay_alu instid0(VALU_DEP_1) | instskip(NEXT) | instid1(VALU_DEP_1)
	v_fma_f32 v44, -v40, v43, v42
	v_fmac_f32_e32 v43, v44, v41
	s_delay_alu instid0(VALU_DEP_1) | instskip(NEXT) | instid1(VALU_DEP_1)
	v_fma_f32 v40, -v40, v43, v42
	v_div_fmas_f32 v40, v40, v41, v43
	s_delay_alu instid0(VALU_DEP_1)
	v_div_fixup_f32 v22, v40, v1, v22
.LBB65_45:
	s_or_b32 exec_lo, exec_lo, s11
	v_dual_mul_f32 v1, s13, v23 :: v_dual_lshrrev_b32 v38, 16, v38
	s_mov_b32 s11, exec_lo
	s_delay_alu instid0(VALU_DEP_1) | instskip(NEXT) | instid1(VALU_DEP_2)
	v_cvt_f32_f16_e32 v23, v38
	v_cmpx_nlt_f32_e32 s14, v1
	s_cbranch_execz .LBB65_47
; %bb.46:
	v_mul_f32_e32 v38, 0x3fb8aa3b, v1
	v_cmp_ngt_f32_e32 vcc_lo, 0xc2ce8ed0, v1
	s_delay_alu instid0(VALU_DEP_2) | instskip(SKIP_1) | instid1(VALU_DEP_1)
	v_rndne_f32_e32 v40, v38
	v_fma_f32 v41, 0x3fb8aa3b, v1, -v38
	v_dual_sub_f32 v38, v38, v40 :: v_dual_fmamk_f32 v41, v1, 0x32a5705f, v41
	v_cvt_i32_f32_e32 v40, v40
	s_delay_alu instid0(VALU_DEP_2) | instskip(NEXT) | instid1(VALU_DEP_1)
	v_add_f32_e32 v38, v38, v41
	v_exp_f32_e32 v38, v38
	v_nop
	s_delay_alu instid0(TRANS32_DEP_1) | instskip(NEXT) | instid1(VALU_DEP_1)
	v_ldexp_f32 v38, v38, v40
	v_cndmask_b32_e32 v38, 0, v38, vcc_lo
	v_cmp_nlt_f32_e32 vcc_lo, 0x42b17218, v1
	s_delay_alu instid0(VALU_DEP_2) | instskip(NEXT) | instid1(VALU_DEP_1)
	v_cndmask_b32_e32 v1, 0x7f800000, v38, vcc_lo
	v_dual_mul_f32 v23, v1, v23 :: v_dual_add_f32 v1, 1.0, v1
	s_delay_alu instid0(VALU_DEP_1) | instskip(NEXT) | instid1(VALU_DEP_1)
	v_div_scale_f32 v38, null, v1, v1, v23
	v_rcp_f32_e32 v40, v38
	v_nop
	s_delay_alu instid0(TRANS32_DEP_1) | instskip(NEXT) | instid1(VALU_DEP_1)
	v_fma_f32 v41, -v38, v40, 1.0
	v_fmac_f32_e32 v40, v41, v40
	v_div_scale_f32 v41, vcc_lo, v23, v1, v23
	s_delay_alu instid0(VALU_DEP_1) | instskip(NEXT) | instid1(VALU_DEP_1)
	v_mul_f32_e32 v42, v41, v40
	v_fma_f32 v43, -v38, v42, v41
	s_delay_alu instid0(VALU_DEP_1) | instskip(NEXT) | instid1(VALU_DEP_1)
	v_fmac_f32_e32 v42, v43, v40
	v_fma_f32 v38, -v38, v42, v41
	s_delay_alu instid0(VALU_DEP_1) | instskip(NEXT) | instid1(VALU_DEP_1)
	v_div_fmas_f32 v38, v38, v40, v42
	v_div_fixup_f32 v23, v38, v1, v23
.LBB65_47:
	s_or_b32 exec_lo, exec_lo, s11
	v_mul_f32_e32 v1, s13, v24
	v_cvt_f32_f16_e32 v24, v39
	s_mov_b32 s11, exec_lo
	s_delay_alu instid0(VALU_DEP_2)
	v_cmpx_nlt_f32_e32 s14, v1
	s_cbranch_execz .LBB65_49
; %bb.48:
	v_mul_f32_e32 v38, 0x3fb8aa3b, v1
	v_cmp_ngt_f32_e32 vcc_lo, 0xc2ce8ed0, v1
	s_delay_alu instid0(VALU_DEP_2) | instskip(SKIP_1) | instid1(VALU_DEP_1)
	v_rndne_f32_e32 v40, v38
	v_fma_f32 v41, 0x3fb8aa3b, v1, -v38
	v_dual_sub_f32 v38, v38, v40 :: v_dual_fmamk_f32 v41, v1, 0x32a5705f, v41
	v_cvt_i32_f32_e32 v40, v40
	s_delay_alu instid0(VALU_DEP_2) | instskip(NEXT) | instid1(VALU_DEP_1)
	v_add_f32_e32 v38, v38, v41
	v_exp_f32_e32 v38, v38
	v_nop
	s_delay_alu instid0(TRANS32_DEP_1) | instskip(NEXT) | instid1(VALU_DEP_1)
	v_ldexp_f32 v38, v38, v40
	v_cndmask_b32_e32 v38, 0, v38, vcc_lo
	v_cmp_nlt_f32_e32 vcc_lo, 0x42b17218, v1
	s_delay_alu instid0(VALU_DEP_2) | instskip(NEXT) | instid1(VALU_DEP_1)
	v_cndmask_b32_e32 v1, 0x7f800000, v38, vcc_lo
	v_dual_mul_f32 v24, v1, v24 :: v_dual_add_f32 v1, 1.0, v1
	s_delay_alu instid0(VALU_DEP_1) | instskip(NEXT) | instid1(VALU_DEP_1)
	v_div_scale_f32 v38, null, v1, v1, v24
	v_rcp_f32_e32 v40, v38
	v_nop
	s_delay_alu instid0(TRANS32_DEP_1) | instskip(NEXT) | instid1(VALU_DEP_1)
	v_fma_f32 v41, -v38, v40, 1.0
	v_fmac_f32_e32 v40, v41, v40
	v_div_scale_f32 v41, vcc_lo, v24, v1, v24
	s_delay_alu instid0(VALU_DEP_1) | instskip(NEXT) | instid1(VALU_DEP_1)
	v_mul_f32_e32 v42, v41, v40
	v_fma_f32 v43, -v38, v42, v41
	s_delay_alu instid0(VALU_DEP_1) | instskip(NEXT) | instid1(VALU_DEP_1)
	v_fmac_f32_e32 v42, v43, v40
	v_fma_f32 v38, -v38, v42, v41
	s_delay_alu instid0(VALU_DEP_1) | instskip(NEXT) | instid1(VALU_DEP_1)
	v_div_fmas_f32 v38, v38, v40, v42
	v_div_fixup_f32 v24, v38, v1, v24
.LBB65_49:
	s_or_b32 exec_lo, exec_lo, s11
	v_dual_mul_f32 v1, s13, v25 :: v_dual_lshrrev_b32 v38, 16, v39
	s_mov_b32 s11, exec_lo
	s_delay_alu instid0(VALU_DEP_1) | instskip(NEXT) | instid1(VALU_DEP_2)
	v_cvt_f32_f16_e32 v25, v38
	v_cmpx_nlt_f32_e32 s14, v1
	s_cbranch_execz .LBB65_51
; %bb.50:
	v_mul_f32_e32 v38, 0x3fb8aa3b, v1
	v_cmp_ngt_f32_e32 vcc_lo, 0xc2ce8ed0, v1
	s_delay_alu instid0(VALU_DEP_2) | instskip(SKIP_1) | instid1(VALU_DEP_2)
	v_rndne_f32_e32 v39, v38
	v_fma_f32 v40, 0x3fb8aa3b, v1, -v38
	v_sub_f32_e32 v38, v38, v39
	s_delay_alu instid0(VALU_DEP_2) | instskip(SKIP_1) | instid1(VALU_DEP_2)
	v_fmamk_f32 v40, v1, 0x32a5705f, v40
	v_cvt_i32_f32_e32 v39, v39
	v_add_f32_e32 v38, v38, v40
	s_delay_alu instid0(VALU_DEP_1) | instskip(SKIP_1) | instid1(TRANS32_DEP_1)
	v_exp_f32_e32 v38, v38
	v_nop
	v_ldexp_f32 v38, v38, v39
	s_delay_alu instid0(VALU_DEP_1) | instskip(SKIP_1) | instid1(VALU_DEP_2)
	v_cndmask_b32_e32 v38, 0, v38, vcc_lo
	v_cmp_nlt_f32_e32 vcc_lo, 0x42b17218, v1
	v_cndmask_b32_e32 v1, 0x7f800000, v38, vcc_lo
	s_delay_alu instid0(VALU_DEP_1) | instskip(SKIP_1) | instid1(VALU_DEP_1)
	v_mul_f32_e32 v25, v1, v25
	v_add_f32_e32 v1, 1.0, v1
	v_div_scale_f32 v38, null, v1, v1, v25
	s_delay_alu instid0(VALU_DEP_1) | instskip(SKIP_1) | instid1(TRANS32_DEP_1)
	v_rcp_f32_e32 v39, v38
	v_nop
	v_fma_f32 v40, -v38, v39, 1.0
	s_delay_alu instid0(VALU_DEP_1) | instskip(SKIP_1) | instid1(VALU_DEP_1)
	v_fmac_f32_e32 v39, v40, v39
	v_div_scale_f32 v40, vcc_lo, v25, v1, v25
	v_mul_f32_e32 v41, v40, v39
	s_delay_alu instid0(VALU_DEP_1) | instskip(NEXT) | instid1(VALU_DEP_1)
	v_fma_f32 v42, -v38, v41, v40
	v_fmac_f32_e32 v41, v42, v39
	s_delay_alu instid0(VALU_DEP_1) | instskip(NEXT) | instid1(VALU_DEP_1)
	v_fma_f32 v38, -v38, v41, v40
	v_div_fmas_f32 v38, v38, v39, v41
	s_delay_alu instid0(VALU_DEP_1)
	v_div_fixup_f32 v25, v38, v1, v25
.LBB65_51:
	s_or_b32 exec_lo, exec_lo, s11
	s_wait_loadcnt 0x1
	v_mul_f32_e32 v1, s13, v14
	v_cvt_f32_f16_e32 v14, v36
	s_mov_b32 s11, exec_lo
	s_delay_alu instid0(VALU_DEP_2)
	v_cmpx_nlt_f32_e32 s14, v1
	s_cbranch_execz .LBB65_53
; %bb.52:
	v_mul_f32_e32 v38, 0x3fb8aa3b, v1
	v_cmp_ngt_f32_e32 vcc_lo, 0xc2ce8ed0, v1
	s_delay_alu instid0(VALU_DEP_2) | instskip(SKIP_1) | instid1(VALU_DEP_2)
	v_rndne_f32_e32 v39, v38
	v_fma_f32 v40, 0x3fb8aa3b, v1, -v38
	v_sub_f32_e32 v38, v38, v39
	s_delay_alu instid0(VALU_DEP_2) | instskip(SKIP_1) | instid1(VALU_DEP_2)
	v_fmamk_f32 v40, v1, 0x32a5705f, v40
	v_cvt_i32_f32_e32 v39, v39
	v_add_f32_e32 v38, v38, v40
	s_delay_alu instid0(VALU_DEP_1) | instskip(SKIP_1) | instid1(TRANS32_DEP_1)
	v_exp_f32_e32 v38, v38
	v_nop
	v_ldexp_f32 v38, v38, v39
	s_delay_alu instid0(VALU_DEP_1) | instskip(SKIP_1) | instid1(VALU_DEP_2)
	v_cndmask_b32_e32 v38, 0, v38, vcc_lo
	v_cmp_nlt_f32_e32 vcc_lo, 0x42b17218, v1
	v_cndmask_b32_e32 v1, 0x7f800000, v38, vcc_lo
	s_delay_alu instid0(VALU_DEP_1) | instskip(NEXT) | instid1(VALU_DEP_1)
	v_dual_mul_f32 v14, v1, v14 :: v_dual_add_f32 v1, 1.0, v1
	v_div_scale_f32 v38, null, v1, v1, v14
	s_delay_alu instid0(VALU_DEP_1) | instskip(SKIP_1) | instid1(TRANS32_DEP_1)
	v_rcp_f32_e32 v39, v38
	v_nop
	v_fma_f32 v40, -v38, v39, 1.0
	s_delay_alu instid0(VALU_DEP_1) | instskip(SKIP_1) | instid1(VALU_DEP_1)
	v_fmac_f32_e32 v39, v40, v39
	v_div_scale_f32 v40, vcc_lo, v14, v1, v14
	v_mul_f32_e32 v41, v40, v39
	s_delay_alu instid0(VALU_DEP_1) | instskip(NEXT) | instid1(VALU_DEP_1)
	v_fma_f32 v42, -v38, v41, v40
	v_fmac_f32_e32 v41, v42, v39
	s_delay_alu instid0(VALU_DEP_1) | instskip(NEXT) | instid1(VALU_DEP_1)
	v_fma_f32 v38, -v38, v41, v40
	v_div_fmas_f32 v38, v38, v39, v41
	s_delay_alu instid0(VALU_DEP_1)
	v_div_fixup_f32 v14, v38, v1, v14
.LBB65_53:
	s_or_b32 exec_lo, exec_lo, s11
	v_dual_mul_f32 v1, s13, v15 :: v_dual_lshrrev_b32 v36, 16, v36
	s_mov_b32 s11, exec_lo
	s_delay_alu instid0(VALU_DEP_1) | instskip(NEXT) | instid1(VALU_DEP_2)
	v_cvt_f32_f16_e32 v15, v36
	v_cmpx_nlt_f32_e32 s14, v1
	s_cbranch_execz .LBB65_55
; %bb.54:
	v_mul_f32_e32 v36, 0x3fb8aa3b, v1
	v_cmp_ngt_f32_e32 vcc_lo, 0xc2ce8ed0, v1
	s_delay_alu instid0(VALU_DEP_2) | instskip(SKIP_1) | instid1(VALU_DEP_1)
	v_rndne_f32_e32 v38, v36
	v_fma_f32 v39, 0x3fb8aa3b, v1, -v36
	v_dual_sub_f32 v36, v36, v38 :: v_dual_fmamk_f32 v39, v1, 0x32a5705f, v39
	v_cvt_i32_f32_e32 v38, v38
	s_delay_alu instid0(VALU_DEP_2) | instskip(NEXT) | instid1(VALU_DEP_1)
	v_add_f32_e32 v36, v36, v39
	v_exp_f32_e32 v36, v36
	v_nop
	s_delay_alu instid0(TRANS32_DEP_1) | instskip(NEXT) | instid1(VALU_DEP_1)
	v_ldexp_f32 v36, v36, v38
	v_cndmask_b32_e32 v36, 0, v36, vcc_lo
	v_cmp_nlt_f32_e32 vcc_lo, 0x42b17218, v1
	s_delay_alu instid0(VALU_DEP_2) | instskip(NEXT) | instid1(VALU_DEP_1)
	v_cndmask_b32_e32 v1, 0x7f800000, v36, vcc_lo
	v_dual_mul_f32 v15, v1, v15 :: v_dual_add_f32 v1, 1.0, v1
	s_delay_alu instid0(VALU_DEP_1) | instskip(NEXT) | instid1(VALU_DEP_1)
	v_div_scale_f32 v36, null, v1, v1, v15
	v_rcp_f32_e32 v38, v36
	v_nop
	s_delay_alu instid0(TRANS32_DEP_1) | instskip(NEXT) | instid1(VALU_DEP_1)
	v_fma_f32 v39, -v36, v38, 1.0
	v_fmac_f32_e32 v38, v39, v38
	v_div_scale_f32 v39, vcc_lo, v15, v1, v15
	s_delay_alu instid0(VALU_DEP_1) | instskip(NEXT) | instid1(VALU_DEP_1)
	v_mul_f32_e32 v40, v39, v38
	v_fma_f32 v41, -v36, v40, v39
	s_delay_alu instid0(VALU_DEP_1) | instskip(NEXT) | instid1(VALU_DEP_1)
	v_fmac_f32_e32 v40, v41, v38
	v_fma_f32 v36, -v36, v40, v39
	s_delay_alu instid0(VALU_DEP_1) | instskip(NEXT) | instid1(VALU_DEP_1)
	v_div_fmas_f32 v36, v36, v38, v40
	v_div_fixup_f32 v15, v36, v1, v15
.LBB65_55:
	s_or_b32 exec_lo, exec_lo, s11
	v_mul_f32_e32 v1, s13, v16
	v_cvt_f32_f16_e32 v16, v37
	s_mov_b32 s11, exec_lo
	s_delay_alu instid0(VALU_DEP_2)
	v_cmpx_nlt_f32_e32 s14, v1
	s_cbranch_execz .LBB65_57
; %bb.56:
	v_mul_f32_e32 v36, 0x3fb8aa3b, v1
	v_cmp_ngt_f32_e32 vcc_lo, 0xc2ce8ed0, v1
	s_delay_alu instid0(VALU_DEP_2) | instskip(SKIP_1) | instid1(VALU_DEP_1)
	v_rndne_f32_e32 v38, v36
	v_fma_f32 v39, 0x3fb8aa3b, v1, -v36
	v_dual_sub_f32 v36, v36, v38 :: v_dual_fmamk_f32 v39, v1, 0x32a5705f, v39
	v_cvt_i32_f32_e32 v38, v38
	s_delay_alu instid0(VALU_DEP_2) | instskip(NEXT) | instid1(VALU_DEP_1)
	v_add_f32_e32 v36, v36, v39
	v_exp_f32_e32 v36, v36
	v_nop
	s_delay_alu instid0(TRANS32_DEP_1) | instskip(NEXT) | instid1(VALU_DEP_1)
	v_ldexp_f32 v36, v36, v38
	v_cndmask_b32_e32 v36, 0, v36, vcc_lo
	v_cmp_nlt_f32_e32 vcc_lo, 0x42b17218, v1
	s_delay_alu instid0(VALU_DEP_2) | instskip(NEXT) | instid1(VALU_DEP_1)
	v_cndmask_b32_e32 v1, 0x7f800000, v36, vcc_lo
	v_dual_mul_f32 v16, v1, v16 :: v_dual_add_f32 v1, 1.0, v1
	s_delay_alu instid0(VALU_DEP_1) | instskip(NEXT) | instid1(VALU_DEP_1)
	v_div_scale_f32 v36, null, v1, v1, v16
	v_rcp_f32_e32 v38, v36
	v_nop
	s_delay_alu instid0(TRANS32_DEP_1) | instskip(NEXT) | instid1(VALU_DEP_1)
	v_fma_f32 v39, -v36, v38, 1.0
	v_fmac_f32_e32 v38, v39, v38
	v_div_scale_f32 v39, vcc_lo, v16, v1, v16
	s_delay_alu instid0(VALU_DEP_1) | instskip(NEXT) | instid1(VALU_DEP_1)
	v_mul_f32_e32 v40, v39, v38
	v_fma_f32 v41, -v36, v40, v39
	s_delay_alu instid0(VALU_DEP_1) | instskip(NEXT) | instid1(VALU_DEP_1)
	v_fmac_f32_e32 v40, v41, v38
	v_fma_f32 v36, -v36, v40, v39
	s_delay_alu instid0(VALU_DEP_1) | instskip(NEXT) | instid1(VALU_DEP_1)
	v_div_fmas_f32 v36, v36, v38, v40
	v_div_fixup_f32 v16, v36, v1, v16
.LBB65_57:
	s_or_b32 exec_lo, exec_lo, s11
	v_lshrrev_b32_e32 v36, 16, v37
	v_mul_f32_e32 v1, s13, v17
	s_mov_b32 s11, exec_lo
	s_delay_alu instid0(VALU_DEP_2) | instskip(NEXT) | instid1(VALU_DEP_2)
	v_cvt_f32_f16_e32 v17, v36
	v_cmpx_nlt_f32_e32 s14, v1
	s_cbranch_execz .LBB65_59
; %bb.58:
	v_mul_f32_e32 v36, 0x3fb8aa3b, v1
	v_cmp_ngt_f32_e32 vcc_lo, 0xc2ce8ed0, v1
	s_delay_alu instid0(VALU_DEP_2) | instskip(SKIP_1) | instid1(VALU_DEP_2)
	v_rndne_f32_e32 v37, v36
	v_fma_f32 v38, 0x3fb8aa3b, v1, -v36
	v_sub_f32_e32 v36, v36, v37
	s_delay_alu instid0(VALU_DEP_2) | instskip(SKIP_1) | instid1(VALU_DEP_2)
	v_fmamk_f32 v38, v1, 0x32a5705f, v38
	v_cvt_i32_f32_e32 v37, v37
	v_add_f32_e32 v36, v36, v38
	s_delay_alu instid0(VALU_DEP_1) | instskip(SKIP_1) | instid1(TRANS32_DEP_1)
	v_exp_f32_e32 v36, v36
	v_nop
	v_ldexp_f32 v36, v36, v37
	s_delay_alu instid0(VALU_DEP_1) | instskip(SKIP_1) | instid1(VALU_DEP_2)
	v_cndmask_b32_e32 v36, 0, v36, vcc_lo
	v_cmp_nlt_f32_e32 vcc_lo, 0x42b17218, v1
	v_cndmask_b32_e32 v1, 0x7f800000, v36, vcc_lo
	s_delay_alu instid0(VALU_DEP_1) | instskip(SKIP_1) | instid1(VALU_DEP_1)
	v_mul_f32_e32 v17, v1, v17
	v_add_f32_e32 v1, 1.0, v1
	v_div_scale_f32 v36, null, v1, v1, v17
	s_delay_alu instid0(VALU_DEP_1) | instskip(SKIP_1) | instid1(TRANS32_DEP_1)
	v_rcp_f32_e32 v37, v36
	v_nop
	v_fma_f32 v38, -v36, v37, 1.0
	s_delay_alu instid0(VALU_DEP_1) | instskip(SKIP_1) | instid1(VALU_DEP_1)
	v_fmac_f32_e32 v37, v38, v37
	v_div_scale_f32 v38, vcc_lo, v17, v1, v17
	v_mul_f32_e32 v39, v38, v37
	s_delay_alu instid0(VALU_DEP_1) | instskip(NEXT) | instid1(VALU_DEP_1)
	v_fma_f32 v40, -v36, v39, v38
	v_fmac_f32_e32 v39, v40, v37
	s_delay_alu instid0(VALU_DEP_1) | instskip(NEXT) | instid1(VALU_DEP_1)
	v_fma_f32 v36, -v36, v39, v38
	v_div_fmas_f32 v36, v36, v37, v39
	s_delay_alu instid0(VALU_DEP_1)
	v_div_fixup_f32 v17, v36, v1, v17
.LBB65_59:
	s_or_b32 exec_lo, exec_lo, s11
	s_wait_loadcnt 0x0
	v_mul_f32_e32 v1, s13, v6
	v_cvt_f32_f16_e32 v6, v34
	s_mov_b32 s11, exec_lo
	s_delay_alu instid0(VALU_DEP_2)
	v_cmpx_nlt_f32_e32 s14, v1
	s_cbranch_execz .LBB65_61
; %bb.60:
	v_mul_f32_e32 v36, 0x3fb8aa3b, v1
	v_cmp_ngt_f32_e32 vcc_lo, 0xc2ce8ed0, v1
	s_delay_alu instid0(VALU_DEP_2) | instskip(SKIP_1) | instid1(VALU_DEP_2)
	v_rndne_f32_e32 v37, v36
	v_fma_f32 v38, 0x3fb8aa3b, v1, -v36
	v_sub_f32_e32 v36, v36, v37
	s_delay_alu instid0(VALU_DEP_2) | instskip(SKIP_1) | instid1(VALU_DEP_2)
	v_fmamk_f32 v38, v1, 0x32a5705f, v38
	v_cvt_i32_f32_e32 v37, v37
	v_add_f32_e32 v36, v36, v38
	s_delay_alu instid0(VALU_DEP_1) | instskip(SKIP_1) | instid1(TRANS32_DEP_1)
	v_exp_f32_e32 v36, v36
	v_nop
	v_ldexp_f32 v36, v36, v37
	s_delay_alu instid0(VALU_DEP_1) | instskip(SKIP_1) | instid1(VALU_DEP_2)
	v_cndmask_b32_e32 v36, 0, v36, vcc_lo
	v_cmp_nlt_f32_e32 vcc_lo, 0x42b17218, v1
	v_cndmask_b32_e32 v1, 0x7f800000, v36, vcc_lo
	s_delay_alu instid0(VALU_DEP_1) | instskip(NEXT) | instid1(VALU_DEP_1)
	v_dual_mul_f32 v6, v1, v6 :: v_dual_add_f32 v1, 1.0, v1
	v_div_scale_f32 v36, null, v1, v1, v6
	s_delay_alu instid0(VALU_DEP_1) | instskip(SKIP_1) | instid1(TRANS32_DEP_1)
	v_rcp_f32_e32 v37, v36
	v_nop
	v_fma_f32 v38, -v36, v37, 1.0
	s_delay_alu instid0(VALU_DEP_1) | instskip(SKIP_1) | instid1(VALU_DEP_1)
	v_fmac_f32_e32 v37, v38, v37
	v_div_scale_f32 v38, vcc_lo, v6, v1, v6
	v_mul_f32_e32 v39, v38, v37
	s_delay_alu instid0(VALU_DEP_1) | instskip(NEXT) | instid1(VALU_DEP_1)
	v_fma_f32 v40, -v36, v39, v38
	v_fmac_f32_e32 v39, v40, v37
	s_delay_alu instid0(VALU_DEP_1) | instskip(NEXT) | instid1(VALU_DEP_1)
	v_fma_f32 v36, -v36, v39, v38
	v_div_fmas_f32 v36, v36, v37, v39
	s_delay_alu instid0(VALU_DEP_1)
	v_div_fixup_f32 v6, v36, v1, v6
.LBB65_61:
	s_or_b32 exec_lo, exec_lo, s11
	v_dual_mul_f32 v1, s13, v7 :: v_dual_lshrrev_b32 v34, 16, v34
	s_mov_b32 s11, exec_lo
	s_delay_alu instid0(VALU_DEP_1) | instskip(NEXT) | instid1(VALU_DEP_2)
	v_cvt_f32_f16_e32 v7, v34
	v_cmpx_nlt_f32_e32 s14, v1
	s_cbranch_execz .LBB65_63
; %bb.62:
	v_mul_f32_e32 v34, 0x3fb8aa3b, v1
	v_cmp_ngt_f32_e32 vcc_lo, 0xc2ce8ed0, v1
	s_delay_alu instid0(VALU_DEP_2) | instskip(SKIP_1) | instid1(VALU_DEP_1)
	v_rndne_f32_e32 v36, v34
	v_fma_f32 v37, 0x3fb8aa3b, v1, -v34
	v_dual_sub_f32 v34, v34, v36 :: v_dual_fmamk_f32 v37, v1, 0x32a5705f, v37
	v_cvt_i32_f32_e32 v36, v36
	s_delay_alu instid0(VALU_DEP_2) | instskip(NEXT) | instid1(VALU_DEP_1)
	v_add_f32_e32 v34, v34, v37
	v_exp_f32_e32 v34, v34
	v_nop
	s_delay_alu instid0(TRANS32_DEP_1) | instskip(NEXT) | instid1(VALU_DEP_1)
	v_ldexp_f32 v34, v34, v36
	v_cndmask_b32_e32 v34, 0, v34, vcc_lo
	v_cmp_nlt_f32_e32 vcc_lo, 0x42b17218, v1
	s_delay_alu instid0(VALU_DEP_2) | instskip(NEXT) | instid1(VALU_DEP_1)
	v_cndmask_b32_e32 v1, 0x7f800000, v34, vcc_lo
	v_dual_mul_f32 v7, v1, v7 :: v_dual_add_f32 v1, 1.0, v1
	s_delay_alu instid0(VALU_DEP_1) | instskip(NEXT) | instid1(VALU_DEP_1)
	v_div_scale_f32 v34, null, v1, v1, v7
	v_rcp_f32_e32 v36, v34
	v_nop
	s_delay_alu instid0(TRANS32_DEP_1) | instskip(NEXT) | instid1(VALU_DEP_1)
	v_fma_f32 v37, -v34, v36, 1.0
	v_fmac_f32_e32 v36, v37, v36
	v_div_scale_f32 v37, vcc_lo, v7, v1, v7
	s_delay_alu instid0(VALU_DEP_1) | instskip(NEXT) | instid1(VALU_DEP_1)
	v_mul_f32_e32 v38, v37, v36
	v_fma_f32 v39, -v34, v38, v37
	s_delay_alu instid0(VALU_DEP_1) | instskip(NEXT) | instid1(VALU_DEP_1)
	v_fmac_f32_e32 v38, v39, v36
	v_fma_f32 v34, -v34, v38, v37
	s_delay_alu instid0(VALU_DEP_1) | instskip(NEXT) | instid1(VALU_DEP_1)
	v_div_fmas_f32 v34, v34, v36, v38
	v_div_fixup_f32 v7, v34, v1, v7
.LBB65_63:
	s_or_b32 exec_lo, exec_lo, s11
	v_mul_f32_e32 v1, s13, v8
	v_cvt_f32_f16_e32 v8, v35
	s_mov_b32 s11, exec_lo
	s_delay_alu instid0(VALU_DEP_2)
	v_cmpx_nlt_f32_e32 s14, v1
	s_cbranch_execz .LBB65_65
; %bb.64:
	v_mul_f32_e32 v34, 0x3fb8aa3b, v1
	v_cmp_ngt_f32_e32 vcc_lo, 0xc2ce8ed0, v1
	s_delay_alu instid0(VALU_DEP_2) | instskip(SKIP_1) | instid1(VALU_DEP_1)
	v_rndne_f32_e32 v36, v34
	v_fma_f32 v37, 0x3fb8aa3b, v1, -v34
	v_dual_sub_f32 v34, v34, v36 :: v_dual_fmamk_f32 v37, v1, 0x32a5705f, v37
	v_cvt_i32_f32_e32 v36, v36
	s_delay_alu instid0(VALU_DEP_2) | instskip(NEXT) | instid1(VALU_DEP_1)
	v_add_f32_e32 v34, v34, v37
	v_exp_f32_e32 v34, v34
	v_nop
	s_delay_alu instid0(TRANS32_DEP_1) | instskip(NEXT) | instid1(VALU_DEP_1)
	v_ldexp_f32 v34, v34, v36
	v_cndmask_b32_e32 v34, 0, v34, vcc_lo
	v_cmp_nlt_f32_e32 vcc_lo, 0x42b17218, v1
	s_delay_alu instid0(VALU_DEP_2) | instskip(NEXT) | instid1(VALU_DEP_1)
	v_cndmask_b32_e32 v1, 0x7f800000, v34, vcc_lo
	v_dual_mul_f32 v8, v1, v8 :: v_dual_add_f32 v1, 1.0, v1
	s_delay_alu instid0(VALU_DEP_1) | instskip(NEXT) | instid1(VALU_DEP_1)
	v_div_scale_f32 v34, null, v1, v1, v8
	v_rcp_f32_e32 v36, v34
	v_nop
	s_delay_alu instid0(TRANS32_DEP_1) | instskip(NEXT) | instid1(VALU_DEP_1)
	v_fma_f32 v37, -v34, v36, 1.0
	v_fmac_f32_e32 v36, v37, v36
	v_div_scale_f32 v37, vcc_lo, v8, v1, v8
	s_delay_alu instid0(VALU_DEP_1) | instskip(NEXT) | instid1(VALU_DEP_1)
	v_mul_f32_e32 v38, v37, v36
	v_fma_f32 v39, -v34, v38, v37
	s_delay_alu instid0(VALU_DEP_1) | instskip(NEXT) | instid1(VALU_DEP_1)
	v_fmac_f32_e32 v38, v39, v36
	v_fma_f32 v34, -v34, v38, v37
	s_delay_alu instid0(VALU_DEP_1) | instskip(NEXT) | instid1(VALU_DEP_1)
	v_div_fmas_f32 v34, v34, v36, v38
	v_div_fixup_f32 v8, v34, v1, v8
.LBB65_65:
	s_or_b32 exec_lo, exec_lo, s11
	v_dual_mul_f32 v1, s13, v9 :: v_dual_lshrrev_b32 v34, 16, v35
	s_mov_b32 s11, exec_lo
	s_delay_alu instid0(VALU_DEP_1) | instskip(NEXT) | instid1(VALU_DEP_2)
	v_cvt_f32_f16_e32 v9, v34
	v_cmpx_nlt_f32_e32 s14, v1
	s_cbranch_execz .LBB65_67
; %bb.66:
	v_mul_f32_e32 v34, 0x3fb8aa3b, v1
	v_cmp_ngt_f32_e32 vcc_lo, 0xc2ce8ed0, v1
	s_delay_alu instid0(VALU_DEP_2) | instskip(SKIP_1) | instid1(VALU_DEP_2)
	v_rndne_f32_e32 v35, v34
	v_fma_f32 v36, 0x3fb8aa3b, v1, -v34
	v_sub_f32_e32 v34, v34, v35
	s_delay_alu instid0(VALU_DEP_2) | instskip(SKIP_1) | instid1(VALU_DEP_2)
	v_fmamk_f32 v36, v1, 0x32a5705f, v36
	v_cvt_i32_f32_e32 v35, v35
	v_add_f32_e32 v34, v34, v36
	s_delay_alu instid0(VALU_DEP_1) | instskip(SKIP_1) | instid1(TRANS32_DEP_1)
	v_exp_f32_e32 v34, v34
	v_nop
	v_ldexp_f32 v34, v34, v35
	s_delay_alu instid0(VALU_DEP_1) | instskip(SKIP_1) | instid1(VALU_DEP_2)
	v_cndmask_b32_e32 v34, 0, v34, vcc_lo
	v_cmp_nlt_f32_e32 vcc_lo, 0x42b17218, v1
	v_cndmask_b32_e32 v1, 0x7f800000, v34, vcc_lo
	s_delay_alu instid0(VALU_DEP_1) | instskip(SKIP_1) | instid1(VALU_DEP_1)
	v_mul_f32_e32 v9, v1, v9
	v_add_f32_e32 v1, 1.0, v1
	v_div_scale_f32 v34, null, v1, v1, v9
	s_delay_alu instid0(VALU_DEP_1) | instskip(SKIP_1) | instid1(TRANS32_DEP_1)
	v_rcp_f32_e32 v35, v34
	v_nop
	v_fma_f32 v36, -v34, v35, 1.0
	s_delay_alu instid0(VALU_DEP_1) | instskip(SKIP_1) | instid1(VALU_DEP_1)
	v_fmac_f32_e32 v35, v36, v35
	v_div_scale_f32 v36, vcc_lo, v9, v1, v9
	v_mul_f32_e32 v37, v36, v35
	s_delay_alu instid0(VALU_DEP_1) | instskip(NEXT) | instid1(VALU_DEP_1)
	v_fma_f32 v38, -v34, v37, v36
	v_fmac_f32_e32 v37, v38, v35
	s_delay_alu instid0(VALU_DEP_1) | instskip(NEXT) | instid1(VALU_DEP_1)
	v_fma_f32 v34, -v34, v37, v36
	v_div_fmas_f32 v34, v34, v35, v37
	s_delay_alu instid0(VALU_DEP_1)
	v_div_fixup_f32 v9, v34, v1, v9
.LBB65_67:
	s_or_b32 exec_lo, exec_lo, s11
	s_add_nc_u64 s[16:17], s[4:5], s[8:9]
	s_clause 0x7
	global_store_b128 v0, v[2:5], s[16:17] scale_offset
	global_store_b128 v0, v[10:13], s[16:17] offset:8192 scale_offset
	global_store_b128 v0, v[18:21], s[16:17] offset:16384 scale_offset
	;; [unrolled: 1-line block ×7, first 2 shown]
	s_branch .LBB65_2
.LBB65_68:
	s_clause 0x1
	s_load_b32 s11, s[0:1], 0x2c
	s_load_b128 s[16:19], s[0:1], 0x30
	v_dual_mov_b32 v31, v0 :: v_dual_mov_b32 v0, s13
	v_dual_mov_b32 v1, s14 :: v_dual_mov_b32 v2, s4
	v_dual_mov_b32 v3, s5 :: v_dual_mov_b32 v4, s6
	v_dual_mov_b32 v5, s7 :: v_dual_mov_b32 v6, s2
	v_dual_mov_b32 v7, s3 :: v_dual_mov_b32 v8, s10
	s_add_nc_u64 s[8:9], s[0:1], 64
	s_wait_xcnt 0x0
	s_get_pc_i64 s[0:1]
	s_add_nc_u64 s[0:1], s[0:1], _ZN2at6native25elementwise_kernel_helperILb1EZZZNS0_12_GLOBAL__N_124softplus_backward_kernelERNS_18TensorIteratorBaseERKN3c106ScalarES8_ENKUlvE_clEvENKUlvE0_clEvEUlffE_NS0_6memory8policies11unroll_baseILi512ESt5arrayIPcLm3EE23TrivialOffsetCalculatorILi2EjESI_ILi1EjENSC_12LoadWithCastILi2EEENSC_13StoreWithCastILi1EEELi32ELi1EEEEEvT0_T1_@rel64+4
	s_wait_kmcnt 0x0
	s_bfe_u32 s12, s11, 0x80008
	v_dual_mov_b32 v9, s11 :: v_dual_mov_b32 v11, s16
	v_dual_mov_b32 v12, s17 :: v_dual_mov_b32 v13, s18
	;; [unrolled: 1-line block ×3, first 2 shown]
	s_swap_pc_i64 s[30:31], s[0:1]
	s_endpgm
	.section	.rodata,"a",@progbits
	.p2align	6, 0x0
	.amdhsa_kernel _ZN2at6native39vectorized_templated_elementwise_kernelILi4EZZZNS0_12_GLOBAL__N_124softplus_backward_kernelERNS_18TensorIteratorBaseERKN3c106ScalarES8_ENKUlvE_clEvENKUlvE0_clEvEUlffE_St5arrayIPcLm3EE23TrivialOffsetCalculatorILi2EjESF_ILi1EjENS0_6memory12LoadWithCastILi2EEENSI_13StoreWithCastILi1EEEfJNS5_4HalfEfEEEviT0_T1_T2_T3_T4_T5_
		.amdhsa_group_segment_fixed_size 0
		.amdhsa_private_segment_fixed_size 272
		.amdhsa_kernarg_size 320
		.amdhsa_user_sgpr_count 2
		.amdhsa_user_sgpr_dispatch_ptr 0
		.amdhsa_user_sgpr_queue_ptr 0
		.amdhsa_user_sgpr_kernarg_segment_ptr 1
		.amdhsa_user_sgpr_dispatch_id 0
		.amdhsa_user_sgpr_kernarg_preload_length 0
		.amdhsa_user_sgpr_kernarg_preload_offset 0
		.amdhsa_user_sgpr_private_segment_size 0
		.amdhsa_wavefront_size32 1
		.amdhsa_uses_dynamic_stack 0
		.amdhsa_enable_private_segment 1
		.amdhsa_system_sgpr_workgroup_id_x 1
		.amdhsa_system_sgpr_workgroup_id_y 0
		.amdhsa_system_sgpr_workgroup_id_z 0
		.amdhsa_system_sgpr_workgroup_info 0
		.amdhsa_system_vgpr_workitem_id 0
		.amdhsa_next_free_vgpr 132
		.amdhsa_next_free_sgpr 96
		.amdhsa_named_barrier_count 0
		.amdhsa_reserve_vcc 1
		.amdhsa_float_round_mode_32 0
		.amdhsa_float_round_mode_16_64 0
		.amdhsa_float_denorm_mode_32 3
		.amdhsa_float_denorm_mode_16_64 3
		.amdhsa_fp16_overflow 0
		.amdhsa_memory_ordered 1
		.amdhsa_forward_progress 1
		.amdhsa_inst_pref_size 66
		.amdhsa_round_robin_scheduling 0
		.amdhsa_exception_fp_ieee_invalid_op 0
		.amdhsa_exception_fp_denorm_src 0
		.amdhsa_exception_fp_ieee_div_zero 0
		.amdhsa_exception_fp_ieee_overflow 0
		.amdhsa_exception_fp_ieee_underflow 0
		.amdhsa_exception_fp_ieee_inexact 0
		.amdhsa_exception_int_div_zero 0
	.end_amdhsa_kernel
	.section	.text._ZN2at6native39vectorized_templated_elementwise_kernelILi4EZZZNS0_12_GLOBAL__N_124softplus_backward_kernelERNS_18TensorIteratorBaseERKN3c106ScalarES8_ENKUlvE_clEvENKUlvE0_clEvEUlffE_St5arrayIPcLm3EE23TrivialOffsetCalculatorILi2EjESF_ILi1EjENS0_6memory12LoadWithCastILi2EEENSI_13StoreWithCastILi1EEEfJNS5_4HalfEfEEEviT0_T1_T2_T3_T4_T5_,"axG",@progbits,_ZN2at6native39vectorized_templated_elementwise_kernelILi4EZZZNS0_12_GLOBAL__N_124softplus_backward_kernelERNS_18TensorIteratorBaseERKN3c106ScalarES8_ENKUlvE_clEvENKUlvE0_clEvEUlffE_St5arrayIPcLm3EE23TrivialOffsetCalculatorILi2EjESF_ILi1EjENS0_6memory12LoadWithCastILi2EEENSI_13StoreWithCastILi1EEEfJNS5_4HalfEfEEEviT0_T1_T2_T3_T4_T5_,comdat
.Lfunc_end65:
	.size	_ZN2at6native39vectorized_templated_elementwise_kernelILi4EZZZNS0_12_GLOBAL__N_124softplus_backward_kernelERNS_18TensorIteratorBaseERKN3c106ScalarES8_ENKUlvE_clEvENKUlvE0_clEvEUlffE_St5arrayIPcLm3EE23TrivialOffsetCalculatorILi2EjESF_ILi1EjENS0_6memory12LoadWithCastILi2EEENSI_13StoreWithCastILi1EEEfJNS5_4HalfEfEEEviT0_T1_T2_T3_T4_T5_, .Lfunc_end65-_ZN2at6native39vectorized_templated_elementwise_kernelILi4EZZZNS0_12_GLOBAL__N_124softplus_backward_kernelERNS_18TensorIteratorBaseERKN3c106ScalarES8_ENKUlvE_clEvENKUlvE0_clEvEUlffE_St5arrayIPcLm3EE23TrivialOffsetCalculatorILi2EjESF_ILi1EjENS0_6memory12LoadWithCastILi2EEENSI_13StoreWithCastILi1EEEfJNS5_4HalfEfEEEviT0_T1_T2_T3_T4_T5_
                                        ; -- End function
	.set _ZN2at6native39vectorized_templated_elementwise_kernelILi4EZZZNS0_12_GLOBAL__N_124softplus_backward_kernelERNS_18TensorIteratorBaseERKN3c106ScalarES8_ENKUlvE_clEvENKUlvE0_clEvEUlffE_St5arrayIPcLm3EE23TrivialOffsetCalculatorILi2EjESF_ILi1EjENS0_6memory12LoadWithCastILi2EEENSI_13StoreWithCastILi1EEEfJNS5_4HalfEfEEEviT0_T1_T2_T3_T4_T5_.num_vgpr, max(55, .L_ZN2at6native25elementwise_kernel_helperILb1EZZZNS0_12_GLOBAL__N_124softplus_backward_kernelERNS_18TensorIteratorBaseERKN3c106ScalarES8_ENKUlvE_clEvENKUlvE0_clEvEUlffE_NS0_6memory8policies11unroll_baseILi512ESt5arrayIPcLm3EE23TrivialOffsetCalculatorILi2EjESI_ILi1EjENSC_12LoadWithCastILi2EEENSC_13StoreWithCastILi1EEELi32ELi1EEEEEvT0_T1_.num_vgpr)
	.set _ZN2at6native39vectorized_templated_elementwise_kernelILi4EZZZNS0_12_GLOBAL__N_124softplus_backward_kernelERNS_18TensorIteratorBaseERKN3c106ScalarES8_ENKUlvE_clEvENKUlvE0_clEvEUlffE_St5arrayIPcLm3EE23TrivialOffsetCalculatorILi2EjESF_ILi1EjENS0_6memory12LoadWithCastILi2EEENSI_13StoreWithCastILi1EEEfJNS5_4HalfEfEEEviT0_T1_T2_T3_T4_T5_.num_agpr, max(0, .L_ZN2at6native25elementwise_kernel_helperILb1EZZZNS0_12_GLOBAL__N_124softplus_backward_kernelERNS_18TensorIteratorBaseERKN3c106ScalarES8_ENKUlvE_clEvENKUlvE0_clEvEUlffE_NS0_6memory8policies11unroll_baseILi512ESt5arrayIPcLm3EE23TrivialOffsetCalculatorILi2EjESI_ILi1EjENSC_12LoadWithCastILi2EEENSC_13StoreWithCastILi1EEELi32ELi1EEEEEvT0_T1_.num_agpr)
	.set _ZN2at6native39vectorized_templated_elementwise_kernelILi4EZZZNS0_12_GLOBAL__N_124softplus_backward_kernelERNS_18TensorIteratorBaseERKN3c106ScalarES8_ENKUlvE_clEvENKUlvE0_clEvEUlffE_St5arrayIPcLm3EE23TrivialOffsetCalculatorILi2EjESF_ILi1EjENS0_6memory12LoadWithCastILi2EEENSI_13StoreWithCastILi1EEEfJNS5_4HalfEfEEEviT0_T1_T2_T3_T4_T5_.numbered_sgpr, max(33, .L_ZN2at6native25elementwise_kernel_helperILb1EZZZNS0_12_GLOBAL__N_124softplus_backward_kernelERNS_18TensorIteratorBaseERKN3c106ScalarES8_ENKUlvE_clEvENKUlvE0_clEvEUlffE_NS0_6memory8policies11unroll_baseILi512ESt5arrayIPcLm3EE23TrivialOffsetCalculatorILi2EjESI_ILi1EjENSC_12LoadWithCastILi2EEENSC_13StoreWithCastILi1EEELi32ELi1EEEEEvT0_T1_.numbered_sgpr)
	.set _ZN2at6native39vectorized_templated_elementwise_kernelILi4EZZZNS0_12_GLOBAL__N_124softplus_backward_kernelERNS_18TensorIteratorBaseERKN3c106ScalarES8_ENKUlvE_clEvENKUlvE0_clEvEUlffE_St5arrayIPcLm3EE23TrivialOffsetCalculatorILi2EjESF_ILi1EjENS0_6memory12LoadWithCastILi2EEENSI_13StoreWithCastILi1EEEfJNS5_4HalfEfEEEviT0_T1_T2_T3_T4_T5_.num_named_barrier, max(0, .L_ZN2at6native25elementwise_kernel_helperILb1EZZZNS0_12_GLOBAL__N_124softplus_backward_kernelERNS_18TensorIteratorBaseERKN3c106ScalarES8_ENKUlvE_clEvENKUlvE0_clEvEUlffE_NS0_6memory8policies11unroll_baseILi512ESt5arrayIPcLm3EE23TrivialOffsetCalculatorILi2EjESI_ILi1EjENSC_12LoadWithCastILi2EEENSC_13StoreWithCastILi1EEELi32ELi1EEEEEvT0_T1_.num_named_barrier)
	.set _ZN2at6native39vectorized_templated_elementwise_kernelILi4EZZZNS0_12_GLOBAL__N_124softplus_backward_kernelERNS_18TensorIteratorBaseERKN3c106ScalarES8_ENKUlvE_clEvENKUlvE0_clEvEUlffE_St5arrayIPcLm3EE23TrivialOffsetCalculatorILi2EjESF_ILi1EjENS0_6memory12LoadWithCastILi2EEENSI_13StoreWithCastILi1EEEfJNS5_4HalfEfEEEviT0_T1_T2_T3_T4_T5_.private_seg_size, 0+max(.L_ZN2at6native25elementwise_kernel_helperILb1EZZZNS0_12_GLOBAL__N_124softplus_backward_kernelERNS_18TensorIteratorBaseERKN3c106ScalarES8_ENKUlvE_clEvENKUlvE0_clEvEUlffE_NS0_6memory8policies11unroll_baseILi512ESt5arrayIPcLm3EE23TrivialOffsetCalculatorILi2EjESI_ILi1EjENSC_12LoadWithCastILi2EEENSC_13StoreWithCastILi1EEELi32ELi1EEEEEvT0_T1_.private_seg_size)
	.set _ZN2at6native39vectorized_templated_elementwise_kernelILi4EZZZNS0_12_GLOBAL__N_124softplus_backward_kernelERNS_18TensorIteratorBaseERKN3c106ScalarES8_ENKUlvE_clEvENKUlvE0_clEvEUlffE_St5arrayIPcLm3EE23TrivialOffsetCalculatorILi2EjESF_ILi1EjENS0_6memory12LoadWithCastILi2EEENSI_13StoreWithCastILi1EEEfJNS5_4HalfEfEEEviT0_T1_T2_T3_T4_T5_.uses_vcc, or(1, .L_ZN2at6native25elementwise_kernel_helperILb1EZZZNS0_12_GLOBAL__N_124softplus_backward_kernelERNS_18TensorIteratorBaseERKN3c106ScalarES8_ENKUlvE_clEvENKUlvE0_clEvEUlffE_NS0_6memory8policies11unroll_baseILi512ESt5arrayIPcLm3EE23TrivialOffsetCalculatorILi2EjESI_ILi1EjENSC_12LoadWithCastILi2EEENSC_13StoreWithCastILi1EEELi32ELi1EEEEEvT0_T1_.uses_vcc)
	.set _ZN2at6native39vectorized_templated_elementwise_kernelILi4EZZZNS0_12_GLOBAL__N_124softplus_backward_kernelERNS_18TensorIteratorBaseERKN3c106ScalarES8_ENKUlvE_clEvENKUlvE0_clEvEUlffE_St5arrayIPcLm3EE23TrivialOffsetCalculatorILi2EjESF_ILi1EjENS0_6memory12LoadWithCastILi2EEENSI_13StoreWithCastILi1EEEfJNS5_4HalfEfEEEviT0_T1_T2_T3_T4_T5_.uses_flat_scratch, or(0, .L_ZN2at6native25elementwise_kernel_helperILb1EZZZNS0_12_GLOBAL__N_124softplus_backward_kernelERNS_18TensorIteratorBaseERKN3c106ScalarES8_ENKUlvE_clEvENKUlvE0_clEvEUlffE_NS0_6memory8policies11unroll_baseILi512ESt5arrayIPcLm3EE23TrivialOffsetCalculatorILi2EjESI_ILi1EjENSC_12LoadWithCastILi2EEENSC_13StoreWithCastILi1EEELi32ELi1EEEEEvT0_T1_.uses_flat_scratch)
	.set _ZN2at6native39vectorized_templated_elementwise_kernelILi4EZZZNS0_12_GLOBAL__N_124softplus_backward_kernelERNS_18TensorIteratorBaseERKN3c106ScalarES8_ENKUlvE_clEvENKUlvE0_clEvEUlffE_St5arrayIPcLm3EE23TrivialOffsetCalculatorILi2EjESF_ILi1EjENS0_6memory12LoadWithCastILi2EEENSI_13StoreWithCastILi1EEEfJNS5_4HalfEfEEEviT0_T1_T2_T3_T4_T5_.has_dyn_sized_stack, or(0, .L_ZN2at6native25elementwise_kernel_helperILb1EZZZNS0_12_GLOBAL__N_124softplus_backward_kernelERNS_18TensorIteratorBaseERKN3c106ScalarES8_ENKUlvE_clEvENKUlvE0_clEvEUlffE_NS0_6memory8policies11unroll_baseILi512ESt5arrayIPcLm3EE23TrivialOffsetCalculatorILi2EjESI_ILi1EjENSC_12LoadWithCastILi2EEENSC_13StoreWithCastILi1EEELi32ELi1EEEEEvT0_T1_.has_dyn_sized_stack)
	.set _ZN2at6native39vectorized_templated_elementwise_kernelILi4EZZZNS0_12_GLOBAL__N_124softplus_backward_kernelERNS_18TensorIteratorBaseERKN3c106ScalarES8_ENKUlvE_clEvENKUlvE0_clEvEUlffE_St5arrayIPcLm3EE23TrivialOffsetCalculatorILi2EjESF_ILi1EjENS0_6memory12LoadWithCastILi2EEENSI_13StoreWithCastILi1EEEfJNS5_4HalfEfEEEviT0_T1_T2_T3_T4_T5_.has_recursion, or(0, .L_ZN2at6native25elementwise_kernel_helperILb1EZZZNS0_12_GLOBAL__N_124softplus_backward_kernelERNS_18TensorIteratorBaseERKN3c106ScalarES8_ENKUlvE_clEvENKUlvE0_clEvEUlffE_NS0_6memory8policies11unroll_baseILi512ESt5arrayIPcLm3EE23TrivialOffsetCalculatorILi2EjESI_ILi1EjENSC_12LoadWithCastILi2EEENSC_13StoreWithCastILi1EEELi32ELi1EEEEEvT0_T1_.has_recursion)
	.set _ZN2at6native39vectorized_templated_elementwise_kernelILi4EZZZNS0_12_GLOBAL__N_124softplus_backward_kernelERNS_18TensorIteratorBaseERKN3c106ScalarES8_ENKUlvE_clEvENKUlvE0_clEvEUlffE_St5arrayIPcLm3EE23TrivialOffsetCalculatorILi2EjESF_ILi1EjENS0_6memory12LoadWithCastILi2EEENSI_13StoreWithCastILi1EEEfJNS5_4HalfEfEEEviT0_T1_T2_T3_T4_T5_.has_indirect_call, or(0, .L_ZN2at6native25elementwise_kernel_helperILb1EZZZNS0_12_GLOBAL__N_124softplus_backward_kernelERNS_18TensorIteratorBaseERKN3c106ScalarES8_ENKUlvE_clEvENKUlvE0_clEvEUlffE_NS0_6memory8policies11unroll_baseILi512ESt5arrayIPcLm3EE23TrivialOffsetCalculatorILi2EjESI_ILi1EjENSC_12LoadWithCastILi2EEENSC_13StoreWithCastILi1EEELi32ELi1EEEEEvT0_T1_.has_indirect_call)
	.section	.AMDGPU.csdata,"",@progbits
; Kernel info:
; codeLenInByte = 8344
; TotalNumSgprs: 98
; NumVgprs: 132
; ScratchSize: 272
; MemoryBound: 0
; FloatMode: 240
; IeeeMode: 1
; LDSByteSize: 0 bytes/workgroup (compile time only)
; SGPRBlocks: 0
; VGPRBlocks: 8
; NumSGPRsForWavesPerEU: 98
; NumVGPRsForWavesPerEU: 132
; NamedBarCnt: 0
; Occupancy: 7
; WaveLimiterHint : 1
; COMPUTE_PGM_RSRC2:SCRATCH_EN: 1
; COMPUTE_PGM_RSRC2:USER_SGPR: 2
; COMPUTE_PGM_RSRC2:TRAP_HANDLER: 0
; COMPUTE_PGM_RSRC2:TGID_X_EN: 1
; COMPUTE_PGM_RSRC2:TGID_Y_EN: 0
; COMPUTE_PGM_RSRC2:TGID_Z_EN: 0
; COMPUTE_PGM_RSRC2:TIDIG_COMP_CNT: 0
	.section	.text._ZN2at6native39vectorized_templated_elementwise_kernelILi2EZZZNS0_12_GLOBAL__N_124softplus_backward_kernelERNS_18TensorIteratorBaseERKN3c106ScalarES8_ENKUlvE_clEvENKUlvE0_clEvEUlffE_St5arrayIPcLm3EE23TrivialOffsetCalculatorILi2EjESF_ILi1EjENS0_6memory12LoadWithCastILi2EEENSI_13StoreWithCastILi1EEEfJNS5_4HalfEfEEEviT0_T1_T2_T3_T4_T5_,"axG",@progbits,_ZN2at6native39vectorized_templated_elementwise_kernelILi2EZZZNS0_12_GLOBAL__N_124softplus_backward_kernelERNS_18TensorIteratorBaseERKN3c106ScalarES8_ENKUlvE_clEvENKUlvE0_clEvEUlffE_St5arrayIPcLm3EE23TrivialOffsetCalculatorILi2EjESF_ILi1EjENS0_6memory12LoadWithCastILi2EEENSI_13StoreWithCastILi1EEEfJNS5_4HalfEfEEEviT0_T1_T2_T3_T4_T5_,comdat
	.globl	_ZN2at6native39vectorized_templated_elementwise_kernelILi2EZZZNS0_12_GLOBAL__N_124softplus_backward_kernelERNS_18TensorIteratorBaseERKN3c106ScalarES8_ENKUlvE_clEvENKUlvE0_clEvEUlffE_St5arrayIPcLm3EE23TrivialOffsetCalculatorILi2EjESF_ILi1EjENS0_6memory12LoadWithCastILi2EEENSI_13StoreWithCastILi1EEEfJNS5_4HalfEfEEEviT0_T1_T2_T3_T4_T5_ ; -- Begin function _ZN2at6native39vectorized_templated_elementwise_kernelILi2EZZZNS0_12_GLOBAL__N_124softplus_backward_kernelERNS_18TensorIteratorBaseERKN3c106ScalarES8_ENKUlvE_clEvENKUlvE0_clEvEUlffE_St5arrayIPcLm3EE23TrivialOffsetCalculatorILi2EjESF_ILi1EjENS0_6memory12LoadWithCastILi2EEENSI_13StoreWithCastILi1EEEfJNS5_4HalfEfEEEviT0_T1_T2_T3_T4_T5_
	.p2align	8
	.type	_ZN2at6native39vectorized_templated_elementwise_kernelILi2EZZZNS0_12_GLOBAL__N_124softplus_backward_kernelERNS_18TensorIteratorBaseERKN3c106ScalarES8_ENKUlvE_clEvENKUlvE0_clEvEUlffE_St5arrayIPcLm3EE23TrivialOffsetCalculatorILi2EjESF_ILi1EjENS0_6memory12LoadWithCastILi2EEENSI_13StoreWithCastILi1EEEfJNS5_4HalfEfEEEviT0_T1_T2_T3_T4_T5_,@function
_ZN2at6native39vectorized_templated_elementwise_kernelILi2EZZZNS0_12_GLOBAL__N_124softplus_backward_kernelERNS_18TensorIteratorBaseERKN3c106ScalarES8_ENKUlvE_clEvENKUlvE0_clEvEUlffE_St5arrayIPcLm3EE23TrivialOffsetCalculatorILi2EjESF_ILi1EjENS0_6memory12LoadWithCastILi2EEENSI_13StoreWithCastILi1EEEfJNS5_4HalfEfEEEviT0_T1_T2_T3_T4_T5_: ; @_ZN2at6native39vectorized_templated_elementwise_kernelILi2EZZZNS0_12_GLOBAL__N_124softplus_backward_kernelERNS_18TensorIteratorBaseERKN3c106ScalarES8_ENKUlvE_clEvENKUlvE0_clEvEUlffE_St5arrayIPcLm3EE23TrivialOffsetCalculatorILi2EjESF_ILi1EjENS0_6memory12LoadWithCastILi2EEENSI_13StoreWithCastILi1EEEfJNS5_4HalfEfEEEviT0_T1_T2_T3_T4_T5_
; %bb.0:
	s_clause 0x2
	s_load_b32 s8, s[0:1], 0x40
	s_load_b96 s[12:14], s[0:1], 0x0
	s_load_b64 s[2:3], s[0:1], 0x20
	s_bfe_u32 s9, ttmp6, 0x4000c
	s_load_b128 s[4:7], s[0:1], 0x10
	s_add_co_i32 s9, s9, 1
	s_and_b32 s10, ttmp6, 15
	s_mul_i32 s9, ttmp9, s9
	s_getreg_b32 s11, hwreg(HW_REG_IB_STS2, 6, 4)
	s_add_co_i32 s10, s10, s9
	s_cmp_eq_u32 s11, 0
	s_mov_b32 s32, 0
	s_cselect_b32 s9, ttmp9, s10
	s_delay_alu instid0(SALU_CYCLE_1) | instskip(SKIP_4) | instid1(SALU_CYCLE_1)
	s_not_b32 s9, s9
	s_wait_kmcnt 0x0
	s_add_co_i32 s8, s8, s9
	s_mov_b32 s9, -1
	s_lshl_b32 s8, s8, 14
	s_sub_co_i32 s10, s12, s8
	s_delay_alu instid0(SALU_CYCLE_1)
	s_cmp_gt_i32 s10, 0x3fff
	s_cbranch_scc1 .LBB66_3
; %bb.1:
	s_and_b32 vcc_lo, exec_lo, s9
	s_cbranch_vccnz .LBB66_68
.LBB66_2:
	s_sendmsg sendmsg(MSG_DEALLOC_VGPRS)
	s_endpgm
.LBB66_3:
	s_ashr_i32 s9, s8, 31
	s_mov_b32 s11, exec_lo
	s_lshl_b64 s[16:17], s[8:9], 1
	s_lshl_b64 s[8:9], s[8:9], 2
	s_add_nc_u64 s[16:17], s[6:7], s[16:17]
	s_add_nc_u64 s[18:19], s[2:3], s[8:9]
	s_clause 0x1f
	global_load_b32 v48, v0, s[16:17] scale_offset
	global_load_b32 v47, v0, s[16:17] offset:2048 scale_offset
	global_load_b32 v46, v0, s[16:17] offset:4096 scale_offset
	global_load_b32 v45, v0, s[16:17] offset:6144 scale_offset
	global_load_b32 v44, v0, s[16:17] offset:8192 scale_offset
	global_load_b32 v43, v0, s[16:17] offset:10240 scale_offset
	global_load_b32 v42, v0, s[16:17] offset:12288 scale_offset
	global_load_b32 v41, v0, s[16:17] offset:14336 scale_offset
	global_load_b32 v40, v0, s[16:17] offset:16384 scale_offset
	global_load_b32 v39, v0, s[16:17] offset:18432 scale_offset
	global_load_b32 v38, v0, s[16:17] offset:20480 scale_offset
	global_load_b32 v37, v0, s[16:17] offset:22528 scale_offset
	global_load_b32 v36, v0, s[16:17] offset:24576 scale_offset
	global_load_b32 v35, v0, s[16:17] offset:26624 scale_offset
	global_load_b32 v34, v0, s[16:17] offset:28672 scale_offset
	global_load_b32 v1, v0, s[16:17] offset:30720 scale_offset
	global_load_b64 v[2:3], v0, s[18:19] scale_offset
	global_load_b64 v[6:7], v0, s[18:19] offset:4096 scale_offset
	global_load_b64 v[10:11], v0, s[18:19] offset:8192 scale_offset
	;; [unrolled: 1-line block ×6, first 2 shown]
	; meta instruction
	global_load_b64 v[30:31], v0, s[18:19] offset:28672 scale_offset
	global_load_b64 v[32:33], v0, s[18:19] offset:32768 scale_offset
	;; [unrolled: 1-line block ×9, first 2 shown]
	s_wait_loadcnt 0xf
	v_mul_f32_e32 v49, s13, v2
	v_cvt_f32_f16_e32 v2, v48
	s_wait_xcnt 0x0
	s_delay_alu instid0(VALU_DEP_2)
	v_cmpx_nlt_f32_e32 s14, v49
	s_cbranch_execz .LBB66_5
; %bb.4:
	v_mul_f32_e32 v50, 0x3fb8aa3b, v49
	v_cmp_ngt_f32_e32 vcc_lo, 0xc2ce8ed0, v49
	s_delay_alu instid0(VALU_DEP_2) | instskip(SKIP_1) | instid1(VALU_DEP_2)
	v_rndne_f32_e32 v51, v50
	v_fma_f32 v52, 0x3fb8aa3b, v49, -v50
	v_sub_f32_e32 v50, v50, v51
	s_delay_alu instid0(VALU_DEP_2) | instskip(SKIP_1) | instid1(VALU_DEP_2)
	v_fmamk_f32 v52, v49, 0x32a5705f, v52
	v_cvt_i32_f32_e32 v51, v51
	v_add_f32_e32 v50, v50, v52
	s_delay_alu instid0(VALU_DEP_1) | instskip(SKIP_1) | instid1(TRANS32_DEP_1)
	v_exp_f32_e32 v50, v50
	v_nop
	v_ldexp_f32 v50, v50, v51
	s_delay_alu instid0(VALU_DEP_1) | instskip(SKIP_1) | instid1(VALU_DEP_2)
	v_cndmask_b32_e32 v50, 0, v50, vcc_lo
	v_cmp_nlt_f32_e32 vcc_lo, 0x42b17218, v49
	v_cndmask_b32_e32 v49, 0x7f800000, v50, vcc_lo
	s_delay_alu instid0(VALU_DEP_1) | instskip(NEXT) | instid1(VALU_DEP_1)
	v_dual_mul_f32 v2, v49, v2 :: v_dual_add_f32 v49, 1.0, v49
	v_div_scale_f32 v50, null, v49, v49, v2
	s_delay_alu instid0(VALU_DEP_1) | instskip(SKIP_1) | instid1(TRANS32_DEP_1)
	v_rcp_f32_e32 v51, v50
	v_nop
	v_fma_f32 v52, -v50, v51, 1.0
	s_delay_alu instid0(VALU_DEP_1) | instskip(SKIP_1) | instid1(VALU_DEP_1)
	v_fmac_f32_e32 v51, v52, v51
	v_div_scale_f32 v52, vcc_lo, v2, v49, v2
	v_mul_f32_e32 v53, v52, v51
	s_delay_alu instid0(VALU_DEP_1) | instskip(NEXT) | instid1(VALU_DEP_1)
	v_fma_f32 v54, -v50, v53, v52
	v_fmac_f32_e32 v53, v54, v51
	s_delay_alu instid0(VALU_DEP_1) | instskip(NEXT) | instid1(VALU_DEP_1)
	v_fma_f32 v50, -v50, v53, v52
	v_div_fmas_f32 v50, v50, v51, v53
	s_delay_alu instid0(VALU_DEP_1)
	v_div_fixup_f32 v2, v50, v49, v2
.LBB66_5:
	s_or_b32 exec_lo, exec_lo, s11
	v_dual_mul_f32 v48, s13, v3 :: v_dual_lshrrev_b32 v49, 16, v48
	s_mov_b32 s11, exec_lo
	s_delay_alu instid0(VALU_DEP_1) | instskip(NEXT) | instid1(VALU_DEP_2)
	v_cvt_f32_f16_e32 v3, v49
	v_cmpx_nlt_f32_e32 s14, v48
	s_cbranch_execz .LBB66_7
; %bb.6:
	v_mul_f32_e32 v49, 0x3fb8aa3b, v48
	v_cmp_ngt_f32_e32 vcc_lo, 0xc2ce8ed0, v48
	s_delay_alu instid0(VALU_DEP_2) | instskip(SKIP_1) | instid1(VALU_DEP_2)
	v_rndne_f32_e32 v50, v49
	v_fma_f32 v51, 0x3fb8aa3b, v48, -v49
	v_sub_f32_e32 v49, v49, v50
	s_delay_alu instid0(VALU_DEP_2) | instskip(SKIP_1) | instid1(VALU_DEP_2)
	v_fmamk_f32 v51, v48, 0x32a5705f, v51
	v_cvt_i32_f32_e32 v50, v50
	v_add_f32_e32 v49, v49, v51
	s_delay_alu instid0(VALU_DEP_1) | instskip(SKIP_1) | instid1(TRANS32_DEP_1)
	v_exp_f32_e32 v49, v49
	v_nop
	v_ldexp_f32 v49, v49, v50
	s_delay_alu instid0(VALU_DEP_1) | instskip(SKIP_1) | instid1(VALU_DEP_2)
	v_cndmask_b32_e32 v49, 0, v49, vcc_lo
	v_cmp_nlt_f32_e32 vcc_lo, 0x42b17218, v48
	v_cndmask_b32_e32 v48, 0x7f800000, v49, vcc_lo
	s_delay_alu instid0(VALU_DEP_1) | instskip(NEXT) | instid1(VALU_DEP_1)
	v_dual_mul_f32 v3, v48, v3 :: v_dual_add_f32 v48, 1.0, v48
	v_div_scale_f32 v49, null, v48, v48, v3
	s_delay_alu instid0(VALU_DEP_1) | instskip(SKIP_1) | instid1(TRANS32_DEP_1)
	v_rcp_f32_e32 v50, v49
	v_nop
	v_fma_f32 v51, -v49, v50, 1.0
	s_delay_alu instid0(VALU_DEP_1) | instskip(SKIP_1) | instid1(VALU_DEP_1)
	v_fmac_f32_e32 v50, v51, v50
	v_div_scale_f32 v51, vcc_lo, v3, v48, v3
	v_mul_f32_e32 v52, v51, v50
	s_delay_alu instid0(VALU_DEP_1) | instskip(NEXT) | instid1(VALU_DEP_1)
	v_fma_f32 v53, -v49, v52, v51
	v_fmac_f32_e32 v52, v53, v50
	s_delay_alu instid0(VALU_DEP_1) | instskip(NEXT) | instid1(VALU_DEP_1)
	v_fma_f32 v49, -v49, v52, v51
	v_div_fmas_f32 v49, v49, v50, v52
	s_delay_alu instid0(VALU_DEP_1)
	v_div_fixup_f32 v3, v49, v48, v3
.LBB66_7:
	s_or_b32 exec_lo, exec_lo, s11
	s_wait_loadcnt 0xe
	v_mul_f32_e32 v48, s13, v6
	v_cvt_f32_f16_e32 v6, v47
	s_mov_b32 s11, exec_lo
	s_delay_alu instid0(VALU_DEP_2)
	v_cmpx_nlt_f32_e32 s14, v48
	s_cbranch_execz .LBB66_9
; %bb.8:
	v_mul_f32_e32 v49, 0x3fb8aa3b, v48
	v_cmp_ngt_f32_e32 vcc_lo, 0xc2ce8ed0, v48
	s_delay_alu instid0(VALU_DEP_2) | instskip(SKIP_1) | instid1(VALU_DEP_2)
	v_rndne_f32_e32 v50, v49
	v_fma_f32 v51, 0x3fb8aa3b, v48, -v49
	v_sub_f32_e32 v49, v49, v50
	s_delay_alu instid0(VALU_DEP_2) | instskip(SKIP_1) | instid1(VALU_DEP_2)
	v_fmamk_f32 v51, v48, 0x32a5705f, v51
	v_cvt_i32_f32_e32 v50, v50
	v_add_f32_e32 v49, v49, v51
	s_delay_alu instid0(VALU_DEP_1) | instskip(SKIP_1) | instid1(TRANS32_DEP_1)
	v_exp_f32_e32 v49, v49
	v_nop
	v_ldexp_f32 v49, v49, v50
	s_delay_alu instid0(VALU_DEP_1) | instskip(SKIP_1) | instid1(VALU_DEP_2)
	v_cndmask_b32_e32 v49, 0, v49, vcc_lo
	v_cmp_nlt_f32_e32 vcc_lo, 0x42b17218, v48
	v_cndmask_b32_e32 v48, 0x7f800000, v49, vcc_lo
	s_delay_alu instid0(VALU_DEP_1) | instskip(NEXT) | instid1(VALU_DEP_1)
	v_dual_mul_f32 v6, v48, v6 :: v_dual_add_f32 v48, 1.0, v48
	v_div_scale_f32 v49, null, v48, v48, v6
	s_delay_alu instid0(VALU_DEP_1) | instskip(SKIP_1) | instid1(TRANS32_DEP_1)
	v_rcp_f32_e32 v50, v49
	v_nop
	v_fma_f32 v51, -v49, v50, 1.0
	s_delay_alu instid0(VALU_DEP_1) | instskip(SKIP_1) | instid1(VALU_DEP_1)
	v_fmac_f32_e32 v50, v51, v50
	v_div_scale_f32 v51, vcc_lo, v6, v48, v6
	v_mul_f32_e32 v52, v51, v50
	s_delay_alu instid0(VALU_DEP_1) | instskip(NEXT) | instid1(VALU_DEP_1)
	v_fma_f32 v53, -v49, v52, v51
	v_fmac_f32_e32 v52, v53, v50
	s_delay_alu instid0(VALU_DEP_1) | instskip(NEXT) | instid1(VALU_DEP_1)
	v_fma_f32 v49, -v49, v52, v51
	v_div_fmas_f32 v49, v49, v50, v52
	s_delay_alu instid0(VALU_DEP_1)
	v_div_fixup_f32 v6, v49, v48, v6
.LBB66_9:
	s_or_b32 exec_lo, exec_lo, s11
	v_lshrrev_b32_e32 v48, 16, v47
	v_mul_f32_e32 v47, s13, v7
	s_mov_b32 s11, exec_lo
	s_delay_alu instid0(VALU_DEP_2) | instskip(NEXT) | instid1(VALU_DEP_2)
	v_cvt_f32_f16_e32 v7, v48
	v_cmpx_nlt_f32_e32 s14, v47
	s_cbranch_execz .LBB66_11
; %bb.10:
	v_mul_f32_e32 v48, 0x3fb8aa3b, v47
	v_cmp_ngt_f32_e32 vcc_lo, 0xc2ce8ed0, v47
	s_delay_alu instid0(VALU_DEP_2) | instskip(SKIP_1) | instid1(VALU_DEP_2)
	v_rndne_f32_e32 v49, v48
	v_fma_f32 v50, 0x3fb8aa3b, v47, -v48
	v_sub_f32_e32 v48, v48, v49
	s_delay_alu instid0(VALU_DEP_2) | instskip(SKIP_1) | instid1(VALU_DEP_2)
	v_fmamk_f32 v50, v47, 0x32a5705f, v50
	v_cvt_i32_f32_e32 v49, v49
	v_add_f32_e32 v48, v48, v50
	s_delay_alu instid0(VALU_DEP_1) | instskip(SKIP_1) | instid1(TRANS32_DEP_1)
	v_exp_f32_e32 v48, v48
	v_nop
	v_ldexp_f32 v48, v48, v49
	s_delay_alu instid0(VALU_DEP_1) | instskip(SKIP_1) | instid1(VALU_DEP_2)
	v_cndmask_b32_e32 v48, 0, v48, vcc_lo
	v_cmp_nlt_f32_e32 vcc_lo, 0x42b17218, v47
	v_cndmask_b32_e32 v47, 0x7f800000, v48, vcc_lo
	s_delay_alu instid0(VALU_DEP_1) | instskip(SKIP_1) | instid1(VALU_DEP_1)
	v_mul_f32_e32 v7, v47, v7
	v_add_f32_e32 v47, 1.0, v47
	v_div_scale_f32 v48, null, v47, v47, v7
	s_delay_alu instid0(VALU_DEP_1) | instskip(SKIP_1) | instid1(TRANS32_DEP_1)
	v_rcp_f32_e32 v49, v48
	v_nop
	v_fma_f32 v50, -v48, v49, 1.0
	s_delay_alu instid0(VALU_DEP_1) | instskip(SKIP_1) | instid1(VALU_DEP_1)
	v_fmac_f32_e32 v49, v50, v49
	v_div_scale_f32 v50, vcc_lo, v7, v47, v7
	v_mul_f32_e32 v51, v50, v49
	s_delay_alu instid0(VALU_DEP_1) | instskip(NEXT) | instid1(VALU_DEP_1)
	v_fma_f32 v52, -v48, v51, v50
	v_fmac_f32_e32 v51, v52, v49
	s_delay_alu instid0(VALU_DEP_1) | instskip(NEXT) | instid1(VALU_DEP_1)
	v_fma_f32 v48, -v48, v51, v50
	v_div_fmas_f32 v48, v48, v49, v51
	s_delay_alu instid0(VALU_DEP_1)
	v_div_fixup_f32 v7, v48, v47, v7
.LBB66_11:
	s_or_b32 exec_lo, exec_lo, s11
	s_wait_loadcnt 0xd
	v_mul_f32_e32 v47, s13, v10
	v_cvt_f32_f16_e32 v10, v46
	s_mov_b32 s11, exec_lo
	s_delay_alu instid0(VALU_DEP_2)
	v_cmpx_nlt_f32_e32 s14, v47
	s_cbranch_execz .LBB66_13
; %bb.12:
	v_mul_f32_e32 v48, 0x3fb8aa3b, v47
	v_cmp_ngt_f32_e32 vcc_lo, 0xc2ce8ed0, v47
	s_delay_alu instid0(VALU_DEP_2) | instskip(SKIP_1) | instid1(VALU_DEP_2)
	v_rndne_f32_e32 v49, v48
	v_fma_f32 v50, 0x3fb8aa3b, v47, -v48
	v_sub_f32_e32 v48, v48, v49
	s_delay_alu instid0(VALU_DEP_2) | instskip(SKIP_1) | instid1(VALU_DEP_2)
	v_fmamk_f32 v50, v47, 0x32a5705f, v50
	v_cvt_i32_f32_e32 v49, v49
	v_add_f32_e32 v48, v48, v50
	s_delay_alu instid0(VALU_DEP_1) | instskip(SKIP_1) | instid1(TRANS32_DEP_1)
	v_exp_f32_e32 v48, v48
	v_nop
	v_ldexp_f32 v48, v48, v49
	s_delay_alu instid0(VALU_DEP_1) | instskip(SKIP_1) | instid1(VALU_DEP_2)
	v_cndmask_b32_e32 v48, 0, v48, vcc_lo
	v_cmp_nlt_f32_e32 vcc_lo, 0x42b17218, v47
	v_cndmask_b32_e32 v47, 0x7f800000, v48, vcc_lo
	s_delay_alu instid0(VALU_DEP_1) | instskip(NEXT) | instid1(VALU_DEP_1)
	v_dual_mul_f32 v10, v47, v10 :: v_dual_add_f32 v47, 1.0, v47
	v_div_scale_f32 v48, null, v47, v47, v10
	s_delay_alu instid0(VALU_DEP_1) | instskip(SKIP_1) | instid1(TRANS32_DEP_1)
	v_rcp_f32_e32 v49, v48
	v_nop
	v_fma_f32 v50, -v48, v49, 1.0
	s_delay_alu instid0(VALU_DEP_1) | instskip(SKIP_1) | instid1(VALU_DEP_1)
	v_fmac_f32_e32 v49, v50, v49
	v_div_scale_f32 v50, vcc_lo, v10, v47, v10
	v_mul_f32_e32 v51, v50, v49
	s_delay_alu instid0(VALU_DEP_1) | instskip(NEXT) | instid1(VALU_DEP_1)
	v_fma_f32 v52, -v48, v51, v50
	v_fmac_f32_e32 v51, v52, v49
	s_delay_alu instid0(VALU_DEP_1) | instskip(NEXT) | instid1(VALU_DEP_1)
	v_fma_f32 v48, -v48, v51, v50
	v_div_fmas_f32 v48, v48, v49, v51
	s_delay_alu instid0(VALU_DEP_1)
	v_div_fixup_f32 v10, v48, v47, v10
.LBB66_13:
	s_or_b32 exec_lo, exec_lo, s11
	v_dual_mul_f32 v46, s13, v11 :: v_dual_lshrrev_b32 v47, 16, v46
	s_mov_b32 s11, exec_lo
	s_delay_alu instid0(VALU_DEP_1) | instskip(NEXT) | instid1(VALU_DEP_2)
	v_cvt_f32_f16_e32 v11, v47
	v_cmpx_nlt_f32_e32 s14, v46
	s_cbranch_execz .LBB66_15
; %bb.14:
	v_mul_f32_e32 v47, 0x3fb8aa3b, v46
	v_cmp_ngt_f32_e32 vcc_lo, 0xc2ce8ed0, v46
	s_delay_alu instid0(VALU_DEP_2) | instskip(SKIP_1) | instid1(VALU_DEP_2)
	v_rndne_f32_e32 v48, v47
	v_fma_f32 v49, 0x3fb8aa3b, v46, -v47
	v_sub_f32_e32 v47, v47, v48
	s_delay_alu instid0(VALU_DEP_2) | instskip(SKIP_1) | instid1(VALU_DEP_2)
	v_fmamk_f32 v49, v46, 0x32a5705f, v49
	v_cvt_i32_f32_e32 v48, v48
	v_add_f32_e32 v47, v47, v49
	s_delay_alu instid0(VALU_DEP_1) | instskip(SKIP_1) | instid1(TRANS32_DEP_1)
	v_exp_f32_e32 v47, v47
	v_nop
	v_ldexp_f32 v47, v47, v48
	s_delay_alu instid0(VALU_DEP_1) | instskip(SKIP_1) | instid1(VALU_DEP_2)
	v_cndmask_b32_e32 v47, 0, v47, vcc_lo
	v_cmp_nlt_f32_e32 vcc_lo, 0x42b17218, v46
	v_cndmask_b32_e32 v46, 0x7f800000, v47, vcc_lo
	s_delay_alu instid0(VALU_DEP_1) | instskip(NEXT) | instid1(VALU_DEP_1)
	v_dual_mul_f32 v11, v46, v11 :: v_dual_add_f32 v46, 1.0, v46
	v_div_scale_f32 v47, null, v46, v46, v11
	s_delay_alu instid0(VALU_DEP_1) | instskip(SKIP_1) | instid1(TRANS32_DEP_1)
	v_rcp_f32_e32 v48, v47
	v_nop
	v_fma_f32 v49, -v47, v48, 1.0
	s_delay_alu instid0(VALU_DEP_1) | instskip(SKIP_1) | instid1(VALU_DEP_1)
	v_fmac_f32_e32 v48, v49, v48
	v_div_scale_f32 v49, vcc_lo, v11, v46, v11
	v_mul_f32_e32 v50, v49, v48
	s_delay_alu instid0(VALU_DEP_1) | instskip(NEXT) | instid1(VALU_DEP_1)
	v_fma_f32 v51, -v47, v50, v49
	v_fmac_f32_e32 v50, v51, v48
	s_delay_alu instid0(VALU_DEP_1) | instskip(NEXT) | instid1(VALU_DEP_1)
	v_fma_f32 v47, -v47, v50, v49
	v_div_fmas_f32 v47, v47, v48, v50
	s_delay_alu instid0(VALU_DEP_1)
	v_div_fixup_f32 v11, v47, v46, v11
.LBB66_15:
	s_or_b32 exec_lo, exec_lo, s11
	s_wait_loadcnt 0xc
	v_mul_f32_e32 v46, s13, v14
	v_cvt_f32_f16_e32 v14, v45
	s_mov_b32 s11, exec_lo
	s_delay_alu instid0(VALU_DEP_2)
	v_cmpx_nlt_f32_e32 s14, v46
	s_cbranch_execz .LBB66_17
; %bb.16:
	v_mul_f32_e32 v47, 0x3fb8aa3b, v46
	v_cmp_ngt_f32_e32 vcc_lo, 0xc2ce8ed0, v46
	s_delay_alu instid0(VALU_DEP_2) | instskip(SKIP_1) | instid1(VALU_DEP_2)
	v_rndne_f32_e32 v48, v47
	v_fma_f32 v49, 0x3fb8aa3b, v46, -v47
	v_sub_f32_e32 v47, v47, v48
	s_delay_alu instid0(VALU_DEP_2) | instskip(SKIP_1) | instid1(VALU_DEP_2)
	v_fmamk_f32 v49, v46, 0x32a5705f, v49
	v_cvt_i32_f32_e32 v48, v48
	v_add_f32_e32 v47, v47, v49
	s_delay_alu instid0(VALU_DEP_1) | instskip(SKIP_1) | instid1(TRANS32_DEP_1)
	v_exp_f32_e32 v47, v47
	v_nop
	v_ldexp_f32 v47, v47, v48
	s_delay_alu instid0(VALU_DEP_1) | instskip(SKIP_1) | instid1(VALU_DEP_2)
	v_cndmask_b32_e32 v47, 0, v47, vcc_lo
	v_cmp_nlt_f32_e32 vcc_lo, 0x42b17218, v46
	v_cndmask_b32_e32 v46, 0x7f800000, v47, vcc_lo
	s_delay_alu instid0(VALU_DEP_1) | instskip(SKIP_1) | instid1(VALU_DEP_1)
	v_mul_f32_e32 v14, v46, v14
	v_add_f32_e32 v46, 1.0, v46
	v_div_scale_f32 v47, null, v46, v46, v14
	s_delay_alu instid0(VALU_DEP_1) | instskip(SKIP_1) | instid1(TRANS32_DEP_1)
	v_rcp_f32_e32 v48, v47
	v_nop
	v_fma_f32 v49, -v47, v48, 1.0
	s_delay_alu instid0(VALU_DEP_1) | instskip(SKIP_1) | instid1(VALU_DEP_1)
	v_fmac_f32_e32 v48, v49, v48
	v_div_scale_f32 v49, vcc_lo, v14, v46, v14
	v_mul_f32_e32 v50, v49, v48
	s_delay_alu instid0(VALU_DEP_1) | instskip(NEXT) | instid1(VALU_DEP_1)
	v_fma_f32 v51, -v47, v50, v49
	v_fmac_f32_e32 v50, v51, v48
	s_delay_alu instid0(VALU_DEP_1) | instskip(NEXT) | instid1(VALU_DEP_1)
	v_fma_f32 v47, -v47, v50, v49
	v_div_fmas_f32 v47, v47, v48, v50
	s_delay_alu instid0(VALU_DEP_1)
	v_div_fixup_f32 v14, v47, v46, v14
.LBB66_17:
	s_or_b32 exec_lo, exec_lo, s11
	v_dual_mul_f32 v45, s13, v15 :: v_dual_lshrrev_b32 v46, 16, v45
	s_mov_b32 s11, exec_lo
	s_delay_alu instid0(VALU_DEP_1) | instskip(NEXT) | instid1(VALU_DEP_2)
	v_cvt_f32_f16_e32 v15, v46
	v_cmpx_nlt_f32_e32 s14, v45
	s_cbranch_execz .LBB66_19
; %bb.18:
	v_mul_f32_e32 v46, 0x3fb8aa3b, v45
	v_cmp_ngt_f32_e32 vcc_lo, 0xc2ce8ed0, v45
	s_delay_alu instid0(VALU_DEP_2) | instskip(SKIP_1) | instid1(VALU_DEP_2)
	v_rndne_f32_e32 v47, v46
	v_fma_f32 v48, 0x3fb8aa3b, v45, -v46
	v_sub_f32_e32 v46, v46, v47
	s_delay_alu instid0(VALU_DEP_2) | instskip(SKIP_1) | instid1(VALU_DEP_2)
	v_fmamk_f32 v48, v45, 0x32a5705f, v48
	v_cvt_i32_f32_e32 v47, v47
	v_add_f32_e32 v46, v46, v48
	s_delay_alu instid0(VALU_DEP_1) | instskip(SKIP_1) | instid1(TRANS32_DEP_1)
	v_exp_f32_e32 v46, v46
	v_nop
	v_ldexp_f32 v46, v46, v47
	s_delay_alu instid0(VALU_DEP_1) | instskip(SKIP_1) | instid1(VALU_DEP_2)
	v_cndmask_b32_e32 v46, 0, v46, vcc_lo
	v_cmp_nlt_f32_e32 vcc_lo, 0x42b17218, v45
	v_cndmask_b32_e32 v45, 0x7f800000, v46, vcc_lo
	s_delay_alu instid0(VALU_DEP_1) | instskip(NEXT) | instid1(VALU_DEP_1)
	v_dual_mul_f32 v15, v45, v15 :: v_dual_add_f32 v45, 1.0, v45
	v_div_scale_f32 v46, null, v45, v45, v15
	s_delay_alu instid0(VALU_DEP_1) | instskip(SKIP_1) | instid1(TRANS32_DEP_1)
	v_rcp_f32_e32 v47, v46
	v_nop
	v_fma_f32 v48, -v46, v47, 1.0
	s_delay_alu instid0(VALU_DEP_1) | instskip(SKIP_1) | instid1(VALU_DEP_1)
	v_fmac_f32_e32 v47, v48, v47
	v_div_scale_f32 v48, vcc_lo, v15, v45, v15
	v_mul_f32_e32 v49, v48, v47
	s_delay_alu instid0(VALU_DEP_1) | instskip(NEXT) | instid1(VALU_DEP_1)
	v_fma_f32 v50, -v46, v49, v48
	v_fmac_f32_e32 v49, v50, v47
	s_delay_alu instid0(VALU_DEP_1) | instskip(NEXT) | instid1(VALU_DEP_1)
	v_fma_f32 v46, -v46, v49, v48
	v_div_fmas_f32 v46, v46, v47, v49
	s_delay_alu instid0(VALU_DEP_1)
	v_div_fixup_f32 v15, v46, v45, v15
.LBB66_19:
	s_or_b32 exec_lo, exec_lo, s11
	s_wait_loadcnt 0xb
	v_mul_f32_e32 v45, s13, v18
	v_cvt_f32_f16_e32 v18, v44
	s_mov_b32 s11, exec_lo
	s_delay_alu instid0(VALU_DEP_2)
	v_cmpx_nlt_f32_e32 s14, v45
	s_cbranch_execz .LBB66_21
; %bb.20:
	v_mul_f32_e32 v46, 0x3fb8aa3b, v45
	v_cmp_ngt_f32_e32 vcc_lo, 0xc2ce8ed0, v45
	s_delay_alu instid0(VALU_DEP_2) | instskip(SKIP_1) | instid1(VALU_DEP_2)
	v_rndne_f32_e32 v47, v46
	v_fma_f32 v48, 0x3fb8aa3b, v45, -v46
	v_sub_f32_e32 v46, v46, v47
	s_delay_alu instid0(VALU_DEP_2) | instskip(SKIP_1) | instid1(VALU_DEP_2)
	v_fmamk_f32 v48, v45, 0x32a5705f, v48
	v_cvt_i32_f32_e32 v47, v47
	v_add_f32_e32 v46, v46, v48
	s_delay_alu instid0(VALU_DEP_1) | instskip(SKIP_1) | instid1(TRANS32_DEP_1)
	v_exp_f32_e32 v46, v46
	v_nop
	v_ldexp_f32 v46, v46, v47
	s_delay_alu instid0(VALU_DEP_1) | instskip(SKIP_1) | instid1(VALU_DEP_2)
	v_cndmask_b32_e32 v46, 0, v46, vcc_lo
	v_cmp_nlt_f32_e32 vcc_lo, 0x42b17218, v45
	v_cndmask_b32_e32 v45, 0x7f800000, v46, vcc_lo
	s_delay_alu instid0(VALU_DEP_1) | instskip(NEXT) | instid1(VALU_DEP_1)
	v_dual_mul_f32 v18, v45, v18 :: v_dual_add_f32 v45, 1.0, v45
	v_div_scale_f32 v46, null, v45, v45, v18
	s_delay_alu instid0(VALU_DEP_1) | instskip(SKIP_1) | instid1(TRANS32_DEP_1)
	v_rcp_f32_e32 v47, v46
	v_nop
	v_fma_f32 v48, -v46, v47, 1.0
	s_delay_alu instid0(VALU_DEP_1) | instskip(SKIP_1) | instid1(VALU_DEP_1)
	v_fmac_f32_e32 v47, v48, v47
	v_div_scale_f32 v48, vcc_lo, v18, v45, v18
	v_mul_f32_e32 v49, v48, v47
	s_delay_alu instid0(VALU_DEP_1) | instskip(NEXT) | instid1(VALU_DEP_1)
	v_fma_f32 v50, -v46, v49, v48
	v_fmac_f32_e32 v49, v50, v47
	s_delay_alu instid0(VALU_DEP_1) | instskip(NEXT) | instid1(VALU_DEP_1)
	v_fma_f32 v46, -v46, v49, v48
	v_div_fmas_f32 v46, v46, v47, v49
	s_delay_alu instid0(VALU_DEP_1)
	v_div_fixup_f32 v18, v46, v45, v18
.LBB66_21:
	s_or_b32 exec_lo, exec_lo, s11
	v_dual_mul_f32 v44, s13, v19 :: v_dual_lshrrev_b32 v45, 16, v44
	s_mov_b32 s11, exec_lo
	s_delay_alu instid0(VALU_DEP_1) | instskip(NEXT) | instid1(VALU_DEP_2)
	v_cvt_f32_f16_e32 v19, v45
	v_cmpx_nlt_f32_e32 s14, v44
	s_cbranch_execz .LBB66_23
; %bb.22:
	v_mul_f32_e32 v45, 0x3fb8aa3b, v44
	v_cmp_ngt_f32_e32 vcc_lo, 0xc2ce8ed0, v44
	s_delay_alu instid0(VALU_DEP_2) | instskip(SKIP_1) | instid1(VALU_DEP_2)
	v_rndne_f32_e32 v46, v45
	v_fma_f32 v47, 0x3fb8aa3b, v44, -v45
	v_sub_f32_e32 v45, v45, v46
	s_delay_alu instid0(VALU_DEP_2) | instskip(SKIP_1) | instid1(VALU_DEP_2)
	v_fmamk_f32 v47, v44, 0x32a5705f, v47
	v_cvt_i32_f32_e32 v46, v46
	v_add_f32_e32 v45, v45, v47
	s_delay_alu instid0(VALU_DEP_1) | instskip(SKIP_1) | instid1(TRANS32_DEP_1)
	v_exp_f32_e32 v45, v45
	v_nop
	v_ldexp_f32 v45, v45, v46
	s_delay_alu instid0(VALU_DEP_1) | instskip(SKIP_1) | instid1(VALU_DEP_2)
	v_cndmask_b32_e32 v45, 0, v45, vcc_lo
	v_cmp_nlt_f32_e32 vcc_lo, 0x42b17218, v44
	v_cndmask_b32_e32 v44, 0x7f800000, v45, vcc_lo
	s_delay_alu instid0(VALU_DEP_1) | instskip(NEXT) | instid1(VALU_DEP_1)
	v_dual_mul_f32 v19, v44, v19 :: v_dual_add_f32 v44, 1.0, v44
	v_div_scale_f32 v45, null, v44, v44, v19
	s_delay_alu instid0(VALU_DEP_1) | instskip(SKIP_1) | instid1(TRANS32_DEP_1)
	v_rcp_f32_e32 v46, v45
	v_nop
	v_fma_f32 v47, -v45, v46, 1.0
	s_delay_alu instid0(VALU_DEP_1) | instskip(SKIP_1) | instid1(VALU_DEP_1)
	v_fmac_f32_e32 v46, v47, v46
	v_div_scale_f32 v47, vcc_lo, v19, v44, v19
	v_mul_f32_e32 v48, v47, v46
	s_delay_alu instid0(VALU_DEP_1) | instskip(NEXT) | instid1(VALU_DEP_1)
	v_fma_f32 v49, -v45, v48, v47
	v_fmac_f32_e32 v48, v49, v46
	s_delay_alu instid0(VALU_DEP_1) | instskip(NEXT) | instid1(VALU_DEP_1)
	v_fma_f32 v45, -v45, v48, v47
	v_div_fmas_f32 v45, v45, v46, v48
	s_delay_alu instid0(VALU_DEP_1)
	v_div_fixup_f32 v19, v45, v44, v19
.LBB66_23:
	s_or_b32 exec_lo, exec_lo, s11
	s_wait_loadcnt 0xa
	v_mul_f32_e32 v44, s13, v22
	v_cvt_f32_f16_e32 v22, v43
	s_mov_b32 s11, exec_lo
	s_delay_alu instid0(VALU_DEP_2)
	v_cmpx_nlt_f32_e32 s14, v44
	s_cbranch_execz .LBB66_25
; %bb.24:
	v_mul_f32_e32 v45, 0x3fb8aa3b, v44
	v_cmp_ngt_f32_e32 vcc_lo, 0xc2ce8ed0, v44
	s_delay_alu instid0(VALU_DEP_2) | instskip(SKIP_1) | instid1(VALU_DEP_2)
	v_rndne_f32_e32 v46, v45
	v_fma_f32 v47, 0x3fb8aa3b, v44, -v45
	v_sub_f32_e32 v45, v45, v46
	s_delay_alu instid0(VALU_DEP_2) | instskip(SKIP_1) | instid1(VALU_DEP_2)
	v_fmamk_f32 v47, v44, 0x32a5705f, v47
	v_cvt_i32_f32_e32 v46, v46
	v_add_f32_e32 v45, v45, v47
	s_delay_alu instid0(VALU_DEP_1) | instskip(SKIP_1) | instid1(TRANS32_DEP_1)
	v_exp_f32_e32 v45, v45
	v_nop
	v_ldexp_f32 v45, v45, v46
	s_delay_alu instid0(VALU_DEP_1) | instskip(SKIP_1) | instid1(VALU_DEP_2)
	v_cndmask_b32_e32 v45, 0, v45, vcc_lo
	v_cmp_nlt_f32_e32 vcc_lo, 0x42b17218, v44
	v_cndmask_b32_e32 v44, 0x7f800000, v45, vcc_lo
	s_delay_alu instid0(VALU_DEP_1) | instskip(NEXT) | instid1(VALU_DEP_1)
	v_dual_mul_f32 v22, v44, v22 :: v_dual_add_f32 v44, 1.0, v44
	v_div_scale_f32 v45, null, v44, v44, v22
	s_delay_alu instid0(VALU_DEP_1) | instskip(SKIP_1) | instid1(TRANS32_DEP_1)
	v_rcp_f32_e32 v46, v45
	v_nop
	v_fma_f32 v47, -v45, v46, 1.0
	s_delay_alu instid0(VALU_DEP_1) | instskip(SKIP_1) | instid1(VALU_DEP_1)
	v_fmac_f32_e32 v46, v47, v46
	v_div_scale_f32 v47, vcc_lo, v22, v44, v22
	v_mul_f32_e32 v48, v47, v46
	s_delay_alu instid0(VALU_DEP_1) | instskip(NEXT) | instid1(VALU_DEP_1)
	v_fma_f32 v49, -v45, v48, v47
	v_fmac_f32_e32 v48, v49, v46
	s_delay_alu instid0(VALU_DEP_1) | instskip(NEXT) | instid1(VALU_DEP_1)
	v_fma_f32 v45, -v45, v48, v47
	v_div_fmas_f32 v45, v45, v46, v48
	s_delay_alu instid0(VALU_DEP_1)
	v_div_fixup_f32 v22, v45, v44, v22
.LBB66_25:
	s_or_b32 exec_lo, exec_lo, s11
	v_lshrrev_b32_e32 v44, 16, v43
	v_mul_f32_e32 v43, s13, v23
	s_mov_b32 s11, exec_lo
	s_delay_alu instid0(VALU_DEP_2) | instskip(NEXT) | instid1(VALU_DEP_2)
	v_cvt_f32_f16_e32 v23, v44
	v_cmpx_nlt_f32_e32 s14, v43
	s_cbranch_execz .LBB66_27
; %bb.26:
	v_mul_f32_e32 v44, 0x3fb8aa3b, v43
	v_cmp_ngt_f32_e32 vcc_lo, 0xc2ce8ed0, v43
	s_delay_alu instid0(VALU_DEP_2) | instskip(SKIP_1) | instid1(VALU_DEP_2)
	v_rndne_f32_e32 v45, v44
	v_fma_f32 v46, 0x3fb8aa3b, v43, -v44
	v_sub_f32_e32 v44, v44, v45
	s_delay_alu instid0(VALU_DEP_2) | instskip(SKIP_1) | instid1(VALU_DEP_2)
	v_fmamk_f32 v46, v43, 0x32a5705f, v46
	v_cvt_i32_f32_e32 v45, v45
	v_add_f32_e32 v44, v44, v46
	s_delay_alu instid0(VALU_DEP_1) | instskip(SKIP_1) | instid1(TRANS32_DEP_1)
	v_exp_f32_e32 v44, v44
	v_nop
	v_ldexp_f32 v44, v44, v45
	s_delay_alu instid0(VALU_DEP_1) | instskip(SKIP_1) | instid1(VALU_DEP_2)
	v_cndmask_b32_e32 v44, 0, v44, vcc_lo
	v_cmp_nlt_f32_e32 vcc_lo, 0x42b17218, v43
	v_cndmask_b32_e32 v43, 0x7f800000, v44, vcc_lo
	s_delay_alu instid0(VALU_DEP_1) | instskip(SKIP_1) | instid1(VALU_DEP_1)
	v_mul_f32_e32 v23, v43, v23
	v_add_f32_e32 v43, 1.0, v43
	v_div_scale_f32 v44, null, v43, v43, v23
	s_delay_alu instid0(VALU_DEP_1) | instskip(SKIP_1) | instid1(TRANS32_DEP_1)
	v_rcp_f32_e32 v45, v44
	v_nop
	v_fma_f32 v46, -v44, v45, 1.0
	s_delay_alu instid0(VALU_DEP_1) | instskip(SKIP_1) | instid1(VALU_DEP_1)
	v_fmac_f32_e32 v45, v46, v45
	v_div_scale_f32 v46, vcc_lo, v23, v43, v23
	v_mul_f32_e32 v47, v46, v45
	s_delay_alu instid0(VALU_DEP_1) | instskip(NEXT) | instid1(VALU_DEP_1)
	v_fma_f32 v48, -v44, v47, v46
	v_fmac_f32_e32 v47, v48, v45
	s_delay_alu instid0(VALU_DEP_1) | instskip(NEXT) | instid1(VALU_DEP_1)
	v_fma_f32 v44, -v44, v47, v46
	v_div_fmas_f32 v44, v44, v45, v47
	s_delay_alu instid0(VALU_DEP_1)
	v_div_fixup_f32 v23, v44, v43, v23
.LBB66_27:
	s_or_b32 exec_lo, exec_lo, s11
	s_wait_loadcnt 0x9
	v_mul_f32_e32 v43, s13, v26
	v_cvt_f32_f16_e32 v26, v42
	s_mov_b32 s11, exec_lo
	s_delay_alu instid0(VALU_DEP_2)
	v_cmpx_nlt_f32_e32 s14, v43
	s_cbranch_execz .LBB66_29
; %bb.28:
	v_mul_f32_e32 v44, 0x3fb8aa3b, v43
	v_cmp_ngt_f32_e32 vcc_lo, 0xc2ce8ed0, v43
	s_delay_alu instid0(VALU_DEP_2) | instskip(SKIP_1) | instid1(VALU_DEP_2)
	v_rndne_f32_e32 v45, v44
	v_fma_f32 v46, 0x3fb8aa3b, v43, -v44
	v_sub_f32_e32 v44, v44, v45
	s_delay_alu instid0(VALU_DEP_2) | instskip(SKIP_1) | instid1(VALU_DEP_2)
	v_fmamk_f32 v46, v43, 0x32a5705f, v46
	v_cvt_i32_f32_e32 v45, v45
	v_add_f32_e32 v44, v44, v46
	s_delay_alu instid0(VALU_DEP_1) | instskip(SKIP_1) | instid1(TRANS32_DEP_1)
	v_exp_f32_e32 v44, v44
	v_nop
	v_ldexp_f32 v44, v44, v45
	s_delay_alu instid0(VALU_DEP_1) | instskip(SKIP_1) | instid1(VALU_DEP_2)
	v_cndmask_b32_e32 v44, 0, v44, vcc_lo
	v_cmp_nlt_f32_e32 vcc_lo, 0x42b17218, v43
	v_cndmask_b32_e32 v43, 0x7f800000, v44, vcc_lo
	s_delay_alu instid0(VALU_DEP_1) | instskip(NEXT) | instid1(VALU_DEP_1)
	v_dual_mul_f32 v26, v43, v26 :: v_dual_add_f32 v43, 1.0, v43
	v_div_scale_f32 v44, null, v43, v43, v26
	s_delay_alu instid0(VALU_DEP_1) | instskip(SKIP_1) | instid1(TRANS32_DEP_1)
	v_rcp_f32_e32 v45, v44
	v_nop
	v_fma_f32 v46, -v44, v45, 1.0
	s_delay_alu instid0(VALU_DEP_1) | instskip(SKIP_1) | instid1(VALU_DEP_1)
	v_fmac_f32_e32 v45, v46, v45
	v_div_scale_f32 v46, vcc_lo, v26, v43, v26
	v_mul_f32_e32 v47, v46, v45
	s_delay_alu instid0(VALU_DEP_1) | instskip(NEXT) | instid1(VALU_DEP_1)
	v_fma_f32 v48, -v44, v47, v46
	v_fmac_f32_e32 v47, v48, v45
	s_delay_alu instid0(VALU_DEP_1) | instskip(NEXT) | instid1(VALU_DEP_1)
	v_fma_f32 v44, -v44, v47, v46
	v_div_fmas_f32 v44, v44, v45, v47
	s_delay_alu instid0(VALU_DEP_1)
	v_div_fixup_f32 v26, v44, v43, v26
.LBB66_29:
	s_or_b32 exec_lo, exec_lo, s11
	v_dual_mul_f32 v42, s13, v27 :: v_dual_lshrrev_b32 v43, 16, v42
	s_mov_b32 s11, exec_lo
	s_delay_alu instid0(VALU_DEP_1) | instskip(NEXT) | instid1(VALU_DEP_2)
	v_cvt_f32_f16_e32 v27, v43
	v_cmpx_nlt_f32_e32 s14, v42
	s_cbranch_execz .LBB66_31
; %bb.30:
	v_mul_f32_e32 v43, 0x3fb8aa3b, v42
	v_cmp_ngt_f32_e32 vcc_lo, 0xc2ce8ed0, v42
	s_delay_alu instid0(VALU_DEP_2) | instskip(SKIP_1) | instid1(VALU_DEP_2)
	v_rndne_f32_e32 v44, v43
	v_fma_f32 v45, 0x3fb8aa3b, v42, -v43
	v_sub_f32_e32 v43, v43, v44
	s_delay_alu instid0(VALU_DEP_2) | instskip(SKIP_1) | instid1(VALU_DEP_2)
	v_fmamk_f32 v45, v42, 0x32a5705f, v45
	v_cvt_i32_f32_e32 v44, v44
	v_add_f32_e32 v43, v43, v45
	s_delay_alu instid0(VALU_DEP_1) | instskip(SKIP_1) | instid1(TRANS32_DEP_1)
	v_exp_f32_e32 v43, v43
	v_nop
	v_ldexp_f32 v43, v43, v44
	s_delay_alu instid0(VALU_DEP_1) | instskip(SKIP_1) | instid1(VALU_DEP_2)
	v_cndmask_b32_e32 v43, 0, v43, vcc_lo
	v_cmp_nlt_f32_e32 vcc_lo, 0x42b17218, v42
	v_cndmask_b32_e32 v42, 0x7f800000, v43, vcc_lo
	s_delay_alu instid0(VALU_DEP_1) | instskip(NEXT) | instid1(VALU_DEP_1)
	v_dual_mul_f32 v27, v42, v27 :: v_dual_add_f32 v42, 1.0, v42
	v_div_scale_f32 v43, null, v42, v42, v27
	s_delay_alu instid0(VALU_DEP_1) | instskip(SKIP_1) | instid1(TRANS32_DEP_1)
	v_rcp_f32_e32 v44, v43
	v_nop
	v_fma_f32 v45, -v43, v44, 1.0
	s_delay_alu instid0(VALU_DEP_1) | instskip(SKIP_1) | instid1(VALU_DEP_1)
	v_fmac_f32_e32 v44, v45, v44
	v_div_scale_f32 v45, vcc_lo, v27, v42, v27
	v_mul_f32_e32 v46, v45, v44
	s_delay_alu instid0(VALU_DEP_1) | instskip(NEXT) | instid1(VALU_DEP_1)
	v_fma_f32 v47, -v43, v46, v45
	v_fmac_f32_e32 v46, v47, v44
	s_delay_alu instid0(VALU_DEP_1) | instskip(NEXT) | instid1(VALU_DEP_1)
	v_fma_f32 v43, -v43, v46, v45
	v_div_fmas_f32 v43, v43, v44, v46
	s_delay_alu instid0(VALU_DEP_1)
	v_div_fixup_f32 v27, v43, v42, v27
.LBB66_31:
	s_or_b32 exec_lo, exec_lo, s11
	s_wait_loadcnt 0x8
	v_mul_f32_e32 v42, s13, v30
	v_cvt_f32_f16_e32 v30, v41
	s_mov_b32 s11, exec_lo
	s_delay_alu instid0(VALU_DEP_2)
	v_cmpx_nlt_f32_e32 s14, v42
	s_cbranch_execz .LBB66_33
; %bb.32:
	v_mul_f32_e32 v43, 0x3fb8aa3b, v42
	v_cmp_ngt_f32_e32 vcc_lo, 0xc2ce8ed0, v42
	s_delay_alu instid0(VALU_DEP_2) | instskip(SKIP_1) | instid1(VALU_DEP_2)
	v_rndne_f32_e32 v44, v43
	v_fma_f32 v45, 0x3fb8aa3b, v42, -v43
	v_sub_f32_e32 v43, v43, v44
	s_delay_alu instid0(VALU_DEP_2) | instskip(SKIP_1) | instid1(VALU_DEP_2)
	v_fmamk_f32 v45, v42, 0x32a5705f, v45
	v_cvt_i32_f32_e32 v44, v44
	v_add_f32_e32 v43, v43, v45
	s_delay_alu instid0(VALU_DEP_1) | instskip(SKIP_1) | instid1(TRANS32_DEP_1)
	v_exp_f32_e32 v43, v43
	v_nop
	v_ldexp_f32 v43, v43, v44
	s_delay_alu instid0(VALU_DEP_1) | instskip(SKIP_1) | instid1(VALU_DEP_2)
	v_cndmask_b32_e32 v43, 0, v43, vcc_lo
	v_cmp_nlt_f32_e32 vcc_lo, 0x42b17218, v42
	v_cndmask_b32_e32 v42, 0x7f800000, v43, vcc_lo
	s_delay_alu instid0(VALU_DEP_1) | instskip(SKIP_1) | instid1(VALU_DEP_1)
	v_mul_f32_e32 v30, v42, v30
	v_add_f32_e32 v42, 1.0, v42
	v_div_scale_f32 v43, null, v42, v42, v30
	s_delay_alu instid0(VALU_DEP_1) | instskip(SKIP_1) | instid1(TRANS32_DEP_1)
	v_rcp_f32_e32 v44, v43
	v_nop
	v_fma_f32 v45, -v43, v44, 1.0
	s_delay_alu instid0(VALU_DEP_1) | instskip(SKIP_1) | instid1(VALU_DEP_1)
	v_fmac_f32_e32 v44, v45, v44
	v_div_scale_f32 v45, vcc_lo, v30, v42, v30
	v_mul_f32_e32 v46, v45, v44
	s_delay_alu instid0(VALU_DEP_1) | instskip(NEXT) | instid1(VALU_DEP_1)
	v_fma_f32 v47, -v43, v46, v45
	v_fmac_f32_e32 v46, v47, v44
	s_delay_alu instid0(VALU_DEP_1) | instskip(NEXT) | instid1(VALU_DEP_1)
	v_fma_f32 v43, -v43, v46, v45
	v_div_fmas_f32 v43, v43, v44, v46
	s_delay_alu instid0(VALU_DEP_1)
	v_div_fixup_f32 v30, v43, v42, v30
.LBB66_33:
	s_or_b32 exec_lo, exec_lo, s11
	v_dual_mul_f32 v41, s13, v31 :: v_dual_lshrrev_b32 v42, 16, v41
	s_mov_b32 s11, exec_lo
	s_delay_alu instid0(VALU_DEP_1) | instskip(NEXT) | instid1(VALU_DEP_2)
	v_cvt_f32_f16_e32 v31, v42
	v_cmpx_nlt_f32_e32 s14, v41
	s_cbranch_execz .LBB66_35
; %bb.34:
	v_mul_f32_e32 v42, 0x3fb8aa3b, v41
	v_cmp_ngt_f32_e32 vcc_lo, 0xc2ce8ed0, v41
	s_delay_alu instid0(VALU_DEP_2) | instskip(SKIP_1) | instid1(VALU_DEP_2)
	v_rndne_f32_e32 v43, v42
	v_fma_f32 v44, 0x3fb8aa3b, v41, -v42
	v_sub_f32_e32 v42, v42, v43
	s_delay_alu instid0(VALU_DEP_2) | instskip(SKIP_1) | instid1(VALU_DEP_2)
	v_fmamk_f32 v44, v41, 0x32a5705f, v44
	v_cvt_i32_f32_e32 v43, v43
	v_add_f32_e32 v42, v42, v44
	s_delay_alu instid0(VALU_DEP_1) | instskip(SKIP_1) | instid1(TRANS32_DEP_1)
	v_exp_f32_e32 v42, v42
	v_nop
	v_ldexp_f32 v42, v42, v43
	s_delay_alu instid0(VALU_DEP_1) | instskip(SKIP_1) | instid1(VALU_DEP_2)
	v_cndmask_b32_e32 v42, 0, v42, vcc_lo
	v_cmp_nlt_f32_e32 vcc_lo, 0x42b17218, v41
	v_cndmask_b32_e32 v41, 0x7f800000, v42, vcc_lo
	s_delay_alu instid0(VALU_DEP_1) | instskip(NEXT) | instid1(VALU_DEP_1)
	v_dual_mul_f32 v31, v41, v31 :: v_dual_add_f32 v41, 1.0, v41
	v_div_scale_f32 v42, null, v41, v41, v31
	s_delay_alu instid0(VALU_DEP_1) | instskip(SKIP_1) | instid1(TRANS32_DEP_1)
	v_rcp_f32_e32 v43, v42
	v_nop
	v_fma_f32 v44, -v42, v43, 1.0
	s_delay_alu instid0(VALU_DEP_1) | instskip(SKIP_1) | instid1(VALU_DEP_1)
	v_fmac_f32_e32 v43, v44, v43
	v_div_scale_f32 v44, vcc_lo, v31, v41, v31
	v_mul_f32_e32 v45, v44, v43
	s_delay_alu instid0(VALU_DEP_1) | instskip(NEXT) | instid1(VALU_DEP_1)
	v_fma_f32 v46, -v42, v45, v44
	v_fmac_f32_e32 v45, v46, v43
	s_delay_alu instid0(VALU_DEP_1) | instskip(NEXT) | instid1(VALU_DEP_1)
	v_fma_f32 v42, -v42, v45, v44
	v_div_fmas_f32 v42, v42, v43, v45
	s_delay_alu instid0(VALU_DEP_1)
	v_div_fixup_f32 v31, v42, v41, v31
.LBB66_35:
	s_or_b32 exec_lo, exec_lo, s11
	s_wait_loadcnt 0x7
	v_mul_f32_e32 v41, s13, v32
	v_cvt_f32_f16_e32 v32, v40
	s_mov_b32 s11, exec_lo
	s_delay_alu instid0(VALU_DEP_2)
	v_cmpx_nlt_f32_e32 s14, v41
	s_cbranch_execz .LBB66_37
; %bb.36:
	v_mul_f32_e32 v42, 0x3fb8aa3b, v41
	v_cmp_ngt_f32_e32 vcc_lo, 0xc2ce8ed0, v41
	s_delay_alu instid0(VALU_DEP_2) | instskip(SKIP_1) | instid1(VALU_DEP_2)
	v_rndne_f32_e32 v43, v42
	v_fma_f32 v44, 0x3fb8aa3b, v41, -v42
	v_sub_f32_e32 v42, v42, v43
	s_delay_alu instid0(VALU_DEP_2) | instskip(SKIP_1) | instid1(VALU_DEP_2)
	v_fmamk_f32 v44, v41, 0x32a5705f, v44
	v_cvt_i32_f32_e32 v43, v43
	v_add_f32_e32 v42, v42, v44
	s_delay_alu instid0(VALU_DEP_1) | instskip(SKIP_1) | instid1(TRANS32_DEP_1)
	v_exp_f32_e32 v42, v42
	v_nop
	v_ldexp_f32 v42, v42, v43
	s_delay_alu instid0(VALU_DEP_1) | instskip(SKIP_1) | instid1(VALU_DEP_2)
	v_cndmask_b32_e32 v42, 0, v42, vcc_lo
	v_cmp_nlt_f32_e32 vcc_lo, 0x42b17218, v41
	v_cndmask_b32_e32 v41, 0x7f800000, v42, vcc_lo
	s_delay_alu instid0(VALU_DEP_1) | instskip(NEXT) | instid1(VALU_DEP_1)
	v_dual_mul_f32 v32, v41, v32 :: v_dual_add_f32 v41, 1.0, v41
	v_div_scale_f32 v42, null, v41, v41, v32
	s_delay_alu instid0(VALU_DEP_1) | instskip(SKIP_1) | instid1(TRANS32_DEP_1)
	v_rcp_f32_e32 v43, v42
	v_nop
	v_fma_f32 v44, -v42, v43, 1.0
	s_delay_alu instid0(VALU_DEP_1) | instskip(SKIP_1) | instid1(VALU_DEP_1)
	v_fmac_f32_e32 v43, v44, v43
	v_div_scale_f32 v44, vcc_lo, v32, v41, v32
	v_mul_f32_e32 v45, v44, v43
	s_delay_alu instid0(VALU_DEP_1) | instskip(NEXT) | instid1(VALU_DEP_1)
	v_fma_f32 v46, -v42, v45, v44
	v_fmac_f32_e32 v45, v46, v43
	s_delay_alu instid0(VALU_DEP_1) | instskip(NEXT) | instid1(VALU_DEP_1)
	v_fma_f32 v42, -v42, v45, v44
	v_div_fmas_f32 v42, v42, v43, v45
	s_delay_alu instid0(VALU_DEP_1)
	v_div_fixup_f32 v32, v42, v41, v32
.LBB66_37:
	s_or_b32 exec_lo, exec_lo, s11
	v_dual_mul_f32 v40, s13, v33 :: v_dual_lshrrev_b32 v41, 16, v40
	s_mov_b32 s11, exec_lo
	s_delay_alu instid0(VALU_DEP_1) | instskip(NEXT) | instid1(VALU_DEP_2)
	v_cvt_f32_f16_e32 v33, v41
	v_cmpx_nlt_f32_e32 s14, v40
	s_cbranch_execz .LBB66_39
; %bb.38:
	v_mul_f32_e32 v41, 0x3fb8aa3b, v40
	v_cmp_ngt_f32_e32 vcc_lo, 0xc2ce8ed0, v40
	s_delay_alu instid0(VALU_DEP_2) | instskip(SKIP_1) | instid1(VALU_DEP_2)
	v_rndne_f32_e32 v42, v41
	v_fma_f32 v43, 0x3fb8aa3b, v40, -v41
	v_sub_f32_e32 v41, v41, v42
	s_delay_alu instid0(VALU_DEP_2) | instskip(SKIP_1) | instid1(VALU_DEP_2)
	v_fmamk_f32 v43, v40, 0x32a5705f, v43
	v_cvt_i32_f32_e32 v42, v42
	v_add_f32_e32 v41, v41, v43
	s_delay_alu instid0(VALU_DEP_1) | instskip(SKIP_1) | instid1(TRANS32_DEP_1)
	v_exp_f32_e32 v41, v41
	v_nop
	v_ldexp_f32 v41, v41, v42
	s_delay_alu instid0(VALU_DEP_1) | instskip(SKIP_1) | instid1(VALU_DEP_2)
	v_cndmask_b32_e32 v41, 0, v41, vcc_lo
	v_cmp_nlt_f32_e32 vcc_lo, 0x42b17218, v40
	v_cndmask_b32_e32 v40, 0x7f800000, v41, vcc_lo
	s_delay_alu instid0(VALU_DEP_1) | instskip(NEXT) | instid1(VALU_DEP_1)
	v_dual_mul_f32 v33, v40, v33 :: v_dual_add_f32 v40, 1.0, v40
	v_div_scale_f32 v41, null, v40, v40, v33
	s_delay_alu instid0(VALU_DEP_1) | instskip(SKIP_1) | instid1(TRANS32_DEP_1)
	v_rcp_f32_e32 v42, v41
	v_nop
	v_fma_f32 v43, -v41, v42, 1.0
	s_delay_alu instid0(VALU_DEP_1) | instskip(SKIP_1) | instid1(VALU_DEP_1)
	v_fmac_f32_e32 v42, v43, v42
	v_div_scale_f32 v43, vcc_lo, v33, v40, v33
	v_mul_f32_e32 v44, v43, v42
	s_delay_alu instid0(VALU_DEP_1) | instskip(NEXT) | instid1(VALU_DEP_1)
	v_fma_f32 v45, -v41, v44, v43
	v_fmac_f32_e32 v44, v45, v42
	s_delay_alu instid0(VALU_DEP_1) | instskip(NEXT) | instid1(VALU_DEP_1)
	v_fma_f32 v41, -v41, v44, v43
	v_div_fmas_f32 v41, v41, v42, v44
	s_delay_alu instid0(VALU_DEP_1)
	v_div_fixup_f32 v33, v41, v40, v33
.LBB66_39:
	s_or_b32 exec_lo, exec_lo, s11
	s_wait_loadcnt 0x6
	v_mul_f32_e32 v40, s13, v28
	v_cvt_f32_f16_e32 v28, v39
	s_mov_b32 s11, exec_lo
	s_delay_alu instid0(VALU_DEP_2)
	v_cmpx_nlt_f32_e32 s14, v40
	s_cbranch_execz .LBB66_41
; %bb.40:
	v_mul_f32_e32 v41, 0x3fb8aa3b, v40
	v_cmp_ngt_f32_e32 vcc_lo, 0xc2ce8ed0, v40
	s_delay_alu instid0(VALU_DEP_2) | instskip(SKIP_1) | instid1(VALU_DEP_2)
	v_rndne_f32_e32 v42, v41
	v_fma_f32 v43, 0x3fb8aa3b, v40, -v41
	v_sub_f32_e32 v41, v41, v42
	s_delay_alu instid0(VALU_DEP_2) | instskip(SKIP_1) | instid1(VALU_DEP_2)
	v_fmamk_f32 v43, v40, 0x32a5705f, v43
	v_cvt_i32_f32_e32 v42, v42
	v_add_f32_e32 v41, v41, v43
	s_delay_alu instid0(VALU_DEP_1) | instskip(SKIP_1) | instid1(TRANS32_DEP_1)
	v_exp_f32_e32 v41, v41
	v_nop
	v_ldexp_f32 v41, v41, v42
	s_delay_alu instid0(VALU_DEP_1) | instskip(SKIP_1) | instid1(VALU_DEP_2)
	v_cndmask_b32_e32 v41, 0, v41, vcc_lo
	v_cmp_nlt_f32_e32 vcc_lo, 0x42b17218, v40
	v_cndmask_b32_e32 v40, 0x7f800000, v41, vcc_lo
	s_delay_alu instid0(VALU_DEP_1) | instskip(SKIP_1) | instid1(VALU_DEP_1)
	v_mul_f32_e32 v28, v40, v28
	v_add_f32_e32 v40, 1.0, v40
	v_div_scale_f32 v41, null, v40, v40, v28
	s_delay_alu instid0(VALU_DEP_1) | instskip(SKIP_1) | instid1(TRANS32_DEP_1)
	v_rcp_f32_e32 v42, v41
	v_nop
	v_fma_f32 v43, -v41, v42, 1.0
	s_delay_alu instid0(VALU_DEP_1) | instskip(SKIP_1) | instid1(VALU_DEP_1)
	v_fmac_f32_e32 v42, v43, v42
	v_div_scale_f32 v43, vcc_lo, v28, v40, v28
	v_mul_f32_e32 v44, v43, v42
	s_delay_alu instid0(VALU_DEP_1) | instskip(NEXT) | instid1(VALU_DEP_1)
	v_fma_f32 v45, -v41, v44, v43
	v_fmac_f32_e32 v44, v45, v42
	s_delay_alu instid0(VALU_DEP_1) | instskip(NEXT) | instid1(VALU_DEP_1)
	v_fma_f32 v41, -v41, v44, v43
	v_div_fmas_f32 v41, v41, v42, v44
	s_delay_alu instid0(VALU_DEP_1)
	v_div_fixup_f32 v28, v41, v40, v28
.LBB66_41:
	s_or_b32 exec_lo, exec_lo, s11
	v_dual_mul_f32 v39, s13, v29 :: v_dual_lshrrev_b32 v40, 16, v39
	s_mov_b32 s11, exec_lo
	s_delay_alu instid0(VALU_DEP_1) | instskip(NEXT) | instid1(VALU_DEP_2)
	v_cvt_f32_f16_e32 v29, v40
	v_cmpx_nlt_f32_e32 s14, v39
	s_cbranch_execz .LBB66_43
; %bb.42:
	v_mul_f32_e32 v40, 0x3fb8aa3b, v39
	v_cmp_ngt_f32_e32 vcc_lo, 0xc2ce8ed0, v39
	s_delay_alu instid0(VALU_DEP_2) | instskip(SKIP_1) | instid1(VALU_DEP_2)
	v_rndne_f32_e32 v41, v40
	v_fma_f32 v42, 0x3fb8aa3b, v39, -v40
	v_sub_f32_e32 v40, v40, v41
	s_delay_alu instid0(VALU_DEP_2) | instskip(SKIP_1) | instid1(VALU_DEP_2)
	v_fmamk_f32 v42, v39, 0x32a5705f, v42
	v_cvt_i32_f32_e32 v41, v41
	v_add_f32_e32 v40, v40, v42
	s_delay_alu instid0(VALU_DEP_1) | instskip(SKIP_1) | instid1(TRANS32_DEP_1)
	v_exp_f32_e32 v40, v40
	v_nop
	v_ldexp_f32 v40, v40, v41
	s_delay_alu instid0(VALU_DEP_1) | instskip(SKIP_1) | instid1(VALU_DEP_2)
	v_cndmask_b32_e32 v40, 0, v40, vcc_lo
	v_cmp_nlt_f32_e32 vcc_lo, 0x42b17218, v39
	v_cndmask_b32_e32 v39, 0x7f800000, v40, vcc_lo
	s_delay_alu instid0(VALU_DEP_1) | instskip(NEXT) | instid1(VALU_DEP_1)
	v_dual_mul_f32 v29, v39, v29 :: v_dual_add_f32 v39, 1.0, v39
	v_div_scale_f32 v40, null, v39, v39, v29
	s_delay_alu instid0(VALU_DEP_1) | instskip(SKIP_1) | instid1(TRANS32_DEP_1)
	v_rcp_f32_e32 v41, v40
	v_nop
	v_fma_f32 v42, -v40, v41, 1.0
	s_delay_alu instid0(VALU_DEP_1) | instskip(SKIP_1) | instid1(VALU_DEP_1)
	v_fmac_f32_e32 v41, v42, v41
	v_div_scale_f32 v42, vcc_lo, v29, v39, v29
	v_mul_f32_e32 v43, v42, v41
	s_delay_alu instid0(VALU_DEP_1) | instskip(NEXT) | instid1(VALU_DEP_1)
	v_fma_f32 v44, -v40, v43, v42
	v_fmac_f32_e32 v43, v44, v41
	s_delay_alu instid0(VALU_DEP_1) | instskip(NEXT) | instid1(VALU_DEP_1)
	v_fma_f32 v40, -v40, v43, v42
	v_div_fmas_f32 v40, v40, v41, v43
	s_delay_alu instid0(VALU_DEP_1)
	v_div_fixup_f32 v29, v40, v39, v29
.LBB66_43:
	s_or_b32 exec_lo, exec_lo, s11
	s_wait_loadcnt 0x5
	v_mul_f32_e32 v39, s13, v24
	v_cvt_f32_f16_e32 v24, v38
	s_mov_b32 s11, exec_lo
	s_delay_alu instid0(VALU_DEP_2)
	v_cmpx_nlt_f32_e32 s14, v39
	s_cbranch_execz .LBB66_45
; %bb.44:
	v_mul_f32_e32 v40, 0x3fb8aa3b, v39
	v_cmp_ngt_f32_e32 vcc_lo, 0xc2ce8ed0, v39
	s_delay_alu instid0(VALU_DEP_2) | instskip(SKIP_1) | instid1(VALU_DEP_2)
	v_rndne_f32_e32 v41, v40
	v_fma_f32 v42, 0x3fb8aa3b, v39, -v40
	v_sub_f32_e32 v40, v40, v41
	s_delay_alu instid0(VALU_DEP_2) | instskip(SKIP_1) | instid1(VALU_DEP_2)
	v_fmamk_f32 v42, v39, 0x32a5705f, v42
	v_cvt_i32_f32_e32 v41, v41
	v_add_f32_e32 v40, v40, v42
	s_delay_alu instid0(VALU_DEP_1) | instskip(SKIP_1) | instid1(TRANS32_DEP_1)
	v_exp_f32_e32 v40, v40
	v_nop
	v_ldexp_f32 v40, v40, v41
	s_delay_alu instid0(VALU_DEP_1) | instskip(SKIP_1) | instid1(VALU_DEP_2)
	v_cndmask_b32_e32 v40, 0, v40, vcc_lo
	v_cmp_nlt_f32_e32 vcc_lo, 0x42b17218, v39
	v_cndmask_b32_e32 v39, 0x7f800000, v40, vcc_lo
	s_delay_alu instid0(VALU_DEP_1) | instskip(NEXT) | instid1(VALU_DEP_1)
	v_dual_mul_f32 v24, v39, v24 :: v_dual_add_f32 v39, 1.0, v39
	v_div_scale_f32 v40, null, v39, v39, v24
	s_delay_alu instid0(VALU_DEP_1) | instskip(SKIP_1) | instid1(TRANS32_DEP_1)
	v_rcp_f32_e32 v41, v40
	v_nop
	v_fma_f32 v42, -v40, v41, 1.0
	s_delay_alu instid0(VALU_DEP_1) | instskip(SKIP_1) | instid1(VALU_DEP_1)
	v_fmac_f32_e32 v41, v42, v41
	v_div_scale_f32 v42, vcc_lo, v24, v39, v24
	v_mul_f32_e32 v43, v42, v41
	s_delay_alu instid0(VALU_DEP_1) | instskip(NEXT) | instid1(VALU_DEP_1)
	v_fma_f32 v44, -v40, v43, v42
	v_fmac_f32_e32 v43, v44, v41
	s_delay_alu instid0(VALU_DEP_1) | instskip(NEXT) | instid1(VALU_DEP_1)
	v_fma_f32 v40, -v40, v43, v42
	v_div_fmas_f32 v40, v40, v41, v43
	s_delay_alu instid0(VALU_DEP_1)
	v_div_fixup_f32 v24, v40, v39, v24
.LBB66_45:
	s_or_b32 exec_lo, exec_lo, s11
	v_dual_mul_f32 v38, s13, v25 :: v_dual_lshrrev_b32 v39, 16, v38
	s_mov_b32 s11, exec_lo
	s_delay_alu instid0(VALU_DEP_1) | instskip(NEXT) | instid1(VALU_DEP_2)
	v_cvt_f32_f16_e32 v25, v39
	v_cmpx_nlt_f32_e32 s14, v38
	s_cbranch_execz .LBB66_47
; %bb.46:
	v_mul_f32_e32 v39, 0x3fb8aa3b, v38
	v_cmp_ngt_f32_e32 vcc_lo, 0xc2ce8ed0, v38
	s_delay_alu instid0(VALU_DEP_2) | instskip(SKIP_1) | instid1(VALU_DEP_2)
	v_rndne_f32_e32 v40, v39
	v_fma_f32 v41, 0x3fb8aa3b, v38, -v39
	v_sub_f32_e32 v39, v39, v40
	s_delay_alu instid0(VALU_DEP_2) | instskip(SKIP_1) | instid1(VALU_DEP_2)
	v_fmamk_f32 v41, v38, 0x32a5705f, v41
	v_cvt_i32_f32_e32 v40, v40
	v_add_f32_e32 v39, v39, v41
	s_delay_alu instid0(VALU_DEP_1) | instskip(SKIP_1) | instid1(TRANS32_DEP_1)
	v_exp_f32_e32 v39, v39
	v_nop
	v_ldexp_f32 v39, v39, v40
	s_delay_alu instid0(VALU_DEP_1) | instskip(SKIP_1) | instid1(VALU_DEP_2)
	v_cndmask_b32_e32 v39, 0, v39, vcc_lo
	v_cmp_nlt_f32_e32 vcc_lo, 0x42b17218, v38
	v_cndmask_b32_e32 v38, 0x7f800000, v39, vcc_lo
	s_delay_alu instid0(VALU_DEP_1) | instskip(NEXT) | instid1(VALU_DEP_1)
	v_dual_mul_f32 v25, v38, v25 :: v_dual_add_f32 v38, 1.0, v38
	v_div_scale_f32 v39, null, v38, v38, v25
	s_delay_alu instid0(VALU_DEP_1) | instskip(SKIP_1) | instid1(TRANS32_DEP_1)
	v_rcp_f32_e32 v40, v39
	v_nop
	v_fma_f32 v41, -v39, v40, 1.0
	s_delay_alu instid0(VALU_DEP_1) | instskip(SKIP_1) | instid1(VALU_DEP_1)
	v_fmac_f32_e32 v40, v41, v40
	v_div_scale_f32 v41, vcc_lo, v25, v38, v25
	v_mul_f32_e32 v42, v41, v40
	s_delay_alu instid0(VALU_DEP_1) | instskip(NEXT) | instid1(VALU_DEP_1)
	v_fma_f32 v43, -v39, v42, v41
	v_fmac_f32_e32 v42, v43, v40
	s_delay_alu instid0(VALU_DEP_1) | instskip(NEXT) | instid1(VALU_DEP_1)
	v_fma_f32 v39, -v39, v42, v41
	v_div_fmas_f32 v39, v39, v40, v42
	s_delay_alu instid0(VALU_DEP_1)
	v_div_fixup_f32 v25, v39, v38, v25
.LBB66_47:
	s_or_b32 exec_lo, exec_lo, s11
	s_wait_loadcnt 0x4
	v_mul_f32_e32 v38, s13, v20
	v_cvt_f32_f16_e32 v20, v37
	s_mov_b32 s11, exec_lo
	s_delay_alu instid0(VALU_DEP_2)
	v_cmpx_nlt_f32_e32 s14, v38
	s_cbranch_execz .LBB66_49
; %bb.48:
	v_mul_f32_e32 v39, 0x3fb8aa3b, v38
	v_cmp_ngt_f32_e32 vcc_lo, 0xc2ce8ed0, v38
	s_delay_alu instid0(VALU_DEP_2) | instskip(SKIP_1) | instid1(VALU_DEP_2)
	v_rndne_f32_e32 v40, v39
	v_fma_f32 v41, 0x3fb8aa3b, v38, -v39
	v_sub_f32_e32 v39, v39, v40
	s_delay_alu instid0(VALU_DEP_2) | instskip(SKIP_1) | instid1(VALU_DEP_2)
	v_fmamk_f32 v41, v38, 0x32a5705f, v41
	v_cvt_i32_f32_e32 v40, v40
	v_add_f32_e32 v39, v39, v41
	s_delay_alu instid0(VALU_DEP_1) | instskip(SKIP_1) | instid1(TRANS32_DEP_1)
	v_exp_f32_e32 v39, v39
	v_nop
	v_ldexp_f32 v39, v39, v40
	s_delay_alu instid0(VALU_DEP_1) | instskip(SKIP_1) | instid1(VALU_DEP_2)
	v_cndmask_b32_e32 v39, 0, v39, vcc_lo
	v_cmp_nlt_f32_e32 vcc_lo, 0x42b17218, v38
	v_cndmask_b32_e32 v38, 0x7f800000, v39, vcc_lo
	s_delay_alu instid0(VALU_DEP_1) | instskip(NEXT) | instid1(VALU_DEP_1)
	v_dual_mul_f32 v20, v38, v20 :: v_dual_add_f32 v38, 1.0, v38
	v_div_scale_f32 v39, null, v38, v38, v20
	s_delay_alu instid0(VALU_DEP_1) | instskip(SKIP_1) | instid1(TRANS32_DEP_1)
	v_rcp_f32_e32 v40, v39
	v_nop
	v_fma_f32 v41, -v39, v40, 1.0
	s_delay_alu instid0(VALU_DEP_1) | instskip(SKIP_1) | instid1(VALU_DEP_1)
	v_fmac_f32_e32 v40, v41, v40
	v_div_scale_f32 v41, vcc_lo, v20, v38, v20
	v_mul_f32_e32 v42, v41, v40
	s_delay_alu instid0(VALU_DEP_1) | instskip(NEXT) | instid1(VALU_DEP_1)
	v_fma_f32 v43, -v39, v42, v41
	v_fmac_f32_e32 v42, v43, v40
	s_delay_alu instid0(VALU_DEP_1) | instskip(NEXT) | instid1(VALU_DEP_1)
	v_fma_f32 v39, -v39, v42, v41
	v_div_fmas_f32 v39, v39, v40, v42
	s_delay_alu instid0(VALU_DEP_1)
	v_div_fixup_f32 v20, v39, v38, v20
.LBB66_49:
	s_or_b32 exec_lo, exec_lo, s11
	v_lshrrev_b32_e32 v38, 16, v37
	v_mul_f32_e32 v37, s13, v21
	s_mov_b32 s11, exec_lo
	s_delay_alu instid0(VALU_DEP_2) | instskip(NEXT) | instid1(VALU_DEP_2)
	v_cvt_f32_f16_e32 v21, v38
	v_cmpx_nlt_f32_e32 s14, v37
	s_cbranch_execz .LBB66_51
; %bb.50:
	v_mul_f32_e32 v38, 0x3fb8aa3b, v37
	v_cmp_ngt_f32_e32 vcc_lo, 0xc2ce8ed0, v37
	s_delay_alu instid0(VALU_DEP_2) | instskip(SKIP_1) | instid1(VALU_DEP_2)
	v_rndne_f32_e32 v39, v38
	v_fma_f32 v40, 0x3fb8aa3b, v37, -v38
	v_sub_f32_e32 v38, v38, v39
	s_delay_alu instid0(VALU_DEP_2) | instskip(SKIP_1) | instid1(VALU_DEP_2)
	v_fmamk_f32 v40, v37, 0x32a5705f, v40
	v_cvt_i32_f32_e32 v39, v39
	v_add_f32_e32 v38, v38, v40
	s_delay_alu instid0(VALU_DEP_1) | instskip(SKIP_1) | instid1(TRANS32_DEP_1)
	v_exp_f32_e32 v38, v38
	v_nop
	v_ldexp_f32 v38, v38, v39
	s_delay_alu instid0(VALU_DEP_1) | instskip(SKIP_1) | instid1(VALU_DEP_2)
	v_cndmask_b32_e32 v38, 0, v38, vcc_lo
	v_cmp_nlt_f32_e32 vcc_lo, 0x42b17218, v37
	v_cndmask_b32_e32 v37, 0x7f800000, v38, vcc_lo
	s_delay_alu instid0(VALU_DEP_1) | instskip(SKIP_1) | instid1(VALU_DEP_1)
	v_mul_f32_e32 v21, v37, v21
	v_add_f32_e32 v37, 1.0, v37
	v_div_scale_f32 v38, null, v37, v37, v21
	s_delay_alu instid0(VALU_DEP_1) | instskip(SKIP_1) | instid1(TRANS32_DEP_1)
	v_rcp_f32_e32 v39, v38
	v_nop
	v_fma_f32 v40, -v38, v39, 1.0
	s_delay_alu instid0(VALU_DEP_1) | instskip(SKIP_1) | instid1(VALU_DEP_1)
	v_fmac_f32_e32 v39, v40, v39
	v_div_scale_f32 v40, vcc_lo, v21, v37, v21
	v_mul_f32_e32 v41, v40, v39
	s_delay_alu instid0(VALU_DEP_1) | instskip(NEXT) | instid1(VALU_DEP_1)
	v_fma_f32 v42, -v38, v41, v40
	v_fmac_f32_e32 v41, v42, v39
	s_delay_alu instid0(VALU_DEP_1) | instskip(NEXT) | instid1(VALU_DEP_1)
	v_fma_f32 v38, -v38, v41, v40
	v_div_fmas_f32 v38, v38, v39, v41
	s_delay_alu instid0(VALU_DEP_1)
	v_div_fixup_f32 v21, v38, v37, v21
.LBB66_51:
	s_or_b32 exec_lo, exec_lo, s11
	s_wait_loadcnt 0x3
	v_mul_f32_e32 v37, s13, v16
	v_cvt_f32_f16_e32 v16, v36
	s_mov_b32 s11, exec_lo
	s_delay_alu instid0(VALU_DEP_2)
	v_cmpx_nlt_f32_e32 s14, v37
	s_cbranch_execz .LBB66_53
; %bb.52:
	v_mul_f32_e32 v38, 0x3fb8aa3b, v37
	v_cmp_ngt_f32_e32 vcc_lo, 0xc2ce8ed0, v37
	s_delay_alu instid0(VALU_DEP_2) | instskip(SKIP_1) | instid1(VALU_DEP_2)
	v_rndne_f32_e32 v39, v38
	v_fma_f32 v40, 0x3fb8aa3b, v37, -v38
	v_sub_f32_e32 v38, v38, v39
	s_delay_alu instid0(VALU_DEP_2) | instskip(SKIP_1) | instid1(VALU_DEP_2)
	v_fmamk_f32 v40, v37, 0x32a5705f, v40
	v_cvt_i32_f32_e32 v39, v39
	v_add_f32_e32 v38, v38, v40
	s_delay_alu instid0(VALU_DEP_1) | instskip(SKIP_1) | instid1(TRANS32_DEP_1)
	v_exp_f32_e32 v38, v38
	v_nop
	v_ldexp_f32 v38, v38, v39
	s_delay_alu instid0(VALU_DEP_1) | instskip(SKIP_1) | instid1(VALU_DEP_2)
	v_cndmask_b32_e32 v38, 0, v38, vcc_lo
	v_cmp_nlt_f32_e32 vcc_lo, 0x42b17218, v37
	v_cndmask_b32_e32 v37, 0x7f800000, v38, vcc_lo
	s_delay_alu instid0(VALU_DEP_1) | instskip(NEXT) | instid1(VALU_DEP_1)
	v_dual_mul_f32 v16, v37, v16 :: v_dual_add_f32 v37, 1.0, v37
	v_div_scale_f32 v38, null, v37, v37, v16
	s_delay_alu instid0(VALU_DEP_1) | instskip(SKIP_1) | instid1(TRANS32_DEP_1)
	v_rcp_f32_e32 v39, v38
	v_nop
	v_fma_f32 v40, -v38, v39, 1.0
	s_delay_alu instid0(VALU_DEP_1) | instskip(SKIP_1) | instid1(VALU_DEP_1)
	v_fmac_f32_e32 v39, v40, v39
	v_div_scale_f32 v40, vcc_lo, v16, v37, v16
	v_mul_f32_e32 v41, v40, v39
	s_delay_alu instid0(VALU_DEP_1) | instskip(NEXT) | instid1(VALU_DEP_1)
	v_fma_f32 v42, -v38, v41, v40
	v_fmac_f32_e32 v41, v42, v39
	s_delay_alu instid0(VALU_DEP_1) | instskip(NEXT) | instid1(VALU_DEP_1)
	v_fma_f32 v38, -v38, v41, v40
	v_div_fmas_f32 v38, v38, v39, v41
	s_delay_alu instid0(VALU_DEP_1)
	v_div_fixup_f32 v16, v38, v37, v16
.LBB66_53:
	s_or_b32 exec_lo, exec_lo, s11
	v_dual_mul_f32 v36, s13, v17 :: v_dual_lshrrev_b32 v37, 16, v36
	s_mov_b32 s11, exec_lo
	s_delay_alu instid0(VALU_DEP_1) | instskip(NEXT) | instid1(VALU_DEP_2)
	v_cvt_f32_f16_e32 v17, v37
	v_cmpx_nlt_f32_e32 s14, v36
	s_cbranch_execz .LBB66_55
; %bb.54:
	v_mul_f32_e32 v37, 0x3fb8aa3b, v36
	v_cmp_ngt_f32_e32 vcc_lo, 0xc2ce8ed0, v36
	s_delay_alu instid0(VALU_DEP_2) | instskip(SKIP_1) | instid1(VALU_DEP_2)
	v_rndne_f32_e32 v38, v37
	v_fma_f32 v39, 0x3fb8aa3b, v36, -v37
	v_sub_f32_e32 v37, v37, v38
	s_delay_alu instid0(VALU_DEP_2) | instskip(SKIP_1) | instid1(VALU_DEP_2)
	v_fmamk_f32 v39, v36, 0x32a5705f, v39
	v_cvt_i32_f32_e32 v38, v38
	v_add_f32_e32 v37, v37, v39
	s_delay_alu instid0(VALU_DEP_1) | instskip(SKIP_1) | instid1(TRANS32_DEP_1)
	v_exp_f32_e32 v37, v37
	v_nop
	v_ldexp_f32 v37, v37, v38
	s_delay_alu instid0(VALU_DEP_1) | instskip(SKIP_1) | instid1(VALU_DEP_2)
	v_cndmask_b32_e32 v37, 0, v37, vcc_lo
	v_cmp_nlt_f32_e32 vcc_lo, 0x42b17218, v36
	v_cndmask_b32_e32 v36, 0x7f800000, v37, vcc_lo
	s_delay_alu instid0(VALU_DEP_1) | instskip(NEXT) | instid1(VALU_DEP_1)
	v_dual_mul_f32 v17, v36, v17 :: v_dual_add_f32 v36, 1.0, v36
	v_div_scale_f32 v37, null, v36, v36, v17
	s_delay_alu instid0(VALU_DEP_1) | instskip(SKIP_1) | instid1(TRANS32_DEP_1)
	v_rcp_f32_e32 v38, v37
	v_nop
	v_fma_f32 v39, -v37, v38, 1.0
	s_delay_alu instid0(VALU_DEP_1) | instskip(SKIP_1) | instid1(VALU_DEP_1)
	v_fmac_f32_e32 v38, v39, v38
	v_div_scale_f32 v39, vcc_lo, v17, v36, v17
	v_mul_f32_e32 v40, v39, v38
	s_delay_alu instid0(VALU_DEP_1) | instskip(NEXT) | instid1(VALU_DEP_1)
	v_fma_f32 v41, -v37, v40, v39
	v_fmac_f32_e32 v40, v41, v38
	s_delay_alu instid0(VALU_DEP_1) | instskip(NEXT) | instid1(VALU_DEP_1)
	v_fma_f32 v37, -v37, v40, v39
	v_div_fmas_f32 v37, v37, v38, v40
	s_delay_alu instid0(VALU_DEP_1)
	v_div_fixup_f32 v17, v37, v36, v17
.LBB66_55:
	s_or_b32 exec_lo, exec_lo, s11
	s_wait_loadcnt 0x2
	v_mul_f32_e32 v36, s13, v12
	v_cvt_f32_f16_e32 v12, v35
	s_mov_b32 s11, exec_lo
	s_delay_alu instid0(VALU_DEP_2)
	v_cmpx_nlt_f32_e32 s14, v36
	s_cbranch_execz .LBB66_57
; %bb.56:
	v_mul_f32_e32 v37, 0x3fb8aa3b, v36
	v_cmp_ngt_f32_e32 vcc_lo, 0xc2ce8ed0, v36
	s_delay_alu instid0(VALU_DEP_2) | instskip(SKIP_1) | instid1(VALU_DEP_2)
	v_rndne_f32_e32 v38, v37
	v_fma_f32 v39, 0x3fb8aa3b, v36, -v37
	v_sub_f32_e32 v37, v37, v38
	s_delay_alu instid0(VALU_DEP_2) | instskip(SKIP_1) | instid1(VALU_DEP_2)
	v_fmamk_f32 v39, v36, 0x32a5705f, v39
	v_cvt_i32_f32_e32 v38, v38
	v_add_f32_e32 v37, v37, v39
	s_delay_alu instid0(VALU_DEP_1) | instskip(SKIP_1) | instid1(TRANS32_DEP_1)
	v_exp_f32_e32 v37, v37
	v_nop
	v_ldexp_f32 v37, v37, v38
	s_delay_alu instid0(VALU_DEP_1) | instskip(SKIP_1) | instid1(VALU_DEP_2)
	v_cndmask_b32_e32 v37, 0, v37, vcc_lo
	v_cmp_nlt_f32_e32 vcc_lo, 0x42b17218, v36
	v_cndmask_b32_e32 v36, 0x7f800000, v37, vcc_lo
	s_delay_alu instid0(VALU_DEP_1) | instskip(SKIP_1) | instid1(VALU_DEP_1)
	v_mul_f32_e32 v12, v36, v12
	v_add_f32_e32 v36, 1.0, v36
	v_div_scale_f32 v37, null, v36, v36, v12
	s_delay_alu instid0(VALU_DEP_1) | instskip(SKIP_1) | instid1(TRANS32_DEP_1)
	v_rcp_f32_e32 v38, v37
	v_nop
	v_fma_f32 v39, -v37, v38, 1.0
	s_delay_alu instid0(VALU_DEP_1) | instskip(SKIP_1) | instid1(VALU_DEP_1)
	v_fmac_f32_e32 v38, v39, v38
	v_div_scale_f32 v39, vcc_lo, v12, v36, v12
	v_mul_f32_e32 v40, v39, v38
	s_delay_alu instid0(VALU_DEP_1) | instskip(NEXT) | instid1(VALU_DEP_1)
	v_fma_f32 v41, -v37, v40, v39
	v_fmac_f32_e32 v40, v41, v38
	s_delay_alu instid0(VALU_DEP_1) | instskip(NEXT) | instid1(VALU_DEP_1)
	v_fma_f32 v37, -v37, v40, v39
	v_div_fmas_f32 v37, v37, v38, v40
	s_delay_alu instid0(VALU_DEP_1)
	v_div_fixup_f32 v12, v37, v36, v12
.LBB66_57:
	s_or_b32 exec_lo, exec_lo, s11
	v_dual_mul_f32 v35, s13, v13 :: v_dual_lshrrev_b32 v36, 16, v35
	s_mov_b32 s11, exec_lo
	s_delay_alu instid0(VALU_DEP_1) | instskip(NEXT) | instid1(VALU_DEP_2)
	v_cvt_f32_f16_e32 v13, v36
	v_cmpx_nlt_f32_e32 s14, v35
	s_cbranch_execz .LBB66_59
; %bb.58:
	v_mul_f32_e32 v36, 0x3fb8aa3b, v35
	v_cmp_ngt_f32_e32 vcc_lo, 0xc2ce8ed0, v35
	s_delay_alu instid0(VALU_DEP_2) | instskip(SKIP_1) | instid1(VALU_DEP_2)
	v_rndne_f32_e32 v37, v36
	v_fma_f32 v38, 0x3fb8aa3b, v35, -v36
	v_sub_f32_e32 v36, v36, v37
	s_delay_alu instid0(VALU_DEP_2) | instskip(SKIP_1) | instid1(VALU_DEP_2)
	v_fmamk_f32 v38, v35, 0x32a5705f, v38
	v_cvt_i32_f32_e32 v37, v37
	v_add_f32_e32 v36, v36, v38
	s_delay_alu instid0(VALU_DEP_1) | instskip(SKIP_1) | instid1(TRANS32_DEP_1)
	v_exp_f32_e32 v36, v36
	v_nop
	v_ldexp_f32 v36, v36, v37
	s_delay_alu instid0(VALU_DEP_1) | instskip(SKIP_1) | instid1(VALU_DEP_2)
	v_cndmask_b32_e32 v36, 0, v36, vcc_lo
	v_cmp_nlt_f32_e32 vcc_lo, 0x42b17218, v35
	v_cndmask_b32_e32 v35, 0x7f800000, v36, vcc_lo
	s_delay_alu instid0(VALU_DEP_1) | instskip(NEXT) | instid1(VALU_DEP_1)
	v_dual_mul_f32 v13, v35, v13 :: v_dual_add_f32 v35, 1.0, v35
	v_div_scale_f32 v36, null, v35, v35, v13
	s_delay_alu instid0(VALU_DEP_1) | instskip(SKIP_1) | instid1(TRANS32_DEP_1)
	v_rcp_f32_e32 v37, v36
	v_nop
	v_fma_f32 v38, -v36, v37, 1.0
	s_delay_alu instid0(VALU_DEP_1) | instskip(SKIP_1) | instid1(VALU_DEP_1)
	v_fmac_f32_e32 v37, v38, v37
	v_div_scale_f32 v38, vcc_lo, v13, v35, v13
	v_mul_f32_e32 v39, v38, v37
	s_delay_alu instid0(VALU_DEP_1) | instskip(NEXT) | instid1(VALU_DEP_1)
	v_fma_f32 v40, -v36, v39, v38
	v_fmac_f32_e32 v39, v40, v37
	s_delay_alu instid0(VALU_DEP_1) | instskip(NEXT) | instid1(VALU_DEP_1)
	v_fma_f32 v36, -v36, v39, v38
	v_div_fmas_f32 v36, v36, v37, v39
	s_delay_alu instid0(VALU_DEP_1)
	v_div_fixup_f32 v13, v36, v35, v13
.LBB66_59:
	s_or_b32 exec_lo, exec_lo, s11
	s_wait_loadcnt 0x1
	v_mul_f32_e32 v35, s13, v8
	v_cvt_f32_f16_e32 v8, v34
	s_mov_b32 s11, exec_lo
	s_delay_alu instid0(VALU_DEP_2)
	v_cmpx_nlt_f32_e32 s14, v35
	s_cbranch_execz .LBB66_61
; %bb.60:
	v_mul_f32_e32 v36, 0x3fb8aa3b, v35
	v_cmp_ngt_f32_e32 vcc_lo, 0xc2ce8ed0, v35
	s_delay_alu instid0(VALU_DEP_2) | instskip(SKIP_1) | instid1(VALU_DEP_2)
	v_rndne_f32_e32 v37, v36
	v_fma_f32 v38, 0x3fb8aa3b, v35, -v36
	v_sub_f32_e32 v36, v36, v37
	s_delay_alu instid0(VALU_DEP_2) | instskip(SKIP_1) | instid1(VALU_DEP_2)
	v_fmamk_f32 v38, v35, 0x32a5705f, v38
	v_cvt_i32_f32_e32 v37, v37
	v_add_f32_e32 v36, v36, v38
	s_delay_alu instid0(VALU_DEP_1) | instskip(SKIP_1) | instid1(TRANS32_DEP_1)
	v_exp_f32_e32 v36, v36
	v_nop
	v_ldexp_f32 v36, v36, v37
	s_delay_alu instid0(VALU_DEP_1) | instskip(SKIP_1) | instid1(VALU_DEP_2)
	v_cndmask_b32_e32 v36, 0, v36, vcc_lo
	v_cmp_nlt_f32_e32 vcc_lo, 0x42b17218, v35
	v_cndmask_b32_e32 v35, 0x7f800000, v36, vcc_lo
	s_delay_alu instid0(VALU_DEP_1) | instskip(NEXT) | instid1(VALU_DEP_1)
	v_dual_mul_f32 v8, v35, v8 :: v_dual_add_f32 v35, 1.0, v35
	v_div_scale_f32 v36, null, v35, v35, v8
	s_delay_alu instid0(VALU_DEP_1) | instskip(SKIP_1) | instid1(TRANS32_DEP_1)
	v_rcp_f32_e32 v37, v36
	v_nop
	v_fma_f32 v38, -v36, v37, 1.0
	s_delay_alu instid0(VALU_DEP_1) | instskip(SKIP_1) | instid1(VALU_DEP_1)
	v_fmac_f32_e32 v37, v38, v37
	v_div_scale_f32 v38, vcc_lo, v8, v35, v8
	v_mul_f32_e32 v39, v38, v37
	s_delay_alu instid0(VALU_DEP_1) | instskip(NEXT) | instid1(VALU_DEP_1)
	v_fma_f32 v40, -v36, v39, v38
	v_fmac_f32_e32 v39, v40, v37
	s_delay_alu instid0(VALU_DEP_1) | instskip(NEXT) | instid1(VALU_DEP_1)
	v_fma_f32 v36, -v36, v39, v38
	v_div_fmas_f32 v36, v36, v37, v39
	s_delay_alu instid0(VALU_DEP_1)
	v_div_fixup_f32 v8, v36, v35, v8
.LBB66_61:
	s_or_b32 exec_lo, exec_lo, s11
	v_dual_mul_f32 v34, s13, v9 :: v_dual_lshrrev_b32 v35, 16, v34
	s_mov_b32 s11, exec_lo
	s_delay_alu instid0(VALU_DEP_1) | instskip(NEXT) | instid1(VALU_DEP_2)
	v_cvt_f32_f16_e32 v9, v35
	v_cmpx_nlt_f32_e32 s14, v34
	s_cbranch_execz .LBB66_63
; %bb.62:
	v_mul_f32_e32 v35, 0x3fb8aa3b, v34
	v_cmp_ngt_f32_e32 vcc_lo, 0xc2ce8ed0, v34
	s_delay_alu instid0(VALU_DEP_2) | instskip(SKIP_1) | instid1(VALU_DEP_2)
	v_rndne_f32_e32 v36, v35
	v_fma_f32 v37, 0x3fb8aa3b, v34, -v35
	v_sub_f32_e32 v35, v35, v36
	s_delay_alu instid0(VALU_DEP_2) | instskip(SKIP_1) | instid1(VALU_DEP_2)
	v_fmamk_f32 v37, v34, 0x32a5705f, v37
	v_cvt_i32_f32_e32 v36, v36
	v_add_f32_e32 v35, v35, v37
	s_delay_alu instid0(VALU_DEP_1) | instskip(SKIP_1) | instid1(TRANS32_DEP_1)
	v_exp_f32_e32 v35, v35
	v_nop
	v_ldexp_f32 v35, v35, v36
	s_delay_alu instid0(VALU_DEP_1) | instskip(SKIP_1) | instid1(VALU_DEP_2)
	v_cndmask_b32_e32 v35, 0, v35, vcc_lo
	v_cmp_nlt_f32_e32 vcc_lo, 0x42b17218, v34
	v_cndmask_b32_e32 v34, 0x7f800000, v35, vcc_lo
	s_delay_alu instid0(VALU_DEP_1) | instskip(NEXT) | instid1(VALU_DEP_1)
	v_dual_mul_f32 v9, v34, v9 :: v_dual_add_f32 v34, 1.0, v34
	v_div_scale_f32 v35, null, v34, v34, v9
	s_delay_alu instid0(VALU_DEP_1) | instskip(SKIP_1) | instid1(TRANS32_DEP_1)
	v_rcp_f32_e32 v36, v35
	v_nop
	v_fma_f32 v37, -v35, v36, 1.0
	s_delay_alu instid0(VALU_DEP_1) | instskip(SKIP_1) | instid1(VALU_DEP_1)
	v_fmac_f32_e32 v36, v37, v36
	v_div_scale_f32 v37, vcc_lo, v9, v34, v9
	v_mul_f32_e32 v38, v37, v36
	s_delay_alu instid0(VALU_DEP_1) | instskip(NEXT) | instid1(VALU_DEP_1)
	v_fma_f32 v39, -v35, v38, v37
	v_fmac_f32_e32 v38, v39, v36
	s_delay_alu instid0(VALU_DEP_1) | instskip(NEXT) | instid1(VALU_DEP_1)
	v_fma_f32 v35, -v35, v38, v37
	v_div_fmas_f32 v35, v35, v36, v38
	s_delay_alu instid0(VALU_DEP_1)
	v_div_fixup_f32 v9, v35, v34, v9
.LBB66_63:
	s_or_b32 exec_lo, exec_lo, s11
	s_wait_loadcnt 0x0
	v_mul_f32_e32 v34, s13, v4
	v_cvt_f32_f16_e32 v4, v1
	s_mov_b32 s11, exec_lo
	s_delay_alu instid0(VALU_DEP_2)
	v_cmpx_nlt_f32_e32 s14, v34
	s_cbranch_execz .LBB66_65
; %bb.64:
	v_mul_f32_e32 v35, 0x3fb8aa3b, v34
	v_cmp_ngt_f32_e32 vcc_lo, 0xc2ce8ed0, v34
	s_delay_alu instid0(VALU_DEP_2) | instskip(SKIP_1) | instid1(VALU_DEP_2)
	v_rndne_f32_e32 v36, v35
	v_fma_f32 v37, 0x3fb8aa3b, v34, -v35
	v_sub_f32_e32 v35, v35, v36
	s_delay_alu instid0(VALU_DEP_2) | instskip(SKIP_1) | instid1(VALU_DEP_2)
	v_fmamk_f32 v37, v34, 0x32a5705f, v37
	v_cvt_i32_f32_e32 v36, v36
	v_add_f32_e32 v35, v35, v37
	s_delay_alu instid0(VALU_DEP_1) | instskip(SKIP_1) | instid1(TRANS32_DEP_1)
	v_exp_f32_e32 v35, v35
	v_nop
	v_ldexp_f32 v35, v35, v36
	s_delay_alu instid0(VALU_DEP_1) | instskip(SKIP_1) | instid1(VALU_DEP_2)
	v_cndmask_b32_e32 v35, 0, v35, vcc_lo
	v_cmp_nlt_f32_e32 vcc_lo, 0x42b17218, v34
	v_cndmask_b32_e32 v34, 0x7f800000, v35, vcc_lo
	s_delay_alu instid0(VALU_DEP_1) | instskip(NEXT) | instid1(VALU_DEP_1)
	v_dual_mul_f32 v4, v34, v4 :: v_dual_add_f32 v34, 1.0, v34
	v_div_scale_f32 v35, null, v34, v34, v4
	s_delay_alu instid0(VALU_DEP_1) | instskip(SKIP_1) | instid1(TRANS32_DEP_1)
	v_rcp_f32_e32 v36, v35
	v_nop
	v_fma_f32 v37, -v35, v36, 1.0
	s_delay_alu instid0(VALU_DEP_1) | instskip(SKIP_1) | instid1(VALU_DEP_1)
	v_fmac_f32_e32 v36, v37, v36
	v_div_scale_f32 v37, vcc_lo, v4, v34, v4
	v_mul_f32_e32 v38, v37, v36
	s_delay_alu instid0(VALU_DEP_1) | instskip(NEXT) | instid1(VALU_DEP_1)
	v_fma_f32 v39, -v35, v38, v37
	v_fmac_f32_e32 v38, v39, v36
	s_delay_alu instid0(VALU_DEP_1) | instskip(NEXT) | instid1(VALU_DEP_1)
	v_fma_f32 v35, -v35, v38, v37
	v_div_fmas_f32 v35, v35, v36, v38
	s_delay_alu instid0(VALU_DEP_1)
	v_div_fixup_f32 v4, v35, v34, v4
.LBB66_65:
	s_or_b32 exec_lo, exec_lo, s11
	v_lshrrev_b32_e32 v34, 16, v1
	v_mul_f32_e32 v1, s13, v5
	s_mov_b32 s11, exec_lo
	s_delay_alu instid0(VALU_DEP_2) | instskip(NEXT) | instid1(VALU_DEP_2)
	v_cvt_f32_f16_e32 v5, v34
	v_cmpx_nlt_f32_e32 s14, v1
	s_cbranch_execz .LBB66_67
; %bb.66:
	v_mul_f32_e32 v34, 0x3fb8aa3b, v1
	v_cmp_ngt_f32_e32 vcc_lo, 0xc2ce8ed0, v1
	s_delay_alu instid0(VALU_DEP_2) | instskip(SKIP_1) | instid1(VALU_DEP_2)
	v_rndne_f32_e32 v35, v34
	v_fma_f32 v36, 0x3fb8aa3b, v1, -v34
	v_sub_f32_e32 v34, v34, v35
	s_delay_alu instid0(VALU_DEP_2) | instskip(SKIP_1) | instid1(VALU_DEP_2)
	v_fmamk_f32 v36, v1, 0x32a5705f, v36
	v_cvt_i32_f32_e32 v35, v35
	v_add_f32_e32 v34, v34, v36
	s_delay_alu instid0(VALU_DEP_1) | instskip(SKIP_1) | instid1(TRANS32_DEP_1)
	v_exp_f32_e32 v34, v34
	v_nop
	v_ldexp_f32 v34, v34, v35
	s_delay_alu instid0(VALU_DEP_1) | instskip(SKIP_1) | instid1(VALU_DEP_2)
	v_cndmask_b32_e32 v34, 0, v34, vcc_lo
	v_cmp_nlt_f32_e32 vcc_lo, 0x42b17218, v1
	v_cndmask_b32_e32 v1, 0x7f800000, v34, vcc_lo
	s_delay_alu instid0(VALU_DEP_1) | instskip(SKIP_1) | instid1(VALU_DEP_1)
	v_mul_f32_e32 v5, v1, v5
	v_add_f32_e32 v1, 1.0, v1
	v_div_scale_f32 v34, null, v1, v1, v5
	s_delay_alu instid0(VALU_DEP_1) | instskip(SKIP_1) | instid1(TRANS32_DEP_1)
	v_rcp_f32_e32 v35, v34
	v_nop
	v_fma_f32 v36, -v34, v35, 1.0
	s_delay_alu instid0(VALU_DEP_1) | instskip(SKIP_1) | instid1(VALU_DEP_1)
	v_fmac_f32_e32 v35, v36, v35
	v_div_scale_f32 v36, vcc_lo, v5, v1, v5
	v_mul_f32_e32 v37, v36, v35
	s_delay_alu instid0(VALU_DEP_1) | instskip(NEXT) | instid1(VALU_DEP_1)
	v_fma_f32 v38, -v34, v37, v36
	v_fmac_f32_e32 v37, v38, v35
	s_delay_alu instid0(VALU_DEP_1) | instskip(NEXT) | instid1(VALU_DEP_1)
	v_fma_f32 v34, -v34, v37, v36
	v_div_fmas_f32 v34, v34, v35, v37
	s_delay_alu instid0(VALU_DEP_1)
	v_div_fixup_f32 v5, v34, v1, v5
.LBB66_67:
	s_or_b32 exec_lo, exec_lo, s11
	s_add_nc_u64 s[16:17], s[4:5], s[8:9]
	s_clause 0xf
	global_store_b64 v0, v[2:3], s[16:17] scale_offset
	global_store_b64 v0, v[6:7], s[16:17] offset:4096 scale_offset
	global_store_b64 v0, v[10:11], s[16:17] offset:8192 scale_offset
	;; [unrolled: 1-line block ×15, first 2 shown]
	s_branch .LBB66_2
.LBB66_68:
	s_clause 0x1
	s_load_b32 s11, s[0:1], 0x2c
	s_load_b128 s[16:19], s[0:1], 0x30
	v_dual_mov_b32 v31, v0 :: v_dual_mov_b32 v0, s13
	v_dual_mov_b32 v1, s14 :: v_dual_mov_b32 v2, s4
	v_dual_mov_b32 v3, s5 :: v_dual_mov_b32 v4, s6
	v_dual_mov_b32 v5, s7 :: v_dual_mov_b32 v6, s2
	v_dual_mov_b32 v7, s3 :: v_dual_mov_b32 v8, s10
	s_add_nc_u64 s[8:9], s[0:1], 64
	s_wait_xcnt 0x0
	s_get_pc_i64 s[0:1]
	s_add_nc_u64 s[0:1], s[0:1], _ZN2at6native25elementwise_kernel_helperILb1EZZZNS0_12_GLOBAL__N_124softplus_backward_kernelERNS_18TensorIteratorBaseERKN3c106ScalarES8_ENKUlvE_clEvENKUlvE0_clEvEUlffE_NS0_6memory8policies11unroll_baseILi512ESt5arrayIPcLm3EE23TrivialOffsetCalculatorILi2EjESI_ILi1EjENSC_12LoadWithCastILi2EEENSC_13StoreWithCastILi1EEELi32ELi1EEEEEvT0_T1_@rel64+4
	s_wait_kmcnt 0x0
	s_bfe_u32 s12, s11, 0x80008
	v_dual_mov_b32 v9, s11 :: v_dual_mov_b32 v11, s16
	v_dual_mov_b32 v12, s17 :: v_dual_mov_b32 v13, s18
	;; [unrolled: 1-line block ×3, first 2 shown]
	s_swap_pc_i64 s[30:31], s[0:1]
	s_endpgm
	.section	.rodata,"a",@progbits
	.p2align	6, 0x0
	.amdhsa_kernel _ZN2at6native39vectorized_templated_elementwise_kernelILi2EZZZNS0_12_GLOBAL__N_124softplus_backward_kernelERNS_18TensorIteratorBaseERKN3c106ScalarES8_ENKUlvE_clEvENKUlvE0_clEvEUlffE_St5arrayIPcLm3EE23TrivialOffsetCalculatorILi2EjESF_ILi1EjENS0_6memory12LoadWithCastILi2EEENSI_13StoreWithCastILi1EEEfJNS5_4HalfEfEEEviT0_T1_T2_T3_T4_T5_
		.amdhsa_group_segment_fixed_size 0
		.amdhsa_private_segment_fixed_size 272
		.amdhsa_kernarg_size 320
		.amdhsa_user_sgpr_count 2
		.amdhsa_user_sgpr_dispatch_ptr 0
		.amdhsa_user_sgpr_queue_ptr 0
		.amdhsa_user_sgpr_kernarg_segment_ptr 1
		.amdhsa_user_sgpr_dispatch_id 0
		.amdhsa_user_sgpr_kernarg_preload_length 0
		.amdhsa_user_sgpr_kernarg_preload_offset 0
		.amdhsa_user_sgpr_private_segment_size 0
		.amdhsa_wavefront_size32 1
		.amdhsa_uses_dynamic_stack 0
		.amdhsa_enable_private_segment 1
		.amdhsa_system_sgpr_workgroup_id_x 1
		.amdhsa_system_sgpr_workgroup_id_y 0
		.amdhsa_system_sgpr_workgroup_id_z 0
		.amdhsa_system_sgpr_workgroup_info 0
		.amdhsa_system_vgpr_workitem_id 0
		.amdhsa_next_free_vgpr 132
		.amdhsa_next_free_sgpr 96
		.amdhsa_named_barrier_count 0
		.amdhsa_reserve_vcc 1
		.amdhsa_float_round_mode_32 0
		.amdhsa_float_round_mode_16_64 0
		.amdhsa_float_denorm_mode_32 3
		.amdhsa_float_denorm_mode_16_64 3
		.amdhsa_fp16_overflow 0
		.amdhsa_memory_ordered 1
		.amdhsa_forward_progress 1
		.amdhsa_inst_pref_size 69
		.amdhsa_round_robin_scheduling 0
		.amdhsa_exception_fp_ieee_invalid_op 0
		.amdhsa_exception_fp_denorm_src 0
		.amdhsa_exception_fp_ieee_div_zero 0
		.amdhsa_exception_fp_ieee_overflow 0
		.amdhsa_exception_fp_ieee_underflow 0
		.amdhsa_exception_fp_ieee_inexact 0
		.amdhsa_exception_int_div_zero 0
	.end_amdhsa_kernel
	.section	.text._ZN2at6native39vectorized_templated_elementwise_kernelILi2EZZZNS0_12_GLOBAL__N_124softplus_backward_kernelERNS_18TensorIteratorBaseERKN3c106ScalarES8_ENKUlvE_clEvENKUlvE0_clEvEUlffE_St5arrayIPcLm3EE23TrivialOffsetCalculatorILi2EjESF_ILi1EjENS0_6memory12LoadWithCastILi2EEENSI_13StoreWithCastILi1EEEfJNS5_4HalfEfEEEviT0_T1_T2_T3_T4_T5_,"axG",@progbits,_ZN2at6native39vectorized_templated_elementwise_kernelILi2EZZZNS0_12_GLOBAL__N_124softplus_backward_kernelERNS_18TensorIteratorBaseERKN3c106ScalarES8_ENKUlvE_clEvENKUlvE0_clEvEUlffE_St5arrayIPcLm3EE23TrivialOffsetCalculatorILi2EjESF_ILi1EjENS0_6memory12LoadWithCastILi2EEENSI_13StoreWithCastILi1EEEfJNS5_4HalfEfEEEviT0_T1_T2_T3_T4_T5_,comdat
.Lfunc_end66:
	.size	_ZN2at6native39vectorized_templated_elementwise_kernelILi2EZZZNS0_12_GLOBAL__N_124softplus_backward_kernelERNS_18TensorIteratorBaseERKN3c106ScalarES8_ENKUlvE_clEvENKUlvE0_clEvEUlffE_St5arrayIPcLm3EE23TrivialOffsetCalculatorILi2EjESF_ILi1EjENS0_6memory12LoadWithCastILi2EEENSI_13StoreWithCastILi1EEEfJNS5_4HalfEfEEEviT0_T1_T2_T3_T4_T5_, .Lfunc_end66-_ZN2at6native39vectorized_templated_elementwise_kernelILi2EZZZNS0_12_GLOBAL__N_124softplus_backward_kernelERNS_18TensorIteratorBaseERKN3c106ScalarES8_ENKUlvE_clEvENKUlvE0_clEvEUlffE_St5arrayIPcLm3EE23TrivialOffsetCalculatorILi2EjESF_ILi1EjENS0_6memory12LoadWithCastILi2EEENSI_13StoreWithCastILi1EEEfJNS5_4HalfEfEEEviT0_T1_T2_T3_T4_T5_
                                        ; -- End function
	.set _ZN2at6native39vectorized_templated_elementwise_kernelILi2EZZZNS0_12_GLOBAL__N_124softplus_backward_kernelERNS_18TensorIteratorBaseERKN3c106ScalarES8_ENKUlvE_clEvENKUlvE0_clEvEUlffE_St5arrayIPcLm3EE23TrivialOffsetCalculatorILi2EjESF_ILi1EjENS0_6memory12LoadWithCastILi2EEENSI_13StoreWithCastILi1EEEfJNS5_4HalfEfEEEviT0_T1_T2_T3_T4_T5_.num_vgpr, max(55, .L_ZN2at6native25elementwise_kernel_helperILb1EZZZNS0_12_GLOBAL__N_124softplus_backward_kernelERNS_18TensorIteratorBaseERKN3c106ScalarES8_ENKUlvE_clEvENKUlvE0_clEvEUlffE_NS0_6memory8policies11unroll_baseILi512ESt5arrayIPcLm3EE23TrivialOffsetCalculatorILi2EjESI_ILi1EjENSC_12LoadWithCastILi2EEENSC_13StoreWithCastILi1EEELi32ELi1EEEEEvT0_T1_.num_vgpr)
	.set _ZN2at6native39vectorized_templated_elementwise_kernelILi2EZZZNS0_12_GLOBAL__N_124softplus_backward_kernelERNS_18TensorIteratorBaseERKN3c106ScalarES8_ENKUlvE_clEvENKUlvE0_clEvEUlffE_St5arrayIPcLm3EE23TrivialOffsetCalculatorILi2EjESF_ILi1EjENS0_6memory12LoadWithCastILi2EEENSI_13StoreWithCastILi1EEEfJNS5_4HalfEfEEEviT0_T1_T2_T3_T4_T5_.num_agpr, max(0, .L_ZN2at6native25elementwise_kernel_helperILb1EZZZNS0_12_GLOBAL__N_124softplus_backward_kernelERNS_18TensorIteratorBaseERKN3c106ScalarES8_ENKUlvE_clEvENKUlvE0_clEvEUlffE_NS0_6memory8policies11unroll_baseILi512ESt5arrayIPcLm3EE23TrivialOffsetCalculatorILi2EjESI_ILi1EjENSC_12LoadWithCastILi2EEENSC_13StoreWithCastILi1EEELi32ELi1EEEEEvT0_T1_.num_agpr)
	.set _ZN2at6native39vectorized_templated_elementwise_kernelILi2EZZZNS0_12_GLOBAL__N_124softplus_backward_kernelERNS_18TensorIteratorBaseERKN3c106ScalarES8_ENKUlvE_clEvENKUlvE0_clEvEUlffE_St5arrayIPcLm3EE23TrivialOffsetCalculatorILi2EjESF_ILi1EjENS0_6memory12LoadWithCastILi2EEENSI_13StoreWithCastILi1EEEfJNS5_4HalfEfEEEviT0_T1_T2_T3_T4_T5_.numbered_sgpr, max(33, .L_ZN2at6native25elementwise_kernel_helperILb1EZZZNS0_12_GLOBAL__N_124softplus_backward_kernelERNS_18TensorIteratorBaseERKN3c106ScalarES8_ENKUlvE_clEvENKUlvE0_clEvEUlffE_NS0_6memory8policies11unroll_baseILi512ESt5arrayIPcLm3EE23TrivialOffsetCalculatorILi2EjESI_ILi1EjENSC_12LoadWithCastILi2EEENSC_13StoreWithCastILi1EEELi32ELi1EEEEEvT0_T1_.numbered_sgpr)
	.set _ZN2at6native39vectorized_templated_elementwise_kernelILi2EZZZNS0_12_GLOBAL__N_124softplus_backward_kernelERNS_18TensorIteratorBaseERKN3c106ScalarES8_ENKUlvE_clEvENKUlvE0_clEvEUlffE_St5arrayIPcLm3EE23TrivialOffsetCalculatorILi2EjESF_ILi1EjENS0_6memory12LoadWithCastILi2EEENSI_13StoreWithCastILi1EEEfJNS5_4HalfEfEEEviT0_T1_T2_T3_T4_T5_.num_named_barrier, max(0, .L_ZN2at6native25elementwise_kernel_helperILb1EZZZNS0_12_GLOBAL__N_124softplus_backward_kernelERNS_18TensorIteratorBaseERKN3c106ScalarES8_ENKUlvE_clEvENKUlvE0_clEvEUlffE_NS0_6memory8policies11unroll_baseILi512ESt5arrayIPcLm3EE23TrivialOffsetCalculatorILi2EjESI_ILi1EjENSC_12LoadWithCastILi2EEENSC_13StoreWithCastILi1EEELi32ELi1EEEEEvT0_T1_.num_named_barrier)
	.set _ZN2at6native39vectorized_templated_elementwise_kernelILi2EZZZNS0_12_GLOBAL__N_124softplus_backward_kernelERNS_18TensorIteratorBaseERKN3c106ScalarES8_ENKUlvE_clEvENKUlvE0_clEvEUlffE_St5arrayIPcLm3EE23TrivialOffsetCalculatorILi2EjESF_ILi1EjENS0_6memory12LoadWithCastILi2EEENSI_13StoreWithCastILi1EEEfJNS5_4HalfEfEEEviT0_T1_T2_T3_T4_T5_.private_seg_size, 0+max(.L_ZN2at6native25elementwise_kernel_helperILb1EZZZNS0_12_GLOBAL__N_124softplus_backward_kernelERNS_18TensorIteratorBaseERKN3c106ScalarES8_ENKUlvE_clEvENKUlvE0_clEvEUlffE_NS0_6memory8policies11unroll_baseILi512ESt5arrayIPcLm3EE23TrivialOffsetCalculatorILi2EjESI_ILi1EjENSC_12LoadWithCastILi2EEENSC_13StoreWithCastILi1EEELi32ELi1EEEEEvT0_T1_.private_seg_size)
	.set _ZN2at6native39vectorized_templated_elementwise_kernelILi2EZZZNS0_12_GLOBAL__N_124softplus_backward_kernelERNS_18TensorIteratorBaseERKN3c106ScalarES8_ENKUlvE_clEvENKUlvE0_clEvEUlffE_St5arrayIPcLm3EE23TrivialOffsetCalculatorILi2EjESF_ILi1EjENS0_6memory12LoadWithCastILi2EEENSI_13StoreWithCastILi1EEEfJNS5_4HalfEfEEEviT0_T1_T2_T3_T4_T5_.uses_vcc, or(1, .L_ZN2at6native25elementwise_kernel_helperILb1EZZZNS0_12_GLOBAL__N_124softplus_backward_kernelERNS_18TensorIteratorBaseERKN3c106ScalarES8_ENKUlvE_clEvENKUlvE0_clEvEUlffE_NS0_6memory8policies11unroll_baseILi512ESt5arrayIPcLm3EE23TrivialOffsetCalculatorILi2EjESI_ILi1EjENSC_12LoadWithCastILi2EEENSC_13StoreWithCastILi1EEELi32ELi1EEEEEvT0_T1_.uses_vcc)
	.set _ZN2at6native39vectorized_templated_elementwise_kernelILi2EZZZNS0_12_GLOBAL__N_124softplus_backward_kernelERNS_18TensorIteratorBaseERKN3c106ScalarES8_ENKUlvE_clEvENKUlvE0_clEvEUlffE_St5arrayIPcLm3EE23TrivialOffsetCalculatorILi2EjESF_ILi1EjENS0_6memory12LoadWithCastILi2EEENSI_13StoreWithCastILi1EEEfJNS5_4HalfEfEEEviT0_T1_T2_T3_T4_T5_.uses_flat_scratch, or(0, .L_ZN2at6native25elementwise_kernel_helperILb1EZZZNS0_12_GLOBAL__N_124softplus_backward_kernelERNS_18TensorIteratorBaseERKN3c106ScalarES8_ENKUlvE_clEvENKUlvE0_clEvEUlffE_NS0_6memory8policies11unroll_baseILi512ESt5arrayIPcLm3EE23TrivialOffsetCalculatorILi2EjESI_ILi1EjENSC_12LoadWithCastILi2EEENSC_13StoreWithCastILi1EEELi32ELi1EEEEEvT0_T1_.uses_flat_scratch)
	.set _ZN2at6native39vectorized_templated_elementwise_kernelILi2EZZZNS0_12_GLOBAL__N_124softplus_backward_kernelERNS_18TensorIteratorBaseERKN3c106ScalarES8_ENKUlvE_clEvENKUlvE0_clEvEUlffE_St5arrayIPcLm3EE23TrivialOffsetCalculatorILi2EjESF_ILi1EjENS0_6memory12LoadWithCastILi2EEENSI_13StoreWithCastILi1EEEfJNS5_4HalfEfEEEviT0_T1_T2_T3_T4_T5_.has_dyn_sized_stack, or(0, .L_ZN2at6native25elementwise_kernel_helperILb1EZZZNS0_12_GLOBAL__N_124softplus_backward_kernelERNS_18TensorIteratorBaseERKN3c106ScalarES8_ENKUlvE_clEvENKUlvE0_clEvEUlffE_NS0_6memory8policies11unroll_baseILi512ESt5arrayIPcLm3EE23TrivialOffsetCalculatorILi2EjESI_ILi1EjENSC_12LoadWithCastILi2EEENSC_13StoreWithCastILi1EEELi32ELi1EEEEEvT0_T1_.has_dyn_sized_stack)
	.set _ZN2at6native39vectorized_templated_elementwise_kernelILi2EZZZNS0_12_GLOBAL__N_124softplus_backward_kernelERNS_18TensorIteratorBaseERKN3c106ScalarES8_ENKUlvE_clEvENKUlvE0_clEvEUlffE_St5arrayIPcLm3EE23TrivialOffsetCalculatorILi2EjESF_ILi1EjENS0_6memory12LoadWithCastILi2EEENSI_13StoreWithCastILi1EEEfJNS5_4HalfEfEEEviT0_T1_T2_T3_T4_T5_.has_recursion, or(0, .L_ZN2at6native25elementwise_kernel_helperILb1EZZZNS0_12_GLOBAL__N_124softplus_backward_kernelERNS_18TensorIteratorBaseERKN3c106ScalarES8_ENKUlvE_clEvENKUlvE0_clEvEUlffE_NS0_6memory8policies11unroll_baseILi512ESt5arrayIPcLm3EE23TrivialOffsetCalculatorILi2EjESI_ILi1EjENSC_12LoadWithCastILi2EEENSC_13StoreWithCastILi1EEELi32ELi1EEEEEvT0_T1_.has_recursion)
	.set _ZN2at6native39vectorized_templated_elementwise_kernelILi2EZZZNS0_12_GLOBAL__N_124softplus_backward_kernelERNS_18TensorIteratorBaseERKN3c106ScalarES8_ENKUlvE_clEvENKUlvE0_clEvEUlffE_St5arrayIPcLm3EE23TrivialOffsetCalculatorILi2EjESF_ILi1EjENS0_6memory12LoadWithCastILi2EEENSI_13StoreWithCastILi1EEEfJNS5_4HalfEfEEEviT0_T1_T2_T3_T4_T5_.has_indirect_call, or(0, .L_ZN2at6native25elementwise_kernel_helperILb1EZZZNS0_12_GLOBAL__N_124softplus_backward_kernelERNS_18TensorIteratorBaseERKN3c106ScalarES8_ENKUlvE_clEvENKUlvE0_clEvEUlffE_NS0_6memory8policies11unroll_baseILi512ESt5arrayIPcLm3EE23TrivialOffsetCalculatorILi2EjESI_ILi1EjENSC_12LoadWithCastILi2EEENSC_13StoreWithCastILi1EEELi32ELi1EEEEEvT0_T1_.has_indirect_call)
	.section	.AMDGPU.csdata,"",@progbits
; Kernel info:
; codeLenInByte = 8728
; TotalNumSgprs: 98
; NumVgprs: 132
; ScratchSize: 272
; MemoryBound: 0
; FloatMode: 240
; IeeeMode: 1
; LDSByteSize: 0 bytes/workgroup (compile time only)
; SGPRBlocks: 0
; VGPRBlocks: 8
; NumSGPRsForWavesPerEU: 98
; NumVGPRsForWavesPerEU: 132
; NamedBarCnt: 0
; Occupancy: 7
; WaveLimiterHint : 1
; COMPUTE_PGM_RSRC2:SCRATCH_EN: 1
; COMPUTE_PGM_RSRC2:USER_SGPR: 2
; COMPUTE_PGM_RSRC2:TRAP_HANDLER: 0
; COMPUTE_PGM_RSRC2:TGID_X_EN: 1
; COMPUTE_PGM_RSRC2:TGID_Y_EN: 0
; COMPUTE_PGM_RSRC2:TGID_Z_EN: 0
; COMPUTE_PGM_RSRC2:TIDIG_COMP_CNT: 0
	.section	.text._ZN2at6native39vectorized_templated_elementwise_kernelILi8EZZZNS0_12_GLOBAL__N_124softplus_backward_kernelERNS_18TensorIteratorBaseERKN3c106ScalarES8_ENKUlvE_clEvENKUlvE0_clEvEUlffE_St5arrayIPcLm3EE23TrivialOffsetCalculatorILi2EjESF_ILi1EjENS0_6memory12LoadWithCastILi2EEENSI_13StoreWithCastILi1EEENS5_4HalfEJSN_fEEEviT0_T1_T2_T3_T4_T5_,"axG",@progbits,_ZN2at6native39vectorized_templated_elementwise_kernelILi8EZZZNS0_12_GLOBAL__N_124softplus_backward_kernelERNS_18TensorIteratorBaseERKN3c106ScalarES8_ENKUlvE_clEvENKUlvE0_clEvEUlffE_St5arrayIPcLm3EE23TrivialOffsetCalculatorILi2EjESF_ILi1EjENS0_6memory12LoadWithCastILi2EEENSI_13StoreWithCastILi1EEENS5_4HalfEJSN_fEEEviT0_T1_T2_T3_T4_T5_,comdat
	.globl	_ZN2at6native39vectorized_templated_elementwise_kernelILi8EZZZNS0_12_GLOBAL__N_124softplus_backward_kernelERNS_18TensorIteratorBaseERKN3c106ScalarES8_ENKUlvE_clEvENKUlvE0_clEvEUlffE_St5arrayIPcLm3EE23TrivialOffsetCalculatorILi2EjESF_ILi1EjENS0_6memory12LoadWithCastILi2EEENSI_13StoreWithCastILi1EEENS5_4HalfEJSN_fEEEviT0_T1_T2_T3_T4_T5_ ; -- Begin function _ZN2at6native39vectorized_templated_elementwise_kernelILi8EZZZNS0_12_GLOBAL__N_124softplus_backward_kernelERNS_18TensorIteratorBaseERKN3c106ScalarES8_ENKUlvE_clEvENKUlvE0_clEvEUlffE_St5arrayIPcLm3EE23TrivialOffsetCalculatorILi2EjESF_ILi1EjENS0_6memory12LoadWithCastILi2EEENSI_13StoreWithCastILi1EEENS5_4HalfEJSN_fEEEviT0_T1_T2_T3_T4_T5_
	.p2align	8
	.type	_ZN2at6native39vectorized_templated_elementwise_kernelILi8EZZZNS0_12_GLOBAL__N_124softplus_backward_kernelERNS_18TensorIteratorBaseERKN3c106ScalarES8_ENKUlvE_clEvENKUlvE0_clEvEUlffE_St5arrayIPcLm3EE23TrivialOffsetCalculatorILi2EjESF_ILi1EjENS0_6memory12LoadWithCastILi2EEENSI_13StoreWithCastILi1EEENS5_4HalfEJSN_fEEEviT0_T1_T2_T3_T4_T5_,@function
_ZN2at6native39vectorized_templated_elementwise_kernelILi8EZZZNS0_12_GLOBAL__N_124softplus_backward_kernelERNS_18TensorIteratorBaseERKN3c106ScalarES8_ENKUlvE_clEvENKUlvE0_clEvEUlffE_St5arrayIPcLm3EE23TrivialOffsetCalculatorILi2EjESF_ILi1EjENS0_6memory12LoadWithCastILi2EEENSI_13StoreWithCastILi1EEENS5_4HalfEJSN_fEEEviT0_T1_T2_T3_T4_T5_: ; @_ZN2at6native39vectorized_templated_elementwise_kernelILi8EZZZNS0_12_GLOBAL__N_124softplus_backward_kernelERNS_18TensorIteratorBaseERKN3c106ScalarES8_ENKUlvE_clEvENKUlvE0_clEvEUlffE_St5arrayIPcLm3EE23TrivialOffsetCalculatorILi2EjESF_ILi1EjENS0_6memory12LoadWithCastILi2EEENSI_13StoreWithCastILi1EEENS5_4HalfEJSN_fEEEviT0_T1_T2_T3_T4_T5_
; %bb.0:
	s_clause 0x2
	s_load_b32 s8, s[0:1], 0x40
	s_load_b96 s[12:14], s[0:1], 0x0
	s_load_b64 s[2:3], s[0:1], 0x20
	s_bfe_u32 s9, ttmp6, 0x4000c
	s_load_b128 s[4:7], s[0:1], 0x10
	s_add_co_i32 s9, s9, 1
	s_and_b32 s10, ttmp6, 15
	s_mul_i32 s9, ttmp9, s9
	s_getreg_b32 s11, hwreg(HW_REG_IB_STS2, 6, 4)
	s_add_co_i32 s10, s10, s9
	s_cmp_eq_u32 s11, 0
	s_mov_b32 s32, 0
	s_cselect_b32 s9, ttmp9, s10
	s_delay_alu instid0(SALU_CYCLE_1) | instskip(SKIP_4) | instid1(SALU_CYCLE_1)
	s_not_b32 s9, s9
	s_wait_kmcnt 0x0
	s_add_co_i32 s8, s8, s9
	s_mov_b32 s9, -1
	s_lshl_b32 s8, s8, 14
	s_sub_co_i32 s10, s12, s8
	s_delay_alu instid0(SALU_CYCLE_1)
	s_cmp_gt_i32 s10, 0x3fff
	s_cbranch_scc1 .LBB67_3
; %bb.1:
	s_and_b32 vcc_lo, exec_lo, s9
	s_cbranch_vccnz .LBB67_68
.LBB67_2:
	s_sendmsg sendmsg(MSG_DEALLOC_VGPRS)
	s_endpgm
.LBB67_3:
	s_ashr_i32 s9, s8, 31
	v_lshlrev_b32_e32 v1, 5, v0
	s_lshl_b64 s[16:17], s[8:9], 2
	s_lshl_b64 s[8:9], s[8:9], 1
	s_add_nc_u64 s[16:17], s[2:3], s[16:17]
	s_add_nc_u64 s[18:19], s[6:7], s[8:9]
	s_clause 0x1
	global_load_b128 v[46:49], v1, s[16:17]
	global_load_b128 v[42:45], v1, s[16:17] offset:16
	s_clause 0x3
	global_load_b128 v[38:41], v0, s[18:19] scale_offset
	global_load_b128 v[26:29], v0, s[18:19] offset:8192 scale_offset
	global_load_b128 v[14:17], v0, s[18:19] offset:16384 scale_offset
	;; [unrolled: 1-line block ×3, first 2 shown]
	s_clause 0x5
	global_load_b128 v[30:33], v1, s[16:17] offset:16400
	global_load_b128 v[34:37], v1, s[16:17] offset:16384
	global_load_b128 v[18:21], v1, s[16:17] offset:32784
	global_load_b128 v[22:25], v1, s[16:17] offset:32768
	global_load_b128 v[6:9], v1, s[16:17] offset:49168
	global_load_b128 v[10:13], v1, s[16:17] offset:49152
	s_mov_b32 s11, exec_lo
	s_wait_loadcnt 0xb
	s_wait_xcnt 0x0
	v_cvt_f16_f32_e32 v1, v46
	s_delay_alu instid0(VALU_DEP_1) | instskip(SKIP_1) | instid1(VALU_DEP_1)
	v_cvt_f32_f16_e32 v1, v1
	s_wait_loadcnt 0x9
	v_dual_mul_f32 v46, s13, v1 :: v_dual_mov_b32 v1, v38
	s_delay_alu instid0(VALU_DEP_1)
	v_cmpx_nlt_f32_e32 s14, v46
	s_cbranch_execz .LBB67_5
; %bb.4:
	v_mul_f32_e32 v1, 0x3fb8aa3b, v46
	v_cmp_ngt_f32_e32 vcc_lo, 0xc2ce8ed0, v46
	s_delay_alu instid0(VALU_DEP_2) | instskip(SKIP_1) | instid1(VALU_DEP_2)
	v_rndne_f32_e32 v50, v1
	v_fma_f32 v51, 0x3fb8aa3b, v46, -v1
	v_sub_f32_e32 v1, v1, v50
	s_delay_alu instid0(VALU_DEP_2) | instskip(SKIP_1) | instid1(VALU_DEP_2)
	v_fmamk_f32 v51, v46, 0x32a5705f, v51
	v_cvt_i32_f32_e32 v50, v50
	v_add_f32_e32 v1, v1, v51
	s_delay_alu instid0(VALU_DEP_1) | instskip(SKIP_1) | instid1(TRANS32_DEP_1)
	v_exp_f32_e32 v1, v1
	v_nop
	v_ldexp_f32 v1, v1, v50
	v_cvt_f32_f16_e32 v50, v38
	s_delay_alu instid0(VALU_DEP_2) | instskip(SKIP_1) | instid1(VALU_DEP_2)
	v_cndmask_b32_e32 v1, 0, v1, vcc_lo
	v_cmp_nlt_f32_e32 vcc_lo, 0x42b17218, v46
	v_cndmask_b32_e32 v1, 0x7f800000, v1, vcc_lo
	s_delay_alu instid0(VALU_DEP_1) | instskip(NEXT) | instid1(VALU_DEP_1)
	v_dual_mul_f32 v46, v1, v50 :: v_dual_add_f32 v1, 1.0, v1
	v_div_scale_f32 v50, null, v1, v1, v46
	s_delay_alu instid0(VALU_DEP_1) | instskip(SKIP_1) | instid1(TRANS32_DEP_1)
	v_rcp_f32_e32 v51, v50
	v_nop
	v_fma_f32 v52, -v50, v51, 1.0
	s_delay_alu instid0(VALU_DEP_1) | instskip(SKIP_1) | instid1(VALU_DEP_1)
	v_fmac_f32_e32 v51, v52, v51
	v_div_scale_f32 v52, vcc_lo, v46, v1, v46
	v_mul_f32_e32 v53, v52, v51
	s_delay_alu instid0(VALU_DEP_1) | instskip(NEXT) | instid1(VALU_DEP_1)
	v_fma_f32 v54, -v50, v53, v52
	v_fmac_f32_e32 v53, v54, v51
	s_delay_alu instid0(VALU_DEP_1) | instskip(NEXT) | instid1(VALU_DEP_1)
	v_fma_f32 v50, -v50, v53, v52
	v_div_fmas_f32 v50, v50, v51, v53
	s_delay_alu instid0(VALU_DEP_1) | instskip(NEXT) | instid1(VALU_DEP_1)
	v_div_fixup_f32 v1, v50, v1, v46
	v_cvt_f16_f32_e32 v1, v1
.LBB67_5:
	s_or_b32 exec_lo, exec_lo, s11
	v_cvt_f16_f32_e32 v46, v47
	v_lshrrev_b32_e32 v38, 16, v38
	s_mov_b32 s11, exec_lo
	s_delay_alu instid0(VALU_DEP_2) | instskip(NEXT) | instid1(VALU_DEP_1)
	v_cvt_f32_f16_e32 v46, v46
	v_mul_f32_e32 v46, s13, v46
	s_delay_alu instid0(VALU_DEP_1)
	v_cmpx_nlt_f32_e32 s14, v46
	s_cbranch_execz .LBB67_7
; %bb.6:
	v_mul_f32_e32 v47, 0x3fb8aa3b, v46
	v_cvt_f32_f16_e32 v38, v38
	v_cmp_ngt_f32_e32 vcc_lo, 0xc2ce8ed0, v46
	s_delay_alu instid0(VALU_DEP_3) | instskip(SKIP_1) | instid1(VALU_DEP_2)
	v_rndne_f32_e32 v50, v47
	v_fma_f32 v51, 0x3fb8aa3b, v46, -v47
	v_sub_f32_e32 v47, v47, v50
	s_delay_alu instid0(VALU_DEP_2) | instskip(SKIP_1) | instid1(VALU_DEP_2)
	v_fmamk_f32 v51, v46, 0x32a5705f, v51
	v_cvt_i32_f32_e32 v50, v50
	v_add_f32_e32 v47, v47, v51
	s_delay_alu instid0(VALU_DEP_1) | instskip(SKIP_1) | instid1(TRANS32_DEP_1)
	v_exp_f32_e32 v47, v47
	v_nop
	v_ldexp_f32 v47, v47, v50
	s_delay_alu instid0(VALU_DEP_1) | instskip(SKIP_1) | instid1(VALU_DEP_2)
	v_cndmask_b32_e32 v47, 0, v47, vcc_lo
	v_cmp_nlt_f32_e32 vcc_lo, 0x42b17218, v46
	v_cndmask_b32_e32 v46, 0x7f800000, v47, vcc_lo
	s_delay_alu instid0(VALU_DEP_1) | instskip(SKIP_1) | instid1(VALU_DEP_1)
	v_mul_f32_e32 v38, v46, v38
	v_add_f32_e32 v46, 1.0, v46
	v_div_scale_f32 v47, null, v46, v46, v38
	s_delay_alu instid0(VALU_DEP_1) | instskip(SKIP_1) | instid1(TRANS32_DEP_1)
	v_rcp_f32_e32 v50, v47
	v_nop
	v_fma_f32 v51, -v47, v50, 1.0
	s_delay_alu instid0(VALU_DEP_1) | instskip(SKIP_1) | instid1(VALU_DEP_1)
	v_fmac_f32_e32 v50, v51, v50
	v_div_scale_f32 v51, vcc_lo, v38, v46, v38
	v_mul_f32_e32 v52, v51, v50
	s_delay_alu instid0(VALU_DEP_1) | instskip(NEXT) | instid1(VALU_DEP_1)
	v_fma_f32 v53, -v47, v52, v51
	v_fmac_f32_e32 v52, v53, v50
	s_delay_alu instid0(VALU_DEP_1) | instskip(NEXT) | instid1(VALU_DEP_1)
	v_fma_f32 v47, -v47, v52, v51
	v_div_fmas_f32 v47, v47, v50, v52
	s_delay_alu instid0(VALU_DEP_1) | instskip(NEXT) | instid1(VALU_DEP_1)
	v_div_fixup_f32 v38, v47, v46, v38
	v_cvt_f16_f32_e32 v38, v38
.LBB67_7:
	s_or_b32 exec_lo, exec_lo, s11
	v_cvt_f16_f32_e32 v46, v48
	s_mov_b32 s11, exec_lo
	s_delay_alu instid0(VALU_DEP_1) | instskip(NEXT) | instid1(VALU_DEP_1)
	v_cvt_f32_f16_e32 v46, v46
	v_dual_mul_f32 v47, s13, v46 :: v_dual_mov_b32 v46, v39
	s_delay_alu instid0(VALU_DEP_1)
	v_cmpx_nlt_f32_e32 s14, v47
	s_cbranch_execz .LBB67_9
; %bb.8:
	v_mul_f32_e32 v46, 0x3fb8aa3b, v47
	v_cmp_ngt_f32_e32 vcc_lo, 0xc2ce8ed0, v47
	s_delay_alu instid0(VALU_DEP_2) | instskip(SKIP_1) | instid1(VALU_DEP_2)
	v_rndne_f32_e32 v48, v46
	v_fma_f32 v50, 0x3fb8aa3b, v47, -v46
	v_sub_f32_e32 v46, v46, v48
	s_delay_alu instid0(VALU_DEP_2) | instskip(SKIP_1) | instid1(VALU_DEP_2)
	v_fmamk_f32 v50, v47, 0x32a5705f, v50
	v_cvt_i32_f32_e32 v48, v48
	v_add_f32_e32 v46, v46, v50
	s_delay_alu instid0(VALU_DEP_1) | instskip(SKIP_1) | instid1(TRANS32_DEP_1)
	v_exp_f32_e32 v46, v46
	v_nop
	v_ldexp_f32 v46, v46, v48
	v_cvt_f32_f16_e32 v48, v39
	s_delay_alu instid0(VALU_DEP_2) | instskip(SKIP_1) | instid1(VALU_DEP_2)
	v_cndmask_b32_e32 v46, 0, v46, vcc_lo
	v_cmp_nlt_f32_e32 vcc_lo, 0x42b17218, v47
	v_cndmask_b32_e32 v46, 0x7f800000, v46, vcc_lo
	s_delay_alu instid0(VALU_DEP_1) | instskip(NEXT) | instid1(VALU_DEP_1)
	v_dual_mul_f32 v47, v46, v48 :: v_dual_add_f32 v46, 1.0, v46
	v_div_scale_f32 v48, null, v46, v46, v47
	s_delay_alu instid0(VALU_DEP_1) | instskip(SKIP_1) | instid1(TRANS32_DEP_1)
	v_rcp_f32_e32 v50, v48
	v_nop
	v_fma_f32 v51, -v48, v50, 1.0
	s_delay_alu instid0(VALU_DEP_1) | instskip(SKIP_1) | instid1(VALU_DEP_1)
	v_fmac_f32_e32 v50, v51, v50
	v_div_scale_f32 v51, vcc_lo, v47, v46, v47
	v_mul_f32_e32 v52, v51, v50
	s_delay_alu instid0(VALU_DEP_1) | instskip(NEXT) | instid1(VALU_DEP_1)
	v_fma_f32 v53, -v48, v52, v51
	v_fmac_f32_e32 v52, v53, v50
	s_delay_alu instid0(VALU_DEP_1) | instskip(NEXT) | instid1(VALU_DEP_1)
	v_fma_f32 v48, -v48, v52, v51
	v_div_fmas_f32 v48, v48, v50, v52
	s_delay_alu instid0(VALU_DEP_1) | instskip(NEXT) | instid1(VALU_DEP_1)
	v_div_fixup_f32 v46, v48, v46, v47
	v_cvt_f16_f32_e32 v46, v46
.LBB67_9:
	s_or_b32 exec_lo, exec_lo, s11
	v_cvt_f16_f32_e32 v47, v49
	v_lshrrev_b32_e32 v39, 16, v39
	s_mov_b32 s11, exec_lo
	s_delay_alu instid0(VALU_DEP_2) | instskip(NEXT) | instid1(VALU_DEP_1)
	v_cvt_f32_f16_e32 v47, v47
	v_mul_f32_e32 v47, s13, v47
	s_delay_alu instid0(VALU_DEP_1)
	v_cmpx_nlt_f32_e32 s14, v47
	s_cbranch_execz .LBB67_11
; %bb.10:
	v_mul_f32_e32 v48, 0x3fb8aa3b, v47
	v_cvt_f32_f16_e32 v39, v39
	v_cmp_ngt_f32_e32 vcc_lo, 0xc2ce8ed0, v47
	s_delay_alu instid0(VALU_DEP_3) | instskip(SKIP_1) | instid1(VALU_DEP_2)
	v_rndne_f32_e32 v49, v48
	v_fma_f32 v50, 0x3fb8aa3b, v47, -v48
	v_sub_f32_e32 v48, v48, v49
	s_delay_alu instid0(VALU_DEP_2) | instskip(SKIP_1) | instid1(VALU_DEP_2)
	v_fmamk_f32 v50, v47, 0x32a5705f, v50
	v_cvt_i32_f32_e32 v49, v49
	v_add_f32_e32 v48, v48, v50
	s_delay_alu instid0(VALU_DEP_1) | instskip(SKIP_1) | instid1(TRANS32_DEP_1)
	v_exp_f32_e32 v48, v48
	v_nop
	v_ldexp_f32 v48, v48, v49
	s_delay_alu instid0(VALU_DEP_1) | instskip(SKIP_1) | instid1(VALU_DEP_2)
	v_cndmask_b32_e32 v48, 0, v48, vcc_lo
	v_cmp_nlt_f32_e32 vcc_lo, 0x42b17218, v47
	v_cndmask_b32_e32 v47, 0x7f800000, v48, vcc_lo
	s_delay_alu instid0(VALU_DEP_1) | instskip(SKIP_1) | instid1(VALU_DEP_1)
	v_mul_f32_e32 v39, v47, v39
	v_add_f32_e32 v47, 1.0, v47
	v_div_scale_f32 v48, null, v47, v47, v39
	s_delay_alu instid0(VALU_DEP_1) | instskip(SKIP_1) | instid1(TRANS32_DEP_1)
	v_rcp_f32_e32 v49, v48
	v_nop
	v_fma_f32 v50, -v48, v49, 1.0
	s_delay_alu instid0(VALU_DEP_1) | instskip(SKIP_1) | instid1(VALU_DEP_1)
	v_fmac_f32_e32 v49, v50, v49
	v_div_scale_f32 v50, vcc_lo, v39, v47, v39
	v_mul_f32_e32 v51, v50, v49
	s_delay_alu instid0(VALU_DEP_1) | instskip(NEXT) | instid1(VALU_DEP_1)
	v_fma_f32 v52, -v48, v51, v50
	v_fmac_f32_e32 v51, v52, v49
	s_delay_alu instid0(VALU_DEP_1) | instskip(NEXT) | instid1(VALU_DEP_1)
	v_fma_f32 v48, -v48, v51, v50
	v_div_fmas_f32 v48, v48, v49, v51
	s_delay_alu instid0(VALU_DEP_1) | instskip(NEXT) | instid1(VALU_DEP_1)
	v_div_fixup_f32 v39, v48, v47, v39
	v_cvt_f16_f32_e32 v39, v39
.LBB67_11:
	s_or_b32 exec_lo, exec_lo, s11
	v_cvt_f16_f32_e32 v42, v42
	s_mov_b32 s11, exec_lo
	s_delay_alu instid0(VALU_DEP_1) | instskip(NEXT) | instid1(VALU_DEP_1)
	v_cvt_f32_f16_e32 v42, v42
	v_dual_mul_f32 v47, s13, v42 :: v_dual_mov_b32 v42, v40
	s_delay_alu instid0(VALU_DEP_1)
	v_cmpx_nlt_f32_e32 s14, v47
	s_cbranch_execz .LBB67_13
; %bb.12:
	v_mul_f32_e32 v42, 0x3fb8aa3b, v47
	v_cmp_ngt_f32_e32 vcc_lo, 0xc2ce8ed0, v47
	s_delay_alu instid0(VALU_DEP_2) | instskip(SKIP_1) | instid1(VALU_DEP_1)
	v_rndne_f32_e32 v48, v42
	v_fma_f32 v49, 0x3fb8aa3b, v47, -v42
	v_dual_sub_f32 v42, v42, v48 :: v_dual_fmamk_f32 v49, v47, 0x32a5705f, v49
	v_cvt_i32_f32_e32 v48, v48
	s_delay_alu instid0(VALU_DEP_2) | instskip(NEXT) | instid1(VALU_DEP_1)
	v_add_f32_e32 v42, v42, v49
	v_exp_f32_e32 v42, v42
	v_nop
	s_delay_alu instid0(TRANS32_DEP_1) | instskip(SKIP_1) | instid1(VALU_DEP_2)
	v_ldexp_f32 v42, v42, v48
	v_cvt_f32_f16_e32 v48, v40
	v_cndmask_b32_e32 v42, 0, v42, vcc_lo
	v_cmp_nlt_f32_e32 vcc_lo, 0x42b17218, v47
	s_delay_alu instid0(VALU_DEP_2) | instskip(NEXT) | instid1(VALU_DEP_1)
	v_cndmask_b32_e32 v42, 0x7f800000, v42, vcc_lo
	v_dual_mul_f32 v47, v42, v48 :: v_dual_add_f32 v42, 1.0, v42
	s_delay_alu instid0(VALU_DEP_1) | instskip(NEXT) | instid1(VALU_DEP_1)
	v_div_scale_f32 v48, null, v42, v42, v47
	v_rcp_f32_e32 v49, v48
	v_nop
	s_delay_alu instid0(TRANS32_DEP_1) | instskip(NEXT) | instid1(VALU_DEP_1)
	v_fma_f32 v50, -v48, v49, 1.0
	v_fmac_f32_e32 v49, v50, v49
	v_div_scale_f32 v50, vcc_lo, v47, v42, v47
	s_delay_alu instid0(VALU_DEP_1) | instskip(NEXT) | instid1(VALU_DEP_1)
	v_mul_f32_e32 v51, v50, v49
	v_fma_f32 v52, -v48, v51, v50
	s_delay_alu instid0(VALU_DEP_1) | instskip(NEXT) | instid1(VALU_DEP_1)
	v_fmac_f32_e32 v51, v52, v49
	v_fma_f32 v48, -v48, v51, v50
	s_delay_alu instid0(VALU_DEP_1) | instskip(NEXT) | instid1(VALU_DEP_1)
	v_div_fmas_f32 v48, v48, v49, v51
	v_div_fixup_f32 v42, v48, v42, v47
	s_delay_alu instid0(VALU_DEP_1)
	v_cvt_f16_f32_e32 v42, v42
.LBB67_13:
	s_or_b32 exec_lo, exec_lo, s11
	v_cvt_f16_f32_e32 v43, v43
	s_mov_b32 s11, exec_lo
	v_lshrrev_b32_e32 v40, 16, v40
	s_delay_alu instid0(VALU_DEP_2) | instskip(NEXT) | instid1(VALU_DEP_1)
	v_cvt_f32_f16_e32 v43, v43
	v_mul_f32_e32 v43, s13, v43
	s_delay_alu instid0(VALU_DEP_1)
	v_cmpx_nlt_f32_e32 s14, v43
	s_cbranch_execz .LBB67_15
; %bb.14:
	v_cvt_f32_f16_e32 v40, v40
	v_mul_f32_e32 v47, 0x3fb8aa3b, v43
	v_cmp_ngt_f32_e32 vcc_lo, 0xc2ce8ed0, v43
	s_delay_alu instid0(VALU_DEP_2) | instskip(SKIP_1) | instid1(VALU_DEP_2)
	v_rndne_f32_e32 v48, v47
	v_fma_f32 v49, 0x3fb8aa3b, v43, -v47
	v_sub_f32_e32 v47, v47, v48
	s_delay_alu instid0(VALU_DEP_2) | instskip(SKIP_1) | instid1(VALU_DEP_2)
	v_fmamk_f32 v49, v43, 0x32a5705f, v49
	v_cvt_i32_f32_e32 v48, v48
	v_add_f32_e32 v47, v47, v49
	s_delay_alu instid0(VALU_DEP_1) | instskip(SKIP_1) | instid1(TRANS32_DEP_1)
	v_exp_f32_e32 v47, v47
	v_nop
	v_ldexp_f32 v47, v47, v48
	s_delay_alu instid0(VALU_DEP_1) | instskip(SKIP_1) | instid1(VALU_DEP_2)
	v_cndmask_b32_e32 v47, 0, v47, vcc_lo
	v_cmp_nlt_f32_e32 vcc_lo, 0x42b17218, v43
	v_cndmask_b32_e32 v43, 0x7f800000, v47, vcc_lo
	s_delay_alu instid0(VALU_DEP_1) | instskip(NEXT) | instid1(VALU_DEP_1)
	v_dual_mul_f32 v40, v43, v40 :: v_dual_add_f32 v43, 1.0, v43
	v_div_scale_f32 v47, null, v43, v43, v40
	s_delay_alu instid0(VALU_DEP_1) | instskip(SKIP_1) | instid1(TRANS32_DEP_1)
	v_rcp_f32_e32 v48, v47
	v_nop
	v_fma_f32 v49, -v47, v48, 1.0
	s_delay_alu instid0(VALU_DEP_1) | instskip(SKIP_1) | instid1(VALU_DEP_1)
	v_fmac_f32_e32 v48, v49, v48
	v_div_scale_f32 v49, vcc_lo, v40, v43, v40
	v_mul_f32_e32 v50, v49, v48
	s_delay_alu instid0(VALU_DEP_1) | instskip(NEXT) | instid1(VALU_DEP_1)
	v_fma_f32 v51, -v47, v50, v49
	v_fmac_f32_e32 v50, v51, v48
	s_delay_alu instid0(VALU_DEP_1) | instskip(NEXT) | instid1(VALU_DEP_1)
	v_fma_f32 v47, -v47, v50, v49
	v_div_fmas_f32 v47, v47, v48, v50
	s_delay_alu instid0(VALU_DEP_1) | instskip(NEXT) | instid1(VALU_DEP_1)
	v_div_fixup_f32 v40, v47, v43, v40
	v_cvt_f16_f32_e32 v40, v40
.LBB67_15:
	s_or_b32 exec_lo, exec_lo, s11
	v_cvt_f16_f32_e32 v43, v44
	s_mov_b32 s11, exec_lo
	s_delay_alu instid0(VALU_DEP_1) | instskip(NEXT) | instid1(VALU_DEP_1)
	v_cvt_f32_f16_e32 v43, v43
	v_dual_mul_f32 v44, s13, v43 :: v_dual_mov_b32 v43, v41
	s_delay_alu instid0(VALU_DEP_1)
	v_cmpx_nlt_f32_e32 s14, v44
	s_cbranch_execz .LBB67_17
; %bb.16:
	v_mul_f32_e32 v43, 0x3fb8aa3b, v44
	v_cmp_ngt_f32_e32 vcc_lo, 0xc2ce8ed0, v44
	s_delay_alu instid0(VALU_DEP_2) | instskip(SKIP_1) | instid1(VALU_DEP_1)
	v_rndne_f32_e32 v47, v43
	v_fma_f32 v48, 0x3fb8aa3b, v44, -v43
	v_dual_sub_f32 v43, v43, v47 :: v_dual_fmamk_f32 v48, v44, 0x32a5705f, v48
	v_cvt_i32_f32_e32 v47, v47
	s_delay_alu instid0(VALU_DEP_2) | instskip(NEXT) | instid1(VALU_DEP_1)
	v_add_f32_e32 v43, v43, v48
	v_exp_f32_e32 v43, v43
	v_nop
	s_delay_alu instid0(TRANS32_DEP_1) | instskip(SKIP_1) | instid1(VALU_DEP_2)
	v_ldexp_f32 v43, v43, v47
	v_cvt_f32_f16_e32 v47, v41
	v_cndmask_b32_e32 v43, 0, v43, vcc_lo
	v_cmp_nlt_f32_e32 vcc_lo, 0x42b17218, v44
	s_delay_alu instid0(VALU_DEP_2) | instskip(NEXT) | instid1(VALU_DEP_1)
	v_cndmask_b32_e32 v43, 0x7f800000, v43, vcc_lo
	v_mul_f32_e32 v44, v43, v47
	v_add_f32_e32 v43, 1.0, v43
	s_delay_alu instid0(VALU_DEP_1) | instskip(NEXT) | instid1(VALU_DEP_1)
	v_div_scale_f32 v47, null, v43, v43, v44
	v_rcp_f32_e32 v48, v47
	v_nop
	s_delay_alu instid0(TRANS32_DEP_1) | instskip(NEXT) | instid1(VALU_DEP_1)
	v_fma_f32 v49, -v47, v48, 1.0
	v_fmac_f32_e32 v48, v49, v48
	v_div_scale_f32 v49, vcc_lo, v44, v43, v44
	s_delay_alu instid0(VALU_DEP_1) | instskip(NEXT) | instid1(VALU_DEP_1)
	v_mul_f32_e32 v50, v49, v48
	v_fma_f32 v51, -v47, v50, v49
	s_delay_alu instid0(VALU_DEP_1) | instskip(NEXT) | instid1(VALU_DEP_1)
	v_fmac_f32_e32 v50, v51, v48
	v_fma_f32 v47, -v47, v50, v49
	s_delay_alu instid0(VALU_DEP_1) | instskip(NEXT) | instid1(VALU_DEP_1)
	v_div_fmas_f32 v47, v47, v48, v50
	v_div_fixup_f32 v43, v47, v43, v44
	s_delay_alu instid0(VALU_DEP_1)
	v_cvt_f16_f32_e32 v43, v43
.LBB67_17:
	s_or_b32 exec_lo, exec_lo, s11
	v_cvt_f16_f32_e32 v44, v45
	s_mov_b32 s11, exec_lo
	v_lshrrev_b32_e32 v41, 16, v41
	s_delay_alu instid0(VALU_DEP_2) | instskip(NEXT) | instid1(VALU_DEP_1)
	v_cvt_f32_f16_e32 v44, v44
	v_mul_f32_e32 v44, s13, v44
	s_delay_alu instid0(VALU_DEP_1)
	v_cmpx_nlt_f32_e32 s14, v44
	s_cbranch_execz .LBB67_19
; %bb.18:
	v_mul_f32_e32 v45, 0x3fb8aa3b, v44
	v_cvt_f32_f16_e32 v41, v41
	v_cmp_ngt_f32_e32 vcc_lo, 0xc2ce8ed0, v44
	s_delay_alu instid0(VALU_DEP_3) | instskip(SKIP_1) | instid1(VALU_DEP_1)
	v_rndne_f32_e32 v47, v45
	v_fma_f32 v48, 0x3fb8aa3b, v44, -v45
	v_dual_sub_f32 v45, v45, v47 :: v_dual_fmamk_f32 v48, v44, 0x32a5705f, v48
	v_cvt_i32_f32_e32 v47, v47
	s_delay_alu instid0(VALU_DEP_2) | instskip(NEXT) | instid1(VALU_DEP_1)
	v_add_f32_e32 v45, v45, v48
	v_exp_f32_e32 v45, v45
	v_nop
	s_delay_alu instid0(TRANS32_DEP_1) | instskip(NEXT) | instid1(VALU_DEP_1)
	v_ldexp_f32 v45, v45, v47
	v_cndmask_b32_e32 v45, 0, v45, vcc_lo
	v_cmp_nlt_f32_e32 vcc_lo, 0x42b17218, v44
	s_delay_alu instid0(VALU_DEP_2) | instskip(NEXT) | instid1(VALU_DEP_1)
	v_cndmask_b32_e32 v44, 0x7f800000, v45, vcc_lo
	v_dual_mul_f32 v41, v44, v41 :: v_dual_add_f32 v44, 1.0, v44
	s_delay_alu instid0(VALU_DEP_1) | instskip(NEXT) | instid1(VALU_DEP_1)
	v_div_scale_f32 v45, null, v44, v44, v41
	v_rcp_f32_e32 v47, v45
	v_nop
	s_delay_alu instid0(TRANS32_DEP_1) | instskip(NEXT) | instid1(VALU_DEP_1)
	v_fma_f32 v48, -v45, v47, 1.0
	v_fmac_f32_e32 v47, v48, v47
	v_div_scale_f32 v48, vcc_lo, v41, v44, v41
	s_delay_alu instid0(VALU_DEP_1) | instskip(NEXT) | instid1(VALU_DEP_1)
	v_mul_f32_e32 v49, v48, v47
	v_fma_f32 v50, -v45, v49, v48
	s_delay_alu instid0(VALU_DEP_1) | instskip(NEXT) | instid1(VALU_DEP_1)
	v_fmac_f32_e32 v49, v50, v47
	v_fma_f32 v45, -v45, v49, v48
	s_delay_alu instid0(VALU_DEP_1) | instskip(NEXT) | instid1(VALU_DEP_1)
	v_div_fmas_f32 v45, v45, v47, v49
	v_div_fixup_f32 v41, v45, v44, v41
	s_delay_alu instid0(VALU_DEP_1)
	v_cvt_f16_f32_e32 v41, v41
.LBB67_19:
	s_or_b32 exec_lo, exec_lo, s11
	s_wait_loadcnt 0x4
	v_cvt_f16_f32_e32 v34, v34
	s_mov_b32 s11, exec_lo
	s_delay_alu instid0(VALU_DEP_1) | instskip(NEXT) | instid1(VALU_DEP_1)
	v_cvt_f32_f16_e32 v34, v34
	v_dual_mul_f32 v44, s13, v34 :: v_dual_mov_b32 v34, v26
	s_delay_alu instid0(VALU_DEP_1)
	v_cmpx_nlt_f32_e32 s14, v44
	s_cbranch_execz .LBB67_21
; %bb.20:
	v_mul_f32_e32 v34, 0x3fb8aa3b, v44
	v_cmp_ngt_f32_e32 vcc_lo, 0xc2ce8ed0, v44
	s_delay_alu instid0(VALU_DEP_2) | instskip(SKIP_1) | instid1(VALU_DEP_1)
	v_rndne_f32_e32 v45, v34
	v_fma_f32 v47, 0x3fb8aa3b, v44, -v34
	v_dual_sub_f32 v34, v34, v45 :: v_dual_fmamk_f32 v47, v44, 0x32a5705f, v47
	v_cvt_i32_f32_e32 v45, v45
	s_delay_alu instid0(VALU_DEP_2) | instskip(NEXT) | instid1(VALU_DEP_1)
	v_add_f32_e32 v34, v34, v47
	v_exp_f32_e32 v34, v34
	v_nop
	s_delay_alu instid0(TRANS32_DEP_1) | instskip(SKIP_1) | instid1(VALU_DEP_2)
	v_ldexp_f32 v34, v34, v45
	v_cvt_f32_f16_e32 v45, v26
	v_cndmask_b32_e32 v34, 0, v34, vcc_lo
	v_cmp_nlt_f32_e32 vcc_lo, 0x42b17218, v44
	s_delay_alu instid0(VALU_DEP_2) | instskip(NEXT) | instid1(VALU_DEP_1)
	v_cndmask_b32_e32 v34, 0x7f800000, v34, vcc_lo
	v_dual_mul_f32 v44, v34, v45 :: v_dual_add_f32 v34, 1.0, v34
	s_delay_alu instid0(VALU_DEP_1) | instskip(NEXT) | instid1(VALU_DEP_1)
	v_div_scale_f32 v45, null, v34, v34, v44
	v_rcp_f32_e32 v47, v45
	v_nop
	s_delay_alu instid0(TRANS32_DEP_1) | instskip(NEXT) | instid1(VALU_DEP_1)
	v_fma_f32 v48, -v45, v47, 1.0
	v_fmac_f32_e32 v47, v48, v47
	v_div_scale_f32 v48, vcc_lo, v44, v34, v44
	s_delay_alu instid0(VALU_DEP_1) | instskip(NEXT) | instid1(VALU_DEP_1)
	v_mul_f32_e32 v49, v48, v47
	v_fma_f32 v50, -v45, v49, v48
	s_delay_alu instid0(VALU_DEP_1) | instskip(NEXT) | instid1(VALU_DEP_1)
	v_fmac_f32_e32 v49, v50, v47
	v_fma_f32 v45, -v45, v49, v48
	s_delay_alu instid0(VALU_DEP_1) | instskip(NEXT) | instid1(VALU_DEP_1)
	v_div_fmas_f32 v45, v45, v47, v49
	v_div_fixup_f32 v34, v45, v34, v44
	s_delay_alu instid0(VALU_DEP_1)
	v_cvt_f16_f32_e32 v34, v34
.LBB67_21:
	s_or_b32 exec_lo, exec_lo, s11
	v_cvt_f16_f32_e32 v35, v35
	s_mov_b32 s11, exec_lo
	v_lshrrev_b32_e32 v26, 16, v26
	s_delay_alu instid0(VALU_DEP_2) | instskip(NEXT) | instid1(VALU_DEP_1)
	v_cvt_f32_f16_e32 v35, v35
	v_mul_f32_e32 v35, s13, v35
	s_delay_alu instid0(VALU_DEP_1)
	v_cmpx_nlt_f32_e32 s14, v35
	s_cbranch_execz .LBB67_23
; %bb.22:
	v_mul_f32_e32 v44, 0x3fb8aa3b, v35
	v_cvt_f32_f16_e32 v26, v26
	v_cmp_ngt_f32_e32 vcc_lo, 0xc2ce8ed0, v35
	s_delay_alu instid0(VALU_DEP_3) | instskip(SKIP_1) | instid1(VALU_DEP_1)
	v_rndne_f32_e32 v45, v44
	v_fma_f32 v47, 0x3fb8aa3b, v35, -v44
	v_dual_sub_f32 v44, v44, v45 :: v_dual_fmamk_f32 v47, v35, 0x32a5705f, v47
	v_cvt_i32_f32_e32 v45, v45
	s_delay_alu instid0(VALU_DEP_2) | instskip(NEXT) | instid1(VALU_DEP_1)
	v_add_f32_e32 v44, v44, v47
	v_exp_f32_e32 v44, v44
	v_nop
	s_delay_alu instid0(TRANS32_DEP_1) | instskip(NEXT) | instid1(VALU_DEP_1)
	v_ldexp_f32 v44, v44, v45
	v_cndmask_b32_e32 v44, 0, v44, vcc_lo
	v_cmp_nlt_f32_e32 vcc_lo, 0x42b17218, v35
	s_delay_alu instid0(VALU_DEP_2) | instskip(NEXT) | instid1(VALU_DEP_1)
	v_cndmask_b32_e32 v35, 0x7f800000, v44, vcc_lo
	v_dual_mul_f32 v26, v35, v26 :: v_dual_add_f32 v35, 1.0, v35
	s_delay_alu instid0(VALU_DEP_1) | instskip(NEXT) | instid1(VALU_DEP_1)
	v_div_scale_f32 v44, null, v35, v35, v26
	v_rcp_f32_e32 v45, v44
	v_nop
	s_delay_alu instid0(TRANS32_DEP_1) | instskip(NEXT) | instid1(VALU_DEP_1)
	v_fma_f32 v47, -v44, v45, 1.0
	v_fmac_f32_e32 v45, v47, v45
	v_div_scale_f32 v47, vcc_lo, v26, v35, v26
	s_delay_alu instid0(VALU_DEP_1) | instskip(NEXT) | instid1(VALU_DEP_1)
	v_mul_f32_e32 v48, v47, v45
	v_fma_f32 v49, -v44, v48, v47
	s_delay_alu instid0(VALU_DEP_1) | instskip(NEXT) | instid1(VALU_DEP_1)
	v_fmac_f32_e32 v48, v49, v45
	v_fma_f32 v44, -v44, v48, v47
	s_delay_alu instid0(VALU_DEP_1) | instskip(NEXT) | instid1(VALU_DEP_1)
	v_div_fmas_f32 v44, v44, v45, v48
	v_div_fixup_f32 v26, v44, v35, v26
	s_delay_alu instid0(VALU_DEP_1)
	v_cvt_f16_f32_e32 v26, v26
.LBB67_23:
	s_or_b32 exec_lo, exec_lo, s11
	v_cvt_f16_f32_e32 v35, v36
	s_mov_b32 s11, exec_lo
	s_delay_alu instid0(VALU_DEP_1) | instskip(NEXT) | instid1(VALU_DEP_1)
	v_cvt_f32_f16_e32 v35, v35
	v_dual_mul_f32 v36, s13, v35 :: v_dual_mov_b32 v35, v27
	s_delay_alu instid0(VALU_DEP_1)
	v_cmpx_nlt_f32_e32 s14, v36
	s_cbranch_execz .LBB67_25
; %bb.24:
	v_mul_f32_e32 v35, 0x3fb8aa3b, v36
	v_cmp_ngt_f32_e32 vcc_lo, 0xc2ce8ed0, v36
	s_delay_alu instid0(VALU_DEP_2) | instskip(SKIP_1) | instid1(VALU_DEP_2)
	v_rndne_f32_e32 v44, v35
	v_fma_f32 v45, 0x3fb8aa3b, v36, -v35
	v_sub_f32_e32 v35, v35, v44
	s_delay_alu instid0(VALU_DEP_2) | instskip(SKIP_1) | instid1(VALU_DEP_2)
	v_fmamk_f32 v45, v36, 0x32a5705f, v45
	v_cvt_i32_f32_e32 v44, v44
	v_add_f32_e32 v35, v35, v45
	s_delay_alu instid0(VALU_DEP_1) | instskip(SKIP_1) | instid1(TRANS32_DEP_1)
	v_exp_f32_e32 v35, v35
	v_nop
	v_ldexp_f32 v35, v35, v44
	v_cvt_f32_f16_e32 v44, v27
	s_delay_alu instid0(VALU_DEP_2) | instskip(SKIP_1) | instid1(VALU_DEP_2)
	v_cndmask_b32_e32 v35, 0, v35, vcc_lo
	v_cmp_nlt_f32_e32 vcc_lo, 0x42b17218, v36
	v_cndmask_b32_e32 v35, 0x7f800000, v35, vcc_lo
	s_delay_alu instid0(VALU_DEP_1) | instskip(NEXT) | instid1(VALU_DEP_1)
	v_dual_mul_f32 v36, v35, v44 :: v_dual_add_f32 v35, 1.0, v35
	v_div_scale_f32 v44, null, v35, v35, v36
	s_delay_alu instid0(VALU_DEP_1) | instskip(SKIP_1) | instid1(TRANS32_DEP_1)
	v_rcp_f32_e32 v45, v44
	v_nop
	v_fma_f32 v47, -v44, v45, 1.0
	s_delay_alu instid0(VALU_DEP_1) | instskip(SKIP_1) | instid1(VALU_DEP_1)
	v_fmac_f32_e32 v45, v47, v45
	v_div_scale_f32 v47, vcc_lo, v36, v35, v36
	v_mul_f32_e32 v48, v47, v45
	s_delay_alu instid0(VALU_DEP_1) | instskip(NEXT) | instid1(VALU_DEP_1)
	v_fma_f32 v49, -v44, v48, v47
	v_fmac_f32_e32 v48, v49, v45
	s_delay_alu instid0(VALU_DEP_1) | instskip(NEXT) | instid1(VALU_DEP_1)
	v_fma_f32 v44, -v44, v48, v47
	v_div_fmas_f32 v44, v44, v45, v48
	s_delay_alu instid0(VALU_DEP_1) | instskip(NEXT) | instid1(VALU_DEP_1)
	v_div_fixup_f32 v35, v44, v35, v36
	v_cvt_f16_f32_e32 v35, v35
.LBB67_25:
	s_or_b32 exec_lo, exec_lo, s11
	v_cvt_f16_f32_e32 v36, v37
	s_mov_b32 s11, exec_lo
	v_lshrrev_b32_e32 v27, 16, v27
	s_delay_alu instid0(VALU_DEP_2) | instskip(NEXT) | instid1(VALU_DEP_1)
	v_cvt_f32_f16_e32 v36, v36
	v_mul_f32_e32 v36, s13, v36
	s_delay_alu instid0(VALU_DEP_1)
	v_cmpx_nlt_f32_e32 s14, v36
	s_cbranch_execz .LBB67_27
; %bb.26:
	v_mul_f32_e32 v37, 0x3fb8aa3b, v36
	v_cvt_f32_f16_e32 v27, v27
	v_cmp_ngt_f32_e32 vcc_lo, 0xc2ce8ed0, v36
	s_delay_alu instid0(VALU_DEP_3) | instskip(SKIP_1) | instid1(VALU_DEP_2)
	v_rndne_f32_e32 v44, v37
	v_fma_f32 v45, 0x3fb8aa3b, v36, -v37
	v_sub_f32_e32 v37, v37, v44
	s_delay_alu instid0(VALU_DEP_2) | instskip(SKIP_1) | instid1(VALU_DEP_2)
	v_fmamk_f32 v45, v36, 0x32a5705f, v45
	v_cvt_i32_f32_e32 v44, v44
	v_add_f32_e32 v37, v37, v45
	s_delay_alu instid0(VALU_DEP_1) | instskip(SKIP_1) | instid1(TRANS32_DEP_1)
	v_exp_f32_e32 v37, v37
	v_nop
	v_ldexp_f32 v37, v37, v44
	s_delay_alu instid0(VALU_DEP_1) | instskip(SKIP_1) | instid1(VALU_DEP_2)
	v_cndmask_b32_e32 v37, 0, v37, vcc_lo
	v_cmp_nlt_f32_e32 vcc_lo, 0x42b17218, v36
	v_cndmask_b32_e32 v36, 0x7f800000, v37, vcc_lo
	s_delay_alu instid0(VALU_DEP_1) | instskip(NEXT) | instid1(VALU_DEP_1)
	v_dual_mul_f32 v27, v36, v27 :: v_dual_add_f32 v36, 1.0, v36
	v_div_scale_f32 v37, null, v36, v36, v27
	s_delay_alu instid0(VALU_DEP_1) | instskip(SKIP_1) | instid1(TRANS32_DEP_1)
	v_rcp_f32_e32 v44, v37
	v_nop
	v_fma_f32 v45, -v37, v44, 1.0
	s_delay_alu instid0(VALU_DEP_1) | instskip(SKIP_1) | instid1(VALU_DEP_1)
	v_fmac_f32_e32 v44, v45, v44
	v_div_scale_f32 v45, vcc_lo, v27, v36, v27
	v_mul_f32_e32 v47, v45, v44
	s_delay_alu instid0(VALU_DEP_1) | instskip(NEXT) | instid1(VALU_DEP_1)
	v_fma_f32 v48, -v37, v47, v45
	v_fmac_f32_e32 v47, v48, v44
	s_delay_alu instid0(VALU_DEP_1) | instskip(NEXT) | instid1(VALU_DEP_1)
	v_fma_f32 v37, -v37, v47, v45
	v_div_fmas_f32 v37, v37, v44, v47
	s_delay_alu instid0(VALU_DEP_1) | instskip(NEXT) | instid1(VALU_DEP_1)
	v_div_fixup_f32 v27, v37, v36, v27
	v_cvt_f16_f32_e32 v27, v27
.LBB67_27:
	s_or_b32 exec_lo, exec_lo, s11
	v_cvt_f16_f32_e32 v30, v30
	s_mov_b32 s11, exec_lo
	s_delay_alu instid0(VALU_DEP_1) | instskip(NEXT) | instid1(VALU_DEP_1)
	v_cvt_f32_f16_e32 v30, v30
	v_dual_mul_f32 v36, s13, v30 :: v_dual_mov_b32 v30, v28
	s_delay_alu instid0(VALU_DEP_1)
	v_cmpx_nlt_f32_e32 s14, v36
	s_cbranch_execz .LBB67_29
; %bb.28:
	v_mul_f32_e32 v30, 0x3fb8aa3b, v36
	v_cmp_ngt_f32_e32 vcc_lo, 0xc2ce8ed0, v36
	s_delay_alu instid0(VALU_DEP_2) | instskip(SKIP_1) | instid1(VALU_DEP_2)
	v_rndne_f32_e32 v37, v30
	v_fma_f32 v44, 0x3fb8aa3b, v36, -v30
	v_sub_f32_e32 v30, v30, v37
	s_delay_alu instid0(VALU_DEP_2) | instskip(SKIP_1) | instid1(VALU_DEP_2)
	v_fmamk_f32 v44, v36, 0x32a5705f, v44
	v_cvt_i32_f32_e32 v37, v37
	v_add_f32_e32 v30, v30, v44
	s_delay_alu instid0(VALU_DEP_1) | instskip(SKIP_1) | instid1(TRANS32_DEP_1)
	v_exp_f32_e32 v30, v30
	v_nop
	v_ldexp_f32 v30, v30, v37
	v_cvt_f32_f16_e32 v37, v28
	s_delay_alu instid0(VALU_DEP_2) | instskip(SKIP_1) | instid1(VALU_DEP_2)
	v_cndmask_b32_e32 v30, 0, v30, vcc_lo
	v_cmp_nlt_f32_e32 vcc_lo, 0x42b17218, v36
	v_cndmask_b32_e32 v30, 0x7f800000, v30, vcc_lo
	s_delay_alu instid0(VALU_DEP_1) | instskip(NEXT) | instid1(VALU_DEP_1)
	v_dual_mul_f32 v36, v30, v37 :: v_dual_add_f32 v30, 1.0, v30
	v_div_scale_f32 v37, null, v30, v30, v36
	s_delay_alu instid0(VALU_DEP_1) | instskip(SKIP_1) | instid1(TRANS32_DEP_1)
	v_rcp_f32_e32 v44, v37
	v_nop
	v_fma_f32 v45, -v37, v44, 1.0
	s_delay_alu instid0(VALU_DEP_1) | instskip(SKIP_1) | instid1(VALU_DEP_1)
	v_fmac_f32_e32 v44, v45, v44
	v_div_scale_f32 v45, vcc_lo, v36, v30, v36
	v_mul_f32_e32 v47, v45, v44
	s_delay_alu instid0(VALU_DEP_1) | instskip(NEXT) | instid1(VALU_DEP_1)
	v_fma_f32 v48, -v37, v47, v45
	v_fmac_f32_e32 v47, v48, v44
	s_delay_alu instid0(VALU_DEP_1) | instskip(NEXT) | instid1(VALU_DEP_1)
	v_fma_f32 v37, -v37, v47, v45
	v_div_fmas_f32 v37, v37, v44, v47
	s_delay_alu instid0(VALU_DEP_1) | instskip(NEXT) | instid1(VALU_DEP_1)
	v_div_fixup_f32 v30, v37, v30, v36
	v_cvt_f16_f32_e32 v30, v30
.LBB67_29:
	s_or_b32 exec_lo, exec_lo, s11
	v_cvt_f16_f32_e32 v31, v31
	s_mov_b32 s11, exec_lo
	v_lshrrev_b32_e32 v28, 16, v28
	s_delay_alu instid0(VALU_DEP_2) | instskip(NEXT) | instid1(VALU_DEP_1)
	v_cvt_f32_f16_e32 v31, v31
	v_mul_f32_e32 v31, s13, v31
	s_delay_alu instid0(VALU_DEP_1)
	v_cmpx_nlt_f32_e32 s14, v31
	s_cbranch_execz .LBB67_31
; %bb.30:
	v_mul_f32_e32 v36, 0x3fb8aa3b, v31
	v_cvt_f32_f16_e32 v28, v28
	v_cmp_ngt_f32_e32 vcc_lo, 0xc2ce8ed0, v31
	s_delay_alu instid0(VALU_DEP_3) | instskip(SKIP_1) | instid1(VALU_DEP_2)
	v_rndne_f32_e32 v37, v36
	v_fma_f32 v44, 0x3fb8aa3b, v31, -v36
	v_sub_f32_e32 v36, v36, v37
	s_delay_alu instid0(VALU_DEP_2) | instskip(SKIP_1) | instid1(VALU_DEP_2)
	v_fmamk_f32 v44, v31, 0x32a5705f, v44
	v_cvt_i32_f32_e32 v37, v37
	v_add_f32_e32 v36, v36, v44
	s_delay_alu instid0(VALU_DEP_1) | instskip(SKIP_1) | instid1(TRANS32_DEP_1)
	v_exp_f32_e32 v36, v36
	v_nop
	v_ldexp_f32 v36, v36, v37
	s_delay_alu instid0(VALU_DEP_1) | instskip(SKIP_1) | instid1(VALU_DEP_2)
	v_cndmask_b32_e32 v36, 0, v36, vcc_lo
	v_cmp_nlt_f32_e32 vcc_lo, 0x42b17218, v31
	v_cndmask_b32_e32 v31, 0x7f800000, v36, vcc_lo
	s_delay_alu instid0(VALU_DEP_1) | instskip(NEXT) | instid1(VALU_DEP_1)
	v_dual_mul_f32 v28, v31, v28 :: v_dual_add_f32 v31, 1.0, v31
	v_div_scale_f32 v36, null, v31, v31, v28
	s_delay_alu instid0(VALU_DEP_1) | instskip(SKIP_1) | instid1(TRANS32_DEP_1)
	v_rcp_f32_e32 v37, v36
	v_nop
	v_fma_f32 v44, -v36, v37, 1.0
	s_delay_alu instid0(VALU_DEP_1) | instskip(SKIP_1) | instid1(VALU_DEP_1)
	v_fmac_f32_e32 v37, v44, v37
	v_div_scale_f32 v44, vcc_lo, v28, v31, v28
	v_mul_f32_e32 v45, v44, v37
	s_delay_alu instid0(VALU_DEP_1) | instskip(NEXT) | instid1(VALU_DEP_1)
	v_fma_f32 v47, -v36, v45, v44
	v_fmac_f32_e32 v45, v47, v37
	s_delay_alu instid0(VALU_DEP_1) | instskip(NEXT) | instid1(VALU_DEP_1)
	v_fma_f32 v36, -v36, v45, v44
	v_div_fmas_f32 v36, v36, v37, v45
	s_delay_alu instid0(VALU_DEP_1) | instskip(NEXT) | instid1(VALU_DEP_1)
	v_div_fixup_f32 v28, v36, v31, v28
	v_cvt_f16_f32_e32 v28, v28
.LBB67_31:
	s_or_b32 exec_lo, exec_lo, s11
	v_cvt_f16_f32_e32 v31, v32
	s_mov_b32 s11, exec_lo
	s_delay_alu instid0(VALU_DEP_1) | instskip(NEXT) | instid1(VALU_DEP_1)
	v_cvt_f32_f16_e32 v31, v31
	v_dual_mul_f32 v32, s13, v31 :: v_dual_mov_b32 v31, v29
	s_delay_alu instid0(VALU_DEP_1)
	v_cmpx_nlt_f32_e32 s14, v32
	s_cbranch_execz .LBB67_33
; %bb.32:
	v_mul_f32_e32 v31, 0x3fb8aa3b, v32
	v_cmp_ngt_f32_e32 vcc_lo, 0xc2ce8ed0, v32
	s_delay_alu instid0(VALU_DEP_2) | instskip(SKIP_1) | instid1(VALU_DEP_2)
	v_rndne_f32_e32 v36, v31
	v_fma_f32 v37, 0x3fb8aa3b, v32, -v31
	v_sub_f32_e32 v31, v31, v36
	s_delay_alu instid0(VALU_DEP_2) | instskip(SKIP_1) | instid1(VALU_DEP_2)
	v_fmamk_f32 v37, v32, 0x32a5705f, v37
	v_cvt_i32_f32_e32 v36, v36
	v_add_f32_e32 v31, v31, v37
	s_delay_alu instid0(VALU_DEP_1) | instskip(SKIP_1) | instid1(TRANS32_DEP_1)
	v_exp_f32_e32 v31, v31
	v_nop
	v_ldexp_f32 v31, v31, v36
	v_cvt_f32_f16_e32 v36, v29
	s_delay_alu instid0(VALU_DEP_2) | instskip(SKIP_1) | instid1(VALU_DEP_2)
	v_cndmask_b32_e32 v31, 0, v31, vcc_lo
	v_cmp_nlt_f32_e32 vcc_lo, 0x42b17218, v32
	v_cndmask_b32_e32 v31, 0x7f800000, v31, vcc_lo
	s_delay_alu instid0(VALU_DEP_1) | instskip(NEXT) | instid1(VALU_DEP_1)
	v_dual_mul_f32 v32, v31, v36 :: v_dual_add_f32 v31, 1.0, v31
	v_div_scale_f32 v36, null, v31, v31, v32
	s_delay_alu instid0(VALU_DEP_1) | instskip(SKIP_1) | instid1(TRANS32_DEP_1)
	v_rcp_f32_e32 v37, v36
	v_nop
	v_fma_f32 v44, -v36, v37, 1.0
	s_delay_alu instid0(VALU_DEP_1) | instskip(SKIP_1) | instid1(VALU_DEP_1)
	v_fmac_f32_e32 v37, v44, v37
	v_div_scale_f32 v44, vcc_lo, v32, v31, v32
	v_mul_f32_e32 v45, v44, v37
	s_delay_alu instid0(VALU_DEP_1) | instskip(NEXT) | instid1(VALU_DEP_1)
	v_fma_f32 v47, -v36, v45, v44
	v_fmac_f32_e32 v45, v47, v37
	s_delay_alu instid0(VALU_DEP_1) | instskip(NEXT) | instid1(VALU_DEP_1)
	v_fma_f32 v36, -v36, v45, v44
	v_div_fmas_f32 v36, v36, v37, v45
	s_delay_alu instid0(VALU_DEP_1) | instskip(NEXT) | instid1(VALU_DEP_1)
	v_div_fixup_f32 v31, v36, v31, v32
	v_cvt_f16_f32_e32 v31, v31
.LBB67_33:
	s_or_b32 exec_lo, exec_lo, s11
	v_cvt_f16_f32_e32 v32, v33
	s_mov_b32 s11, exec_lo
	v_lshrrev_b32_e32 v29, 16, v29
	s_delay_alu instid0(VALU_DEP_2) | instskip(NEXT) | instid1(VALU_DEP_1)
	v_cvt_f32_f16_e32 v32, v32
	v_mul_f32_e32 v32, s13, v32
	s_delay_alu instid0(VALU_DEP_1)
	v_cmpx_nlt_f32_e32 s14, v32
	s_cbranch_execz .LBB67_35
; %bb.34:
	v_mul_f32_e32 v33, 0x3fb8aa3b, v32
	v_cvt_f32_f16_e32 v29, v29
	v_cmp_ngt_f32_e32 vcc_lo, 0xc2ce8ed0, v32
	s_delay_alu instid0(VALU_DEP_3) | instskip(SKIP_1) | instid1(VALU_DEP_2)
	v_rndne_f32_e32 v36, v33
	v_fma_f32 v37, 0x3fb8aa3b, v32, -v33
	v_sub_f32_e32 v33, v33, v36
	s_delay_alu instid0(VALU_DEP_2) | instskip(SKIP_1) | instid1(VALU_DEP_2)
	v_fmamk_f32 v37, v32, 0x32a5705f, v37
	v_cvt_i32_f32_e32 v36, v36
	v_add_f32_e32 v33, v33, v37
	s_delay_alu instid0(VALU_DEP_1) | instskip(SKIP_1) | instid1(TRANS32_DEP_1)
	v_exp_f32_e32 v33, v33
	v_nop
	v_ldexp_f32 v33, v33, v36
	s_delay_alu instid0(VALU_DEP_1) | instskip(SKIP_1) | instid1(VALU_DEP_2)
	v_cndmask_b32_e32 v33, 0, v33, vcc_lo
	v_cmp_nlt_f32_e32 vcc_lo, 0x42b17218, v32
	v_cndmask_b32_e32 v32, 0x7f800000, v33, vcc_lo
	s_delay_alu instid0(VALU_DEP_1) | instskip(NEXT) | instid1(VALU_DEP_1)
	v_dual_mul_f32 v29, v32, v29 :: v_dual_add_f32 v32, 1.0, v32
	v_div_scale_f32 v33, null, v32, v32, v29
	s_delay_alu instid0(VALU_DEP_1) | instskip(SKIP_1) | instid1(TRANS32_DEP_1)
	v_rcp_f32_e32 v36, v33
	v_nop
	v_fma_f32 v37, -v33, v36, 1.0
	s_delay_alu instid0(VALU_DEP_1) | instskip(SKIP_1) | instid1(VALU_DEP_1)
	v_fmac_f32_e32 v36, v37, v36
	v_div_scale_f32 v37, vcc_lo, v29, v32, v29
	v_mul_f32_e32 v44, v37, v36
	s_delay_alu instid0(VALU_DEP_1) | instskip(NEXT) | instid1(VALU_DEP_1)
	v_fma_f32 v45, -v33, v44, v37
	v_fmac_f32_e32 v44, v45, v36
	s_delay_alu instid0(VALU_DEP_1) | instskip(NEXT) | instid1(VALU_DEP_1)
	v_fma_f32 v33, -v33, v44, v37
	v_div_fmas_f32 v33, v33, v36, v44
	s_delay_alu instid0(VALU_DEP_1) | instskip(NEXT) | instid1(VALU_DEP_1)
	v_div_fixup_f32 v29, v33, v32, v29
	v_cvt_f16_f32_e32 v29, v29
.LBB67_35:
	s_or_b32 exec_lo, exec_lo, s11
	s_wait_loadcnt 0x2
	v_cvt_f16_f32_e32 v22, v22
	s_mov_b32 s11, exec_lo
	s_delay_alu instid0(VALU_DEP_1) | instskip(NEXT) | instid1(VALU_DEP_1)
	v_cvt_f32_f16_e32 v22, v22
	v_dual_mul_f32 v32, s13, v22 :: v_dual_mov_b32 v22, v14
	s_delay_alu instid0(VALU_DEP_1)
	v_cmpx_nlt_f32_e32 s14, v32
	s_cbranch_execz .LBB67_37
; %bb.36:
	v_mul_f32_e32 v22, 0x3fb8aa3b, v32
	v_cmp_ngt_f32_e32 vcc_lo, 0xc2ce8ed0, v32
	s_delay_alu instid0(VALU_DEP_2) | instskip(SKIP_1) | instid1(VALU_DEP_2)
	v_rndne_f32_e32 v33, v22
	v_fma_f32 v36, 0x3fb8aa3b, v32, -v22
	v_sub_f32_e32 v22, v22, v33
	s_delay_alu instid0(VALU_DEP_2) | instskip(SKIP_1) | instid1(VALU_DEP_2)
	v_fmamk_f32 v36, v32, 0x32a5705f, v36
	v_cvt_i32_f32_e32 v33, v33
	v_add_f32_e32 v22, v22, v36
	s_delay_alu instid0(VALU_DEP_1) | instskip(SKIP_1) | instid1(TRANS32_DEP_1)
	v_exp_f32_e32 v22, v22
	v_nop
	v_ldexp_f32 v22, v22, v33
	v_cvt_f32_f16_e32 v33, v14
	s_delay_alu instid0(VALU_DEP_2) | instskip(SKIP_1) | instid1(VALU_DEP_2)
	v_cndmask_b32_e32 v22, 0, v22, vcc_lo
	v_cmp_nlt_f32_e32 vcc_lo, 0x42b17218, v32
	v_cndmask_b32_e32 v22, 0x7f800000, v22, vcc_lo
	s_delay_alu instid0(VALU_DEP_1) | instskip(NEXT) | instid1(VALU_DEP_1)
	v_dual_mul_f32 v32, v22, v33 :: v_dual_add_f32 v22, 1.0, v22
	v_div_scale_f32 v33, null, v22, v22, v32
	s_delay_alu instid0(VALU_DEP_1) | instskip(SKIP_1) | instid1(TRANS32_DEP_1)
	v_rcp_f32_e32 v36, v33
	v_nop
	v_fma_f32 v37, -v33, v36, 1.0
	s_delay_alu instid0(VALU_DEP_1) | instskip(SKIP_1) | instid1(VALU_DEP_1)
	v_fmac_f32_e32 v36, v37, v36
	v_div_scale_f32 v37, vcc_lo, v32, v22, v32
	v_mul_f32_e32 v44, v37, v36
	s_delay_alu instid0(VALU_DEP_1) | instskip(NEXT) | instid1(VALU_DEP_1)
	v_fma_f32 v45, -v33, v44, v37
	v_fmac_f32_e32 v44, v45, v36
	s_delay_alu instid0(VALU_DEP_1) | instskip(NEXT) | instid1(VALU_DEP_1)
	v_fma_f32 v33, -v33, v44, v37
	v_div_fmas_f32 v33, v33, v36, v44
	s_delay_alu instid0(VALU_DEP_1) | instskip(NEXT) | instid1(VALU_DEP_1)
	v_div_fixup_f32 v22, v33, v22, v32
	v_cvt_f16_f32_e32 v22, v22
.LBB67_37:
	s_or_b32 exec_lo, exec_lo, s11
	v_cvt_f16_f32_e32 v23, v23
	s_mov_b32 s11, exec_lo
	v_lshrrev_b32_e32 v14, 16, v14
	s_delay_alu instid0(VALU_DEP_2) | instskip(NEXT) | instid1(VALU_DEP_1)
	v_cvt_f32_f16_e32 v23, v23
	v_mul_f32_e32 v23, s13, v23
	s_delay_alu instid0(VALU_DEP_1)
	v_cmpx_nlt_f32_e32 s14, v23
	s_cbranch_execz .LBB67_39
; %bb.38:
	v_mul_f32_e32 v32, 0x3fb8aa3b, v23
	v_cvt_f32_f16_e32 v14, v14
	v_cmp_ngt_f32_e32 vcc_lo, 0xc2ce8ed0, v23
	s_delay_alu instid0(VALU_DEP_3) | instskip(SKIP_1) | instid1(VALU_DEP_2)
	v_rndne_f32_e32 v33, v32
	v_fma_f32 v36, 0x3fb8aa3b, v23, -v32
	v_sub_f32_e32 v32, v32, v33
	s_delay_alu instid0(VALU_DEP_2) | instskip(SKIP_1) | instid1(VALU_DEP_2)
	v_fmamk_f32 v36, v23, 0x32a5705f, v36
	v_cvt_i32_f32_e32 v33, v33
	v_add_f32_e32 v32, v32, v36
	s_delay_alu instid0(VALU_DEP_1) | instskip(SKIP_1) | instid1(TRANS32_DEP_1)
	v_exp_f32_e32 v32, v32
	v_nop
	v_ldexp_f32 v32, v32, v33
	s_delay_alu instid0(VALU_DEP_1) | instskip(SKIP_1) | instid1(VALU_DEP_2)
	v_cndmask_b32_e32 v32, 0, v32, vcc_lo
	v_cmp_nlt_f32_e32 vcc_lo, 0x42b17218, v23
	v_cndmask_b32_e32 v23, 0x7f800000, v32, vcc_lo
	s_delay_alu instid0(VALU_DEP_1) | instskip(NEXT) | instid1(VALU_DEP_1)
	v_dual_mul_f32 v14, v23, v14 :: v_dual_add_f32 v23, 1.0, v23
	v_div_scale_f32 v32, null, v23, v23, v14
	s_delay_alu instid0(VALU_DEP_1) | instskip(SKIP_1) | instid1(TRANS32_DEP_1)
	v_rcp_f32_e32 v33, v32
	v_nop
	v_fma_f32 v36, -v32, v33, 1.0
	s_delay_alu instid0(VALU_DEP_1) | instskip(SKIP_1) | instid1(VALU_DEP_1)
	v_fmac_f32_e32 v33, v36, v33
	v_div_scale_f32 v36, vcc_lo, v14, v23, v14
	v_mul_f32_e32 v37, v36, v33
	s_delay_alu instid0(VALU_DEP_1) | instskip(NEXT) | instid1(VALU_DEP_1)
	v_fma_f32 v44, -v32, v37, v36
	v_fmac_f32_e32 v37, v44, v33
	s_delay_alu instid0(VALU_DEP_1) | instskip(NEXT) | instid1(VALU_DEP_1)
	v_fma_f32 v32, -v32, v37, v36
	v_div_fmas_f32 v32, v32, v33, v37
	s_delay_alu instid0(VALU_DEP_1) | instskip(NEXT) | instid1(VALU_DEP_1)
	v_div_fixup_f32 v14, v32, v23, v14
	v_cvt_f16_f32_e32 v14, v14
.LBB67_39:
	s_or_b32 exec_lo, exec_lo, s11
	v_cvt_f16_f32_e32 v23, v24
	s_mov_b32 s11, exec_lo
	s_delay_alu instid0(VALU_DEP_1) | instskip(NEXT) | instid1(VALU_DEP_1)
	v_cvt_f32_f16_e32 v23, v23
	v_dual_mul_f32 v24, s13, v23 :: v_dual_mov_b32 v23, v15
	s_delay_alu instid0(VALU_DEP_1)
	v_cmpx_nlt_f32_e32 s14, v24
	s_cbranch_execz .LBB67_41
; %bb.40:
	v_mul_f32_e32 v23, 0x3fb8aa3b, v24
	v_cmp_ngt_f32_e32 vcc_lo, 0xc2ce8ed0, v24
	s_delay_alu instid0(VALU_DEP_2) | instskip(SKIP_1) | instid1(VALU_DEP_2)
	v_rndne_f32_e32 v32, v23
	v_fma_f32 v33, 0x3fb8aa3b, v24, -v23
	v_sub_f32_e32 v23, v23, v32
	s_delay_alu instid0(VALU_DEP_2) | instskip(SKIP_1) | instid1(VALU_DEP_2)
	v_fmamk_f32 v33, v24, 0x32a5705f, v33
	v_cvt_i32_f32_e32 v32, v32
	v_add_f32_e32 v23, v23, v33
	s_delay_alu instid0(VALU_DEP_1) | instskip(SKIP_1) | instid1(TRANS32_DEP_1)
	v_exp_f32_e32 v23, v23
	v_nop
	v_ldexp_f32 v23, v23, v32
	v_cvt_f32_f16_e32 v32, v15
	s_delay_alu instid0(VALU_DEP_2) | instskip(SKIP_1) | instid1(VALU_DEP_2)
	v_cndmask_b32_e32 v23, 0, v23, vcc_lo
	v_cmp_nlt_f32_e32 vcc_lo, 0x42b17218, v24
	v_cndmask_b32_e32 v23, 0x7f800000, v23, vcc_lo
	s_delay_alu instid0(VALU_DEP_1) | instskip(NEXT) | instid1(VALU_DEP_1)
	v_dual_mul_f32 v24, v23, v32 :: v_dual_add_f32 v23, 1.0, v23
	v_div_scale_f32 v32, null, v23, v23, v24
	s_delay_alu instid0(VALU_DEP_1) | instskip(SKIP_1) | instid1(TRANS32_DEP_1)
	v_rcp_f32_e32 v33, v32
	v_nop
	v_fma_f32 v36, -v32, v33, 1.0
	s_delay_alu instid0(VALU_DEP_1) | instskip(SKIP_1) | instid1(VALU_DEP_1)
	v_fmac_f32_e32 v33, v36, v33
	v_div_scale_f32 v36, vcc_lo, v24, v23, v24
	v_mul_f32_e32 v37, v36, v33
	s_delay_alu instid0(VALU_DEP_1) | instskip(NEXT) | instid1(VALU_DEP_1)
	v_fma_f32 v44, -v32, v37, v36
	v_fmac_f32_e32 v37, v44, v33
	s_delay_alu instid0(VALU_DEP_1) | instskip(NEXT) | instid1(VALU_DEP_1)
	v_fma_f32 v32, -v32, v37, v36
	v_div_fmas_f32 v32, v32, v33, v37
	s_delay_alu instid0(VALU_DEP_1) | instskip(NEXT) | instid1(VALU_DEP_1)
	v_div_fixup_f32 v23, v32, v23, v24
	v_cvt_f16_f32_e32 v23, v23
.LBB67_41:
	s_or_b32 exec_lo, exec_lo, s11
	v_cvt_f16_f32_e32 v24, v25
	s_mov_b32 s11, exec_lo
	v_lshrrev_b32_e32 v15, 16, v15
	s_delay_alu instid0(VALU_DEP_2) | instskip(NEXT) | instid1(VALU_DEP_1)
	v_cvt_f32_f16_e32 v24, v24
	v_mul_f32_e32 v24, s13, v24
	s_delay_alu instid0(VALU_DEP_1)
	v_cmpx_nlt_f32_e32 s14, v24
	s_cbranch_execz .LBB67_43
; %bb.42:
	v_mul_f32_e32 v25, 0x3fb8aa3b, v24
	v_cvt_f32_f16_e32 v15, v15
	v_cmp_ngt_f32_e32 vcc_lo, 0xc2ce8ed0, v24
	s_delay_alu instid0(VALU_DEP_3) | instskip(SKIP_1) | instid1(VALU_DEP_2)
	v_rndne_f32_e32 v32, v25
	v_fma_f32 v33, 0x3fb8aa3b, v24, -v25
	v_sub_f32_e32 v25, v25, v32
	s_delay_alu instid0(VALU_DEP_2) | instskip(SKIP_1) | instid1(VALU_DEP_2)
	v_fmamk_f32 v33, v24, 0x32a5705f, v33
	v_cvt_i32_f32_e32 v32, v32
	v_add_f32_e32 v25, v25, v33
	s_delay_alu instid0(VALU_DEP_1) | instskip(SKIP_1) | instid1(TRANS32_DEP_1)
	v_exp_f32_e32 v25, v25
	v_nop
	v_ldexp_f32 v25, v25, v32
	s_delay_alu instid0(VALU_DEP_1) | instskip(SKIP_1) | instid1(VALU_DEP_2)
	v_cndmask_b32_e32 v25, 0, v25, vcc_lo
	v_cmp_nlt_f32_e32 vcc_lo, 0x42b17218, v24
	v_cndmask_b32_e32 v24, 0x7f800000, v25, vcc_lo
	s_delay_alu instid0(VALU_DEP_1) | instskip(NEXT) | instid1(VALU_DEP_1)
	v_dual_mul_f32 v15, v24, v15 :: v_dual_add_f32 v24, 1.0, v24
	v_div_scale_f32 v25, null, v24, v24, v15
	s_delay_alu instid0(VALU_DEP_1) | instskip(SKIP_1) | instid1(TRANS32_DEP_1)
	v_rcp_f32_e32 v32, v25
	v_nop
	v_fma_f32 v33, -v25, v32, 1.0
	s_delay_alu instid0(VALU_DEP_1) | instskip(SKIP_1) | instid1(VALU_DEP_1)
	v_fmac_f32_e32 v32, v33, v32
	v_div_scale_f32 v33, vcc_lo, v15, v24, v15
	v_mul_f32_e32 v36, v33, v32
	s_delay_alu instid0(VALU_DEP_1) | instskip(NEXT) | instid1(VALU_DEP_1)
	v_fma_f32 v37, -v25, v36, v33
	v_fmac_f32_e32 v36, v37, v32
	s_delay_alu instid0(VALU_DEP_1) | instskip(NEXT) | instid1(VALU_DEP_1)
	v_fma_f32 v25, -v25, v36, v33
	v_div_fmas_f32 v25, v25, v32, v36
	s_delay_alu instid0(VALU_DEP_1) | instskip(NEXT) | instid1(VALU_DEP_1)
	v_div_fixup_f32 v15, v25, v24, v15
	v_cvt_f16_f32_e32 v15, v15
.LBB67_43:
	s_or_b32 exec_lo, exec_lo, s11
	v_cvt_f16_f32_e32 v18, v18
	s_mov_b32 s11, exec_lo
	s_delay_alu instid0(VALU_DEP_1) | instskip(NEXT) | instid1(VALU_DEP_1)
	v_cvt_f32_f16_e32 v18, v18
	v_dual_mul_f32 v24, s13, v18 :: v_dual_mov_b32 v18, v16
	s_delay_alu instid0(VALU_DEP_1)
	v_cmpx_nlt_f32_e32 s14, v24
	s_cbranch_execz .LBB67_45
; %bb.44:
	v_mul_f32_e32 v18, 0x3fb8aa3b, v24
	v_cmp_ngt_f32_e32 vcc_lo, 0xc2ce8ed0, v24
	s_delay_alu instid0(VALU_DEP_2) | instskip(SKIP_1) | instid1(VALU_DEP_2)
	v_rndne_f32_e32 v25, v18
	v_fma_f32 v32, 0x3fb8aa3b, v24, -v18
	v_sub_f32_e32 v18, v18, v25
	s_delay_alu instid0(VALU_DEP_2) | instskip(SKIP_1) | instid1(VALU_DEP_2)
	v_fmamk_f32 v32, v24, 0x32a5705f, v32
	v_cvt_i32_f32_e32 v25, v25
	v_add_f32_e32 v18, v18, v32
	s_delay_alu instid0(VALU_DEP_1) | instskip(SKIP_1) | instid1(TRANS32_DEP_1)
	v_exp_f32_e32 v18, v18
	v_nop
	v_ldexp_f32 v18, v18, v25
	v_cvt_f32_f16_e32 v25, v16
	s_delay_alu instid0(VALU_DEP_2) | instskip(SKIP_1) | instid1(VALU_DEP_2)
	v_cndmask_b32_e32 v18, 0, v18, vcc_lo
	v_cmp_nlt_f32_e32 vcc_lo, 0x42b17218, v24
	v_cndmask_b32_e32 v18, 0x7f800000, v18, vcc_lo
	s_delay_alu instid0(VALU_DEP_1) | instskip(NEXT) | instid1(VALU_DEP_1)
	v_dual_mul_f32 v24, v18, v25 :: v_dual_add_f32 v18, 1.0, v18
	v_div_scale_f32 v25, null, v18, v18, v24
	s_delay_alu instid0(VALU_DEP_1) | instskip(SKIP_1) | instid1(TRANS32_DEP_1)
	v_rcp_f32_e32 v32, v25
	v_nop
	v_fma_f32 v33, -v25, v32, 1.0
	s_delay_alu instid0(VALU_DEP_1) | instskip(SKIP_1) | instid1(VALU_DEP_1)
	v_fmac_f32_e32 v32, v33, v32
	v_div_scale_f32 v33, vcc_lo, v24, v18, v24
	v_mul_f32_e32 v36, v33, v32
	s_delay_alu instid0(VALU_DEP_1) | instskip(NEXT) | instid1(VALU_DEP_1)
	v_fma_f32 v37, -v25, v36, v33
	v_fmac_f32_e32 v36, v37, v32
	s_delay_alu instid0(VALU_DEP_1) | instskip(NEXT) | instid1(VALU_DEP_1)
	v_fma_f32 v25, -v25, v36, v33
	v_div_fmas_f32 v25, v25, v32, v36
	s_delay_alu instid0(VALU_DEP_1) | instskip(NEXT) | instid1(VALU_DEP_1)
	v_div_fixup_f32 v18, v25, v18, v24
	v_cvt_f16_f32_e32 v18, v18
.LBB67_45:
	s_or_b32 exec_lo, exec_lo, s11
	v_cvt_f16_f32_e32 v19, v19
	s_mov_b32 s11, exec_lo
	v_lshrrev_b32_e32 v16, 16, v16
	s_delay_alu instid0(VALU_DEP_2) | instskip(NEXT) | instid1(VALU_DEP_1)
	v_cvt_f32_f16_e32 v19, v19
	v_mul_f32_e32 v19, s13, v19
	s_delay_alu instid0(VALU_DEP_1)
	v_cmpx_nlt_f32_e32 s14, v19
	s_cbranch_execz .LBB67_47
; %bb.46:
	v_mul_f32_e32 v24, 0x3fb8aa3b, v19
	v_cvt_f32_f16_e32 v16, v16
	v_cmp_ngt_f32_e32 vcc_lo, 0xc2ce8ed0, v19
	s_delay_alu instid0(VALU_DEP_3) | instskip(SKIP_1) | instid1(VALU_DEP_2)
	v_rndne_f32_e32 v25, v24
	v_fma_f32 v32, 0x3fb8aa3b, v19, -v24
	v_sub_f32_e32 v24, v24, v25
	s_delay_alu instid0(VALU_DEP_2) | instskip(SKIP_1) | instid1(VALU_DEP_2)
	v_fmamk_f32 v32, v19, 0x32a5705f, v32
	v_cvt_i32_f32_e32 v25, v25
	v_add_f32_e32 v24, v24, v32
	s_delay_alu instid0(VALU_DEP_1) | instskip(SKIP_1) | instid1(TRANS32_DEP_1)
	v_exp_f32_e32 v24, v24
	v_nop
	v_ldexp_f32 v24, v24, v25
	s_delay_alu instid0(VALU_DEP_1) | instskip(SKIP_1) | instid1(VALU_DEP_2)
	v_cndmask_b32_e32 v24, 0, v24, vcc_lo
	v_cmp_nlt_f32_e32 vcc_lo, 0x42b17218, v19
	v_cndmask_b32_e32 v19, 0x7f800000, v24, vcc_lo
	s_delay_alu instid0(VALU_DEP_1) | instskip(NEXT) | instid1(VALU_DEP_1)
	v_dual_mul_f32 v16, v19, v16 :: v_dual_add_f32 v19, 1.0, v19
	v_div_scale_f32 v24, null, v19, v19, v16
	s_delay_alu instid0(VALU_DEP_1) | instskip(SKIP_1) | instid1(TRANS32_DEP_1)
	v_rcp_f32_e32 v25, v24
	v_nop
	v_fma_f32 v32, -v24, v25, 1.0
	s_delay_alu instid0(VALU_DEP_1) | instskip(SKIP_1) | instid1(VALU_DEP_1)
	v_fmac_f32_e32 v25, v32, v25
	v_div_scale_f32 v32, vcc_lo, v16, v19, v16
	v_mul_f32_e32 v33, v32, v25
	s_delay_alu instid0(VALU_DEP_1) | instskip(NEXT) | instid1(VALU_DEP_1)
	v_fma_f32 v36, -v24, v33, v32
	v_fmac_f32_e32 v33, v36, v25
	s_delay_alu instid0(VALU_DEP_1) | instskip(NEXT) | instid1(VALU_DEP_1)
	v_fma_f32 v24, -v24, v33, v32
	v_div_fmas_f32 v24, v24, v25, v33
	s_delay_alu instid0(VALU_DEP_1) | instskip(NEXT) | instid1(VALU_DEP_1)
	v_div_fixup_f32 v16, v24, v19, v16
	v_cvt_f16_f32_e32 v16, v16
.LBB67_47:
	s_or_b32 exec_lo, exec_lo, s11
	v_cvt_f16_f32_e32 v19, v20
	s_mov_b32 s11, exec_lo
	s_delay_alu instid0(VALU_DEP_1) | instskip(NEXT) | instid1(VALU_DEP_1)
	v_cvt_f32_f16_e32 v19, v19
	v_dual_mul_f32 v20, s13, v19 :: v_dual_mov_b32 v19, v17
	s_delay_alu instid0(VALU_DEP_1)
	v_cmpx_nlt_f32_e32 s14, v20
	s_cbranch_execz .LBB67_49
; %bb.48:
	v_mul_f32_e32 v19, 0x3fb8aa3b, v20
	v_cmp_ngt_f32_e32 vcc_lo, 0xc2ce8ed0, v20
	s_delay_alu instid0(VALU_DEP_2) | instskip(SKIP_1) | instid1(VALU_DEP_2)
	v_rndne_f32_e32 v24, v19
	v_fma_f32 v25, 0x3fb8aa3b, v20, -v19
	v_sub_f32_e32 v19, v19, v24
	s_delay_alu instid0(VALU_DEP_2) | instskip(SKIP_1) | instid1(VALU_DEP_2)
	v_fmamk_f32 v25, v20, 0x32a5705f, v25
	v_cvt_i32_f32_e32 v24, v24
	v_add_f32_e32 v19, v19, v25
	s_delay_alu instid0(VALU_DEP_1) | instskip(SKIP_1) | instid1(TRANS32_DEP_1)
	v_exp_f32_e32 v19, v19
	v_nop
	v_ldexp_f32 v19, v19, v24
	v_cvt_f32_f16_e32 v24, v17
	s_delay_alu instid0(VALU_DEP_2) | instskip(SKIP_1) | instid1(VALU_DEP_2)
	v_cndmask_b32_e32 v19, 0, v19, vcc_lo
	v_cmp_nlt_f32_e32 vcc_lo, 0x42b17218, v20
	v_cndmask_b32_e32 v19, 0x7f800000, v19, vcc_lo
	s_delay_alu instid0(VALU_DEP_1) | instskip(NEXT) | instid1(VALU_DEP_1)
	v_dual_mul_f32 v20, v19, v24 :: v_dual_add_f32 v19, 1.0, v19
	v_div_scale_f32 v24, null, v19, v19, v20
	s_delay_alu instid0(VALU_DEP_1) | instskip(SKIP_1) | instid1(TRANS32_DEP_1)
	v_rcp_f32_e32 v25, v24
	v_nop
	v_fma_f32 v32, -v24, v25, 1.0
	s_delay_alu instid0(VALU_DEP_1) | instskip(SKIP_1) | instid1(VALU_DEP_1)
	v_fmac_f32_e32 v25, v32, v25
	v_div_scale_f32 v32, vcc_lo, v20, v19, v20
	v_mul_f32_e32 v33, v32, v25
	s_delay_alu instid0(VALU_DEP_1) | instskip(NEXT) | instid1(VALU_DEP_1)
	v_fma_f32 v36, -v24, v33, v32
	v_fmac_f32_e32 v33, v36, v25
	s_delay_alu instid0(VALU_DEP_1) | instskip(NEXT) | instid1(VALU_DEP_1)
	v_fma_f32 v24, -v24, v33, v32
	v_div_fmas_f32 v24, v24, v25, v33
	s_delay_alu instid0(VALU_DEP_1) | instskip(NEXT) | instid1(VALU_DEP_1)
	v_div_fixup_f32 v19, v24, v19, v20
	v_cvt_f16_f32_e32 v19, v19
.LBB67_49:
	s_or_b32 exec_lo, exec_lo, s11
	v_cvt_f16_f32_e32 v20, v21
	s_mov_b32 s11, exec_lo
	v_lshrrev_b32_e32 v17, 16, v17
	s_delay_alu instid0(VALU_DEP_2) | instskip(NEXT) | instid1(VALU_DEP_1)
	v_cvt_f32_f16_e32 v20, v20
	v_mul_f32_e32 v20, s13, v20
	s_delay_alu instid0(VALU_DEP_1)
	v_cmpx_nlt_f32_e32 s14, v20
	s_cbranch_execz .LBB67_51
; %bb.50:
	v_mul_f32_e32 v21, 0x3fb8aa3b, v20
	v_cvt_f32_f16_e32 v17, v17
	v_cmp_ngt_f32_e32 vcc_lo, 0xc2ce8ed0, v20
	s_delay_alu instid0(VALU_DEP_3) | instskip(SKIP_1) | instid1(VALU_DEP_2)
	v_rndne_f32_e32 v24, v21
	v_fma_f32 v25, 0x3fb8aa3b, v20, -v21
	v_sub_f32_e32 v21, v21, v24
	s_delay_alu instid0(VALU_DEP_2) | instskip(SKIP_1) | instid1(VALU_DEP_2)
	v_fmamk_f32 v25, v20, 0x32a5705f, v25
	v_cvt_i32_f32_e32 v24, v24
	v_add_f32_e32 v21, v21, v25
	s_delay_alu instid0(VALU_DEP_1) | instskip(SKIP_1) | instid1(TRANS32_DEP_1)
	v_exp_f32_e32 v21, v21
	v_nop
	v_ldexp_f32 v21, v21, v24
	s_delay_alu instid0(VALU_DEP_1) | instskip(SKIP_1) | instid1(VALU_DEP_2)
	v_cndmask_b32_e32 v21, 0, v21, vcc_lo
	v_cmp_nlt_f32_e32 vcc_lo, 0x42b17218, v20
	v_cndmask_b32_e32 v20, 0x7f800000, v21, vcc_lo
	s_delay_alu instid0(VALU_DEP_1) | instskip(NEXT) | instid1(VALU_DEP_1)
	v_dual_mul_f32 v17, v20, v17 :: v_dual_add_f32 v20, 1.0, v20
	v_div_scale_f32 v21, null, v20, v20, v17
	s_delay_alu instid0(VALU_DEP_1) | instskip(SKIP_1) | instid1(TRANS32_DEP_1)
	v_rcp_f32_e32 v24, v21
	v_nop
	v_fma_f32 v25, -v21, v24, 1.0
	s_delay_alu instid0(VALU_DEP_1) | instskip(SKIP_1) | instid1(VALU_DEP_1)
	v_fmac_f32_e32 v24, v25, v24
	v_div_scale_f32 v25, vcc_lo, v17, v20, v17
	v_mul_f32_e32 v32, v25, v24
	s_delay_alu instid0(VALU_DEP_1) | instskip(NEXT) | instid1(VALU_DEP_1)
	v_fma_f32 v33, -v21, v32, v25
	v_fmac_f32_e32 v32, v33, v24
	s_delay_alu instid0(VALU_DEP_1) | instskip(NEXT) | instid1(VALU_DEP_1)
	v_fma_f32 v21, -v21, v32, v25
	v_div_fmas_f32 v21, v21, v24, v32
	s_delay_alu instid0(VALU_DEP_1) | instskip(NEXT) | instid1(VALU_DEP_1)
	v_div_fixup_f32 v17, v21, v20, v17
	v_cvt_f16_f32_e32 v17, v17
.LBB67_51:
	s_or_b32 exec_lo, exec_lo, s11
	s_wait_loadcnt 0x0
	v_cvt_f16_f32_e32 v10, v10
	s_mov_b32 s11, exec_lo
	s_delay_alu instid0(VALU_DEP_1) | instskip(NEXT) | instid1(VALU_DEP_1)
	v_cvt_f32_f16_e32 v10, v10
	v_dual_mul_f32 v20, s13, v10 :: v_dual_mov_b32 v10, v2
	s_delay_alu instid0(VALU_DEP_1)
	v_cmpx_nlt_f32_e32 s14, v20
	s_cbranch_execz .LBB67_53
; %bb.52:
	v_mul_f32_e32 v10, 0x3fb8aa3b, v20
	v_cmp_ngt_f32_e32 vcc_lo, 0xc2ce8ed0, v20
	s_delay_alu instid0(VALU_DEP_2) | instskip(SKIP_1) | instid1(VALU_DEP_2)
	v_rndne_f32_e32 v21, v10
	v_fma_f32 v24, 0x3fb8aa3b, v20, -v10
	v_sub_f32_e32 v10, v10, v21
	s_delay_alu instid0(VALU_DEP_2) | instskip(SKIP_1) | instid1(VALU_DEP_2)
	v_fmamk_f32 v24, v20, 0x32a5705f, v24
	v_cvt_i32_f32_e32 v21, v21
	v_add_f32_e32 v10, v10, v24
	s_delay_alu instid0(VALU_DEP_1) | instskip(SKIP_1) | instid1(TRANS32_DEP_1)
	v_exp_f32_e32 v10, v10
	v_nop
	v_ldexp_f32 v10, v10, v21
	v_cvt_f32_f16_e32 v21, v2
	s_delay_alu instid0(VALU_DEP_2) | instskip(SKIP_1) | instid1(VALU_DEP_2)
	v_cndmask_b32_e32 v10, 0, v10, vcc_lo
	v_cmp_nlt_f32_e32 vcc_lo, 0x42b17218, v20
	v_cndmask_b32_e32 v10, 0x7f800000, v10, vcc_lo
	s_delay_alu instid0(VALU_DEP_1) | instskip(NEXT) | instid1(VALU_DEP_1)
	v_dual_mul_f32 v20, v10, v21 :: v_dual_add_f32 v10, 1.0, v10
	v_div_scale_f32 v21, null, v10, v10, v20
	s_delay_alu instid0(VALU_DEP_1) | instskip(SKIP_1) | instid1(TRANS32_DEP_1)
	v_rcp_f32_e32 v24, v21
	v_nop
	v_fma_f32 v25, -v21, v24, 1.0
	s_delay_alu instid0(VALU_DEP_1) | instskip(SKIP_1) | instid1(VALU_DEP_1)
	v_fmac_f32_e32 v24, v25, v24
	v_div_scale_f32 v25, vcc_lo, v20, v10, v20
	v_mul_f32_e32 v32, v25, v24
	s_delay_alu instid0(VALU_DEP_1) | instskip(NEXT) | instid1(VALU_DEP_1)
	v_fma_f32 v33, -v21, v32, v25
	v_fmac_f32_e32 v32, v33, v24
	s_delay_alu instid0(VALU_DEP_1) | instskip(NEXT) | instid1(VALU_DEP_1)
	v_fma_f32 v21, -v21, v32, v25
	v_div_fmas_f32 v21, v21, v24, v32
	s_delay_alu instid0(VALU_DEP_1) | instskip(NEXT) | instid1(VALU_DEP_1)
	v_div_fixup_f32 v10, v21, v10, v20
	v_cvt_f16_f32_e32 v10, v10
.LBB67_53:
	s_or_b32 exec_lo, exec_lo, s11
	v_cvt_f16_f32_e32 v11, v11
	s_mov_b32 s11, exec_lo
	v_lshrrev_b32_e32 v2, 16, v2
	s_delay_alu instid0(VALU_DEP_2) | instskip(NEXT) | instid1(VALU_DEP_1)
	v_cvt_f32_f16_e32 v11, v11
	v_mul_f32_e32 v11, s13, v11
	s_delay_alu instid0(VALU_DEP_1)
	v_cmpx_nlt_f32_e32 s14, v11
	s_cbranch_execz .LBB67_55
; %bb.54:
	v_mul_f32_e32 v20, 0x3fb8aa3b, v11
	v_cvt_f32_f16_e32 v2, v2
	v_cmp_ngt_f32_e32 vcc_lo, 0xc2ce8ed0, v11
	s_delay_alu instid0(VALU_DEP_3) | instskip(SKIP_1) | instid1(VALU_DEP_2)
	v_rndne_f32_e32 v21, v20
	v_fma_f32 v24, 0x3fb8aa3b, v11, -v20
	v_sub_f32_e32 v20, v20, v21
	s_delay_alu instid0(VALU_DEP_2) | instskip(SKIP_1) | instid1(VALU_DEP_2)
	v_fmamk_f32 v24, v11, 0x32a5705f, v24
	v_cvt_i32_f32_e32 v21, v21
	v_add_f32_e32 v20, v20, v24
	s_delay_alu instid0(VALU_DEP_1) | instskip(SKIP_1) | instid1(TRANS32_DEP_1)
	v_exp_f32_e32 v20, v20
	v_nop
	v_ldexp_f32 v20, v20, v21
	s_delay_alu instid0(VALU_DEP_1) | instskip(SKIP_1) | instid1(VALU_DEP_2)
	v_cndmask_b32_e32 v20, 0, v20, vcc_lo
	v_cmp_nlt_f32_e32 vcc_lo, 0x42b17218, v11
	v_cndmask_b32_e32 v11, 0x7f800000, v20, vcc_lo
	s_delay_alu instid0(VALU_DEP_1) | instskip(NEXT) | instid1(VALU_DEP_1)
	v_dual_mul_f32 v2, v11, v2 :: v_dual_add_f32 v11, 1.0, v11
	v_div_scale_f32 v20, null, v11, v11, v2
	s_delay_alu instid0(VALU_DEP_1) | instskip(SKIP_1) | instid1(TRANS32_DEP_1)
	v_rcp_f32_e32 v21, v20
	v_nop
	v_fma_f32 v24, -v20, v21, 1.0
	s_delay_alu instid0(VALU_DEP_1) | instskip(SKIP_1) | instid1(VALU_DEP_1)
	v_fmac_f32_e32 v21, v24, v21
	v_div_scale_f32 v24, vcc_lo, v2, v11, v2
	v_mul_f32_e32 v25, v24, v21
	s_delay_alu instid0(VALU_DEP_1) | instskip(NEXT) | instid1(VALU_DEP_1)
	v_fma_f32 v32, -v20, v25, v24
	v_fmac_f32_e32 v25, v32, v21
	s_delay_alu instid0(VALU_DEP_1) | instskip(NEXT) | instid1(VALU_DEP_1)
	v_fma_f32 v20, -v20, v25, v24
	v_div_fmas_f32 v20, v20, v21, v25
	s_delay_alu instid0(VALU_DEP_1) | instskip(NEXT) | instid1(VALU_DEP_1)
	v_div_fixup_f32 v2, v20, v11, v2
	v_cvt_f16_f32_e32 v2, v2
.LBB67_55:
	s_or_b32 exec_lo, exec_lo, s11
	v_cvt_f16_f32_e32 v11, v12
	s_mov_b32 s11, exec_lo
	s_delay_alu instid0(VALU_DEP_1) | instskip(NEXT) | instid1(VALU_DEP_1)
	v_cvt_f32_f16_e32 v11, v11
	v_dual_mul_f32 v12, s13, v11 :: v_dual_mov_b32 v11, v3
	s_delay_alu instid0(VALU_DEP_1)
	v_cmpx_nlt_f32_e32 s14, v12
	s_cbranch_execz .LBB67_57
; %bb.56:
	v_mul_f32_e32 v11, 0x3fb8aa3b, v12
	v_cmp_ngt_f32_e32 vcc_lo, 0xc2ce8ed0, v12
	s_delay_alu instid0(VALU_DEP_2) | instskip(SKIP_1) | instid1(VALU_DEP_2)
	v_rndne_f32_e32 v20, v11
	v_fma_f32 v21, 0x3fb8aa3b, v12, -v11
	v_sub_f32_e32 v11, v11, v20
	s_delay_alu instid0(VALU_DEP_2) | instskip(SKIP_1) | instid1(VALU_DEP_2)
	v_fmamk_f32 v21, v12, 0x32a5705f, v21
	v_cvt_i32_f32_e32 v20, v20
	v_add_f32_e32 v11, v11, v21
	s_delay_alu instid0(VALU_DEP_1) | instskip(SKIP_1) | instid1(TRANS32_DEP_1)
	v_exp_f32_e32 v11, v11
	v_nop
	v_ldexp_f32 v11, v11, v20
	v_cvt_f32_f16_e32 v20, v3
	s_delay_alu instid0(VALU_DEP_2) | instskip(SKIP_1) | instid1(VALU_DEP_2)
	v_cndmask_b32_e32 v11, 0, v11, vcc_lo
	v_cmp_nlt_f32_e32 vcc_lo, 0x42b17218, v12
	v_cndmask_b32_e32 v11, 0x7f800000, v11, vcc_lo
	s_delay_alu instid0(VALU_DEP_1) | instskip(NEXT) | instid1(VALU_DEP_1)
	v_dual_mul_f32 v12, v11, v20 :: v_dual_add_f32 v11, 1.0, v11
	v_div_scale_f32 v20, null, v11, v11, v12
	s_delay_alu instid0(VALU_DEP_1) | instskip(SKIP_1) | instid1(TRANS32_DEP_1)
	v_rcp_f32_e32 v21, v20
	v_nop
	v_fma_f32 v24, -v20, v21, 1.0
	s_delay_alu instid0(VALU_DEP_1) | instskip(SKIP_1) | instid1(VALU_DEP_1)
	v_fmac_f32_e32 v21, v24, v21
	v_div_scale_f32 v24, vcc_lo, v12, v11, v12
	v_mul_f32_e32 v25, v24, v21
	s_delay_alu instid0(VALU_DEP_1) | instskip(NEXT) | instid1(VALU_DEP_1)
	v_fma_f32 v32, -v20, v25, v24
	v_fmac_f32_e32 v25, v32, v21
	s_delay_alu instid0(VALU_DEP_1) | instskip(NEXT) | instid1(VALU_DEP_1)
	v_fma_f32 v20, -v20, v25, v24
	v_div_fmas_f32 v20, v20, v21, v25
	s_delay_alu instid0(VALU_DEP_1) | instskip(NEXT) | instid1(VALU_DEP_1)
	v_div_fixup_f32 v11, v20, v11, v12
	v_cvt_f16_f32_e32 v11, v11
.LBB67_57:
	s_or_b32 exec_lo, exec_lo, s11
	v_cvt_f16_f32_e32 v12, v13
	s_mov_b32 s11, exec_lo
	v_lshrrev_b32_e32 v3, 16, v3
	s_delay_alu instid0(VALU_DEP_2) | instskip(NEXT) | instid1(VALU_DEP_1)
	v_cvt_f32_f16_e32 v12, v12
	v_mul_f32_e32 v12, s13, v12
	s_delay_alu instid0(VALU_DEP_1)
	v_cmpx_nlt_f32_e32 s14, v12
	s_cbranch_execz .LBB67_59
; %bb.58:
	v_mul_f32_e32 v13, 0x3fb8aa3b, v12
	v_cvt_f32_f16_e32 v3, v3
	v_cmp_ngt_f32_e32 vcc_lo, 0xc2ce8ed0, v12
	s_delay_alu instid0(VALU_DEP_3) | instskip(SKIP_1) | instid1(VALU_DEP_2)
	v_rndne_f32_e32 v20, v13
	v_fma_f32 v21, 0x3fb8aa3b, v12, -v13
	v_sub_f32_e32 v13, v13, v20
	s_delay_alu instid0(VALU_DEP_2) | instskip(SKIP_1) | instid1(VALU_DEP_2)
	v_fmamk_f32 v21, v12, 0x32a5705f, v21
	v_cvt_i32_f32_e32 v20, v20
	v_add_f32_e32 v13, v13, v21
	s_delay_alu instid0(VALU_DEP_1) | instskip(SKIP_1) | instid1(TRANS32_DEP_1)
	v_exp_f32_e32 v13, v13
	v_nop
	v_ldexp_f32 v13, v13, v20
	s_delay_alu instid0(VALU_DEP_1) | instskip(SKIP_1) | instid1(VALU_DEP_2)
	v_cndmask_b32_e32 v13, 0, v13, vcc_lo
	v_cmp_nlt_f32_e32 vcc_lo, 0x42b17218, v12
	v_cndmask_b32_e32 v12, 0x7f800000, v13, vcc_lo
	s_delay_alu instid0(VALU_DEP_1) | instskip(NEXT) | instid1(VALU_DEP_1)
	v_dual_mul_f32 v3, v12, v3 :: v_dual_add_f32 v12, 1.0, v12
	v_div_scale_f32 v13, null, v12, v12, v3
	s_delay_alu instid0(VALU_DEP_1) | instskip(SKIP_1) | instid1(TRANS32_DEP_1)
	v_rcp_f32_e32 v20, v13
	v_nop
	v_fma_f32 v21, -v13, v20, 1.0
	s_delay_alu instid0(VALU_DEP_1) | instskip(SKIP_1) | instid1(VALU_DEP_1)
	v_fmac_f32_e32 v20, v21, v20
	v_div_scale_f32 v21, vcc_lo, v3, v12, v3
	v_mul_f32_e32 v24, v21, v20
	s_delay_alu instid0(VALU_DEP_1) | instskip(NEXT) | instid1(VALU_DEP_1)
	v_fma_f32 v25, -v13, v24, v21
	v_fmac_f32_e32 v24, v25, v20
	s_delay_alu instid0(VALU_DEP_1) | instskip(NEXT) | instid1(VALU_DEP_1)
	v_fma_f32 v13, -v13, v24, v21
	v_div_fmas_f32 v13, v13, v20, v24
	s_delay_alu instid0(VALU_DEP_1) | instskip(NEXT) | instid1(VALU_DEP_1)
	v_div_fixup_f32 v3, v13, v12, v3
	v_cvt_f16_f32_e32 v3, v3
.LBB67_59:
	s_or_b32 exec_lo, exec_lo, s11
	v_cvt_f16_f32_e32 v6, v6
	s_mov_b32 s11, exec_lo
	s_delay_alu instid0(VALU_DEP_1) | instskip(NEXT) | instid1(VALU_DEP_1)
	v_cvt_f32_f16_e32 v6, v6
	v_dual_mul_f32 v12, s13, v6 :: v_dual_mov_b32 v6, v4
	s_delay_alu instid0(VALU_DEP_1)
	v_cmpx_nlt_f32_e32 s14, v12
	s_cbranch_execz .LBB67_61
; %bb.60:
	v_mul_f32_e32 v6, 0x3fb8aa3b, v12
	v_cmp_ngt_f32_e32 vcc_lo, 0xc2ce8ed0, v12
	s_delay_alu instid0(VALU_DEP_2) | instskip(SKIP_1) | instid1(VALU_DEP_2)
	v_rndne_f32_e32 v13, v6
	v_fma_f32 v20, 0x3fb8aa3b, v12, -v6
	v_sub_f32_e32 v6, v6, v13
	s_delay_alu instid0(VALU_DEP_2) | instskip(SKIP_1) | instid1(VALU_DEP_2)
	v_fmamk_f32 v20, v12, 0x32a5705f, v20
	v_cvt_i32_f32_e32 v13, v13
	v_add_f32_e32 v6, v6, v20
	s_delay_alu instid0(VALU_DEP_1) | instskip(SKIP_1) | instid1(TRANS32_DEP_1)
	v_exp_f32_e32 v6, v6
	v_nop
	v_ldexp_f32 v6, v6, v13
	v_cvt_f32_f16_e32 v13, v4
	s_delay_alu instid0(VALU_DEP_2) | instskip(SKIP_1) | instid1(VALU_DEP_2)
	v_cndmask_b32_e32 v6, 0, v6, vcc_lo
	v_cmp_nlt_f32_e32 vcc_lo, 0x42b17218, v12
	v_cndmask_b32_e32 v6, 0x7f800000, v6, vcc_lo
	s_delay_alu instid0(VALU_DEP_1) | instskip(NEXT) | instid1(VALU_DEP_1)
	v_dual_mul_f32 v12, v6, v13 :: v_dual_add_f32 v6, 1.0, v6
	v_div_scale_f32 v13, null, v6, v6, v12
	s_delay_alu instid0(VALU_DEP_1) | instskip(SKIP_1) | instid1(TRANS32_DEP_1)
	v_rcp_f32_e32 v20, v13
	v_nop
	v_fma_f32 v21, -v13, v20, 1.0
	s_delay_alu instid0(VALU_DEP_1) | instskip(SKIP_1) | instid1(VALU_DEP_1)
	v_fmac_f32_e32 v20, v21, v20
	v_div_scale_f32 v21, vcc_lo, v12, v6, v12
	v_mul_f32_e32 v24, v21, v20
	s_delay_alu instid0(VALU_DEP_1) | instskip(NEXT) | instid1(VALU_DEP_1)
	v_fma_f32 v25, -v13, v24, v21
	v_fmac_f32_e32 v24, v25, v20
	s_delay_alu instid0(VALU_DEP_1) | instskip(NEXT) | instid1(VALU_DEP_1)
	v_fma_f32 v13, -v13, v24, v21
	v_div_fmas_f32 v13, v13, v20, v24
	s_delay_alu instid0(VALU_DEP_1) | instskip(NEXT) | instid1(VALU_DEP_1)
	v_div_fixup_f32 v6, v13, v6, v12
	v_cvt_f16_f32_e32 v6, v6
.LBB67_61:
	s_or_b32 exec_lo, exec_lo, s11
	v_cvt_f16_f32_e32 v7, v7
	s_mov_b32 s11, exec_lo
	v_lshrrev_b32_e32 v4, 16, v4
	s_delay_alu instid0(VALU_DEP_2) | instskip(NEXT) | instid1(VALU_DEP_1)
	v_cvt_f32_f16_e32 v7, v7
	v_mul_f32_e32 v7, s13, v7
	s_delay_alu instid0(VALU_DEP_1)
	v_cmpx_nlt_f32_e32 s14, v7
	s_cbranch_execz .LBB67_63
; %bb.62:
	v_mul_f32_e32 v12, 0x3fb8aa3b, v7
	v_cvt_f32_f16_e32 v4, v4
	v_cmp_ngt_f32_e32 vcc_lo, 0xc2ce8ed0, v7
	s_delay_alu instid0(VALU_DEP_3) | instskip(SKIP_1) | instid1(VALU_DEP_2)
	v_rndne_f32_e32 v13, v12
	v_fma_f32 v20, 0x3fb8aa3b, v7, -v12
	v_sub_f32_e32 v12, v12, v13
	s_delay_alu instid0(VALU_DEP_2) | instskip(SKIP_1) | instid1(VALU_DEP_2)
	v_fmamk_f32 v20, v7, 0x32a5705f, v20
	v_cvt_i32_f32_e32 v13, v13
	v_add_f32_e32 v12, v12, v20
	s_delay_alu instid0(VALU_DEP_1) | instskip(SKIP_1) | instid1(TRANS32_DEP_1)
	v_exp_f32_e32 v12, v12
	v_nop
	v_ldexp_f32 v12, v12, v13
	s_delay_alu instid0(VALU_DEP_1) | instskip(SKIP_1) | instid1(VALU_DEP_2)
	v_cndmask_b32_e32 v12, 0, v12, vcc_lo
	v_cmp_nlt_f32_e32 vcc_lo, 0x42b17218, v7
	v_cndmask_b32_e32 v7, 0x7f800000, v12, vcc_lo
	s_delay_alu instid0(VALU_DEP_1) | instskip(NEXT) | instid1(VALU_DEP_1)
	v_dual_mul_f32 v4, v7, v4 :: v_dual_add_f32 v7, 1.0, v7
	v_div_scale_f32 v12, null, v7, v7, v4
	s_delay_alu instid0(VALU_DEP_1) | instskip(SKIP_1) | instid1(TRANS32_DEP_1)
	v_rcp_f32_e32 v13, v12
	v_nop
	v_fma_f32 v20, -v12, v13, 1.0
	s_delay_alu instid0(VALU_DEP_1) | instskip(SKIP_1) | instid1(VALU_DEP_1)
	v_fmac_f32_e32 v13, v20, v13
	v_div_scale_f32 v20, vcc_lo, v4, v7, v4
	v_mul_f32_e32 v21, v20, v13
	s_delay_alu instid0(VALU_DEP_1) | instskip(NEXT) | instid1(VALU_DEP_1)
	v_fma_f32 v24, -v12, v21, v20
	v_fmac_f32_e32 v21, v24, v13
	s_delay_alu instid0(VALU_DEP_1) | instskip(NEXT) | instid1(VALU_DEP_1)
	v_fma_f32 v12, -v12, v21, v20
	v_div_fmas_f32 v12, v12, v13, v21
	s_delay_alu instid0(VALU_DEP_1) | instskip(NEXT) | instid1(VALU_DEP_1)
	v_div_fixup_f32 v4, v12, v7, v4
	v_cvt_f16_f32_e32 v4, v4
.LBB67_63:
	s_or_b32 exec_lo, exec_lo, s11
	v_cvt_f16_f32_e32 v7, v8
	s_mov_b32 s11, exec_lo
	s_delay_alu instid0(VALU_DEP_1) | instskip(NEXT) | instid1(VALU_DEP_1)
	v_cvt_f32_f16_e32 v7, v7
	v_dual_mul_f32 v8, s13, v7 :: v_dual_mov_b32 v7, v5
	s_delay_alu instid0(VALU_DEP_1)
	v_cmpx_nlt_f32_e32 s14, v8
	s_cbranch_execz .LBB67_65
; %bb.64:
	v_mul_f32_e32 v7, 0x3fb8aa3b, v8
	v_cmp_ngt_f32_e32 vcc_lo, 0xc2ce8ed0, v8
	s_delay_alu instid0(VALU_DEP_2) | instskip(SKIP_1) | instid1(VALU_DEP_2)
	v_rndne_f32_e32 v12, v7
	v_fma_f32 v13, 0x3fb8aa3b, v8, -v7
	v_sub_f32_e32 v7, v7, v12
	s_delay_alu instid0(VALU_DEP_2) | instskip(SKIP_1) | instid1(VALU_DEP_2)
	v_fmamk_f32 v13, v8, 0x32a5705f, v13
	v_cvt_i32_f32_e32 v12, v12
	v_add_f32_e32 v7, v7, v13
	s_delay_alu instid0(VALU_DEP_1) | instskip(SKIP_1) | instid1(TRANS32_DEP_1)
	v_exp_f32_e32 v7, v7
	v_nop
	v_ldexp_f32 v7, v7, v12
	v_cvt_f32_f16_e32 v12, v5
	s_delay_alu instid0(VALU_DEP_2) | instskip(SKIP_1) | instid1(VALU_DEP_2)
	v_cndmask_b32_e32 v7, 0, v7, vcc_lo
	v_cmp_nlt_f32_e32 vcc_lo, 0x42b17218, v8
	v_cndmask_b32_e32 v7, 0x7f800000, v7, vcc_lo
	s_delay_alu instid0(VALU_DEP_1) | instskip(NEXT) | instid1(VALU_DEP_1)
	v_dual_mul_f32 v8, v7, v12 :: v_dual_add_f32 v7, 1.0, v7
	v_div_scale_f32 v12, null, v7, v7, v8
	s_delay_alu instid0(VALU_DEP_1) | instskip(SKIP_1) | instid1(TRANS32_DEP_1)
	v_rcp_f32_e32 v13, v12
	v_nop
	v_fma_f32 v20, -v12, v13, 1.0
	s_delay_alu instid0(VALU_DEP_1) | instskip(SKIP_1) | instid1(VALU_DEP_1)
	v_fmac_f32_e32 v13, v20, v13
	v_div_scale_f32 v20, vcc_lo, v8, v7, v8
	v_mul_f32_e32 v21, v20, v13
	s_delay_alu instid0(VALU_DEP_1) | instskip(NEXT) | instid1(VALU_DEP_1)
	v_fma_f32 v24, -v12, v21, v20
	v_fmac_f32_e32 v21, v24, v13
	s_delay_alu instid0(VALU_DEP_1) | instskip(NEXT) | instid1(VALU_DEP_1)
	v_fma_f32 v12, -v12, v21, v20
	v_div_fmas_f32 v12, v12, v13, v21
	s_delay_alu instid0(VALU_DEP_1) | instskip(NEXT) | instid1(VALU_DEP_1)
	v_div_fixup_f32 v7, v12, v7, v8
	v_cvt_f16_f32_e32 v7, v7
.LBB67_65:
	s_or_b32 exec_lo, exec_lo, s11
	v_cvt_f16_f32_e32 v8, v9
	s_mov_b32 s11, exec_lo
	v_lshrrev_b32_e32 v5, 16, v5
	s_delay_alu instid0(VALU_DEP_2) | instskip(NEXT) | instid1(VALU_DEP_1)
	v_cvt_f32_f16_e32 v8, v8
	v_mul_f32_e32 v8, s13, v8
	s_delay_alu instid0(VALU_DEP_1)
	v_cmpx_nlt_f32_e32 s14, v8
	s_cbranch_execz .LBB67_67
; %bb.66:
	v_mul_f32_e32 v9, 0x3fb8aa3b, v8
	v_cvt_f32_f16_e32 v5, v5
	v_cmp_ngt_f32_e32 vcc_lo, 0xc2ce8ed0, v8
	s_delay_alu instid0(VALU_DEP_3) | instskip(SKIP_1) | instid1(VALU_DEP_2)
	v_rndne_f32_e32 v12, v9
	v_fma_f32 v13, 0x3fb8aa3b, v8, -v9
	v_sub_f32_e32 v9, v9, v12
	s_delay_alu instid0(VALU_DEP_2) | instskip(SKIP_1) | instid1(VALU_DEP_2)
	v_fmamk_f32 v13, v8, 0x32a5705f, v13
	v_cvt_i32_f32_e32 v12, v12
	v_add_f32_e32 v9, v9, v13
	s_delay_alu instid0(VALU_DEP_1) | instskip(SKIP_1) | instid1(TRANS32_DEP_1)
	v_exp_f32_e32 v9, v9
	v_nop
	v_ldexp_f32 v9, v9, v12
	s_delay_alu instid0(VALU_DEP_1) | instskip(SKIP_1) | instid1(VALU_DEP_2)
	v_cndmask_b32_e32 v9, 0, v9, vcc_lo
	v_cmp_nlt_f32_e32 vcc_lo, 0x42b17218, v8
	v_cndmask_b32_e32 v8, 0x7f800000, v9, vcc_lo
	s_delay_alu instid0(VALU_DEP_1) | instskip(NEXT) | instid1(VALU_DEP_1)
	v_dual_mul_f32 v5, v8, v5 :: v_dual_add_f32 v8, 1.0, v8
	v_div_scale_f32 v9, null, v8, v8, v5
	s_delay_alu instid0(VALU_DEP_1) | instskip(SKIP_1) | instid1(TRANS32_DEP_1)
	v_rcp_f32_e32 v12, v9
	v_nop
	v_fma_f32 v13, -v9, v12, 1.0
	s_delay_alu instid0(VALU_DEP_1) | instskip(SKIP_1) | instid1(VALU_DEP_1)
	v_fmac_f32_e32 v12, v13, v12
	v_div_scale_f32 v13, vcc_lo, v5, v8, v5
	v_mul_f32_e32 v20, v13, v12
	s_delay_alu instid0(VALU_DEP_1) | instskip(NEXT) | instid1(VALU_DEP_1)
	v_fma_f32 v21, -v9, v20, v13
	v_fmac_f32_e32 v20, v21, v12
	s_delay_alu instid0(VALU_DEP_1) | instskip(NEXT) | instid1(VALU_DEP_1)
	v_fma_f32 v9, -v9, v20, v13
	v_div_fmas_f32 v9, v9, v12, v20
	s_delay_alu instid0(VALU_DEP_1) | instskip(NEXT) | instid1(VALU_DEP_1)
	v_div_fixup_f32 v5, v9, v8, v5
	v_cvt_f16_f32_e32 v5, v5
.LBB67_67:
	s_or_b32 exec_lo, exec_lo, s11
	v_perm_b32 v41, v41, v43, 0x5040100
	v_perm_b32 v40, v40, v42, 0x5040100
	;; [unrolled: 1-line block ×16, first 2 shown]
	s_add_nc_u64 s[16:17], s[4:5], s[8:9]
	s_clause 0x3
	global_store_b128 v0, v[38:41], s[16:17] scale_offset
	global_store_b128 v0, v[26:29], s[16:17] offset:8192 scale_offset
	global_store_b128 v0, v[14:17], s[16:17] offset:16384 scale_offset
	;; [unrolled: 1-line block ×3, first 2 shown]
	s_branch .LBB67_2
.LBB67_68:
	s_clause 0x1
	s_load_b32 s11, s[0:1], 0x2c
	s_load_b128 s[16:19], s[0:1], 0x30
	v_dual_mov_b32 v31, v0 :: v_dual_mov_b32 v0, s13
	v_dual_mov_b32 v1, s14 :: v_dual_mov_b32 v2, s4
	;; [unrolled: 1-line block ×5, first 2 shown]
	s_add_nc_u64 s[8:9], s[0:1], 64
	s_wait_xcnt 0x0
	s_get_pc_i64 s[0:1]
	s_add_nc_u64 s[0:1], s[0:1], _ZN2at6native25elementwise_kernel_helperILb1EZZZNS0_12_GLOBAL__N_124softplus_backward_kernelERNS_18TensorIteratorBaseERKN3c106ScalarES8_ENKUlvE_clEvENKUlvE0_clEvEUlffE_NS0_6memory8policies11unroll_baseILi512ESt5arrayIPcLm3EE23TrivialOffsetCalculatorILi2EjESI_ILi1EjENSC_12LoadWithCastILi2EEENSC_13StoreWithCastILi1EEELi32ELi1EEEEEvT0_T1_@rel64+4
	s_wait_kmcnt 0x0
	s_bfe_u32 s12, s11, 0x80008
	v_dual_mov_b32 v9, s11 :: v_dual_mov_b32 v11, s16
	v_dual_mov_b32 v12, s17 :: v_dual_mov_b32 v13, s18
	;; [unrolled: 1-line block ×3, first 2 shown]
	s_swap_pc_i64 s[30:31], s[0:1]
	s_endpgm
	.section	.rodata,"a",@progbits
	.p2align	6, 0x0
	.amdhsa_kernel _ZN2at6native39vectorized_templated_elementwise_kernelILi8EZZZNS0_12_GLOBAL__N_124softplus_backward_kernelERNS_18TensorIteratorBaseERKN3c106ScalarES8_ENKUlvE_clEvENKUlvE0_clEvEUlffE_St5arrayIPcLm3EE23TrivialOffsetCalculatorILi2EjESF_ILi1EjENS0_6memory12LoadWithCastILi2EEENSI_13StoreWithCastILi1EEENS5_4HalfEJSN_fEEEviT0_T1_T2_T3_T4_T5_
		.amdhsa_group_segment_fixed_size 0
		.amdhsa_private_segment_fixed_size 272
		.amdhsa_kernarg_size 320
		.amdhsa_user_sgpr_count 2
		.amdhsa_user_sgpr_dispatch_ptr 0
		.amdhsa_user_sgpr_queue_ptr 0
		.amdhsa_user_sgpr_kernarg_segment_ptr 1
		.amdhsa_user_sgpr_dispatch_id 0
		.amdhsa_user_sgpr_kernarg_preload_length 0
		.amdhsa_user_sgpr_kernarg_preload_offset 0
		.amdhsa_user_sgpr_private_segment_size 0
		.amdhsa_wavefront_size32 1
		.amdhsa_uses_dynamic_stack 0
		.amdhsa_enable_private_segment 1
		.amdhsa_system_sgpr_workgroup_id_x 1
		.amdhsa_system_sgpr_workgroup_id_y 0
		.amdhsa_system_sgpr_workgroup_id_z 0
		.amdhsa_system_sgpr_workgroup_info 0
		.amdhsa_system_vgpr_workitem_id 0
		.amdhsa_next_free_vgpr 132
		.amdhsa_next_free_sgpr 96
		.amdhsa_named_barrier_count 0
		.amdhsa_reserve_vcc 1
		.amdhsa_float_round_mode_32 0
		.amdhsa_float_round_mode_16_64 0
		.amdhsa_float_denorm_mode_32 3
		.amdhsa_float_denorm_mode_16_64 3
		.amdhsa_fp16_overflow 0
		.amdhsa_memory_ordered 1
		.amdhsa_forward_progress 1
		.amdhsa_inst_pref_size 72
		.amdhsa_round_robin_scheduling 0
		.amdhsa_exception_fp_ieee_invalid_op 0
		.amdhsa_exception_fp_denorm_src 0
		.amdhsa_exception_fp_ieee_div_zero 0
		.amdhsa_exception_fp_ieee_overflow 0
		.amdhsa_exception_fp_ieee_underflow 0
		.amdhsa_exception_fp_ieee_inexact 0
		.amdhsa_exception_int_div_zero 0
	.end_amdhsa_kernel
	.section	.text._ZN2at6native39vectorized_templated_elementwise_kernelILi8EZZZNS0_12_GLOBAL__N_124softplus_backward_kernelERNS_18TensorIteratorBaseERKN3c106ScalarES8_ENKUlvE_clEvENKUlvE0_clEvEUlffE_St5arrayIPcLm3EE23TrivialOffsetCalculatorILi2EjESF_ILi1EjENS0_6memory12LoadWithCastILi2EEENSI_13StoreWithCastILi1EEENS5_4HalfEJSN_fEEEviT0_T1_T2_T3_T4_T5_,"axG",@progbits,_ZN2at6native39vectorized_templated_elementwise_kernelILi8EZZZNS0_12_GLOBAL__N_124softplus_backward_kernelERNS_18TensorIteratorBaseERKN3c106ScalarES8_ENKUlvE_clEvENKUlvE0_clEvEUlffE_St5arrayIPcLm3EE23TrivialOffsetCalculatorILi2EjESF_ILi1EjENS0_6memory12LoadWithCastILi2EEENSI_13StoreWithCastILi1EEENS5_4HalfEJSN_fEEEviT0_T1_T2_T3_T4_T5_,comdat
.Lfunc_end67:
	.size	_ZN2at6native39vectorized_templated_elementwise_kernelILi8EZZZNS0_12_GLOBAL__N_124softplus_backward_kernelERNS_18TensorIteratorBaseERKN3c106ScalarES8_ENKUlvE_clEvENKUlvE0_clEvEUlffE_St5arrayIPcLm3EE23TrivialOffsetCalculatorILi2EjESF_ILi1EjENS0_6memory12LoadWithCastILi2EEENSI_13StoreWithCastILi1EEENS5_4HalfEJSN_fEEEviT0_T1_T2_T3_T4_T5_, .Lfunc_end67-_ZN2at6native39vectorized_templated_elementwise_kernelILi8EZZZNS0_12_GLOBAL__N_124softplus_backward_kernelERNS_18TensorIteratorBaseERKN3c106ScalarES8_ENKUlvE_clEvENKUlvE0_clEvEUlffE_St5arrayIPcLm3EE23TrivialOffsetCalculatorILi2EjESF_ILi1EjENS0_6memory12LoadWithCastILi2EEENSI_13StoreWithCastILi1EEENS5_4HalfEJSN_fEEEviT0_T1_T2_T3_T4_T5_
                                        ; -- End function
	.set _ZN2at6native39vectorized_templated_elementwise_kernelILi8EZZZNS0_12_GLOBAL__N_124softplus_backward_kernelERNS_18TensorIteratorBaseERKN3c106ScalarES8_ENKUlvE_clEvENKUlvE0_clEvEUlffE_St5arrayIPcLm3EE23TrivialOffsetCalculatorILi2EjESF_ILi1EjENS0_6memory12LoadWithCastILi2EEENSI_13StoreWithCastILi1EEENS5_4HalfEJSN_fEEEviT0_T1_T2_T3_T4_T5_.num_vgpr, max(55, .L_ZN2at6native25elementwise_kernel_helperILb1EZZZNS0_12_GLOBAL__N_124softplus_backward_kernelERNS_18TensorIteratorBaseERKN3c106ScalarES8_ENKUlvE_clEvENKUlvE0_clEvEUlffE_NS0_6memory8policies11unroll_baseILi512ESt5arrayIPcLm3EE23TrivialOffsetCalculatorILi2EjESI_ILi1EjENSC_12LoadWithCastILi2EEENSC_13StoreWithCastILi1EEELi32ELi1EEEEEvT0_T1_.num_vgpr)
	.set _ZN2at6native39vectorized_templated_elementwise_kernelILi8EZZZNS0_12_GLOBAL__N_124softplus_backward_kernelERNS_18TensorIteratorBaseERKN3c106ScalarES8_ENKUlvE_clEvENKUlvE0_clEvEUlffE_St5arrayIPcLm3EE23TrivialOffsetCalculatorILi2EjESF_ILi1EjENS0_6memory12LoadWithCastILi2EEENSI_13StoreWithCastILi1EEENS5_4HalfEJSN_fEEEviT0_T1_T2_T3_T4_T5_.num_agpr, max(0, .L_ZN2at6native25elementwise_kernel_helperILb1EZZZNS0_12_GLOBAL__N_124softplus_backward_kernelERNS_18TensorIteratorBaseERKN3c106ScalarES8_ENKUlvE_clEvENKUlvE0_clEvEUlffE_NS0_6memory8policies11unroll_baseILi512ESt5arrayIPcLm3EE23TrivialOffsetCalculatorILi2EjESI_ILi1EjENSC_12LoadWithCastILi2EEENSC_13StoreWithCastILi1EEELi32ELi1EEEEEvT0_T1_.num_agpr)
	.set _ZN2at6native39vectorized_templated_elementwise_kernelILi8EZZZNS0_12_GLOBAL__N_124softplus_backward_kernelERNS_18TensorIteratorBaseERKN3c106ScalarES8_ENKUlvE_clEvENKUlvE0_clEvEUlffE_St5arrayIPcLm3EE23TrivialOffsetCalculatorILi2EjESF_ILi1EjENS0_6memory12LoadWithCastILi2EEENSI_13StoreWithCastILi1EEENS5_4HalfEJSN_fEEEviT0_T1_T2_T3_T4_T5_.numbered_sgpr, max(33, .L_ZN2at6native25elementwise_kernel_helperILb1EZZZNS0_12_GLOBAL__N_124softplus_backward_kernelERNS_18TensorIteratorBaseERKN3c106ScalarES8_ENKUlvE_clEvENKUlvE0_clEvEUlffE_NS0_6memory8policies11unroll_baseILi512ESt5arrayIPcLm3EE23TrivialOffsetCalculatorILi2EjESI_ILi1EjENSC_12LoadWithCastILi2EEENSC_13StoreWithCastILi1EEELi32ELi1EEEEEvT0_T1_.numbered_sgpr)
	.set _ZN2at6native39vectorized_templated_elementwise_kernelILi8EZZZNS0_12_GLOBAL__N_124softplus_backward_kernelERNS_18TensorIteratorBaseERKN3c106ScalarES8_ENKUlvE_clEvENKUlvE0_clEvEUlffE_St5arrayIPcLm3EE23TrivialOffsetCalculatorILi2EjESF_ILi1EjENS0_6memory12LoadWithCastILi2EEENSI_13StoreWithCastILi1EEENS5_4HalfEJSN_fEEEviT0_T1_T2_T3_T4_T5_.num_named_barrier, max(0, .L_ZN2at6native25elementwise_kernel_helperILb1EZZZNS0_12_GLOBAL__N_124softplus_backward_kernelERNS_18TensorIteratorBaseERKN3c106ScalarES8_ENKUlvE_clEvENKUlvE0_clEvEUlffE_NS0_6memory8policies11unroll_baseILi512ESt5arrayIPcLm3EE23TrivialOffsetCalculatorILi2EjESI_ILi1EjENSC_12LoadWithCastILi2EEENSC_13StoreWithCastILi1EEELi32ELi1EEEEEvT0_T1_.num_named_barrier)
	.set _ZN2at6native39vectorized_templated_elementwise_kernelILi8EZZZNS0_12_GLOBAL__N_124softplus_backward_kernelERNS_18TensorIteratorBaseERKN3c106ScalarES8_ENKUlvE_clEvENKUlvE0_clEvEUlffE_St5arrayIPcLm3EE23TrivialOffsetCalculatorILi2EjESF_ILi1EjENS0_6memory12LoadWithCastILi2EEENSI_13StoreWithCastILi1EEENS5_4HalfEJSN_fEEEviT0_T1_T2_T3_T4_T5_.private_seg_size, 0+max(.L_ZN2at6native25elementwise_kernel_helperILb1EZZZNS0_12_GLOBAL__N_124softplus_backward_kernelERNS_18TensorIteratorBaseERKN3c106ScalarES8_ENKUlvE_clEvENKUlvE0_clEvEUlffE_NS0_6memory8policies11unroll_baseILi512ESt5arrayIPcLm3EE23TrivialOffsetCalculatorILi2EjESI_ILi1EjENSC_12LoadWithCastILi2EEENSC_13StoreWithCastILi1EEELi32ELi1EEEEEvT0_T1_.private_seg_size)
	.set _ZN2at6native39vectorized_templated_elementwise_kernelILi8EZZZNS0_12_GLOBAL__N_124softplus_backward_kernelERNS_18TensorIteratorBaseERKN3c106ScalarES8_ENKUlvE_clEvENKUlvE0_clEvEUlffE_St5arrayIPcLm3EE23TrivialOffsetCalculatorILi2EjESF_ILi1EjENS0_6memory12LoadWithCastILi2EEENSI_13StoreWithCastILi1EEENS5_4HalfEJSN_fEEEviT0_T1_T2_T3_T4_T5_.uses_vcc, or(1, .L_ZN2at6native25elementwise_kernel_helperILb1EZZZNS0_12_GLOBAL__N_124softplus_backward_kernelERNS_18TensorIteratorBaseERKN3c106ScalarES8_ENKUlvE_clEvENKUlvE0_clEvEUlffE_NS0_6memory8policies11unroll_baseILi512ESt5arrayIPcLm3EE23TrivialOffsetCalculatorILi2EjESI_ILi1EjENSC_12LoadWithCastILi2EEENSC_13StoreWithCastILi1EEELi32ELi1EEEEEvT0_T1_.uses_vcc)
	.set _ZN2at6native39vectorized_templated_elementwise_kernelILi8EZZZNS0_12_GLOBAL__N_124softplus_backward_kernelERNS_18TensorIteratorBaseERKN3c106ScalarES8_ENKUlvE_clEvENKUlvE0_clEvEUlffE_St5arrayIPcLm3EE23TrivialOffsetCalculatorILi2EjESF_ILi1EjENS0_6memory12LoadWithCastILi2EEENSI_13StoreWithCastILi1EEENS5_4HalfEJSN_fEEEviT0_T1_T2_T3_T4_T5_.uses_flat_scratch, or(0, .L_ZN2at6native25elementwise_kernel_helperILb1EZZZNS0_12_GLOBAL__N_124softplus_backward_kernelERNS_18TensorIteratorBaseERKN3c106ScalarES8_ENKUlvE_clEvENKUlvE0_clEvEUlffE_NS0_6memory8policies11unroll_baseILi512ESt5arrayIPcLm3EE23TrivialOffsetCalculatorILi2EjESI_ILi1EjENSC_12LoadWithCastILi2EEENSC_13StoreWithCastILi1EEELi32ELi1EEEEEvT0_T1_.uses_flat_scratch)
	.set _ZN2at6native39vectorized_templated_elementwise_kernelILi8EZZZNS0_12_GLOBAL__N_124softplus_backward_kernelERNS_18TensorIteratorBaseERKN3c106ScalarES8_ENKUlvE_clEvENKUlvE0_clEvEUlffE_St5arrayIPcLm3EE23TrivialOffsetCalculatorILi2EjESF_ILi1EjENS0_6memory12LoadWithCastILi2EEENSI_13StoreWithCastILi1EEENS5_4HalfEJSN_fEEEviT0_T1_T2_T3_T4_T5_.has_dyn_sized_stack, or(0, .L_ZN2at6native25elementwise_kernel_helperILb1EZZZNS0_12_GLOBAL__N_124softplus_backward_kernelERNS_18TensorIteratorBaseERKN3c106ScalarES8_ENKUlvE_clEvENKUlvE0_clEvEUlffE_NS0_6memory8policies11unroll_baseILi512ESt5arrayIPcLm3EE23TrivialOffsetCalculatorILi2EjESI_ILi1EjENSC_12LoadWithCastILi2EEENSC_13StoreWithCastILi1EEELi32ELi1EEEEEvT0_T1_.has_dyn_sized_stack)
	.set _ZN2at6native39vectorized_templated_elementwise_kernelILi8EZZZNS0_12_GLOBAL__N_124softplus_backward_kernelERNS_18TensorIteratorBaseERKN3c106ScalarES8_ENKUlvE_clEvENKUlvE0_clEvEUlffE_St5arrayIPcLm3EE23TrivialOffsetCalculatorILi2EjESF_ILi1EjENS0_6memory12LoadWithCastILi2EEENSI_13StoreWithCastILi1EEENS5_4HalfEJSN_fEEEviT0_T1_T2_T3_T4_T5_.has_recursion, or(0, .L_ZN2at6native25elementwise_kernel_helperILb1EZZZNS0_12_GLOBAL__N_124softplus_backward_kernelERNS_18TensorIteratorBaseERKN3c106ScalarES8_ENKUlvE_clEvENKUlvE0_clEvEUlffE_NS0_6memory8policies11unroll_baseILi512ESt5arrayIPcLm3EE23TrivialOffsetCalculatorILi2EjESI_ILi1EjENSC_12LoadWithCastILi2EEENSC_13StoreWithCastILi1EEELi32ELi1EEEEEvT0_T1_.has_recursion)
	.set _ZN2at6native39vectorized_templated_elementwise_kernelILi8EZZZNS0_12_GLOBAL__N_124softplus_backward_kernelERNS_18TensorIteratorBaseERKN3c106ScalarES8_ENKUlvE_clEvENKUlvE0_clEvEUlffE_St5arrayIPcLm3EE23TrivialOffsetCalculatorILi2EjESF_ILi1EjENS0_6memory12LoadWithCastILi2EEENSI_13StoreWithCastILi1EEENS5_4HalfEJSN_fEEEviT0_T1_T2_T3_T4_T5_.has_indirect_call, or(0, .L_ZN2at6native25elementwise_kernel_helperILb1EZZZNS0_12_GLOBAL__N_124softplus_backward_kernelERNS_18TensorIteratorBaseERKN3c106ScalarES8_ENKUlvE_clEvENKUlvE0_clEvEUlffE_NS0_6memory8policies11unroll_baseILi512ESt5arrayIPcLm3EE23TrivialOffsetCalculatorILi2EjESI_ILi1EjENSC_12LoadWithCastILi2EEENSC_13StoreWithCastILi1EEELi32ELi1EEEEEvT0_T1_.has_indirect_call)
	.section	.AMDGPU.csdata,"",@progbits
; Kernel info:
; codeLenInByte = 9096
; TotalNumSgprs: 98
; NumVgprs: 132
; ScratchSize: 272
; MemoryBound: 0
; FloatMode: 240
; IeeeMode: 1
; LDSByteSize: 0 bytes/workgroup (compile time only)
; SGPRBlocks: 0
; VGPRBlocks: 8
; NumSGPRsForWavesPerEU: 98
; NumVGPRsForWavesPerEU: 132
; NamedBarCnt: 0
; Occupancy: 7
; WaveLimiterHint : 1
; COMPUTE_PGM_RSRC2:SCRATCH_EN: 1
; COMPUTE_PGM_RSRC2:USER_SGPR: 2
; COMPUTE_PGM_RSRC2:TRAP_HANDLER: 0
; COMPUTE_PGM_RSRC2:TGID_X_EN: 1
; COMPUTE_PGM_RSRC2:TGID_Y_EN: 0
; COMPUTE_PGM_RSRC2:TGID_Z_EN: 0
; COMPUTE_PGM_RSRC2:TIDIG_COMP_CNT: 0
	.section	.text._ZN2at6native39vectorized_templated_elementwise_kernelILi4EZZZNS0_12_GLOBAL__N_124softplus_backward_kernelERNS_18TensorIteratorBaseERKN3c106ScalarES8_ENKUlvE_clEvENKUlvE0_clEvEUlffE_St5arrayIPcLm3EE23TrivialOffsetCalculatorILi2EjESF_ILi1EjENS0_6memory12LoadWithCastILi2EEENSI_13StoreWithCastILi1EEENS5_4HalfEJSN_fEEEviT0_T1_T2_T3_T4_T5_,"axG",@progbits,_ZN2at6native39vectorized_templated_elementwise_kernelILi4EZZZNS0_12_GLOBAL__N_124softplus_backward_kernelERNS_18TensorIteratorBaseERKN3c106ScalarES8_ENKUlvE_clEvENKUlvE0_clEvEUlffE_St5arrayIPcLm3EE23TrivialOffsetCalculatorILi2EjESF_ILi1EjENS0_6memory12LoadWithCastILi2EEENSI_13StoreWithCastILi1EEENS5_4HalfEJSN_fEEEviT0_T1_T2_T3_T4_T5_,comdat
	.globl	_ZN2at6native39vectorized_templated_elementwise_kernelILi4EZZZNS0_12_GLOBAL__N_124softplus_backward_kernelERNS_18TensorIteratorBaseERKN3c106ScalarES8_ENKUlvE_clEvENKUlvE0_clEvEUlffE_St5arrayIPcLm3EE23TrivialOffsetCalculatorILi2EjESF_ILi1EjENS0_6memory12LoadWithCastILi2EEENSI_13StoreWithCastILi1EEENS5_4HalfEJSN_fEEEviT0_T1_T2_T3_T4_T5_ ; -- Begin function _ZN2at6native39vectorized_templated_elementwise_kernelILi4EZZZNS0_12_GLOBAL__N_124softplus_backward_kernelERNS_18TensorIteratorBaseERKN3c106ScalarES8_ENKUlvE_clEvENKUlvE0_clEvEUlffE_St5arrayIPcLm3EE23TrivialOffsetCalculatorILi2EjESF_ILi1EjENS0_6memory12LoadWithCastILi2EEENSI_13StoreWithCastILi1EEENS5_4HalfEJSN_fEEEviT0_T1_T2_T3_T4_T5_
	.p2align	8
	.type	_ZN2at6native39vectorized_templated_elementwise_kernelILi4EZZZNS0_12_GLOBAL__N_124softplus_backward_kernelERNS_18TensorIteratorBaseERKN3c106ScalarES8_ENKUlvE_clEvENKUlvE0_clEvEUlffE_St5arrayIPcLm3EE23TrivialOffsetCalculatorILi2EjESF_ILi1EjENS0_6memory12LoadWithCastILi2EEENSI_13StoreWithCastILi1EEENS5_4HalfEJSN_fEEEviT0_T1_T2_T3_T4_T5_,@function
_ZN2at6native39vectorized_templated_elementwise_kernelILi4EZZZNS0_12_GLOBAL__N_124softplus_backward_kernelERNS_18TensorIteratorBaseERKN3c106ScalarES8_ENKUlvE_clEvENKUlvE0_clEvEUlffE_St5arrayIPcLm3EE23TrivialOffsetCalculatorILi2EjESF_ILi1EjENS0_6memory12LoadWithCastILi2EEENSI_13StoreWithCastILi1EEENS5_4HalfEJSN_fEEEviT0_T1_T2_T3_T4_T5_: ; @_ZN2at6native39vectorized_templated_elementwise_kernelILi4EZZZNS0_12_GLOBAL__N_124softplus_backward_kernelERNS_18TensorIteratorBaseERKN3c106ScalarES8_ENKUlvE_clEvENKUlvE0_clEvEUlffE_St5arrayIPcLm3EE23TrivialOffsetCalculatorILi2EjESF_ILi1EjENS0_6memory12LoadWithCastILi2EEENSI_13StoreWithCastILi1EEENS5_4HalfEJSN_fEEEviT0_T1_T2_T3_T4_T5_
; %bb.0:
	s_clause 0x2
	s_load_b32 s8, s[0:1], 0x40
	s_load_b96 s[12:14], s[0:1], 0x0
	s_load_b64 s[2:3], s[0:1], 0x20
	s_bfe_u32 s9, ttmp6, 0x4000c
	s_load_b128 s[4:7], s[0:1], 0x10
	s_add_co_i32 s9, s9, 1
	s_and_b32 s10, ttmp6, 15
	s_mul_i32 s9, ttmp9, s9
	s_getreg_b32 s11, hwreg(HW_REG_IB_STS2, 6, 4)
	s_add_co_i32 s10, s10, s9
	s_cmp_eq_u32 s11, 0
	s_mov_b32 s32, 0
	s_cselect_b32 s9, ttmp9, s10
	s_delay_alu instid0(SALU_CYCLE_1) | instskip(SKIP_4) | instid1(SALU_CYCLE_1)
	s_not_b32 s9, s9
	s_wait_kmcnt 0x0
	s_add_co_i32 s8, s8, s9
	s_mov_b32 s9, -1
	s_lshl_b32 s8, s8, 14
	s_sub_co_i32 s10, s12, s8
	s_delay_alu instid0(SALU_CYCLE_1)
	s_cmp_gt_i32 s10, 0x3fff
	s_cbranch_scc1 .LBB68_3
; %bb.1:
	s_and_b32 vcc_lo, exec_lo, s9
	s_cbranch_vccnz .LBB68_68
.LBB68_2:
	s_sendmsg sendmsg(MSG_DEALLOC_VGPRS)
	s_endpgm
.LBB68_3:
	s_ashr_i32 s9, s8, 31
	s_mov_b32 s11, exec_lo
	s_lshl_b64 s[16:17], s[8:9], 2
	s_lshl_b64 s[8:9], s[8:9], 1
	s_add_nc_u64 s[16:17], s[2:3], s[16:17]
	s_add_nc_u64 s[18:19], s[6:7], s[8:9]
	s_clause 0xf
	global_load_b128 v[30:33], v0, s[16:17] scale_offset
	global_load_b64 v[48:49], v0, s[18:19] scale_offset
	global_load_b64 v[46:47], v0, s[18:19] offset:4096 scale_offset
	global_load_b64 v[44:45], v0, s[18:19] offset:8192 scale_offset
	;; [unrolled: 1-line block ×7, first 2 shown]
	global_load_b128 v[26:29], v0, s[16:17] offset:8192 scale_offset
	global_load_b128 v[22:25], v0, s[16:17] offset:16384 scale_offset
	global_load_b128 v[18:21], v0, s[16:17] offset:24576 scale_offset
	global_load_b128 v[14:17], v0, s[16:17] offset:32768 scale_offset
	global_load_b128 v[10:13], v0, s[16:17] offset:40960 scale_offset
	global_load_b128 v[6:9], v0, s[16:17] offset:49152 scale_offset
	global_load_b128 v[2:5], v0, s[16:17] offset:57344 scale_offset
	s_wait_loadcnt 0xf
	v_cvt_f16_f32_e32 v1, v30
	s_delay_alu instid0(VALU_DEP_1) | instskip(SKIP_1) | instid1(VALU_DEP_1)
	v_cvt_f32_f16_e32 v1, v1
	s_wait_loadcnt 0xe
	v_dual_mul_f32 v30, s13, v1 :: v_dual_mov_b32 v1, v48
	s_wait_xcnt 0x0
	s_delay_alu instid0(VALU_DEP_1)
	v_cmpx_nlt_f32_e32 s14, v30
	s_cbranch_execz .LBB68_5
; %bb.4:
	v_mul_f32_e32 v1, 0x3fb8aa3b, v30
	v_cmp_ngt_f32_e32 vcc_lo, 0xc2ce8ed0, v30
	s_delay_alu instid0(VALU_DEP_2) | instskip(SKIP_1) | instid1(VALU_DEP_2)
	v_rndne_f32_e32 v50, v1
	v_fma_f32 v51, 0x3fb8aa3b, v30, -v1
	v_sub_f32_e32 v1, v1, v50
	s_delay_alu instid0(VALU_DEP_2) | instskip(SKIP_1) | instid1(VALU_DEP_2)
	v_fmamk_f32 v51, v30, 0x32a5705f, v51
	v_cvt_i32_f32_e32 v50, v50
	v_add_f32_e32 v1, v1, v51
	s_delay_alu instid0(VALU_DEP_1) | instskip(SKIP_1) | instid1(TRANS32_DEP_1)
	v_exp_f32_e32 v1, v1
	v_nop
	v_ldexp_f32 v1, v1, v50
	v_cvt_f32_f16_e32 v50, v48
	s_delay_alu instid0(VALU_DEP_2) | instskip(SKIP_1) | instid1(VALU_DEP_2)
	v_cndmask_b32_e32 v1, 0, v1, vcc_lo
	v_cmp_nlt_f32_e32 vcc_lo, 0x42b17218, v30
	v_cndmask_b32_e32 v1, 0x7f800000, v1, vcc_lo
	s_delay_alu instid0(VALU_DEP_1) | instskip(NEXT) | instid1(VALU_DEP_1)
	v_dual_mul_f32 v30, v1, v50 :: v_dual_add_f32 v1, 1.0, v1
	v_div_scale_f32 v50, null, v1, v1, v30
	s_delay_alu instid0(VALU_DEP_1) | instskip(SKIP_1) | instid1(TRANS32_DEP_1)
	v_rcp_f32_e32 v51, v50
	v_nop
	v_fma_f32 v52, -v50, v51, 1.0
	s_delay_alu instid0(VALU_DEP_1) | instskip(SKIP_1) | instid1(VALU_DEP_1)
	v_fmac_f32_e32 v51, v52, v51
	v_div_scale_f32 v52, vcc_lo, v30, v1, v30
	v_mul_f32_e32 v53, v52, v51
	s_delay_alu instid0(VALU_DEP_1) | instskip(NEXT) | instid1(VALU_DEP_1)
	v_fma_f32 v54, -v50, v53, v52
	v_fmac_f32_e32 v53, v54, v51
	s_delay_alu instid0(VALU_DEP_1) | instskip(NEXT) | instid1(VALU_DEP_1)
	v_fma_f32 v50, -v50, v53, v52
	v_div_fmas_f32 v50, v50, v51, v53
	s_delay_alu instid0(VALU_DEP_1) | instskip(NEXT) | instid1(VALU_DEP_1)
	v_div_fixup_f32 v1, v50, v1, v30
	v_cvt_f16_f32_e32 v1, v1
.LBB68_5:
	s_or_b32 exec_lo, exec_lo, s11
	v_cvt_f16_f32_e32 v30, v31
	s_mov_b32 s11, exec_lo
	s_delay_alu instid0(VALU_DEP_1) | instskip(NEXT) | instid1(VALU_DEP_1)
	v_cvt_f32_f16_e32 v30, v30
	v_dual_mul_f32 v31, s13, v30 :: v_dual_lshrrev_b32 v30, 16, v48
	s_delay_alu instid0(VALU_DEP_1)
	v_cmpx_nlt_f32_e32 s14, v31
	s_cbranch_execz .LBB68_7
; %bb.6:
	v_mul_f32_e32 v48, 0x3fb8aa3b, v31
	s_delay_alu instid0(VALU_DEP_3) | instskip(SKIP_1) | instid1(VALU_DEP_3)
	v_cvt_f32_f16_e32 v30, v30
	v_cmp_ngt_f32_e32 vcc_lo, 0xc2ce8ed0, v31
	v_rndne_f32_e32 v50, v48
	v_fma_f32 v51, 0x3fb8aa3b, v31, -v48
	s_delay_alu instid0(VALU_DEP_1) | instskip(SKIP_1) | instid1(VALU_DEP_2)
	v_dual_sub_f32 v48, v48, v50 :: v_dual_fmamk_f32 v51, v31, 0x32a5705f, v51
	v_cvt_i32_f32_e32 v50, v50
	v_add_f32_e32 v48, v48, v51
	s_delay_alu instid0(VALU_DEP_1) | instskip(SKIP_1) | instid1(TRANS32_DEP_1)
	v_exp_f32_e32 v48, v48
	v_nop
	v_ldexp_f32 v48, v48, v50
	s_delay_alu instid0(VALU_DEP_1) | instskip(SKIP_1) | instid1(VALU_DEP_2)
	v_cndmask_b32_e32 v48, 0, v48, vcc_lo
	v_cmp_nlt_f32_e32 vcc_lo, 0x42b17218, v31
	v_cndmask_b32_e32 v31, 0x7f800000, v48, vcc_lo
	s_delay_alu instid0(VALU_DEP_1) | instskip(NEXT) | instid1(VALU_DEP_1)
	v_dual_mul_f32 v30, v31, v30 :: v_dual_add_f32 v31, 1.0, v31
	v_div_scale_f32 v48, null, v31, v31, v30
	s_delay_alu instid0(VALU_DEP_1) | instskip(SKIP_1) | instid1(TRANS32_DEP_1)
	v_rcp_f32_e32 v50, v48
	v_nop
	v_fma_f32 v51, -v48, v50, 1.0
	s_delay_alu instid0(VALU_DEP_1) | instskip(SKIP_1) | instid1(VALU_DEP_1)
	v_fmac_f32_e32 v50, v51, v50
	v_div_scale_f32 v51, vcc_lo, v30, v31, v30
	v_mul_f32_e32 v52, v51, v50
	s_delay_alu instid0(VALU_DEP_1) | instskip(NEXT) | instid1(VALU_DEP_1)
	v_fma_f32 v53, -v48, v52, v51
	v_fmac_f32_e32 v52, v53, v50
	s_delay_alu instid0(VALU_DEP_1) | instskip(NEXT) | instid1(VALU_DEP_1)
	v_fma_f32 v48, -v48, v52, v51
	v_div_fmas_f32 v48, v48, v50, v52
	s_delay_alu instid0(VALU_DEP_1) | instskip(NEXT) | instid1(VALU_DEP_1)
	v_div_fixup_f32 v30, v48, v31, v30
	v_cvt_f16_f32_e32 v30, v30
.LBB68_7:
	s_or_b32 exec_lo, exec_lo, s11
	v_cvt_f16_f32_e32 v31, v32
	s_mov_b32 s11, exec_lo
	s_delay_alu instid0(VALU_DEP_1) | instskip(NEXT) | instid1(VALU_DEP_1)
	v_cvt_f32_f16_e32 v31, v31
	v_dual_mul_f32 v32, s13, v31 :: v_dual_mov_b32 v31, v49
	s_delay_alu instid0(VALU_DEP_1)
	v_cmpx_nlt_f32_e32 s14, v32
	s_cbranch_execz .LBB68_9
; %bb.8:
	v_mul_f32_e32 v31, 0x3fb8aa3b, v32
	v_cmp_ngt_f32_e32 vcc_lo, 0xc2ce8ed0, v32
	s_delay_alu instid0(VALU_DEP_2) | instskip(SKIP_1) | instid1(VALU_DEP_1)
	v_rndne_f32_e32 v48, v31
	v_fma_f32 v50, 0x3fb8aa3b, v32, -v31
	v_dual_sub_f32 v31, v31, v48 :: v_dual_fmamk_f32 v50, v32, 0x32a5705f, v50
	v_cvt_i32_f32_e32 v48, v48
	s_delay_alu instid0(VALU_DEP_2) | instskip(NEXT) | instid1(VALU_DEP_1)
	v_add_f32_e32 v31, v31, v50
	v_exp_f32_e32 v31, v31
	v_nop
	s_delay_alu instid0(TRANS32_DEP_1) | instskip(SKIP_1) | instid1(VALU_DEP_2)
	v_ldexp_f32 v31, v31, v48
	v_cvt_f32_f16_e32 v48, v49
	v_cndmask_b32_e32 v31, 0, v31, vcc_lo
	v_cmp_nlt_f32_e32 vcc_lo, 0x42b17218, v32
	s_delay_alu instid0(VALU_DEP_2) | instskip(NEXT) | instid1(VALU_DEP_1)
	v_cndmask_b32_e32 v31, 0x7f800000, v31, vcc_lo
	v_dual_mul_f32 v32, v31, v48 :: v_dual_add_f32 v31, 1.0, v31
	s_delay_alu instid0(VALU_DEP_1) | instskip(NEXT) | instid1(VALU_DEP_1)
	v_div_scale_f32 v48, null, v31, v31, v32
	v_rcp_f32_e32 v50, v48
	v_nop
	s_delay_alu instid0(TRANS32_DEP_1) | instskip(NEXT) | instid1(VALU_DEP_1)
	v_fma_f32 v51, -v48, v50, 1.0
	v_fmac_f32_e32 v50, v51, v50
	v_div_scale_f32 v51, vcc_lo, v32, v31, v32
	s_delay_alu instid0(VALU_DEP_1) | instskip(NEXT) | instid1(VALU_DEP_1)
	v_mul_f32_e32 v52, v51, v50
	v_fma_f32 v53, -v48, v52, v51
	s_delay_alu instid0(VALU_DEP_1) | instskip(NEXT) | instid1(VALU_DEP_1)
	v_fmac_f32_e32 v52, v53, v50
	v_fma_f32 v48, -v48, v52, v51
	s_delay_alu instid0(VALU_DEP_1) | instskip(NEXT) | instid1(VALU_DEP_1)
	v_div_fmas_f32 v48, v48, v50, v52
	v_div_fixup_f32 v31, v48, v31, v32
	s_delay_alu instid0(VALU_DEP_1)
	v_cvt_f16_f32_e32 v31, v31
.LBB68_9:
	s_or_b32 exec_lo, exec_lo, s11
	v_cvt_f16_f32_e32 v32, v33
	s_mov_b32 s11, exec_lo
	s_delay_alu instid0(VALU_DEP_1) | instskip(NEXT) | instid1(VALU_DEP_1)
	v_cvt_f32_f16_e32 v32, v32
	v_dual_mul_f32 v33, s13, v32 :: v_dual_lshrrev_b32 v32, 16, v49
	s_delay_alu instid0(VALU_DEP_1)
	v_cmpx_nlt_f32_e32 s14, v33
	s_cbranch_execz .LBB68_11
; %bb.10:
	v_mul_f32_e32 v48, 0x3fb8aa3b, v33
	s_delay_alu instid0(VALU_DEP_3) | instskip(SKIP_1) | instid1(VALU_DEP_3)
	v_cvt_f32_f16_e32 v32, v32
	v_cmp_ngt_f32_e32 vcc_lo, 0xc2ce8ed0, v33
	v_rndne_f32_e32 v49, v48
	v_fma_f32 v50, 0x3fb8aa3b, v33, -v48
	s_delay_alu instid0(VALU_DEP_2) | instskip(NEXT) | instid1(VALU_DEP_2)
	v_sub_f32_e32 v48, v48, v49
	v_fmamk_f32 v50, v33, 0x32a5705f, v50
	v_cvt_i32_f32_e32 v49, v49
	s_delay_alu instid0(VALU_DEP_2) | instskip(NEXT) | instid1(VALU_DEP_1)
	v_add_f32_e32 v48, v48, v50
	v_exp_f32_e32 v48, v48
	v_nop
	s_delay_alu instid0(TRANS32_DEP_1) | instskip(NEXT) | instid1(VALU_DEP_1)
	v_ldexp_f32 v48, v48, v49
	v_cndmask_b32_e32 v48, 0, v48, vcc_lo
	v_cmp_nlt_f32_e32 vcc_lo, 0x42b17218, v33
	s_delay_alu instid0(VALU_DEP_2) | instskip(NEXT) | instid1(VALU_DEP_1)
	v_cndmask_b32_e32 v33, 0x7f800000, v48, vcc_lo
	v_dual_mul_f32 v32, v33, v32 :: v_dual_add_f32 v33, 1.0, v33
	s_delay_alu instid0(VALU_DEP_1) | instskip(NEXT) | instid1(VALU_DEP_1)
	v_div_scale_f32 v48, null, v33, v33, v32
	v_rcp_f32_e32 v49, v48
	v_nop
	s_delay_alu instid0(TRANS32_DEP_1) | instskip(NEXT) | instid1(VALU_DEP_1)
	v_fma_f32 v50, -v48, v49, 1.0
	v_fmac_f32_e32 v49, v50, v49
	v_div_scale_f32 v50, vcc_lo, v32, v33, v32
	s_delay_alu instid0(VALU_DEP_1) | instskip(NEXT) | instid1(VALU_DEP_1)
	v_mul_f32_e32 v51, v50, v49
	v_fma_f32 v52, -v48, v51, v50
	s_delay_alu instid0(VALU_DEP_1) | instskip(NEXT) | instid1(VALU_DEP_1)
	v_fmac_f32_e32 v51, v52, v49
	v_fma_f32 v48, -v48, v51, v50
	s_delay_alu instid0(VALU_DEP_1) | instskip(NEXT) | instid1(VALU_DEP_1)
	v_div_fmas_f32 v48, v48, v49, v51
	v_div_fixup_f32 v32, v48, v33, v32
	s_delay_alu instid0(VALU_DEP_1)
	v_cvt_f16_f32_e32 v32, v32
.LBB68_11:
	s_or_b32 exec_lo, exec_lo, s11
	s_wait_loadcnt 0x6
	v_cvt_f16_f32_e32 v26, v26
	s_mov_b32 s11, exec_lo
	s_delay_alu instid0(VALU_DEP_1) | instskip(NEXT) | instid1(VALU_DEP_1)
	v_cvt_f32_f16_e32 v26, v26
	v_dual_mul_f32 v33, s13, v26 :: v_dual_mov_b32 v26, v46
	s_delay_alu instid0(VALU_DEP_1)
	v_cmpx_nlt_f32_e32 s14, v33
	s_cbranch_execz .LBB68_13
; %bb.12:
	v_mul_f32_e32 v26, 0x3fb8aa3b, v33
	v_cmp_ngt_f32_e32 vcc_lo, 0xc2ce8ed0, v33
	s_delay_alu instid0(VALU_DEP_2) | instskip(SKIP_1) | instid1(VALU_DEP_1)
	v_rndne_f32_e32 v48, v26
	v_fma_f32 v49, 0x3fb8aa3b, v33, -v26
	v_dual_sub_f32 v26, v26, v48 :: v_dual_fmamk_f32 v49, v33, 0x32a5705f, v49
	v_cvt_i32_f32_e32 v48, v48
	s_delay_alu instid0(VALU_DEP_2) | instskip(NEXT) | instid1(VALU_DEP_1)
	v_add_f32_e32 v26, v26, v49
	v_exp_f32_e32 v26, v26
	v_nop
	s_delay_alu instid0(TRANS32_DEP_1) | instskip(SKIP_1) | instid1(VALU_DEP_2)
	v_ldexp_f32 v26, v26, v48
	v_cvt_f32_f16_e32 v48, v46
	v_cndmask_b32_e32 v26, 0, v26, vcc_lo
	v_cmp_nlt_f32_e32 vcc_lo, 0x42b17218, v33
	s_delay_alu instid0(VALU_DEP_2) | instskip(NEXT) | instid1(VALU_DEP_1)
	v_cndmask_b32_e32 v26, 0x7f800000, v26, vcc_lo
	v_dual_mul_f32 v33, v26, v48 :: v_dual_add_f32 v26, 1.0, v26
	s_delay_alu instid0(VALU_DEP_1) | instskip(NEXT) | instid1(VALU_DEP_1)
	v_div_scale_f32 v48, null, v26, v26, v33
	v_rcp_f32_e32 v49, v48
	v_nop
	s_delay_alu instid0(TRANS32_DEP_1) | instskip(NEXT) | instid1(VALU_DEP_1)
	v_fma_f32 v50, -v48, v49, 1.0
	v_fmac_f32_e32 v49, v50, v49
	v_div_scale_f32 v50, vcc_lo, v33, v26, v33
	s_delay_alu instid0(VALU_DEP_1) | instskip(NEXT) | instid1(VALU_DEP_1)
	v_mul_f32_e32 v51, v50, v49
	v_fma_f32 v52, -v48, v51, v50
	s_delay_alu instid0(VALU_DEP_1) | instskip(NEXT) | instid1(VALU_DEP_1)
	v_fmac_f32_e32 v51, v52, v49
	v_fma_f32 v48, -v48, v51, v50
	s_delay_alu instid0(VALU_DEP_1) | instskip(NEXT) | instid1(VALU_DEP_1)
	v_div_fmas_f32 v48, v48, v49, v51
	v_div_fixup_f32 v26, v48, v26, v33
	s_delay_alu instid0(VALU_DEP_1)
	v_cvt_f16_f32_e32 v26, v26
.LBB68_13:
	s_or_b32 exec_lo, exec_lo, s11
	v_cvt_f16_f32_e32 v27, v27
	s_mov_b32 s11, exec_lo
	s_delay_alu instid0(VALU_DEP_1) | instskip(NEXT) | instid1(VALU_DEP_1)
	v_cvt_f32_f16_e32 v27, v27
	v_dual_mul_f32 v33, s13, v27 :: v_dual_lshrrev_b32 v27, 16, v46
	s_delay_alu instid0(VALU_DEP_1)
	v_cmpx_nlt_f32_e32 s14, v33
	s_cbranch_execz .LBB68_15
; %bb.14:
	s_delay_alu instid0(VALU_DEP_2) | instskip(SKIP_2) | instid1(VALU_DEP_2)
	v_cvt_f32_f16_e32 v27, v27
	v_mul_f32_e32 v46, 0x3fb8aa3b, v33
	v_cmp_ngt_f32_e32 vcc_lo, 0xc2ce8ed0, v33
	v_rndne_f32_e32 v48, v46
	v_fma_f32 v49, 0x3fb8aa3b, v33, -v46
	s_delay_alu instid0(VALU_DEP_1) | instskip(SKIP_1) | instid1(VALU_DEP_2)
	v_dual_sub_f32 v46, v46, v48 :: v_dual_fmamk_f32 v49, v33, 0x32a5705f, v49
	v_cvt_i32_f32_e32 v48, v48
	v_add_f32_e32 v46, v46, v49
	s_delay_alu instid0(VALU_DEP_1) | instskip(SKIP_1) | instid1(TRANS32_DEP_1)
	v_exp_f32_e32 v46, v46
	v_nop
	v_ldexp_f32 v46, v46, v48
	s_delay_alu instid0(VALU_DEP_1) | instskip(SKIP_1) | instid1(VALU_DEP_2)
	v_cndmask_b32_e32 v46, 0, v46, vcc_lo
	v_cmp_nlt_f32_e32 vcc_lo, 0x42b17218, v33
	v_cndmask_b32_e32 v33, 0x7f800000, v46, vcc_lo
	s_delay_alu instid0(VALU_DEP_1) | instskip(NEXT) | instid1(VALU_DEP_1)
	v_dual_mul_f32 v27, v33, v27 :: v_dual_add_f32 v33, 1.0, v33
	v_div_scale_f32 v46, null, v33, v33, v27
	s_delay_alu instid0(VALU_DEP_1) | instskip(SKIP_1) | instid1(TRANS32_DEP_1)
	v_rcp_f32_e32 v48, v46
	v_nop
	v_fma_f32 v49, -v46, v48, 1.0
	s_delay_alu instid0(VALU_DEP_1) | instskip(SKIP_1) | instid1(VALU_DEP_1)
	v_fmac_f32_e32 v48, v49, v48
	v_div_scale_f32 v49, vcc_lo, v27, v33, v27
	v_mul_f32_e32 v50, v49, v48
	s_delay_alu instid0(VALU_DEP_1) | instskip(NEXT) | instid1(VALU_DEP_1)
	v_fma_f32 v51, -v46, v50, v49
	v_fmac_f32_e32 v50, v51, v48
	s_delay_alu instid0(VALU_DEP_1) | instskip(NEXT) | instid1(VALU_DEP_1)
	v_fma_f32 v46, -v46, v50, v49
	v_div_fmas_f32 v46, v46, v48, v50
	s_delay_alu instid0(VALU_DEP_1) | instskip(NEXT) | instid1(VALU_DEP_1)
	v_div_fixup_f32 v27, v46, v33, v27
	v_cvt_f16_f32_e32 v27, v27
.LBB68_15:
	s_or_b32 exec_lo, exec_lo, s11
	v_cvt_f16_f32_e32 v28, v28
	s_mov_b32 s11, exec_lo
	s_delay_alu instid0(VALU_DEP_1) | instskip(NEXT) | instid1(VALU_DEP_1)
	v_cvt_f32_f16_e32 v28, v28
	v_dual_mul_f32 v33, s13, v28 :: v_dual_mov_b32 v28, v47
	s_delay_alu instid0(VALU_DEP_1)
	v_cmpx_nlt_f32_e32 s14, v33
	s_cbranch_execz .LBB68_17
; %bb.16:
	v_mul_f32_e32 v28, 0x3fb8aa3b, v33
	v_cmp_ngt_f32_e32 vcc_lo, 0xc2ce8ed0, v33
	s_delay_alu instid0(VALU_DEP_2) | instskip(SKIP_1) | instid1(VALU_DEP_2)
	v_rndne_f32_e32 v46, v28
	v_fma_f32 v48, 0x3fb8aa3b, v33, -v28
	v_sub_f32_e32 v28, v28, v46
	s_delay_alu instid0(VALU_DEP_2) | instskip(SKIP_1) | instid1(VALU_DEP_2)
	v_fmamk_f32 v48, v33, 0x32a5705f, v48
	v_cvt_i32_f32_e32 v46, v46
	v_add_f32_e32 v28, v28, v48
	s_delay_alu instid0(VALU_DEP_1) | instskip(SKIP_1) | instid1(TRANS32_DEP_1)
	v_exp_f32_e32 v28, v28
	v_nop
	v_ldexp_f32 v28, v28, v46
	v_cvt_f32_f16_e32 v46, v47
	s_delay_alu instid0(VALU_DEP_2) | instskip(SKIP_1) | instid1(VALU_DEP_2)
	v_cndmask_b32_e32 v28, 0, v28, vcc_lo
	v_cmp_nlt_f32_e32 vcc_lo, 0x42b17218, v33
	v_cndmask_b32_e32 v28, 0x7f800000, v28, vcc_lo
	s_delay_alu instid0(VALU_DEP_1) | instskip(NEXT) | instid1(VALU_DEP_1)
	v_dual_mul_f32 v33, v28, v46 :: v_dual_add_f32 v28, 1.0, v28
	v_div_scale_f32 v46, null, v28, v28, v33
	s_delay_alu instid0(VALU_DEP_1) | instskip(SKIP_1) | instid1(TRANS32_DEP_1)
	v_rcp_f32_e32 v48, v46
	v_nop
	v_fma_f32 v49, -v46, v48, 1.0
	s_delay_alu instid0(VALU_DEP_1) | instskip(SKIP_1) | instid1(VALU_DEP_1)
	v_fmac_f32_e32 v48, v49, v48
	v_div_scale_f32 v49, vcc_lo, v33, v28, v33
	v_mul_f32_e32 v50, v49, v48
	s_delay_alu instid0(VALU_DEP_1) | instskip(NEXT) | instid1(VALU_DEP_1)
	v_fma_f32 v51, -v46, v50, v49
	v_fmac_f32_e32 v50, v51, v48
	s_delay_alu instid0(VALU_DEP_1) | instskip(NEXT) | instid1(VALU_DEP_1)
	v_fma_f32 v46, -v46, v50, v49
	v_div_fmas_f32 v46, v46, v48, v50
	s_delay_alu instid0(VALU_DEP_1) | instskip(NEXT) | instid1(VALU_DEP_1)
	v_div_fixup_f32 v28, v46, v28, v33
	v_cvt_f16_f32_e32 v28, v28
.LBB68_17:
	s_or_b32 exec_lo, exec_lo, s11
	v_cvt_f16_f32_e32 v29, v29
	s_mov_b32 s11, exec_lo
	s_delay_alu instid0(VALU_DEP_1) | instskip(NEXT) | instid1(VALU_DEP_1)
	v_cvt_f32_f16_e32 v29, v29
	v_dual_mul_f32 v33, s13, v29 :: v_dual_lshrrev_b32 v29, 16, v47
	s_delay_alu instid0(VALU_DEP_1)
	v_cmpx_nlt_f32_e32 s14, v33
	s_cbranch_execz .LBB68_19
; %bb.18:
	v_mul_f32_e32 v46, 0x3fb8aa3b, v33
	s_delay_alu instid0(VALU_DEP_3) | instskip(SKIP_1) | instid1(VALU_DEP_3)
	v_cvt_f32_f16_e32 v29, v29
	v_cmp_ngt_f32_e32 vcc_lo, 0xc2ce8ed0, v33
	v_rndne_f32_e32 v47, v46
	v_fma_f32 v48, 0x3fb8aa3b, v33, -v46
	s_delay_alu instid0(VALU_DEP_2) | instskip(NEXT) | instid1(VALU_DEP_2)
	v_sub_f32_e32 v46, v46, v47
	v_fmamk_f32 v48, v33, 0x32a5705f, v48
	v_cvt_i32_f32_e32 v47, v47
	s_delay_alu instid0(VALU_DEP_2) | instskip(NEXT) | instid1(VALU_DEP_1)
	v_add_f32_e32 v46, v46, v48
	v_exp_f32_e32 v46, v46
	v_nop
	s_delay_alu instid0(TRANS32_DEP_1) | instskip(NEXT) | instid1(VALU_DEP_1)
	v_ldexp_f32 v46, v46, v47
	v_cndmask_b32_e32 v46, 0, v46, vcc_lo
	v_cmp_nlt_f32_e32 vcc_lo, 0x42b17218, v33
	s_delay_alu instid0(VALU_DEP_2) | instskip(NEXT) | instid1(VALU_DEP_1)
	v_cndmask_b32_e32 v33, 0x7f800000, v46, vcc_lo
	v_mul_f32_e32 v29, v33, v29
	v_add_f32_e32 v33, 1.0, v33
	s_delay_alu instid0(VALU_DEP_1) | instskip(NEXT) | instid1(VALU_DEP_1)
	v_div_scale_f32 v46, null, v33, v33, v29
	v_rcp_f32_e32 v47, v46
	v_nop
	s_delay_alu instid0(TRANS32_DEP_1) | instskip(NEXT) | instid1(VALU_DEP_1)
	v_fma_f32 v48, -v46, v47, 1.0
	v_fmac_f32_e32 v47, v48, v47
	v_div_scale_f32 v48, vcc_lo, v29, v33, v29
	s_delay_alu instid0(VALU_DEP_1) | instskip(NEXT) | instid1(VALU_DEP_1)
	v_mul_f32_e32 v49, v48, v47
	v_fma_f32 v50, -v46, v49, v48
	s_delay_alu instid0(VALU_DEP_1) | instskip(NEXT) | instid1(VALU_DEP_1)
	v_fmac_f32_e32 v49, v50, v47
	v_fma_f32 v46, -v46, v49, v48
	s_delay_alu instid0(VALU_DEP_1) | instskip(NEXT) | instid1(VALU_DEP_1)
	v_div_fmas_f32 v46, v46, v47, v49
	v_div_fixup_f32 v29, v46, v33, v29
	s_delay_alu instid0(VALU_DEP_1)
	v_cvt_f16_f32_e32 v29, v29
.LBB68_19:
	s_or_b32 exec_lo, exec_lo, s11
	s_wait_loadcnt 0x5
	v_cvt_f16_f32_e32 v22, v22
	s_mov_b32 s11, exec_lo
	s_delay_alu instid0(VALU_DEP_1) | instskip(NEXT) | instid1(VALU_DEP_1)
	v_cvt_f32_f16_e32 v22, v22
	v_dual_mul_f32 v33, s13, v22 :: v_dual_mov_b32 v22, v44
	s_delay_alu instid0(VALU_DEP_1)
	v_cmpx_nlt_f32_e32 s14, v33
	s_cbranch_execz .LBB68_21
; %bb.20:
	v_mul_f32_e32 v22, 0x3fb8aa3b, v33
	v_cmp_ngt_f32_e32 vcc_lo, 0xc2ce8ed0, v33
	s_delay_alu instid0(VALU_DEP_2) | instskip(SKIP_1) | instid1(VALU_DEP_1)
	v_rndne_f32_e32 v46, v22
	v_fma_f32 v47, 0x3fb8aa3b, v33, -v22
	v_dual_sub_f32 v22, v22, v46 :: v_dual_fmamk_f32 v47, v33, 0x32a5705f, v47
	v_cvt_i32_f32_e32 v46, v46
	s_delay_alu instid0(VALU_DEP_2) | instskip(NEXT) | instid1(VALU_DEP_1)
	v_add_f32_e32 v22, v22, v47
	v_exp_f32_e32 v22, v22
	v_nop
	s_delay_alu instid0(TRANS32_DEP_1) | instskip(SKIP_1) | instid1(VALU_DEP_2)
	v_ldexp_f32 v22, v22, v46
	v_cvt_f32_f16_e32 v46, v44
	v_cndmask_b32_e32 v22, 0, v22, vcc_lo
	v_cmp_nlt_f32_e32 vcc_lo, 0x42b17218, v33
	s_delay_alu instid0(VALU_DEP_2) | instskip(NEXT) | instid1(VALU_DEP_1)
	v_cndmask_b32_e32 v22, 0x7f800000, v22, vcc_lo
	v_mul_f32_e32 v33, v22, v46
	v_add_f32_e32 v22, 1.0, v22
	s_delay_alu instid0(VALU_DEP_1) | instskip(NEXT) | instid1(VALU_DEP_1)
	v_div_scale_f32 v46, null, v22, v22, v33
	v_rcp_f32_e32 v47, v46
	v_nop
	s_delay_alu instid0(TRANS32_DEP_1) | instskip(NEXT) | instid1(VALU_DEP_1)
	v_fma_f32 v48, -v46, v47, 1.0
	v_fmac_f32_e32 v47, v48, v47
	v_div_scale_f32 v48, vcc_lo, v33, v22, v33
	s_delay_alu instid0(VALU_DEP_1) | instskip(NEXT) | instid1(VALU_DEP_1)
	v_mul_f32_e32 v49, v48, v47
	v_fma_f32 v50, -v46, v49, v48
	s_delay_alu instid0(VALU_DEP_1) | instskip(NEXT) | instid1(VALU_DEP_1)
	v_fmac_f32_e32 v49, v50, v47
	v_fma_f32 v46, -v46, v49, v48
	s_delay_alu instid0(VALU_DEP_1) | instskip(NEXT) | instid1(VALU_DEP_1)
	v_div_fmas_f32 v46, v46, v47, v49
	v_div_fixup_f32 v22, v46, v22, v33
	s_delay_alu instid0(VALU_DEP_1)
	v_cvt_f16_f32_e32 v22, v22
.LBB68_21:
	s_or_b32 exec_lo, exec_lo, s11
	v_cvt_f16_f32_e32 v23, v23
	s_mov_b32 s11, exec_lo
	s_delay_alu instid0(VALU_DEP_1) | instskip(NEXT) | instid1(VALU_DEP_1)
	v_cvt_f32_f16_e32 v23, v23
	v_dual_mul_f32 v33, s13, v23 :: v_dual_lshrrev_b32 v23, 16, v44
	s_delay_alu instid0(VALU_DEP_1)
	v_cmpx_nlt_f32_e32 s14, v33
	s_cbranch_execz .LBB68_23
; %bb.22:
	s_delay_alu instid0(VALU_DEP_2) | instskip(SKIP_2) | instid1(VALU_DEP_2)
	v_cvt_f32_f16_e32 v23, v23
	v_mul_f32_e32 v44, 0x3fb8aa3b, v33
	v_cmp_ngt_f32_e32 vcc_lo, 0xc2ce8ed0, v33
	v_rndne_f32_e32 v46, v44
	v_fma_f32 v47, 0x3fb8aa3b, v33, -v44
	s_delay_alu instid0(VALU_DEP_1) | instskip(SKIP_1) | instid1(VALU_DEP_2)
	v_dual_sub_f32 v44, v44, v46 :: v_dual_fmamk_f32 v47, v33, 0x32a5705f, v47
	v_cvt_i32_f32_e32 v46, v46
	v_add_f32_e32 v44, v44, v47
	s_delay_alu instid0(VALU_DEP_1) | instskip(SKIP_1) | instid1(TRANS32_DEP_1)
	v_exp_f32_e32 v44, v44
	v_nop
	v_ldexp_f32 v44, v44, v46
	s_delay_alu instid0(VALU_DEP_1) | instskip(SKIP_1) | instid1(VALU_DEP_2)
	v_cndmask_b32_e32 v44, 0, v44, vcc_lo
	v_cmp_nlt_f32_e32 vcc_lo, 0x42b17218, v33
	v_cndmask_b32_e32 v33, 0x7f800000, v44, vcc_lo
	s_delay_alu instid0(VALU_DEP_1) | instskip(NEXT) | instid1(VALU_DEP_1)
	v_dual_mul_f32 v23, v33, v23 :: v_dual_add_f32 v33, 1.0, v33
	v_div_scale_f32 v44, null, v33, v33, v23
	s_delay_alu instid0(VALU_DEP_1) | instskip(SKIP_1) | instid1(TRANS32_DEP_1)
	v_rcp_f32_e32 v46, v44
	v_nop
	v_fma_f32 v47, -v44, v46, 1.0
	s_delay_alu instid0(VALU_DEP_1) | instskip(SKIP_1) | instid1(VALU_DEP_1)
	v_fmac_f32_e32 v46, v47, v46
	v_div_scale_f32 v47, vcc_lo, v23, v33, v23
	v_mul_f32_e32 v48, v47, v46
	s_delay_alu instid0(VALU_DEP_1) | instskip(NEXT) | instid1(VALU_DEP_1)
	v_fma_f32 v49, -v44, v48, v47
	v_fmac_f32_e32 v48, v49, v46
	s_delay_alu instid0(VALU_DEP_1) | instskip(NEXT) | instid1(VALU_DEP_1)
	v_fma_f32 v44, -v44, v48, v47
	v_div_fmas_f32 v44, v44, v46, v48
	s_delay_alu instid0(VALU_DEP_1) | instskip(NEXT) | instid1(VALU_DEP_1)
	v_div_fixup_f32 v23, v44, v33, v23
	v_cvt_f16_f32_e32 v23, v23
.LBB68_23:
	s_or_b32 exec_lo, exec_lo, s11
	v_cvt_f16_f32_e32 v24, v24
	s_mov_b32 s11, exec_lo
	s_delay_alu instid0(VALU_DEP_1) | instskip(NEXT) | instid1(VALU_DEP_1)
	v_cvt_f32_f16_e32 v24, v24
	v_dual_mul_f32 v33, s13, v24 :: v_dual_mov_b32 v24, v45
	s_delay_alu instid0(VALU_DEP_1)
	v_cmpx_nlt_f32_e32 s14, v33
	s_cbranch_execz .LBB68_25
; %bb.24:
	v_mul_f32_e32 v24, 0x3fb8aa3b, v33
	v_cmp_ngt_f32_e32 vcc_lo, 0xc2ce8ed0, v33
	s_delay_alu instid0(VALU_DEP_2) | instskip(SKIP_1) | instid1(VALU_DEP_2)
	v_rndne_f32_e32 v44, v24
	v_fma_f32 v46, 0x3fb8aa3b, v33, -v24
	v_sub_f32_e32 v24, v24, v44
	s_delay_alu instid0(VALU_DEP_2) | instskip(SKIP_1) | instid1(VALU_DEP_2)
	v_fmamk_f32 v46, v33, 0x32a5705f, v46
	v_cvt_i32_f32_e32 v44, v44
	v_add_f32_e32 v24, v24, v46
	s_delay_alu instid0(VALU_DEP_1) | instskip(SKIP_1) | instid1(TRANS32_DEP_1)
	v_exp_f32_e32 v24, v24
	v_nop
	v_ldexp_f32 v24, v24, v44
	v_cvt_f32_f16_e32 v44, v45
	s_delay_alu instid0(VALU_DEP_2) | instskip(SKIP_1) | instid1(VALU_DEP_2)
	v_cndmask_b32_e32 v24, 0, v24, vcc_lo
	v_cmp_nlt_f32_e32 vcc_lo, 0x42b17218, v33
	v_cndmask_b32_e32 v24, 0x7f800000, v24, vcc_lo
	s_delay_alu instid0(VALU_DEP_1) | instskip(SKIP_1) | instid1(VALU_DEP_1)
	v_mul_f32_e32 v33, v24, v44
	v_add_f32_e32 v24, 1.0, v24
	v_div_scale_f32 v44, null, v24, v24, v33
	s_delay_alu instid0(VALU_DEP_1) | instskip(SKIP_1) | instid1(TRANS32_DEP_1)
	v_rcp_f32_e32 v46, v44
	v_nop
	v_fma_f32 v47, -v44, v46, 1.0
	s_delay_alu instid0(VALU_DEP_1) | instskip(SKIP_1) | instid1(VALU_DEP_1)
	v_fmac_f32_e32 v46, v47, v46
	v_div_scale_f32 v47, vcc_lo, v33, v24, v33
	v_mul_f32_e32 v48, v47, v46
	s_delay_alu instid0(VALU_DEP_1) | instskip(NEXT) | instid1(VALU_DEP_1)
	v_fma_f32 v49, -v44, v48, v47
	v_fmac_f32_e32 v48, v49, v46
	s_delay_alu instid0(VALU_DEP_1) | instskip(NEXT) | instid1(VALU_DEP_1)
	v_fma_f32 v44, -v44, v48, v47
	v_div_fmas_f32 v44, v44, v46, v48
	s_delay_alu instid0(VALU_DEP_1) | instskip(NEXT) | instid1(VALU_DEP_1)
	v_div_fixup_f32 v24, v44, v24, v33
	v_cvt_f16_f32_e32 v24, v24
.LBB68_25:
	s_or_b32 exec_lo, exec_lo, s11
	v_cvt_f16_f32_e32 v25, v25
	s_mov_b32 s11, exec_lo
	s_delay_alu instid0(VALU_DEP_1) | instskip(NEXT) | instid1(VALU_DEP_1)
	v_cvt_f32_f16_e32 v25, v25
	v_mul_f32_e32 v33, s13, v25
	v_lshrrev_b32_e32 v25, 16, v45
	s_delay_alu instid0(VALU_DEP_2)
	v_cmpx_nlt_f32_e32 s14, v33
	s_cbranch_execz .LBB68_27
; %bb.26:
	v_mul_f32_e32 v44, 0x3fb8aa3b, v33
	s_delay_alu instid0(VALU_DEP_3) | instskip(SKIP_1) | instid1(VALU_DEP_3)
	v_cvt_f32_f16_e32 v25, v25
	v_cmp_ngt_f32_e32 vcc_lo, 0xc2ce8ed0, v33
	v_rndne_f32_e32 v45, v44
	v_fma_f32 v46, 0x3fb8aa3b, v33, -v44
	s_delay_alu instid0(VALU_DEP_2) | instskip(NEXT) | instid1(VALU_DEP_2)
	v_sub_f32_e32 v44, v44, v45
	v_fmamk_f32 v46, v33, 0x32a5705f, v46
	v_cvt_i32_f32_e32 v45, v45
	s_delay_alu instid0(VALU_DEP_2) | instskip(NEXT) | instid1(VALU_DEP_1)
	v_add_f32_e32 v44, v44, v46
	v_exp_f32_e32 v44, v44
	v_nop
	s_delay_alu instid0(TRANS32_DEP_1) | instskip(NEXT) | instid1(VALU_DEP_1)
	v_ldexp_f32 v44, v44, v45
	v_cndmask_b32_e32 v44, 0, v44, vcc_lo
	v_cmp_nlt_f32_e32 vcc_lo, 0x42b17218, v33
	s_delay_alu instid0(VALU_DEP_2) | instskip(NEXT) | instid1(VALU_DEP_1)
	v_cndmask_b32_e32 v33, 0x7f800000, v44, vcc_lo
	v_mul_f32_e32 v25, v33, v25
	v_add_f32_e32 v33, 1.0, v33
	s_delay_alu instid0(VALU_DEP_1) | instskip(NEXT) | instid1(VALU_DEP_1)
	v_div_scale_f32 v44, null, v33, v33, v25
	v_rcp_f32_e32 v45, v44
	v_nop
	s_delay_alu instid0(TRANS32_DEP_1) | instskip(NEXT) | instid1(VALU_DEP_1)
	v_fma_f32 v46, -v44, v45, 1.0
	v_fmac_f32_e32 v45, v46, v45
	v_div_scale_f32 v46, vcc_lo, v25, v33, v25
	s_delay_alu instid0(VALU_DEP_1) | instskip(NEXT) | instid1(VALU_DEP_1)
	v_mul_f32_e32 v47, v46, v45
	v_fma_f32 v48, -v44, v47, v46
	s_delay_alu instid0(VALU_DEP_1) | instskip(NEXT) | instid1(VALU_DEP_1)
	v_fmac_f32_e32 v47, v48, v45
	v_fma_f32 v44, -v44, v47, v46
	s_delay_alu instid0(VALU_DEP_1) | instskip(NEXT) | instid1(VALU_DEP_1)
	v_div_fmas_f32 v44, v44, v45, v47
	v_div_fixup_f32 v25, v44, v33, v25
	s_delay_alu instid0(VALU_DEP_1)
	v_cvt_f16_f32_e32 v25, v25
.LBB68_27:
	s_or_b32 exec_lo, exec_lo, s11
	s_wait_loadcnt 0x4
	v_cvt_f16_f32_e32 v18, v18
	s_mov_b32 s11, exec_lo
	s_delay_alu instid0(VALU_DEP_1) | instskip(NEXT) | instid1(VALU_DEP_1)
	v_cvt_f32_f16_e32 v18, v18
	v_dual_mul_f32 v33, s13, v18 :: v_dual_mov_b32 v18, v42
	s_delay_alu instid0(VALU_DEP_1)
	v_cmpx_nlt_f32_e32 s14, v33
	s_cbranch_execz .LBB68_29
; %bb.28:
	v_mul_f32_e32 v18, 0x3fb8aa3b, v33
	v_cmp_ngt_f32_e32 vcc_lo, 0xc2ce8ed0, v33
	s_delay_alu instid0(VALU_DEP_2) | instskip(SKIP_1) | instid1(VALU_DEP_1)
	v_rndne_f32_e32 v44, v18
	v_fma_f32 v45, 0x3fb8aa3b, v33, -v18
	v_dual_sub_f32 v18, v18, v44 :: v_dual_fmamk_f32 v45, v33, 0x32a5705f, v45
	v_cvt_i32_f32_e32 v44, v44
	s_delay_alu instid0(VALU_DEP_2) | instskip(NEXT) | instid1(VALU_DEP_1)
	v_add_f32_e32 v18, v18, v45
	v_exp_f32_e32 v18, v18
	v_nop
	s_delay_alu instid0(TRANS32_DEP_1) | instskip(SKIP_1) | instid1(VALU_DEP_2)
	v_ldexp_f32 v18, v18, v44
	v_cvt_f32_f16_e32 v44, v42
	v_cndmask_b32_e32 v18, 0, v18, vcc_lo
	v_cmp_nlt_f32_e32 vcc_lo, 0x42b17218, v33
	s_delay_alu instid0(VALU_DEP_2) | instskip(NEXT) | instid1(VALU_DEP_1)
	v_cndmask_b32_e32 v18, 0x7f800000, v18, vcc_lo
	v_dual_mul_f32 v33, v18, v44 :: v_dual_add_f32 v18, 1.0, v18
	s_delay_alu instid0(VALU_DEP_1) | instskip(NEXT) | instid1(VALU_DEP_1)
	v_div_scale_f32 v44, null, v18, v18, v33
	v_rcp_f32_e32 v45, v44
	v_nop
	s_delay_alu instid0(TRANS32_DEP_1) | instskip(NEXT) | instid1(VALU_DEP_1)
	v_fma_f32 v46, -v44, v45, 1.0
	v_fmac_f32_e32 v45, v46, v45
	v_div_scale_f32 v46, vcc_lo, v33, v18, v33
	s_delay_alu instid0(VALU_DEP_1) | instskip(NEXT) | instid1(VALU_DEP_1)
	v_mul_f32_e32 v47, v46, v45
	v_fma_f32 v48, -v44, v47, v46
	s_delay_alu instid0(VALU_DEP_1) | instskip(NEXT) | instid1(VALU_DEP_1)
	v_fmac_f32_e32 v47, v48, v45
	v_fma_f32 v44, -v44, v47, v46
	s_delay_alu instid0(VALU_DEP_1) | instskip(NEXT) | instid1(VALU_DEP_1)
	v_div_fmas_f32 v44, v44, v45, v47
	v_div_fixup_f32 v18, v44, v18, v33
	s_delay_alu instid0(VALU_DEP_1)
	v_cvt_f16_f32_e32 v18, v18
.LBB68_29:
	s_or_b32 exec_lo, exec_lo, s11
	v_cvt_f16_f32_e32 v19, v19
	s_mov_b32 s11, exec_lo
	s_delay_alu instid0(VALU_DEP_1) | instskip(NEXT) | instid1(VALU_DEP_1)
	v_cvt_f32_f16_e32 v19, v19
	v_dual_mul_f32 v33, s13, v19 :: v_dual_lshrrev_b32 v19, 16, v42
	s_delay_alu instid0(VALU_DEP_1)
	v_cmpx_nlt_f32_e32 s14, v33
	s_cbranch_execz .LBB68_31
; %bb.30:
	s_delay_alu instid0(VALU_DEP_2) | instskip(SKIP_2) | instid1(VALU_DEP_2)
	v_cvt_f32_f16_e32 v19, v19
	v_mul_f32_e32 v42, 0x3fb8aa3b, v33
	v_cmp_ngt_f32_e32 vcc_lo, 0xc2ce8ed0, v33
	v_rndne_f32_e32 v44, v42
	v_fma_f32 v45, 0x3fb8aa3b, v33, -v42
	s_delay_alu instid0(VALU_DEP_1) | instskip(SKIP_1) | instid1(VALU_DEP_2)
	v_dual_sub_f32 v42, v42, v44 :: v_dual_fmamk_f32 v45, v33, 0x32a5705f, v45
	v_cvt_i32_f32_e32 v44, v44
	v_add_f32_e32 v42, v42, v45
	s_delay_alu instid0(VALU_DEP_1) | instskip(SKIP_1) | instid1(TRANS32_DEP_1)
	v_exp_f32_e32 v42, v42
	v_nop
	v_ldexp_f32 v42, v42, v44
	s_delay_alu instid0(VALU_DEP_1) | instskip(SKIP_1) | instid1(VALU_DEP_2)
	v_cndmask_b32_e32 v42, 0, v42, vcc_lo
	v_cmp_nlt_f32_e32 vcc_lo, 0x42b17218, v33
	v_cndmask_b32_e32 v33, 0x7f800000, v42, vcc_lo
	s_delay_alu instid0(VALU_DEP_1) | instskip(NEXT) | instid1(VALU_DEP_1)
	v_dual_mul_f32 v19, v33, v19 :: v_dual_add_f32 v33, 1.0, v33
	v_div_scale_f32 v42, null, v33, v33, v19
	s_delay_alu instid0(VALU_DEP_1) | instskip(SKIP_1) | instid1(TRANS32_DEP_1)
	v_rcp_f32_e32 v44, v42
	v_nop
	v_fma_f32 v45, -v42, v44, 1.0
	s_delay_alu instid0(VALU_DEP_1) | instskip(SKIP_1) | instid1(VALU_DEP_1)
	v_fmac_f32_e32 v44, v45, v44
	v_div_scale_f32 v45, vcc_lo, v19, v33, v19
	v_mul_f32_e32 v46, v45, v44
	s_delay_alu instid0(VALU_DEP_1) | instskip(NEXT) | instid1(VALU_DEP_1)
	v_fma_f32 v47, -v42, v46, v45
	v_fmac_f32_e32 v46, v47, v44
	s_delay_alu instid0(VALU_DEP_1) | instskip(NEXT) | instid1(VALU_DEP_1)
	v_fma_f32 v42, -v42, v46, v45
	v_div_fmas_f32 v42, v42, v44, v46
	s_delay_alu instid0(VALU_DEP_1) | instskip(NEXT) | instid1(VALU_DEP_1)
	v_div_fixup_f32 v19, v42, v33, v19
	v_cvt_f16_f32_e32 v19, v19
.LBB68_31:
	s_or_b32 exec_lo, exec_lo, s11
	v_cvt_f16_f32_e32 v20, v20
	s_mov_b32 s11, exec_lo
	s_delay_alu instid0(VALU_DEP_1) | instskip(NEXT) | instid1(VALU_DEP_1)
	v_cvt_f32_f16_e32 v20, v20
	v_dual_mul_f32 v33, s13, v20 :: v_dual_mov_b32 v20, v43
	s_delay_alu instid0(VALU_DEP_1)
	v_cmpx_nlt_f32_e32 s14, v33
	s_cbranch_execz .LBB68_33
; %bb.32:
	v_mul_f32_e32 v20, 0x3fb8aa3b, v33
	v_cmp_ngt_f32_e32 vcc_lo, 0xc2ce8ed0, v33
	s_delay_alu instid0(VALU_DEP_2) | instskip(SKIP_1) | instid1(VALU_DEP_2)
	v_rndne_f32_e32 v42, v20
	v_fma_f32 v44, 0x3fb8aa3b, v33, -v20
	v_sub_f32_e32 v20, v20, v42
	s_delay_alu instid0(VALU_DEP_2) | instskip(SKIP_1) | instid1(VALU_DEP_2)
	v_fmamk_f32 v44, v33, 0x32a5705f, v44
	v_cvt_i32_f32_e32 v42, v42
	v_add_f32_e32 v20, v20, v44
	s_delay_alu instid0(VALU_DEP_1) | instskip(SKIP_1) | instid1(TRANS32_DEP_1)
	v_exp_f32_e32 v20, v20
	v_nop
	v_ldexp_f32 v20, v20, v42
	v_cvt_f32_f16_e32 v42, v43
	s_delay_alu instid0(VALU_DEP_2) | instskip(SKIP_1) | instid1(VALU_DEP_2)
	v_cndmask_b32_e32 v20, 0, v20, vcc_lo
	v_cmp_nlt_f32_e32 vcc_lo, 0x42b17218, v33
	v_cndmask_b32_e32 v20, 0x7f800000, v20, vcc_lo
	s_delay_alu instid0(VALU_DEP_1) | instskip(NEXT) | instid1(VALU_DEP_1)
	v_dual_mul_f32 v33, v20, v42 :: v_dual_add_f32 v20, 1.0, v20
	v_div_scale_f32 v42, null, v20, v20, v33
	s_delay_alu instid0(VALU_DEP_1) | instskip(SKIP_1) | instid1(TRANS32_DEP_1)
	v_rcp_f32_e32 v44, v42
	v_nop
	v_fma_f32 v45, -v42, v44, 1.0
	s_delay_alu instid0(VALU_DEP_1) | instskip(SKIP_1) | instid1(VALU_DEP_1)
	v_fmac_f32_e32 v44, v45, v44
	v_div_scale_f32 v45, vcc_lo, v33, v20, v33
	v_mul_f32_e32 v46, v45, v44
	s_delay_alu instid0(VALU_DEP_1) | instskip(NEXT) | instid1(VALU_DEP_1)
	v_fma_f32 v47, -v42, v46, v45
	v_fmac_f32_e32 v46, v47, v44
	s_delay_alu instid0(VALU_DEP_1) | instskip(NEXT) | instid1(VALU_DEP_1)
	v_fma_f32 v42, -v42, v46, v45
	v_div_fmas_f32 v42, v42, v44, v46
	s_delay_alu instid0(VALU_DEP_1) | instskip(NEXT) | instid1(VALU_DEP_1)
	v_div_fixup_f32 v20, v42, v20, v33
	v_cvt_f16_f32_e32 v20, v20
.LBB68_33:
	s_or_b32 exec_lo, exec_lo, s11
	v_cvt_f16_f32_e32 v21, v21
	s_mov_b32 s11, exec_lo
	s_delay_alu instid0(VALU_DEP_1) | instskip(NEXT) | instid1(VALU_DEP_1)
	v_cvt_f32_f16_e32 v21, v21
	v_dual_mul_f32 v33, s13, v21 :: v_dual_lshrrev_b32 v21, 16, v43
	s_delay_alu instid0(VALU_DEP_1)
	v_cmpx_nlt_f32_e32 s14, v33
	s_cbranch_execz .LBB68_35
; %bb.34:
	v_mul_f32_e32 v42, 0x3fb8aa3b, v33
	s_delay_alu instid0(VALU_DEP_3) | instskip(SKIP_1) | instid1(VALU_DEP_3)
	v_cvt_f32_f16_e32 v21, v21
	v_cmp_ngt_f32_e32 vcc_lo, 0xc2ce8ed0, v33
	v_rndne_f32_e32 v43, v42
	v_fma_f32 v44, 0x3fb8aa3b, v33, -v42
	s_delay_alu instid0(VALU_DEP_2) | instskip(NEXT) | instid1(VALU_DEP_2)
	v_sub_f32_e32 v42, v42, v43
	v_fmamk_f32 v44, v33, 0x32a5705f, v44
	v_cvt_i32_f32_e32 v43, v43
	s_delay_alu instid0(VALU_DEP_2) | instskip(NEXT) | instid1(VALU_DEP_1)
	v_add_f32_e32 v42, v42, v44
	v_exp_f32_e32 v42, v42
	v_nop
	s_delay_alu instid0(TRANS32_DEP_1) | instskip(NEXT) | instid1(VALU_DEP_1)
	v_ldexp_f32 v42, v42, v43
	v_cndmask_b32_e32 v42, 0, v42, vcc_lo
	v_cmp_nlt_f32_e32 vcc_lo, 0x42b17218, v33
	s_delay_alu instid0(VALU_DEP_2) | instskip(NEXT) | instid1(VALU_DEP_1)
	v_cndmask_b32_e32 v33, 0x7f800000, v42, vcc_lo
	v_mul_f32_e32 v21, v33, v21
	v_add_f32_e32 v33, 1.0, v33
	s_delay_alu instid0(VALU_DEP_1) | instskip(NEXT) | instid1(VALU_DEP_1)
	v_div_scale_f32 v42, null, v33, v33, v21
	v_rcp_f32_e32 v43, v42
	v_nop
	s_delay_alu instid0(TRANS32_DEP_1) | instskip(NEXT) | instid1(VALU_DEP_1)
	v_fma_f32 v44, -v42, v43, 1.0
	v_fmac_f32_e32 v43, v44, v43
	v_div_scale_f32 v44, vcc_lo, v21, v33, v21
	s_delay_alu instid0(VALU_DEP_1) | instskip(NEXT) | instid1(VALU_DEP_1)
	v_mul_f32_e32 v45, v44, v43
	v_fma_f32 v46, -v42, v45, v44
	s_delay_alu instid0(VALU_DEP_1) | instskip(NEXT) | instid1(VALU_DEP_1)
	v_fmac_f32_e32 v45, v46, v43
	v_fma_f32 v42, -v42, v45, v44
	s_delay_alu instid0(VALU_DEP_1) | instskip(NEXT) | instid1(VALU_DEP_1)
	v_div_fmas_f32 v42, v42, v43, v45
	v_div_fixup_f32 v21, v42, v33, v21
	s_delay_alu instid0(VALU_DEP_1)
	v_cvt_f16_f32_e32 v21, v21
.LBB68_35:
	s_or_b32 exec_lo, exec_lo, s11
	s_wait_loadcnt 0x3
	v_cvt_f16_f32_e32 v14, v14
	s_mov_b32 s11, exec_lo
	s_delay_alu instid0(VALU_DEP_1) | instskip(NEXT) | instid1(VALU_DEP_1)
	v_cvt_f32_f16_e32 v14, v14
	v_dual_mul_f32 v33, s13, v14 :: v_dual_mov_b32 v14, v40
	s_delay_alu instid0(VALU_DEP_1)
	v_cmpx_nlt_f32_e32 s14, v33
	s_cbranch_execz .LBB68_37
; %bb.36:
	v_mul_f32_e32 v14, 0x3fb8aa3b, v33
	v_cmp_ngt_f32_e32 vcc_lo, 0xc2ce8ed0, v33
	s_delay_alu instid0(VALU_DEP_2) | instskip(SKIP_1) | instid1(VALU_DEP_1)
	v_rndne_f32_e32 v42, v14
	v_fma_f32 v43, 0x3fb8aa3b, v33, -v14
	v_dual_sub_f32 v14, v14, v42 :: v_dual_fmamk_f32 v43, v33, 0x32a5705f, v43
	v_cvt_i32_f32_e32 v42, v42
	s_delay_alu instid0(VALU_DEP_2) | instskip(NEXT) | instid1(VALU_DEP_1)
	v_add_f32_e32 v14, v14, v43
	v_exp_f32_e32 v14, v14
	v_nop
	s_delay_alu instid0(TRANS32_DEP_1) | instskip(SKIP_1) | instid1(VALU_DEP_2)
	v_ldexp_f32 v14, v14, v42
	v_cvt_f32_f16_e32 v42, v40
	v_cndmask_b32_e32 v14, 0, v14, vcc_lo
	v_cmp_nlt_f32_e32 vcc_lo, 0x42b17218, v33
	s_delay_alu instid0(VALU_DEP_2) | instskip(NEXT) | instid1(VALU_DEP_1)
	v_cndmask_b32_e32 v14, 0x7f800000, v14, vcc_lo
	v_mul_f32_e32 v33, v14, v42
	v_add_f32_e32 v14, 1.0, v14
	s_delay_alu instid0(VALU_DEP_1) | instskip(NEXT) | instid1(VALU_DEP_1)
	v_div_scale_f32 v42, null, v14, v14, v33
	v_rcp_f32_e32 v43, v42
	v_nop
	s_delay_alu instid0(TRANS32_DEP_1) | instskip(NEXT) | instid1(VALU_DEP_1)
	v_fma_f32 v44, -v42, v43, 1.0
	v_fmac_f32_e32 v43, v44, v43
	v_div_scale_f32 v44, vcc_lo, v33, v14, v33
	s_delay_alu instid0(VALU_DEP_1) | instskip(NEXT) | instid1(VALU_DEP_1)
	v_mul_f32_e32 v45, v44, v43
	v_fma_f32 v46, -v42, v45, v44
	s_delay_alu instid0(VALU_DEP_1) | instskip(NEXT) | instid1(VALU_DEP_1)
	v_fmac_f32_e32 v45, v46, v43
	v_fma_f32 v42, -v42, v45, v44
	s_delay_alu instid0(VALU_DEP_1) | instskip(NEXT) | instid1(VALU_DEP_1)
	v_div_fmas_f32 v42, v42, v43, v45
	v_div_fixup_f32 v14, v42, v14, v33
	s_delay_alu instid0(VALU_DEP_1)
	v_cvt_f16_f32_e32 v14, v14
.LBB68_37:
	s_or_b32 exec_lo, exec_lo, s11
	v_cvt_f16_f32_e32 v15, v15
	s_mov_b32 s11, exec_lo
	s_delay_alu instid0(VALU_DEP_1) | instskip(NEXT) | instid1(VALU_DEP_1)
	v_cvt_f32_f16_e32 v15, v15
	v_dual_mul_f32 v33, s13, v15 :: v_dual_lshrrev_b32 v15, 16, v40
	s_delay_alu instid0(VALU_DEP_1)
	v_cmpx_nlt_f32_e32 s14, v33
	s_cbranch_execz .LBB68_39
; %bb.38:
	s_delay_alu instid0(VALU_DEP_2) | instskip(SKIP_2) | instid1(VALU_DEP_2)
	v_cvt_f32_f16_e32 v15, v15
	v_mul_f32_e32 v40, 0x3fb8aa3b, v33
	v_cmp_ngt_f32_e32 vcc_lo, 0xc2ce8ed0, v33
	v_rndne_f32_e32 v42, v40
	v_fma_f32 v43, 0x3fb8aa3b, v33, -v40
	s_delay_alu instid0(VALU_DEP_1) | instskip(SKIP_1) | instid1(VALU_DEP_2)
	v_dual_sub_f32 v40, v40, v42 :: v_dual_fmamk_f32 v43, v33, 0x32a5705f, v43
	v_cvt_i32_f32_e32 v42, v42
	v_add_f32_e32 v40, v40, v43
	s_delay_alu instid0(VALU_DEP_1) | instskip(SKIP_1) | instid1(TRANS32_DEP_1)
	v_exp_f32_e32 v40, v40
	v_nop
	v_ldexp_f32 v40, v40, v42
	s_delay_alu instid0(VALU_DEP_1) | instskip(SKIP_1) | instid1(VALU_DEP_2)
	v_cndmask_b32_e32 v40, 0, v40, vcc_lo
	v_cmp_nlt_f32_e32 vcc_lo, 0x42b17218, v33
	v_cndmask_b32_e32 v33, 0x7f800000, v40, vcc_lo
	s_delay_alu instid0(VALU_DEP_1) | instskip(NEXT) | instid1(VALU_DEP_1)
	v_dual_mul_f32 v15, v33, v15 :: v_dual_add_f32 v33, 1.0, v33
	v_div_scale_f32 v40, null, v33, v33, v15
	s_delay_alu instid0(VALU_DEP_1) | instskip(SKIP_1) | instid1(TRANS32_DEP_1)
	v_rcp_f32_e32 v42, v40
	v_nop
	v_fma_f32 v43, -v40, v42, 1.0
	s_delay_alu instid0(VALU_DEP_1) | instskip(SKIP_1) | instid1(VALU_DEP_1)
	v_fmac_f32_e32 v42, v43, v42
	v_div_scale_f32 v43, vcc_lo, v15, v33, v15
	v_mul_f32_e32 v44, v43, v42
	s_delay_alu instid0(VALU_DEP_1) | instskip(NEXT) | instid1(VALU_DEP_1)
	v_fma_f32 v45, -v40, v44, v43
	v_fmac_f32_e32 v44, v45, v42
	s_delay_alu instid0(VALU_DEP_1) | instskip(NEXT) | instid1(VALU_DEP_1)
	v_fma_f32 v40, -v40, v44, v43
	v_div_fmas_f32 v40, v40, v42, v44
	s_delay_alu instid0(VALU_DEP_1) | instskip(NEXT) | instid1(VALU_DEP_1)
	v_div_fixup_f32 v15, v40, v33, v15
	v_cvt_f16_f32_e32 v15, v15
.LBB68_39:
	s_or_b32 exec_lo, exec_lo, s11
	v_cvt_f16_f32_e32 v16, v16
	s_mov_b32 s11, exec_lo
	s_delay_alu instid0(VALU_DEP_1) | instskip(NEXT) | instid1(VALU_DEP_1)
	v_cvt_f32_f16_e32 v16, v16
	v_dual_mul_f32 v33, s13, v16 :: v_dual_mov_b32 v16, v41
	s_delay_alu instid0(VALU_DEP_1)
	v_cmpx_nlt_f32_e32 s14, v33
	s_cbranch_execz .LBB68_41
; %bb.40:
	v_mul_f32_e32 v16, 0x3fb8aa3b, v33
	v_cmp_ngt_f32_e32 vcc_lo, 0xc2ce8ed0, v33
	s_delay_alu instid0(VALU_DEP_2) | instskip(SKIP_1) | instid1(VALU_DEP_2)
	v_rndne_f32_e32 v40, v16
	v_fma_f32 v42, 0x3fb8aa3b, v33, -v16
	v_sub_f32_e32 v16, v16, v40
	s_delay_alu instid0(VALU_DEP_2) | instskip(SKIP_1) | instid1(VALU_DEP_2)
	v_fmamk_f32 v42, v33, 0x32a5705f, v42
	v_cvt_i32_f32_e32 v40, v40
	v_add_f32_e32 v16, v16, v42
	s_delay_alu instid0(VALU_DEP_1) | instskip(SKIP_1) | instid1(TRANS32_DEP_1)
	v_exp_f32_e32 v16, v16
	v_nop
	v_ldexp_f32 v16, v16, v40
	v_cvt_f32_f16_e32 v40, v41
	s_delay_alu instid0(VALU_DEP_2) | instskip(SKIP_1) | instid1(VALU_DEP_2)
	v_cndmask_b32_e32 v16, 0, v16, vcc_lo
	v_cmp_nlt_f32_e32 vcc_lo, 0x42b17218, v33
	v_cndmask_b32_e32 v16, 0x7f800000, v16, vcc_lo
	s_delay_alu instid0(VALU_DEP_1) | instskip(SKIP_1) | instid1(VALU_DEP_1)
	v_mul_f32_e32 v33, v16, v40
	v_add_f32_e32 v16, 1.0, v16
	v_div_scale_f32 v40, null, v16, v16, v33
	s_delay_alu instid0(VALU_DEP_1) | instskip(SKIP_1) | instid1(TRANS32_DEP_1)
	v_rcp_f32_e32 v42, v40
	v_nop
	v_fma_f32 v43, -v40, v42, 1.0
	s_delay_alu instid0(VALU_DEP_1) | instskip(SKIP_1) | instid1(VALU_DEP_1)
	v_fmac_f32_e32 v42, v43, v42
	v_div_scale_f32 v43, vcc_lo, v33, v16, v33
	v_mul_f32_e32 v44, v43, v42
	s_delay_alu instid0(VALU_DEP_1) | instskip(NEXT) | instid1(VALU_DEP_1)
	v_fma_f32 v45, -v40, v44, v43
	v_fmac_f32_e32 v44, v45, v42
	s_delay_alu instid0(VALU_DEP_1) | instskip(NEXT) | instid1(VALU_DEP_1)
	v_fma_f32 v40, -v40, v44, v43
	v_div_fmas_f32 v40, v40, v42, v44
	s_delay_alu instid0(VALU_DEP_1) | instskip(NEXT) | instid1(VALU_DEP_1)
	v_div_fixup_f32 v16, v40, v16, v33
	v_cvt_f16_f32_e32 v16, v16
.LBB68_41:
	s_or_b32 exec_lo, exec_lo, s11
	v_cvt_f16_f32_e32 v17, v17
	s_mov_b32 s11, exec_lo
	s_delay_alu instid0(VALU_DEP_1) | instskip(NEXT) | instid1(VALU_DEP_1)
	v_cvt_f32_f16_e32 v17, v17
	v_mul_f32_e32 v33, s13, v17
	v_lshrrev_b32_e32 v17, 16, v41
	s_delay_alu instid0(VALU_DEP_2)
	v_cmpx_nlt_f32_e32 s14, v33
	s_cbranch_execz .LBB68_43
; %bb.42:
	v_mul_f32_e32 v40, 0x3fb8aa3b, v33
	s_delay_alu instid0(VALU_DEP_3) | instskip(SKIP_1) | instid1(VALU_DEP_3)
	v_cvt_f32_f16_e32 v17, v17
	v_cmp_ngt_f32_e32 vcc_lo, 0xc2ce8ed0, v33
	v_rndne_f32_e32 v41, v40
	v_fma_f32 v42, 0x3fb8aa3b, v33, -v40
	s_delay_alu instid0(VALU_DEP_2) | instskip(NEXT) | instid1(VALU_DEP_2)
	v_sub_f32_e32 v40, v40, v41
	v_fmamk_f32 v42, v33, 0x32a5705f, v42
	v_cvt_i32_f32_e32 v41, v41
	s_delay_alu instid0(VALU_DEP_2) | instskip(NEXT) | instid1(VALU_DEP_1)
	v_add_f32_e32 v40, v40, v42
	v_exp_f32_e32 v40, v40
	v_nop
	s_delay_alu instid0(TRANS32_DEP_1) | instskip(NEXT) | instid1(VALU_DEP_1)
	v_ldexp_f32 v40, v40, v41
	v_cndmask_b32_e32 v40, 0, v40, vcc_lo
	v_cmp_nlt_f32_e32 vcc_lo, 0x42b17218, v33
	s_delay_alu instid0(VALU_DEP_2) | instskip(NEXT) | instid1(VALU_DEP_1)
	v_cndmask_b32_e32 v33, 0x7f800000, v40, vcc_lo
	v_mul_f32_e32 v17, v33, v17
	v_add_f32_e32 v33, 1.0, v33
	s_delay_alu instid0(VALU_DEP_1) | instskip(NEXT) | instid1(VALU_DEP_1)
	v_div_scale_f32 v40, null, v33, v33, v17
	v_rcp_f32_e32 v41, v40
	v_nop
	s_delay_alu instid0(TRANS32_DEP_1) | instskip(NEXT) | instid1(VALU_DEP_1)
	v_fma_f32 v42, -v40, v41, 1.0
	v_fmac_f32_e32 v41, v42, v41
	v_div_scale_f32 v42, vcc_lo, v17, v33, v17
	s_delay_alu instid0(VALU_DEP_1) | instskip(NEXT) | instid1(VALU_DEP_1)
	v_mul_f32_e32 v43, v42, v41
	v_fma_f32 v44, -v40, v43, v42
	s_delay_alu instid0(VALU_DEP_1) | instskip(NEXT) | instid1(VALU_DEP_1)
	v_fmac_f32_e32 v43, v44, v41
	v_fma_f32 v40, -v40, v43, v42
	s_delay_alu instid0(VALU_DEP_1) | instskip(NEXT) | instid1(VALU_DEP_1)
	v_div_fmas_f32 v40, v40, v41, v43
	v_div_fixup_f32 v17, v40, v33, v17
	s_delay_alu instid0(VALU_DEP_1)
	v_cvt_f16_f32_e32 v17, v17
.LBB68_43:
	s_or_b32 exec_lo, exec_lo, s11
	s_wait_loadcnt 0x2
	v_cvt_f16_f32_e32 v10, v10
	s_mov_b32 s11, exec_lo
	s_delay_alu instid0(VALU_DEP_1) | instskip(NEXT) | instid1(VALU_DEP_1)
	v_cvt_f32_f16_e32 v10, v10
	v_dual_mul_f32 v33, s13, v10 :: v_dual_mov_b32 v10, v38
	s_delay_alu instid0(VALU_DEP_1)
	v_cmpx_nlt_f32_e32 s14, v33
	s_cbranch_execz .LBB68_45
; %bb.44:
	v_mul_f32_e32 v10, 0x3fb8aa3b, v33
	v_cmp_ngt_f32_e32 vcc_lo, 0xc2ce8ed0, v33
	s_delay_alu instid0(VALU_DEP_2) | instskip(SKIP_1) | instid1(VALU_DEP_1)
	v_rndne_f32_e32 v40, v10
	v_fma_f32 v41, 0x3fb8aa3b, v33, -v10
	v_dual_sub_f32 v10, v10, v40 :: v_dual_fmamk_f32 v41, v33, 0x32a5705f, v41
	v_cvt_i32_f32_e32 v40, v40
	s_delay_alu instid0(VALU_DEP_2) | instskip(NEXT) | instid1(VALU_DEP_1)
	v_add_f32_e32 v10, v10, v41
	v_exp_f32_e32 v10, v10
	v_nop
	s_delay_alu instid0(TRANS32_DEP_1) | instskip(SKIP_1) | instid1(VALU_DEP_2)
	v_ldexp_f32 v10, v10, v40
	v_cvt_f32_f16_e32 v40, v38
	v_cndmask_b32_e32 v10, 0, v10, vcc_lo
	v_cmp_nlt_f32_e32 vcc_lo, 0x42b17218, v33
	s_delay_alu instid0(VALU_DEP_2) | instskip(NEXT) | instid1(VALU_DEP_1)
	v_cndmask_b32_e32 v10, 0x7f800000, v10, vcc_lo
	v_dual_mul_f32 v33, v10, v40 :: v_dual_add_f32 v10, 1.0, v10
	s_delay_alu instid0(VALU_DEP_1) | instskip(NEXT) | instid1(VALU_DEP_1)
	v_div_scale_f32 v40, null, v10, v10, v33
	v_rcp_f32_e32 v41, v40
	v_nop
	s_delay_alu instid0(TRANS32_DEP_1) | instskip(NEXT) | instid1(VALU_DEP_1)
	v_fma_f32 v42, -v40, v41, 1.0
	v_fmac_f32_e32 v41, v42, v41
	v_div_scale_f32 v42, vcc_lo, v33, v10, v33
	s_delay_alu instid0(VALU_DEP_1) | instskip(NEXT) | instid1(VALU_DEP_1)
	v_mul_f32_e32 v43, v42, v41
	v_fma_f32 v44, -v40, v43, v42
	s_delay_alu instid0(VALU_DEP_1) | instskip(NEXT) | instid1(VALU_DEP_1)
	v_fmac_f32_e32 v43, v44, v41
	v_fma_f32 v40, -v40, v43, v42
	s_delay_alu instid0(VALU_DEP_1) | instskip(NEXT) | instid1(VALU_DEP_1)
	v_div_fmas_f32 v40, v40, v41, v43
	v_div_fixup_f32 v10, v40, v10, v33
	s_delay_alu instid0(VALU_DEP_1)
	v_cvt_f16_f32_e32 v10, v10
.LBB68_45:
	s_or_b32 exec_lo, exec_lo, s11
	v_cvt_f16_f32_e32 v11, v11
	s_mov_b32 s11, exec_lo
	s_delay_alu instid0(VALU_DEP_1) | instskip(NEXT) | instid1(VALU_DEP_1)
	v_cvt_f32_f16_e32 v11, v11
	v_dual_mul_f32 v33, s13, v11 :: v_dual_lshrrev_b32 v11, 16, v38
	s_delay_alu instid0(VALU_DEP_1)
	v_cmpx_nlt_f32_e32 s14, v33
	s_cbranch_execz .LBB68_47
; %bb.46:
	s_delay_alu instid0(VALU_DEP_2) | instskip(SKIP_2) | instid1(VALU_DEP_2)
	v_cvt_f32_f16_e32 v11, v11
	v_mul_f32_e32 v38, 0x3fb8aa3b, v33
	v_cmp_ngt_f32_e32 vcc_lo, 0xc2ce8ed0, v33
	v_rndne_f32_e32 v40, v38
	v_fma_f32 v41, 0x3fb8aa3b, v33, -v38
	s_delay_alu instid0(VALU_DEP_1) | instskip(SKIP_1) | instid1(VALU_DEP_2)
	v_dual_sub_f32 v38, v38, v40 :: v_dual_fmamk_f32 v41, v33, 0x32a5705f, v41
	v_cvt_i32_f32_e32 v40, v40
	v_add_f32_e32 v38, v38, v41
	s_delay_alu instid0(VALU_DEP_1) | instskip(SKIP_1) | instid1(TRANS32_DEP_1)
	v_exp_f32_e32 v38, v38
	v_nop
	v_ldexp_f32 v38, v38, v40
	s_delay_alu instid0(VALU_DEP_1) | instskip(SKIP_1) | instid1(VALU_DEP_2)
	v_cndmask_b32_e32 v38, 0, v38, vcc_lo
	v_cmp_nlt_f32_e32 vcc_lo, 0x42b17218, v33
	v_cndmask_b32_e32 v33, 0x7f800000, v38, vcc_lo
	s_delay_alu instid0(VALU_DEP_1) | instskip(NEXT) | instid1(VALU_DEP_1)
	v_dual_mul_f32 v11, v33, v11 :: v_dual_add_f32 v33, 1.0, v33
	v_div_scale_f32 v38, null, v33, v33, v11
	s_delay_alu instid0(VALU_DEP_1) | instskip(SKIP_1) | instid1(TRANS32_DEP_1)
	v_rcp_f32_e32 v40, v38
	v_nop
	v_fma_f32 v41, -v38, v40, 1.0
	s_delay_alu instid0(VALU_DEP_1) | instskip(SKIP_1) | instid1(VALU_DEP_1)
	v_fmac_f32_e32 v40, v41, v40
	v_div_scale_f32 v41, vcc_lo, v11, v33, v11
	v_mul_f32_e32 v42, v41, v40
	s_delay_alu instid0(VALU_DEP_1) | instskip(NEXT) | instid1(VALU_DEP_1)
	v_fma_f32 v43, -v38, v42, v41
	v_fmac_f32_e32 v42, v43, v40
	s_delay_alu instid0(VALU_DEP_1) | instskip(NEXT) | instid1(VALU_DEP_1)
	v_fma_f32 v38, -v38, v42, v41
	v_div_fmas_f32 v38, v38, v40, v42
	s_delay_alu instid0(VALU_DEP_1) | instskip(NEXT) | instid1(VALU_DEP_1)
	v_div_fixup_f32 v11, v38, v33, v11
	v_cvt_f16_f32_e32 v11, v11
.LBB68_47:
	s_or_b32 exec_lo, exec_lo, s11
	v_cvt_f16_f32_e32 v12, v12
	s_mov_b32 s11, exec_lo
	s_delay_alu instid0(VALU_DEP_1) | instskip(NEXT) | instid1(VALU_DEP_1)
	v_cvt_f32_f16_e32 v12, v12
	v_dual_mul_f32 v33, s13, v12 :: v_dual_mov_b32 v12, v39
	s_delay_alu instid0(VALU_DEP_1)
	v_cmpx_nlt_f32_e32 s14, v33
	s_cbranch_execz .LBB68_49
; %bb.48:
	v_mul_f32_e32 v12, 0x3fb8aa3b, v33
	v_cmp_ngt_f32_e32 vcc_lo, 0xc2ce8ed0, v33
	s_delay_alu instid0(VALU_DEP_2) | instskip(SKIP_1) | instid1(VALU_DEP_2)
	v_rndne_f32_e32 v38, v12
	v_fma_f32 v40, 0x3fb8aa3b, v33, -v12
	v_sub_f32_e32 v12, v12, v38
	s_delay_alu instid0(VALU_DEP_2) | instskip(SKIP_1) | instid1(VALU_DEP_2)
	v_fmamk_f32 v40, v33, 0x32a5705f, v40
	v_cvt_i32_f32_e32 v38, v38
	v_add_f32_e32 v12, v12, v40
	s_delay_alu instid0(VALU_DEP_1) | instskip(SKIP_1) | instid1(TRANS32_DEP_1)
	v_exp_f32_e32 v12, v12
	v_nop
	v_ldexp_f32 v12, v12, v38
	v_cvt_f32_f16_e32 v38, v39
	s_delay_alu instid0(VALU_DEP_2) | instskip(SKIP_1) | instid1(VALU_DEP_2)
	v_cndmask_b32_e32 v12, 0, v12, vcc_lo
	v_cmp_nlt_f32_e32 vcc_lo, 0x42b17218, v33
	v_cndmask_b32_e32 v12, 0x7f800000, v12, vcc_lo
	s_delay_alu instid0(VALU_DEP_1) | instskip(NEXT) | instid1(VALU_DEP_1)
	v_dual_mul_f32 v33, v12, v38 :: v_dual_add_f32 v12, 1.0, v12
	v_div_scale_f32 v38, null, v12, v12, v33
	s_delay_alu instid0(VALU_DEP_1) | instskip(SKIP_1) | instid1(TRANS32_DEP_1)
	v_rcp_f32_e32 v40, v38
	v_nop
	v_fma_f32 v41, -v38, v40, 1.0
	s_delay_alu instid0(VALU_DEP_1) | instskip(SKIP_1) | instid1(VALU_DEP_1)
	v_fmac_f32_e32 v40, v41, v40
	v_div_scale_f32 v41, vcc_lo, v33, v12, v33
	v_mul_f32_e32 v42, v41, v40
	s_delay_alu instid0(VALU_DEP_1) | instskip(NEXT) | instid1(VALU_DEP_1)
	v_fma_f32 v43, -v38, v42, v41
	v_fmac_f32_e32 v42, v43, v40
	s_delay_alu instid0(VALU_DEP_1) | instskip(NEXT) | instid1(VALU_DEP_1)
	v_fma_f32 v38, -v38, v42, v41
	v_div_fmas_f32 v38, v38, v40, v42
	s_delay_alu instid0(VALU_DEP_1) | instskip(NEXT) | instid1(VALU_DEP_1)
	v_div_fixup_f32 v12, v38, v12, v33
	v_cvt_f16_f32_e32 v12, v12
.LBB68_49:
	s_or_b32 exec_lo, exec_lo, s11
	v_cvt_f16_f32_e32 v13, v13
	s_mov_b32 s11, exec_lo
	s_delay_alu instid0(VALU_DEP_1) | instskip(NEXT) | instid1(VALU_DEP_1)
	v_cvt_f32_f16_e32 v13, v13
	v_dual_mul_f32 v33, s13, v13 :: v_dual_lshrrev_b32 v13, 16, v39
	s_delay_alu instid0(VALU_DEP_1)
	v_cmpx_nlt_f32_e32 s14, v33
	s_cbranch_execz .LBB68_51
; %bb.50:
	v_mul_f32_e32 v38, 0x3fb8aa3b, v33
	s_delay_alu instid0(VALU_DEP_3) | instskip(SKIP_1) | instid1(VALU_DEP_3)
	v_cvt_f32_f16_e32 v13, v13
	v_cmp_ngt_f32_e32 vcc_lo, 0xc2ce8ed0, v33
	v_rndne_f32_e32 v39, v38
	v_fma_f32 v40, 0x3fb8aa3b, v33, -v38
	s_delay_alu instid0(VALU_DEP_2) | instskip(NEXT) | instid1(VALU_DEP_2)
	v_sub_f32_e32 v38, v38, v39
	v_fmamk_f32 v40, v33, 0x32a5705f, v40
	v_cvt_i32_f32_e32 v39, v39
	s_delay_alu instid0(VALU_DEP_2) | instskip(NEXT) | instid1(VALU_DEP_1)
	v_add_f32_e32 v38, v38, v40
	v_exp_f32_e32 v38, v38
	v_nop
	s_delay_alu instid0(TRANS32_DEP_1) | instskip(NEXT) | instid1(VALU_DEP_1)
	v_ldexp_f32 v38, v38, v39
	v_cndmask_b32_e32 v38, 0, v38, vcc_lo
	v_cmp_nlt_f32_e32 vcc_lo, 0x42b17218, v33
	s_delay_alu instid0(VALU_DEP_2) | instskip(NEXT) | instid1(VALU_DEP_1)
	v_cndmask_b32_e32 v33, 0x7f800000, v38, vcc_lo
	v_mul_f32_e32 v13, v33, v13
	v_add_f32_e32 v33, 1.0, v33
	s_delay_alu instid0(VALU_DEP_1) | instskip(NEXT) | instid1(VALU_DEP_1)
	v_div_scale_f32 v38, null, v33, v33, v13
	v_rcp_f32_e32 v39, v38
	v_nop
	s_delay_alu instid0(TRANS32_DEP_1) | instskip(NEXT) | instid1(VALU_DEP_1)
	v_fma_f32 v40, -v38, v39, 1.0
	v_fmac_f32_e32 v39, v40, v39
	v_div_scale_f32 v40, vcc_lo, v13, v33, v13
	s_delay_alu instid0(VALU_DEP_1) | instskip(NEXT) | instid1(VALU_DEP_1)
	v_mul_f32_e32 v41, v40, v39
	v_fma_f32 v42, -v38, v41, v40
	s_delay_alu instid0(VALU_DEP_1) | instskip(NEXT) | instid1(VALU_DEP_1)
	v_fmac_f32_e32 v41, v42, v39
	v_fma_f32 v38, -v38, v41, v40
	s_delay_alu instid0(VALU_DEP_1) | instskip(NEXT) | instid1(VALU_DEP_1)
	v_div_fmas_f32 v38, v38, v39, v41
	v_div_fixup_f32 v13, v38, v33, v13
	s_delay_alu instid0(VALU_DEP_1)
	v_cvt_f16_f32_e32 v13, v13
.LBB68_51:
	s_or_b32 exec_lo, exec_lo, s11
	s_wait_loadcnt 0x1
	v_cvt_f16_f32_e32 v6, v6
	s_mov_b32 s11, exec_lo
	s_delay_alu instid0(VALU_DEP_1) | instskip(NEXT) | instid1(VALU_DEP_1)
	v_cvt_f32_f16_e32 v6, v6
	v_dual_mul_f32 v33, s13, v6 :: v_dual_mov_b32 v6, v36
	s_delay_alu instid0(VALU_DEP_1)
	v_cmpx_nlt_f32_e32 s14, v33
	s_cbranch_execz .LBB68_53
; %bb.52:
	v_mul_f32_e32 v6, 0x3fb8aa3b, v33
	v_cmp_ngt_f32_e32 vcc_lo, 0xc2ce8ed0, v33
	s_delay_alu instid0(VALU_DEP_2) | instskip(SKIP_1) | instid1(VALU_DEP_1)
	v_rndne_f32_e32 v38, v6
	v_fma_f32 v39, 0x3fb8aa3b, v33, -v6
	v_dual_sub_f32 v6, v6, v38 :: v_dual_fmamk_f32 v39, v33, 0x32a5705f, v39
	v_cvt_i32_f32_e32 v38, v38
	s_delay_alu instid0(VALU_DEP_2) | instskip(NEXT) | instid1(VALU_DEP_1)
	v_add_f32_e32 v6, v6, v39
	v_exp_f32_e32 v6, v6
	v_nop
	s_delay_alu instid0(TRANS32_DEP_1) | instskip(SKIP_1) | instid1(VALU_DEP_2)
	v_ldexp_f32 v6, v6, v38
	v_cvt_f32_f16_e32 v38, v36
	v_cndmask_b32_e32 v6, 0, v6, vcc_lo
	v_cmp_nlt_f32_e32 vcc_lo, 0x42b17218, v33
	s_delay_alu instid0(VALU_DEP_2) | instskip(NEXT) | instid1(VALU_DEP_1)
	v_cndmask_b32_e32 v6, 0x7f800000, v6, vcc_lo
	v_mul_f32_e32 v33, v6, v38
	v_add_f32_e32 v6, 1.0, v6
	s_delay_alu instid0(VALU_DEP_1) | instskip(NEXT) | instid1(VALU_DEP_1)
	v_div_scale_f32 v38, null, v6, v6, v33
	v_rcp_f32_e32 v39, v38
	v_nop
	s_delay_alu instid0(TRANS32_DEP_1) | instskip(NEXT) | instid1(VALU_DEP_1)
	v_fma_f32 v40, -v38, v39, 1.0
	v_fmac_f32_e32 v39, v40, v39
	v_div_scale_f32 v40, vcc_lo, v33, v6, v33
	s_delay_alu instid0(VALU_DEP_1) | instskip(NEXT) | instid1(VALU_DEP_1)
	v_mul_f32_e32 v41, v40, v39
	v_fma_f32 v42, -v38, v41, v40
	s_delay_alu instid0(VALU_DEP_1) | instskip(NEXT) | instid1(VALU_DEP_1)
	v_fmac_f32_e32 v41, v42, v39
	v_fma_f32 v38, -v38, v41, v40
	s_delay_alu instid0(VALU_DEP_1) | instskip(NEXT) | instid1(VALU_DEP_1)
	v_div_fmas_f32 v38, v38, v39, v41
	v_div_fixup_f32 v6, v38, v6, v33
	s_delay_alu instid0(VALU_DEP_1)
	v_cvt_f16_f32_e32 v6, v6
.LBB68_53:
	s_or_b32 exec_lo, exec_lo, s11
	v_cvt_f16_f32_e32 v7, v7
	s_mov_b32 s11, exec_lo
	s_delay_alu instid0(VALU_DEP_1) | instskip(NEXT) | instid1(VALU_DEP_1)
	v_cvt_f32_f16_e32 v7, v7
	v_dual_mul_f32 v33, s13, v7 :: v_dual_lshrrev_b32 v7, 16, v36
	s_delay_alu instid0(VALU_DEP_1)
	v_cmpx_nlt_f32_e32 s14, v33
	s_cbranch_execz .LBB68_55
; %bb.54:
	s_delay_alu instid0(VALU_DEP_2) | instskip(SKIP_2) | instid1(VALU_DEP_2)
	v_cvt_f32_f16_e32 v7, v7
	v_mul_f32_e32 v36, 0x3fb8aa3b, v33
	v_cmp_ngt_f32_e32 vcc_lo, 0xc2ce8ed0, v33
	v_rndne_f32_e32 v38, v36
	v_fma_f32 v39, 0x3fb8aa3b, v33, -v36
	s_delay_alu instid0(VALU_DEP_1) | instskip(SKIP_1) | instid1(VALU_DEP_2)
	v_dual_sub_f32 v36, v36, v38 :: v_dual_fmamk_f32 v39, v33, 0x32a5705f, v39
	v_cvt_i32_f32_e32 v38, v38
	v_add_f32_e32 v36, v36, v39
	s_delay_alu instid0(VALU_DEP_1) | instskip(SKIP_1) | instid1(TRANS32_DEP_1)
	v_exp_f32_e32 v36, v36
	v_nop
	v_ldexp_f32 v36, v36, v38
	s_delay_alu instid0(VALU_DEP_1) | instskip(SKIP_1) | instid1(VALU_DEP_2)
	v_cndmask_b32_e32 v36, 0, v36, vcc_lo
	v_cmp_nlt_f32_e32 vcc_lo, 0x42b17218, v33
	v_cndmask_b32_e32 v33, 0x7f800000, v36, vcc_lo
	s_delay_alu instid0(VALU_DEP_1) | instskip(NEXT) | instid1(VALU_DEP_1)
	v_dual_mul_f32 v7, v33, v7 :: v_dual_add_f32 v33, 1.0, v33
	v_div_scale_f32 v36, null, v33, v33, v7
	s_delay_alu instid0(VALU_DEP_1) | instskip(SKIP_1) | instid1(TRANS32_DEP_1)
	v_rcp_f32_e32 v38, v36
	v_nop
	v_fma_f32 v39, -v36, v38, 1.0
	s_delay_alu instid0(VALU_DEP_1) | instskip(SKIP_1) | instid1(VALU_DEP_1)
	v_fmac_f32_e32 v38, v39, v38
	v_div_scale_f32 v39, vcc_lo, v7, v33, v7
	v_mul_f32_e32 v40, v39, v38
	s_delay_alu instid0(VALU_DEP_1) | instskip(NEXT) | instid1(VALU_DEP_1)
	v_fma_f32 v41, -v36, v40, v39
	v_fmac_f32_e32 v40, v41, v38
	s_delay_alu instid0(VALU_DEP_1) | instskip(NEXT) | instid1(VALU_DEP_1)
	v_fma_f32 v36, -v36, v40, v39
	v_div_fmas_f32 v36, v36, v38, v40
	s_delay_alu instid0(VALU_DEP_1) | instskip(NEXT) | instid1(VALU_DEP_1)
	v_div_fixup_f32 v7, v36, v33, v7
	v_cvt_f16_f32_e32 v7, v7
.LBB68_55:
	s_or_b32 exec_lo, exec_lo, s11
	v_cvt_f16_f32_e32 v8, v8
	s_mov_b32 s11, exec_lo
	s_delay_alu instid0(VALU_DEP_1) | instskip(NEXT) | instid1(VALU_DEP_1)
	v_cvt_f32_f16_e32 v8, v8
	v_dual_mul_f32 v33, s13, v8 :: v_dual_mov_b32 v8, v37
	s_delay_alu instid0(VALU_DEP_1)
	v_cmpx_nlt_f32_e32 s14, v33
	s_cbranch_execz .LBB68_57
; %bb.56:
	v_mul_f32_e32 v8, 0x3fb8aa3b, v33
	v_cmp_ngt_f32_e32 vcc_lo, 0xc2ce8ed0, v33
	s_delay_alu instid0(VALU_DEP_2) | instskip(SKIP_1) | instid1(VALU_DEP_2)
	v_rndne_f32_e32 v36, v8
	v_fma_f32 v38, 0x3fb8aa3b, v33, -v8
	v_sub_f32_e32 v8, v8, v36
	s_delay_alu instid0(VALU_DEP_2) | instskip(SKIP_1) | instid1(VALU_DEP_2)
	v_fmamk_f32 v38, v33, 0x32a5705f, v38
	v_cvt_i32_f32_e32 v36, v36
	v_add_f32_e32 v8, v8, v38
	s_delay_alu instid0(VALU_DEP_1) | instskip(SKIP_1) | instid1(TRANS32_DEP_1)
	v_exp_f32_e32 v8, v8
	v_nop
	v_ldexp_f32 v8, v8, v36
	v_cvt_f32_f16_e32 v36, v37
	s_delay_alu instid0(VALU_DEP_2) | instskip(SKIP_1) | instid1(VALU_DEP_2)
	v_cndmask_b32_e32 v8, 0, v8, vcc_lo
	v_cmp_nlt_f32_e32 vcc_lo, 0x42b17218, v33
	v_cndmask_b32_e32 v8, 0x7f800000, v8, vcc_lo
	s_delay_alu instid0(VALU_DEP_1) | instskip(SKIP_1) | instid1(VALU_DEP_1)
	v_mul_f32_e32 v33, v8, v36
	v_add_f32_e32 v8, 1.0, v8
	v_div_scale_f32 v36, null, v8, v8, v33
	s_delay_alu instid0(VALU_DEP_1) | instskip(SKIP_1) | instid1(TRANS32_DEP_1)
	v_rcp_f32_e32 v38, v36
	v_nop
	v_fma_f32 v39, -v36, v38, 1.0
	s_delay_alu instid0(VALU_DEP_1) | instskip(SKIP_1) | instid1(VALU_DEP_1)
	v_fmac_f32_e32 v38, v39, v38
	v_div_scale_f32 v39, vcc_lo, v33, v8, v33
	v_mul_f32_e32 v40, v39, v38
	s_delay_alu instid0(VALU_DEP_1) | instskip(NEXT) | instid1(VALU_DEP_1)
	v_fma_f32 v41, -v36, v40, v39
	v_fmac_f32_e32 v40, v41, v38
	s_delay_alu instid0(VALU_DEP_1) | instskip(NEXT) | instid1(VALU_DEP_1)
	v_fma_f32 v36, -v36, v40, v39
	v_div_fmas_f32 v36, v36, v38, v40
	s_delay_alu instid0(VALU_DEP_1) | instskip(NEXT) | instid1(VALU_DEP_1)
	v_div_fixup_f32 v8, v36, v8, v33
	v_cvt_f16_f32_e32 v8, v8
.LBB68_57:
	s_or_b32 exec_lo, exec_lo, s11
	v_cvt_f16_f32_e32 v9, v9
	s_mov_b32 s11, exec_lo
	s_delay_alu instid0(VALU_DEP_1) | instskip(NEXT) | instid1(VALU_DEP_1)
	v_cvt_f32_f16_e32 v9, v9
	v_mul_f32_e32 v33, s13, v9
	v_lshrrev_b32_e32 v9, 16, v37
	s_delay_alu instid0(VALU_DEP_2)
	v_cmpx_nlt_f32_e32 s14, v33
	s_cbranch_execz .LBB68_59
; %bb.58:
	v_mul_f32_e32 v36, 0x3fb8aa3b, v33
	s_delay_alu instid0(VALU_DEP_3) | instskip(SKIP_1) | instid1(VALU_DEP_3)
	v_cvt_f32_f16_e32 v9, v9
	v_cmp_ngt_f32_e32 vcc_lo, 0xc2ce8ed0, v33
	v_rndne_f32_e32 v37, v36
	v_fma_f32 v38, 0x3fb8aa3b, v33, -v36
	s_delay_alu instid0(VALU_DEP_2) | instskip(NEXT) | instid1(VALU_DEP_2)
	v_sub_f32_e32 v36, v36, v37
	v_fmamk_f32 v38, v33, 0x32a5705f, v38
	v_cvt_i32_f32_e32 v37, v37
	s_delay_alu instid0(VALU_DEP_2) | instskip(NEXT) | instid1(VALU_DEP_1)
	v_add_f32_e32 v36, v36, v38
	v_exp_f32_e32 v36, v36
	v_nop
	s_delay_alu instid0(TRANS32_DEP_1) | instskip(NEXT) | instid1(VALU_DEP_1)
	v_ldexp_f32 v36, v36, v37
	v_cndmask_b32_e32 v36, 0, v36, vcc_lo
	v_cmp_nlt_f32_e32 vcc_lo, 0x42b17218, v33
	s_delay_alu instid0(VALU_DEP_2) | instskip(NEXT) | instid1(VALU_DEP_1)
	v_cndmask_b32_e32 v33, 0x7f800000, v36, vcc_lo
	v_mul_f32_e32 v9, v33, v9
	v_add_f32_e32 v33, 1.0, v33
	s_delay_alu instid0(VALU_DEP_1) | instskip(NEXT) | instid1(VALU_DEP_1)
	v_div_scale_f32 v36, null, v33, v33, v9
	v_rcp_f32_e32 v37, v36
	v_nop
	s_delay_alu instid0(TRANS32_DEP_1) | instskip(NEXT) | instid1(VALU_DEP_1)
	v_fma_f32 v38, -v36, v37, 1.0
	v_fmac_f32_e32 v37, v38, v37
	v_div_scale_f32 v38, vcc_lo, v9, v33, v9
	s_delay_alu instid0(VALU_DEP_1) | instskip(NEXT) | instid1(VALU_DEP_1)
	v_mul_f32_e32 v39, v38, v37
	v_fma_f32 v40, -v36, v39, v38
	s_delay_alu instid0(VALU_DEP_1) | instskip(NEXT) | instid1(VALU_DEP_1)
	v_fmac_f32_e32 v39, v40, v37
	v_fma_f32 v36, -v36, v39, v38
	s_delay_alu instid0(VALU_DEP_1) | instskip(NEXT) | instid1(VALU_DEP_1)
	v_div_fmas_f32 v36, v36, v37, v39
	v_div_fixup_f32 v9, v36, v33, v9
	s_delay_alu instid0(VALU_DEP_1)
	v_cvt_f16_f32_e32 v9, v9
.LBB68_59:
	s_or_b32 exec_lo, exec_lo, s11
	s_wait_loadcnt 0x0
	v_cvt_f16_f32_e32 v2, v2
	s_mov_b32 s11, exec_lo
	s_delay_alu instid0(VALU_DEP_1) | instskip(NEXT) | instid1(VALU_DEP_1)
	v_cvt_f32_f16_e32 v2, v2
	v_dual_mul_f32 v33, s13, v2 :: v_dual_mov_b32 v2, v34
	s_delay_alu instid0(VALU_DEP_1)
	v_cmpx_nlt_f32_e32 s14, v33
	s_cbranch_execz .LBB68_61
; %bb.60:
	v_mul_f32_e32 v2, 0x3fb8aa3b, v33
	v_cmp_ngt_f32_e32 vcc_lo, 0xc2ce8ed0, v33
	s_delay_alu instid0(VALU_DEP_2) | instskip(SKIP_1) | instid1(VALU_DEP_1)
	v_rndne_f32_e32 v36, v2
	v_fma_f32 v37, 0x3fb8aa3b, v33, -v2
	v_dual_sub_f32 v2, v2, v36 :: v_dual_fmamk_f32 v37, v33, 0x32a5705f, v37
	v_cvt_i32_f32_e32 v36, v36
	s_delay_alu instid0(VALU_DEP_2) | instskip(NEXT) | instid1(VALU_DEP_1)
	v_add_f32_e32 v2, v2, v37
	v_exp_f32_e32 v2, v2
	v_nop
	s_delay_alu instid0(TRANS32_DEP_1) | instskip(SKIP_1) | instid1(VALU_DEP_2)
	v_ldexp_f32 v2, v2, v36
	v_cvt_f32_f16_e32 v36, v34
	v_cndmask_b32_e32 v2, 0, v2, vcc_lo
	v_cmp_nlt_f32_e32 vcc_lo, 0x42b17218, v33
	s_delay_alu instid0(VALU_DEP_2) | instskip(NEXT) | instid1(VALU_DEP_1)
	v_cndmask_b32_e32 v2, 0x7f800000, v2, vcc_lo
	v_dual_mul_f32 v33, v2, v36 :: v_dual_add_f32 v2, 1.0, v2
	s_delay_alu instid0(VALU_DEP_1) | instskip(NEXT) | instid1(VALU_DEP_1)
	v_div_scale_f32 v36, null, v2, v2, v33
	v_rcp_f32_e32 v37, v36
	v_nop
	s_delay_alu instid0(TRANS32_DEP_1) | instskip(NEXT) | instid1(VALU_DEP_1)
	v_fma_f32 v38, -v36, v37, 1.0
	v_fmac_f32_e32 v37, v38, v37
	v_div_scale_f32 v38, vcc_lo, v33, v2, v33
	s_delay_alu instid0(VALU_DEP_1) | instskip(NEXT) | instid1(VALU_DEP_1)
	v_mul_f32_e32 v39, v38, v37
	v_fma_f32 v40, -v36, v39, v38
	s_delay_alu instid0(VALU_DEP_1) | instskip(NEXT) | instid1(VALU_DEP_1)
	v_fmac_f32_e32 v39, v40, v37
	v_fma_f32 v36, -v36, v39, v38
	s_delay_alu instid0(VALU_DEP_1) | instskip(NEXT) | instid1(VALU_DEP_1)
	v_div_fmas_f32 v36, v36, v37, v39
	v_div_fixup_f32 v2, v36, v2, v33
	s_delay_alu instid0(VALU_DEP_1)
	v_cvt_f16_f32_e32 v2, v2
.LBB68_61:
	s_or_b32 exec_lo, exec_lo, s11
	v_cvt_f16_f32_e32 v3, v3
	s_mov_b32 s11, exec_lo
	s_delay_alu instid0(VALU_DEP_1) | instskip(NEXT) | instid1(VALU_DEP_1)
	v_cvt_f32_f16_e32 v3, v3
	v_dual_mul_f32 v33, s13, v3 :: v_dual_lshrrev_b32 v3, 16, v34
	s_delay_alu instid0(VALU_DEP_1)
	v_cmpx_nlt_f32_e32 s14, v33
	s_cbranch_execz .LBB68_63
; %bb.62:
	s_delay_alu instid0(VALU_DEP_2) | instskip(SKIP_2) | instid1(VALU_DEP_2)
	v_cvt_f32_f16_e32 v3, v3
	v_mul_f32_e32 v34, 0x3fb8aa3b, v33
	v_cmp_ngt_f32_e32 vcc_lo, 0xc2ce8ed0, v33
	v_rndne_f32_e32 v36, v34
	v_fma_f32 v37, 0x3fb8aa3b, v33, -v34
	s_delay_alu instid0(VALU_DEP_1) | instskip(SKIP_1) | instid1(VALU_DEP_2)
	v_dual_sub_f32 v34, v34, v36 :: v_dual_fmamk_f32 v37, v33, 0x32a5705f, v37
	v_cvt_i32_f32_e32 v36, v36
	v_add_f32_e32 v34, v34, v37
	s_delay_alu instid0(VALU_DEP_1) | instskip(SKIP_1) | instid1(TRANS32_DEP_1)
	v_exp_f32_e32 v34, v34
	v_nop
	v_ldexp_f32 v34, v34, v36
	s_delay_alu instid0(VALU_DEP_1) | instskip(SKIP_1) | instid1(VALU_DEP_2)
	v_cndmask_b32_e32 v34, 0, v34, vcc_lo
	v_cmp_nlt_f32_e32 vcc_lo, 0x42b17218, v33
	v_cndmask_b32_e32 v33, 0x7f800000, v34, vcc_lo
	s_delay_alu instid0(VALU_DEP_1) | instskip(NEXT) | instid1(VALU_DEP_1)
	v_dual_mul_f32 v3, v33, v3 :: v_dual_add_f32 v33, 1.0, v33
	v_div_scale_f32 v34, null, v33, v33, v3
	s_delay_alu instid0(VALU_DEP_1) | instskip(SKIP_1) | instid1(TRANS32_DEP_1)
	v_rcp_f32_e32 v36, v34
	v_nop
	v_fma_f32 v37, -v34, v36, 1.0
	s_delay_alu instid0(VALU_DEP_1) | instskip(SKIP_1) | instid1(VALU_DEP_1)
	v_fmac_f32_e32 v36, v37, v36
	v_div_scale_f32 v37, vcc_lo, v3, v33, v3
	v_mul_f32_e32 v38, v37, v36
	s_delay_alu instid0(VALU_DEP_1) | instskip(NEXT) | instid1(VALU_DEP_1)
	v_fma_f32 v39, -v34, v38, v37
	v_fmac_f32_e32 v38, v39, v36
	s_delay_alu instid0(VALU_DEP_1) | instskip(NEXT) | instid1(VALU_DEP_1)
	v_fma_f32 v34, -v34, v38, v37
	v_div_fmas_f32 v34, v34, v36, v38
	s_delay_alu instid0(VALU_DEP_1) | instskip(NEXT) | instid1(VALU_DEP_1)
	v_div_fixup_f32 v3, v34, v33, v3
	v_cvt_f16_f32_e32 v3, v3
.LBB68_63:
	s_or_b32 exec_lo, exec_lo, s11
	v_cvt_f16_f32_e32 v4, v4
	s_mov_b32 s11, exec_lo
	s_delay_alu instid0(VALU_DEP_1) | instskip(NEXT) | instid1(VALU_DEP_1)
	v_cvt_f32_f16_e32 v4, v4
	v_dual_mul_f32 v33, s13, v4 :: v_dual_mov_b32 v4, v35
	s_delay_alu instid0(VALU_DEP_1)
	v_cmpx_nlt_f32_e32 s14, v33
	s_cbranch_execz .LBB68_65
; %bb.64:
	v_mul_f32_e32 v4, 0x3fb8aa3b, v33
	v_cmp_ngt_f32_e32 vcc_lo, 0xc2ce8ed0, v33
	s_delay_alu instid0(VALU_DEP_2) | instskip(SKIP_1) | instid1(VALU_DEP_2)
	v_rndne_f32_e32 v34, v4
	v_fma_f32 v36, 0x3fb8aa3b, v33, -v4
	v_sub_f32_e32 v4, v4, v34
	s_delay_alu instid0(VALU_DEP_2) | instskip(SKIP_1) | instid1(VALU_DEP_2)
	v_fmamk_f32 v36, v33, 0x32a5705f, v36
	v_cvt_i32_f32_e32 v34, v34
	v_add_f32_e32 v4, v4, v36
	s_delay_alu instid0(VALU_DEP_1) | instskip(SKIP_1) | instid1(TRANS32_DEP_1)
	v_exp_f32_e32 v4, v4
	v_nop
	v_ldexp_f32 v4, v4, v34
	v_cvt_f32_f16_e32 v34, v35
	s_delay_alu instid0(VALU_DEP_2) | instskip(SKIP_1) | instid1(VALU_DEP_2)
	v_cndmask_b32_e32 v4, 0, v4, vcc_lo
	v_cmp_nlt_f32_e32 vcc_lo, 0x42b17218, v33
	v_cndmask_b32_e32 v4, 0x7f800000, v4, vcc_lo
	s_delay_alu instid0(VALU_DEP_1) | instskip(NEXT) | instid1(VALU_DEP_1)
	v_dual_mul_f32 v33, v4, v34 :: v_dual_add_f32 v4, 1.0, v4
	v_div_scale_f32 v34, null, v4, v4, v33
	s_delay_alu instid0(VALU_DEP_1) | instskip(SKIP_1) | instid1(TRANS32_DEP_1)
	v_rcp_f32_e32 v36, v34
	v_nop
	v_fma_f32 v37, -v34, v36, 1.0
	s_delay_alu instid0(VALU_DEP_1) | instskip(SKIP_1) | instid1(VALU_DEP_1)
	v_fmac_f32_e32 v36, v37, v36
	v_div_scale_f32 v37, vcc_lo, v33, v4, v33
	v_mul_f32_e32 v38, v37, v36
	s_delay_alu instid0(VALU_DEP_1) | instskip(NEXT) | instid1(VALU_DEP_1)
	v_fma_f32 v39, -v34, v38, v37
	v_fmac_f32_e32 v38, v39, v36
	s_delay_alu instid0(VALU_DEP_1) | instskip(NEXT) | instid1(VALU_DEP_1)
	v_fma_f32 v34, -v34, v38, v37
	v_div_fmas_f32 v34, v34, v36, v38
	s_delay_alu instid0(VALU_DEP_1) | instskip(NEXT) | instid1(VALU_DEP_1)
	v_div_fixup_f32 v4, v34, v4, v33
	v_cvt_f16_f32_e32 v4, v4
.LBB68_65:
	s_or_b32 exec_lo, exec_lo, s11
	v_cvt_f16_f32_e32 v5, v5
	s_mov_b32 s11, exec_lo
	s_delay_alu instid0(VALU_DEP_1) | instskip(NEXT) | instid1(VALU_DEP_1)
	v_cvt_f32_f16_e32 v5, v5
	v_dual_mul_f32 v33, s13, v5 :: v_dual_lshrrev_b32 v5, 16, v35
	s_delay_alu instid0(VALU_DEP_1)
	v_cmpx_nlt_f32_e32 s14, v33
	s_cbranch_execz .LBB68_67
; %bb.66:
	v_mul_f32_e32 v34, 0x3fb8aa3b, v33
	s_delay_alu instid0(VALU_DEP_3) | instskip(SKIP_1) | instid1(VALU_DEP_3)
	v_cvt_f32_f16_e32 v5, v5
	v_cmp_ngt_f32_e32 vcc_lo, 0xc2ce8ed0, v33
	v_rndne_f32_e32 v35, v34
	v_fma_f32 v36, 0x3fb8aa3b, v33, -v34
	s_delay_alu instid0(VALU_DEP_2) | instskip(NEXT) | instid1(VALU_DEP_2)
	v_sub_f32_e32 v34, v34, v35
	v_fmamk_f32 v36, v33, 0x32a5705f, v36
	v_cvt_i32_f32_e32 v35, v35
	s_delay_alu instid0(VALU_DEP_2) | instskip(NEXT) | instid1(VALU_DEP_1)
	v_add_f32_e32 v34, v34, v36
	v_exp_f32_e32 v34, v34
	v_nop
	s_delay_alu instid0(TRANS32_DEP_1) | instskip(NEXT) | instid1(VALU_DEP_1)
	v_ldexp_f32 v34, v34, v35
	v_cndmask_b32_e32 v34, 0, v34, vcc_lo
	v_cmp_nlt_f32_e32 vcc_lo, 0x42b17218, v33
	s_delay_alu instid0(VALU_DEP_2) | instskip(NEXT) | instid1(VALU_DEP_1)
	v_cndmask_b32_e32 v33, 0x7f800000, v34, vcc_lo
	v_mul_f32_e32 v5, v33, v5
	v_add_f32_e32 v33, 1.0, v33
	s_delay_alu instid0(VALU_DEP_1) | instskip(NEXT) | instid1(VALU_DEP_1)
	v_div_scale_f32 v34, null, v33, v33, v5
	v_rcp_f32_e32 v35, v34
	v_nop
	s_delay_alu instid0(TRANS32_DEP_1) | instskip(NEXT) | instid1(VALU_DEP_1)
	v_fma_f32 v36, -v34, v35, 1.0
	v_fmac_f32_e32 v35, v36, v35
	v_div_scale_f32 v36, vcc_lo, v5, v33, v5
	s_delay_alu instid0(VALU_DEP_1) | instskip(NEXT) | instid1(VALU_DEP_1)
	v_mul_f32_e32 v37, v36, v35
	v_fma_f32 v38, -v34, v37, v36
	s_delay_alu instid0(VALU_DEP_1) | instskip(NEXT) | instid1(VALU_DEP_1)
	v_fmac_f32_e32 v37, v38, v35
	v_fma_f32 v34, -v34, v37, v36
	s_delay_alu instid0(VALU_DEP_1) | instskip(NEXT) | instid1(VALU_DEP_1)
	v_div_fmas_f32 v34, v34, v35, v37
	v_div_fixup_f32 v5, v34, v33, v5
	s_delay_alu instid0(VALU_DEP_1)
	v_cvt_f16_f32_e32 v5, v5
.LBB68_67:
	s_or_b32 exec_lo, exec_lo, s11
	v_perm_b32 v31, v32, v31, 0x5040100
	v_perm_b32 v30, v30, v1, 0x5040100
	;; [unrolled: 1-line block ×12, first 2 shown]
	s_add_nc_u64 s[16:17], s[4:5], s[8:9]
	v_perm_b32 v21, v21, v20, 0x5040100
	v_perm_b32 v20, v19, v18, 0x5040100
	;; [unrolled: 1-line block ×4, first 2 shown]
	s_clause 0x7
	global_store_b64 v0, v[30:31], s[16:17] scale_offset
	global_store_b64 v0, v[28:29], s[16:17] offset:4096 scale_offset
	global_store_b64 v0, v[24:25], s[16:17] offset:8192 scale_offset
	global_store_b64 v0, v[20:21], s[16:17] offset:12288 scale_offset
	global_store_b64 v0, v[16:17], s[16:17] offset:16384 scale_offset
	global_store_b64 v0, v[12:13], s[16:17] offset:20480 scale_offset
	global_store_b64 v0, v[8:9], s[16:17] offset:24576 scale_offset
	global_store_b64 v0, v[4:5], s[16:17] offset:28672 scale_offset
	s_branch .LBB68_2
.LBB68_68:
	s_clause 0x1
	s_load_b32 s11, s[0:1], 0x2c
	s_load_b128 s[16:19], s[0:1], 0x30
	v_dual_mov_b32 v31, v0 :: v_dual_mov_b32 v0, s13
	v_dual_mov_b32 v1, s14 :: v_dual_mov_b32 v2, s4
	;; [unrolled: 1-line block ×5, first 2 shown]
	s_add_nc_u64 s[8:9], s[0:1], 64
	s_wait_xcnt 0x0
	s_get_pc_i64 s[0:1]
	s_add_nc_u64 s[0:1], s[0:1], _ZN2at6native25elementwise_kernel_helperILb1EZZZNS0_12_GLOBAL__N_124softplus_backward_kernelERNS_18TensorIteratorBaseERKN3c106ScalarES8_ENKUlvE_clEvENKUlvE0_clEvEUlffE_NS0_6memory8policies11unroll_baseILi512ESt5arrayIPcLm3EE23TrivialOffsetCalculatorILi2EjESI_ILi1EjENSC_12LoadWithCastILi2EEENSC_13StoreWithCastILi1EEELi32ELi1EEEEEvT0_T1_@rel64+4
	s_wait_kmcnt 0x0
	s_bfe_u32 s12, s11, 0x80008
	v_dual_mov_b32 v9, s11 :: v_dual_mov_b32 v11, s16
	v_dual_mov_b32 v12, s17 :: v_dual_mov_b32 v13, s18
	;; [unrolled: 1-line block ×3, first 2 shown]
	s_swap_pc_i64 s[30:31], s[0:1]
	s_endpgm
	.section	.rodata,"a",@progbits
	.p2align	6, 0x0
	.amdhsa_kernel _ZN2at6native39vectorized_templated_elementwise_kernelILi4EZZZNS0_12_GLOBAL__N_124softplus_backward_kernelERNS_18TensorIteratorBaseERKN3c106ScalarES8_ENKUlvE_clEvENKUlvE0_clEvEUlffE_St5arrayIPcLm3EE23TrivialOffsetCalculatorILi2EjESF_ILi1EjENS0_6memory12LoadWithCastILi2EEENSI_13StoreWithCastILi1EEENS5_4HalfEJSN_fEEEviT0_T1_T2_T3_T4_T5_
		.amdhsa_group_segment_fixed_size 0
		.amdhsa_private_segment_fixed_size 272
		.amdhsa_kernarg_size 320
		.amdhsa_user_sgpr_count 2
		.amdhsa_user_sgpr_dispatch_ptr 0
		.amdhsa_user_sgpr_queue_ptr 0
		.amdhsa_user_sgpr_kernarg_segment_ptr 1
		.amdhsa_user_sgpr_dispatch_id 0
		.amdhsa_user_sgpr_kernarg_preload_length 0
		.amdhsa_user_sgpr_kernarg_preload_offset 0
		.amdhsa_user_sgpr_private_segment_size 0
		.amdhsa_wavefront_size32 1
		.amdhsa_uses_dynamic_stack 0
		.amdhsa_enable_private_segment 1
		.amdhsa_system_sgpr_workgroup_id_x 1
		.amdhsa_system_sgpr_workgroup_id_y 0
		.amdhsa_system_sgpr_workgroup_id_z 0
		.amdhsa_system_sgpr_workgroup_info 0
		.amdhsa_system_vgpr_workitem_id 0
		.amdhsa_next_free_vgpr 132
		.amdhsa_next_free_sgpr 96
		.amdhsa_named_barrier_count 0
		.amdhsa_reserve_vcc 1
		.amdhsa_float_round_mode_32 0
		.amdhsa_float_round_mode_16_64 0
		.amdhsa_float_denorm_mode_32 3
		.amdhsa_float_denorm_mode_16_64 3
		.amdhsa_fp16_overflow 0
		.amdhsa_memory_ordered 1
		.amdhsa_forward_progress 1
		.amdhsa_inst_pref_size 73
		.amdhsa_round_robin_scheduling 0
		.amdhsa_exception_fp_ieee_invalid_op 0
		.amdhsa_exception_fp_denorm_src 0
		.amdhsa_exception_fp_ieee_div_zero 0
		.amdhsa_exception_fp_ieee_overflow 0
		.amdhsa_exception_fp_ieee_underflow 0
		.amdhsa_exception_fp_ieee_inexact 0
		.amdhsa_exception_int_div_zero 0
	.end_amdhsa_kernel
	.section	.text._ZN2at6native39vectorized_templated_elementwise_kernelILi4EZZZNS0_12_GLOBAL__N_124softplus_backward_kernelERNS_18TensorIteratorBaseERKN3c106ScalarES8_ENKUlvE_clEvENKUlvE0_clEvEUlffE_St5arrayIPcLm3EE23TrivialOffsetCalculatorILi2EjESF_ILi1EjENS0_6memory12LoadWithCastILi2EEENSI_13StoreWithCastILi1EEENS5_4HalfEJSN_fEEEviT0_T1_T2_T3_T4_T5_,"axG",@progbits,_ZN2at6native39vectorized_templated_elementwise_kernelILi4EZZZNS0_12_GLOBAL__N_124softplus_backward_kernelERNS_18TensorIteratorBaseERKN3c106ScalarES8_ENKUlvE_clEvENKUlvE0_clEvEUlffE_St5arrayIPcLm3EE23TrivialOffsetCalculatorILi2EjESF_ILi1EjENS0_6memory12LoadWithCastILi2EEENSI_13StoreWithCastILi1EEENS5_4HalfEJSN_fEEEviT0_T1_T2_T3_T4_T5_,comdat
.Lfunc_end68:
	.size	_ZN2at6native39vectorized_templated_elementwise_kernelILi4EZZZNS0_12_GLOBAL__N_124softplus_backward_kernelERNS_18TensorIteratorBaseERKN3c106ScalarES8_ENKUlvE_clEvENKUlvE0_clEvEUlffE_St5arrayIPcLm3EE23TrivialOffsetCalculatorILi2EjESF_ILi1EjENS0_6memory12LoadWithCastILi2EEENSI_13StoreWithCastILi1EEENS5_4HalfEJSN_fEEEviT0_T1_T2_T3_T4_T5_, .Lfunc_end68-_ZN2at6native39vectorized_templated_elementwise_kernelILi4EZZZNS0_12_GLOBAL__N_124softplus_backward_kernelERNS_18TensorIteratorBaseERKN3c106ScalarES8_ENKUlvE_clEvENKUlvE0_clEvEUlffE_St5arrayIPcLm3EE23TrivialOffsetCalculatorILi2EjESF_ILi1EjENS0_6memory12LoadWithCastILi2EEENSI_13StoreWithCastILi1EEENS5_4HalfEJSN_fEEEviT0_T1_T2_T3_T4_T5_
                                        ; -- End function
	.set _ZN2at6native39vectorized_templated_elementwise_kernelILi4EZZZNS0_12_GLOBAL__N_124softplus_backward_kernelERNS_18TensorIteratorBaseERKN3c106ScalarES8_ENKUlvE_clEvENKUlvE0_clEvEUlffE_St5arrayIPcLm3EE23TrivialOffsetCalculatorILi2EjESF_ILi1EjENS0_6memory12LoadWithCastILi2EEENSI_13StoreWithCastILi1EEENS5_4HalfEJSN_fEEEviT0_T1_T2_T3_T4_T5_.num_vgpr, max(55, .L_ZN2at6native25elementwise_kernel_helperILb1EZZZNS0_12_GLOBAL__N_124softplus_backward_kernelERNS_18TensorIteratorBaseERKN3c106ScalarES8_ENKUlvE_clEvENKUlvE0_clEvEUlffE_NS0_6memory8policies11unroll_baseILi512ESt5arrayIPcLm3EE23TrivialOffsetCalculatorILi2EjESI_ILi1EjENSC_12LoadWithCastILi2EEENSC_13StoreWithCastILi1EEELi32ELi1EEEEEvT0_T1_.num_vgpr)
	.set _ZN2at6native39vectorized_templated_elementwise_kernelILi4EZZZNS0_12_GLOBAL__N_124softplus_backward_kernelERNS_18TensorIteratorBaseERKN3c106ScalarES8_ENKUlvE_clEvENKUlvE0_clEvEUlffE_St5arrayIPcLm3EE23TrivialOffsetCalculatorILi2EjESF_ILi1EjENS0_6memory12LoadWithCastILi2EEENSI_13StoreWithCastILi1EEENS5_4HalfEJSN_fEEEviT0_T1_T2_T3_T4_T5_.num_agpr, max(0, .L_ZN2at6native25elementwise_kernel_helperILb1EZZZNS0_12_GLOBAL__N_124softplus_backward_kernelERNS_18TensorIteratorBaseERKN3c106ScalarES8_ENKUlvE_clEvENKUlvE0_clEvEUlffE_NS0_6memory8policies11unroll_baseILi512ESt5arrayIPcLm3EE23TrivialOffsetCalculatorILi2EjESI_ILi1EjENSC_12LoadWithCastILi2EEENSC_13StoreWithCastILi1EEELi32ELi1EEEEEvT0_T1_.num_agpr)
	.set _ZN2at6native39vectorized_templated_elementwise_kernelILi4EZZZNS0_12_GLOBAL__N_124softplus_backward_kernelERNS_18TensorIteratorBaseERKN3c106ScalarES8_ENKUlvE_clEvENKUlvE0_clEvEUlffE_St5arrayIPcLm3EE23TrivialOffsetCalculatorILi2EjESF_ILi1EjENS0_6memory12LoadWithCastILi2EEENSI_13StoreWithCastILi1EEENS5_4HalfEJSN_fEEEviT0_T1_T2_T3_T4_T5_.numbered_sgpr, max(33, .L_ZN2at6native25elementwise_kernel_helperILb1EZZZNS0_12_GLOBAL__N_124softplus_backward_kernelERNS_18TensorIteratorBaseERKN3c106ScalarES8_ENKUlvE_clEvENKUlvE0_clEvEUlffE_NS0_6memory8policies11unroll_baseILi512ESt5arrayIPcLm3EE23TrivialOffsetCalculatorILi2EjESI_ILi1EjENSC_12LoadWithCastILi2EEENSC_13StoreWithCastILi1EEELi32ELi1EEEEEvT0_T1_.numbered_sgpr)
	.set _ZN2at6native39vectorized_templated_elementwise_kernelILi4EZZZNS0_12_GLOBAL__N_124softplus_backward_kernelERNS_18TensorIteratorBaseERKN3c106ScalarES8_ENKUlvE_clEvENKUlvE0_clEvEUlffE_St5arrayIPcLm3EE23TrivialOffsetCalculatorILi2EjESF_ILi1EjENS0_6memory12LoadWithCastILi2EEENSI_13StoreWithCastILi1EEENS5_4HalfEJSN_fEEEviT0_T1_T2_T3_T4_T5_.num_named_barrier, max(0, .L_ZN2at6native25elementwise_kernel_helperILb1EZZZNS0_12_GLOBAL__N_124softplus_backward_kernelERNS_18TensorIteratorBaseERKN3c106ScalarES8_ENKUlvE_clEvENKUlvE0_clEvEUlffE_NS0_6memory8policies11unroll_baseILi512ESt5arrayIPcLm3EE23TrivialOffsetCalculatorILi2EjESI_ILi1EjENSC_12LoadWithCastILi2EEENSC_13StoreWithCastILi1EEELi32ELi1EEEEEvT0_T1_.num_named_barrier)
	.set _ZN2at6native39vectorized_templated_elementwise_kernelILi4EZZZNS0_12_GLOBAL__N_124softplus_backward_kernelERNS_18TensorIteratorBaseERKN3c106ScalarES8_ENKUlvE_clEvENKUlvE0_clEvEUlffE_St5arrayIPcLm3EE23TrivialOffsetCalculatorILi2EjESF_ILi1EjENS0_6memory12LoadWithCastILi2EEENSI_13StoreWithCastILi1EEENS5_4HalfEJSN_fEEEviT0_T1_T2_T3_T4_T5_.private_seg_size, 0+max(.L_ZN2at6native25elementwise_kernel_helperILb1EZZZNS0_12_GLOBAL__N_124softplus_backward_kernelERNS_18TensorIteratorBaseERKN3c106ScalarES8_ENKUlvE_clEvENKUlvE0_clEvEUlffE_NS0_6memory8policies11unroll_baseILi512ESt5arrayIPcLm3EE23TrivialOffsetCalculatorILi2EjESI_ILi1EjENSC_12LoadWithCastILi2EEENSC_13StoreWithCastILi1EEELi32ELi1EEEEEvT0_T1_.private_seg_size)
	.set _ZN2at6native39vectorized_templated_elementwise_kernelILi4EZZZNS0_12_GLOBAL__N_124softplus_backward_kernelERNS_18TensorIteratorBaseERKN3c106ScalarES8_ENKUlvE_clEvENKUlvE0_clEvEUlffE_St5arrayIPcLm3EE23TrivialOffsetCalculatorILi2EjESF_ILi1EjENS0_6memory12LoadWithCastILi2EEENSI_13StoreWithCastILi1EEENS5_4HalfEJSN_fEEEviT0_T1_T2_T3_T4_T5_.uses_vcc, or(1, .L_ZN2at6native25elementwise_kernel_helperILb1EZZZNS0_12_GLOBAL__N_124softplus_backward_kernelERNS_18TensorIteratorBaseERKN3c106ScalarES8_ENKUlvE_clEvENKUlvE0_clEvEUlffE_NS0_6memory8policies11unroll_baseILi512ESt5arrayIPcLm3EE23TrivialOffsetCalculatorILi2EjESI_ILi1EjENSC_12LoadWithCastILi2EEENSC_13StoreWithCastILi1EEELi32ELi1EEEEEvT0_T1_.uses_vcc)
	.set _ZN2at6native39vectorized_templated_elementwise_kernelILi4EZZZNS0_12_GLOBAL__N_124softplus_backward_kernelERNS_18TensorIteratorBaseERKN3c106ScalarES8_ENKUlvE_clEvENKUlvE0_clEvEUlffE_St5arrayIPcLm3EE23TrivialOffsetCalculatorILi2EjESF_ILi1EjENS0_6memory12LoadWithCastILi2EEENSI_13StoreWithCastILi1EEENS5_4HalfEJSN_fEEEviT0_T1_T2_T3_T4_T5_.uses_flat_scratch, or(0, .L_ZN2at6native25elementwise_kernel_helperILb1EZZZNS0_12_GLOBAL__N_124softplus_backward_kernelERNS_18TensorIteratorBaseERKN3c106ScalarES8_ENKUlvE_clEvENKUlvE0_clEvEUlffE_NS0_6memory8policies11unroll_baseILi512ESt5arrayIPcLm3EE23TrivialOffsetCalculatorILi2EjESI_ILi1EjENSC_12LoadWithCastILi2EEENSC_13StoreWithCastILi1EEELi32ELi1EEEEEvT0_T1_.uses_flat_scratch)
	.set _ZN2at6native39vectorized_templated_elementwise_kernelILi4EZZZNS0_12_GLOBAL__N_124softplus_backward_kernelERNS_18TensorIteratorBaseERKN3c106ScalarES8_ENKUlvE_clEvENKUlvE0_clEvEUlffE_St5arrayIPcLm3EE23TrivialOffsetCalculatorILi2EjESF_ILi1EjENS0_6memory12LoadWithCastILi2EEENSI_13StoreWithCastILi1EEENS5_4HalfEJSN_fEEEviT0_T1_T2_T3_T4_T5_.has_dyn_sized_stack, or(0, .L_ZN2at6native25elementwise_kernel_helperILb1EZZZNS0_12_GLOBAL__N_124softplus_backward_kernelERNS_18TensorIteratorBaseERKN3c106ScalarES8_ENKUlvE_clEvENKUlvE0_clEvEUlffE_NS0_6memory8policies11unroll_baseILi512ESt5arrayIPcLm3EE23TrivialOffsetCalculatorILi2EjESI_ILi1EjENSC_12LoadWithCastILi2EEENSC_13StoreWithCastILi1EEELi32ELi1EEEEEvT0_T1_.has_dyn_sized_stack)
	.set _ZN2at6native39vectorized_templated_elementwise_kernelILi4EZZZNS0_12_GLOBAL__N_124softplus_backward_kernelERNS_18TensorIteratorBaseERKN3c106ScalarES8_ENKUlvE_clEvENKUlvE0_clEvEUlffE_St5arrayIPcLm3EE23TrivialOffsetCalculatorILi2EjESF_ILi1EjENS0_6memory12LoadWithCastILi2EEENSI_13StoreWithCastILi1EEENS5_4HalfEJSN_fEEEviT0_T1_T2_T3_T4_T5_.has_recursion, or(0, .L_ZN2at6native25elementwise_kernel_helperILb1EZZZNS0_12_GLOBAL__N_124softplus_backward_kernelERNS_18TensorIteratorBaseERKN3c106ScalarES8_ENKUlvE_clEvENKUlvE0_clEvEUlffE_NS0_6memory8policies11unroll_baseILi512ESt5arrayIPcLm3EE23TrivialOffsetCalculatorILi2EjESI_ILi1EjENSC_12LoadWithCastILi2EEENSC_13StoreWithCastILi1EEELi32ELi1EEEEEvT0_T1_.has_recursion)
	.set _ZN2at6native39vectorized_templated_elementwise_kernelILi4EZZZNS0_12_GLOBAL__N_124softplus_backward_kernelERNS_18TensorIteratorBaseERKN3c106ScalarES8_ENKUlvE_clEvENKUlvE0_clEvEUlffE_St5arrayIPcLm3EE23TrivialOffsetCalculatorILi2EjESF_ILi1EjENS0_6memory12LoadWithCastILi2EEENSI_13StoreWithCastILi1EEENS5_4HalfEJSN_fEEEviT0_T1_T2_T3_T4_T5_.has_indirect_call, or(0, .L_ZN2at6native25elementwise_kernel_helperILb1EZZZNS0_12_GLOBAL__N_124softplus_backward_kernelERNS_18TensorIteratorBaseERKN3c106ScalarES8_ENKUlvE_clEvENKUlvE0_clEvEUlffE_NS0_6memory8policies11unroll_baseILi512ESt5arrayIPcLm3EE23TrivialOffsetCalculatorILi2EjESI_ILi1EjENSC_12LoadWithCastILi2EEENSC_13StoreWithCastILi1EEELi32ELi1EEEEEvT0_T1_.has_indirect_call)
	.section	.AMDGPU.csdata,"",@progbits
; Kernel info:
; codeLenInByte = 9252
; TotalNumSgprs: 98
; NumVgprs: 132
; ScratchSize: 272
; MemoryBound: 0
; FloatMode: 240
; IeeeMode: 1
; LDSByteSize: 0 bytes/workgroup (compile time only)
; SGPRBlocks: 0
; VGPRBlocks: 8
; NumSGPRsForWavesPerEU: 98
; NumVGPRsForWavesPerEU: 132
; NamedBarCnt: 0
; Occupancy: 7
; WaveLimiterHint : 1
; COMPUTE_PGM_RSRC2:SCRATCH_EN: 1
; COMPUTE_PGM_RSRC2:USER_SGPR: 2
; COMPUTE_PGM_RSRC2:TRAP_HANDLER: 0
; COMPUTE_PGM_RSRC2:TGID_X_EN: 1
; COMPUTE_PGM_RSRC2:TGID_Y_EN: 0
; COMPUTE_PGM_RSRC2:TGID_Z_EN: 0
; COMPUTE_PGM_RSRC2:TIDIG_COMP_CNT: 0
	.section	.text._ZN2at6native39vectorized_templated_elementwise_kernelILi2EZZZNS0_12_GLOBAL__N_124softplus_backward_kernelERNS_18TensorIteratorBaseERKN3c106ScalarES8_ENKUlvE_clEvENKUlvE0_clEvEUlffE_St5arrayIPcLm3EE23TrivialOffsetCalculatorILi2EjESF_ILi1EjENS0_6memory12LoadWithCastILi2EEENSI_13StoreWithCastILi1EEENS5_4HalfEJSN_fEEEviT0_T1_T2_T3_T4_T5_,"axG",@progbits,_ZN2at6native39vectorized_templated_elementwise_kernelILi2EZZZNS0_12_GLOBAL__N_124softplus_backward_kernelERNS_18TensorIteratorBaseERKN3c106ScalarES8_ENKUlvE_clEvENKUlvE0_clEvEUlffE_St5arrayIPcLm3EE23TrivialOffsetCalculatorILi2EjESF_ILi1EjENS0_6memory12LoadWithCastILi2EEENSI_13StoreWithCastILi1EEENS5_4HalfEJSN_fEEEviT0_T1_T2_T3_T4_T5_,comdat
	.globl	_ZN2at6native39vectorized_templated_elementwise_kernelILi2EZZZNS0_12_GLOBAL__N_124softplus_backward_kernelERNS_18TensorIteratorBaseERKN3c106ScalarES8_ENKUlvE_clEvENKUlvE0_clEvEUlffE_St5arrayIPcLm3EE23TrivialOffsetCalculatorILi2EjESF_ILi1EjENS0_6memory12LoadWithCastILi2EEENSI_13StoreWithCastILi1EEENS5_4HalfEJSN_fEEEviT0_T1_T2_T3_T4_T5_ ; -- Begin function _ZN2at6native39vectorized_templated_elementwise_kernelILi2EZZZNS0_12_GLOBAL__N_124softplus_backward_kernelERNS_18TensorIteratorBaseERKN3c106ScalarES8_ENKUlvE_clEvENKUlvE0_clEvEUlffE_St5arrayIPcLm3EE23TrivialOffsetCalculatorILi2EjESF_ILi1EjENS0_6memory12LoadWithCastILi2EEENSI_13StoreWithCastILi1EEENS5_4HalfEJSN_fEEEviT0_T1_T2_T3_T4_T5_
	.p2align	8
	.type	_ZN2at6native39vectorized_templated_elementwise_kernelILi2EZZZNS0_12_GLOBAL__N_124softplus_backward_kernelERNS_18TensorIteratorBaseERKN3c106ScalarES8_ENKUlvE_clEvENKUlvE0_clEvEUlffE_St5arrayIPcLm3EE23TrivialOffsetCalculatorILi2EjESF_ILi1EjENS0_6memory12LoadWithCastILi2EEENSI_13StoreWithCastILi1EEENS5_4HalfEJSN_fEEEviT0_T1_T2_T3_T4_T5_,@function
_ZN2at6native39vectorized_templated_elementwise_kernelILi2EZZZNS0_12_GLOBAL__N_124softplus_backward_kernelERNS_18TensorIteratorBaseERKN3c106ScalarES8_ENKUlvE_clEvENKUlvE0_clEvEUlffE_St5arrayIPcLm3EE23TrivialOffsetCalculatorILi2EjESF_ILi1EjENS0_6memory12LoadWithCastILi2EEENSI_13StoreWithCastILi1EEENS5_4HalfEJSN_fEEEviT0_T1_T2_T3_T4_T5_: ; @_ZN2at6native39vectorized_templated_elementwise_kernelILi2EZZZNS0_12_GLOBAL__N_124softplus_backward_kernelERNS_18TensorIteratorBaseERKN3c106ScalarES8_ENKUlvE_clEvENKUlvE0_clEvEUlffE_St5arrayIPcLm3EE23TrivialOffsetCalculatorILi2EjESF_ILi1EjENS0_6memory12LoadWithCastILi2EEENSI_13StoreWithCastILi1EEENS5_4HalfEJSN_fEEEviT0_T1_T2_T3_T4_T5_
; %bb.0:
	s_clause 0x2
	s_load_b32 s8, s[0:1], 0x40
	s_load_b96 s[12:14], s[0:1], 0x0
	s_load_b64 s[2:3], s[0:1], 0x20
	s_bfe_u32 s9, ttmp6, 0x4000c
	s_load_b128 s[4:7], s[0:1], 0x10
	s_add_co_i32 s9, s9, 1
	s_and_b32 s10, ttmp6, 15
	s_mul_i32 s9, ttmp9, s9
	s_getreg_b32 s11, hwreg(HW_REG_IB_STS2, 6, 4)
	s_add_co_i32 s10, s10, s9
	s_cmp_eq_u32 s11, 0
	s_mov_b32 s32, 0
	s_cselect_b32 s9, ttmp9, s10
	s_delay_alu instid0(SALU_CYCLE_1) | instskip(SKIP_2) | instid1(SALU_CYCLE_1)
	s_not_b32 s9, s9
	s_wait_kmcnt 0x0
	s_add_co_i32 s8, s8, s9
	s_lshl_b32 s10, s8, 14
	s_mov_b32 s8, -1
	s_sub_co_i32 s12, s12, s10
	s_delay_alu instid0(SALU_CYCLE_1)
	s_cmp_gt_i32 s12, 0x3fff
	s_cbranch_scc1 .LBB69_3
; %bb.1:
	s_and_b32 vcc_lo, exec_lo, s8
	s_cbranch_vccnz .LBB69_68
.LBB69_2:
	s_sendmsg sendmsg(MSG_DEALLOC_VGPRS)
	s_endpgm
.LBB69_3:
	s_ashr_i32 s11, s10, 31
	s_delay_alu instid0(SALU_CYCLE_1)
	s_lshl_b64 s[8:9], s[10:11], 1
	s_lshl_b64 s[10:11], s[10:11], 2
	s_add_nc_u64 s[16:17], s[6:7], s[8:9]
	s_add_nc_u64 s[10:11], s[2:3], s[10:11]
	s_clause 0x1f
	global_load_b32 v48, v0, s[16:17] scale_offset
	global_load_b32 v47, v0, s[16:17] offset:2048 scale_offset
	global_load_b32 v46, v0, s[16:17] offset:4096 scale_offset
	;; [unrolled: 1-line block ×7, first 2 shown]
	global_load_b64 v[32:33], v0, s[10:11] scale_offset
	global_load_b32 v40, v0, s[16:17] offset:16384 scale_offset
	global_load_b32 v39, v0, s[16:17] offset:18432 scale_offset
	;; [unrolled: 1-line block ×8, first 2 shown]
	global_load_b64 v[30:31], v0, s[10:11] offset:4096 scale_offset
	global_load_b64 v[28:29], v0, s[10:11] offset:8192 scale_offset
	;; [unrolled: 1-line block ×13, first 2 shown]
	; meta instruction
	global_load_b64 v[4:5], v0, s[10:11] offset:57344 scale_offset
	global_load_b64 v[2:3], v0, s[10:11] offset:61440 scale_offset
	s_wait_xcnt 0x0
	s_mov_b32 s10, exec_lo
	s_wait_loadcnt 0x17
	v_cvt_f16_f32_e32 v32, v32
	s_delay_alu instid0(VALU_DEP_1) | instskip(NEXT) | instid1(VALU_DEP_1)
	v_cvt_f32_f16_e32 v32, v32
	v_dual_mul_f32 v49, s13, v32 :: v_dual_mov_b32 v32, v48
	s_delay_alu instid0(VALU_DEP_1)
	v_cmpx_nlt_f32_e32 s14, v49
	s_cbranch_execz .LBB69_5
; %bb.4:
	v_mul_f32_e32 v32, 0x3fb8aa3b, v49
	v_cmp_ngt_f32_e32 vcc_lo, 0xc2ce8ed0, v49
	s_delay_alu instid0(VALU_DEP_2) | instskip(SKIP_1) | instid1(VALU_DEP_1)
	v_rndne_f32_e32 v50, v32
	v_fma_f32 v51, 0x3fb8aa3b, v49, -v32
	v_dual_sub_f32 v32, v32, v50 :: v_dual_fmamk_f32 v51, v49, 0x32a5705f, v51
	v_cvt_i32_f32_e32 v50, v50
	s_delay_alu instid0(VALU_DEP_2) | instskip(NEXT) | instid1(VALU_DEP_1)
	v_add_f32_e32 v32, v32, v51
	v_exp_f32_e32 v32, v32
	v_nop
	s_delay_alu instid0(TRANS32_DEP_1) | instskip(SKIP_1) | instid1(VALU_DEP_2)
	v_ldexp_f32 v32, v32, v50
	v_cvt_f32_f16_e32 v50, v48
	v_cndmask_b32_e32 v32, 0, v32, vcc_lo
	v_cmp_nlt_f32_e32 vcc_lo, 0x42b17218, v49
	s_delay_alu instid0(VALU_DEP_2) | instskip(NEXT) | instid1(VALU_DEP_1)
	v_cndmask_b32_e32 v32, 0x7f800000, v32, vcc_lo
	v_dual_mul_f32 v49, v32, v50 :: v_dual_add_f32 v32, 1.0, v32
	s_delay_alu instid0(VALU_DEP_1) | instskip(NEXT) | instid1(VALU_DEP_1)
	v_div_scale_f32 v50, null, v32, v32, v49
	v_rcp_f32_e32 v51, v50
	v_nop
	s_delay_alu instid0(TRANS32_DEP_1) | instskip(NEXT) | instid1(VALU_DEP_1)
	v_fma_f32 v52, -v50, v51, 1.0
	v_fmac_f32_e32 v51, v52, v51
	v_div_scale_f32 v52, vcc_lo, v49, v32, v49
	s_delay_alu instid0(VALU_DEP_1) | instskip(NEXT) | instid1(VALU_DEP_1)
	v_mul_f32_e32 v53, v52, v51
	v_fma_f32 v54, -v50, v53, v52
	s_delay_alu instid0(VALU_DEP_1) | instskip(NEXT) | instid1(VALU_DEP_1)
	v_fmac_f32_e32 v53, v54, v51
	v_fma_f32 v50, -v50, v53, v52
	s_delay_alu instid0(VALU_DEP_1) | instskip(NEXT) | instid1(VALU_DEP_1)
	v_div_fmas_f32 v50, v50, v51, v53
	v_div_fixup_f32 v32, v50, v32, v49
	s_delay_alu instid0(VALU_DEP_1)
	v_cvt_f16_f32_e32 v32, v32
.LBB69_5:
	s_or_b32 exec_lo, exec_lo, s10
	v_cvt_f16_f32_e32 v33, v33
	s_mov_b32 s10, exec_lo
	s_delay_alu instid0(VALU_DEP_1) | instskip(NEXT) | instid1(VALU_DEP_1)
	v_cvt_f32_f16_e32 v33, v33
	v_dual_mul_f32 v49, s13, v33 :: v_dual_lshrrev_b32 v33, 16, v48
	s_delay_alu instid0(VALU_DEP_1)
	v_cmpx_nlt_f32_e32 s14, v49
	s_cbranch_execz .LBB69_7
; %bb.6:
	v_mul_f32_e32 v48, 0x3fb8aa3b, v49
	v_cmp_ngt_f32_e32 vcc_lo, 0xc2ce8ed0, v49
	v_cvt_f32_f16_e32 v33, v33
	s_delay_alu instid0(VALU_DEP_3) | instskip(SKIP_1) | instid1(VALU_DEP_1)
	v_rndne_f32_e32 v50, v48
	v_fma_f32 v51, 0x3fb8aa3b, v49, -v48
	v_dual_sub_f32 v48, v48, v50 :: v_dual_fmamk_f32 v51, v49, 0x32a5705f, v51
	v_cvt_i32_f32_e32 v50, v50
	s_delay_alu instid0(VALU_DEP_2) | instskip(NEXT) | instid1(VALU_DEP_1)
	v_add_f32_e32 v48, v48, v51
	v_exp_f32_e32 v48, v48
	v_nop
	s_delay_alu instid0(TRANS32_DEP_1) | instskip(NEXT) | instid1(VALU_DEP_1)
	v_ldexp_f32 v48, v48, v50
	v_cndmask_b32_e32 v48, 0, v48, vcc_lo
	v_cmp_nlt_f32_e32 vcc_lo, 0x42b17218, v49
	s_delay_alu instid0(VALU_DEP_2) | instskip(NEXT) | instid1(VALU_DEP_1)
	v_cndmask_b32_e32 v48, 0x7f800000, v48, vcc_lo
	v_dual_mul_f32 v33, v48, v33 :: v_dual_add_f32 v48, 1.0, v48
	s_delay_alu instid0(VALU_DEP_1) | instskip(NEXT) | instid1(VALU_DEP_1)
	v_div_scale_f32 v49, null, v48, v48, v33
	v_rcp_f32_e32 v50, v49
	v_nop
	s_delay_alu instid0(TRANS32_DEP_1) | instskip(NEXT) | instid1(VALU_DEP_1)
	v_fma_f32 v51, -v49, v50, 1.0
	v_fmac_f32_e32 v50, v51, v50
	v_div_scale_f32 v51, vcc_lo, v33, v48, v33
	s_delay_alu instid0(VALU_DEP_1) | instskip(NEXT) | instid1(VALU_DEP_1)
	v_mul_f32_e32 v52, v51, v50
	v_fma_f32 v53, -v49, v52, v51
	s_delay_alu instid0(VALU_DEP_1) | instskip(NEXT) | instid1(VALU_DEP_1)
	v_fmac_f32_e32 v52, v53, v50
	v_fma_f32 v49, -v49, v52, v51
	s_delay_alu instid0(VALU_DEP_1) | instskip(NEXT) | instid1(VALU_DEP_1)
	v_div_fmas_f32 v49, v49, v50, v52
	v_div_fixup_f32 v33, v49, v48, v33
	s_delay_alu instid0(VALU_DEP_1)
	v_cvt_f16_f32_e32 v33, v33
.LBB69_7:
	s_or_b32 exec_lo, exec_lo, s10
	s_wait_loadcnt 0xe
	v_cvt_f16_f32_e32 v30, v30
	s_mov_b32 s10, exec_lo
	s_delay_alu instid0(VALU_DEP_1) | instskip(NEXT) | instid1(VALU_DEP_1)
	v_cvt_f32_f16_e32 v30, v30
	v_dual_mul_f32 v48, s13, v30 :: v_dual_mov_b32 v30, v47
	s_delay_alu instid0(VALU_DEP_1)
	v_cmpx_nlt_f32_e32 s14, v48
	s_cbranch_execz .LBB69_9
; %bb.8:
	v_mul_f32_e32 v30, 0x3fb8aa3b, v48
	v_cmp_ngt_f32_e32 vcc_lo, 0xc2ce8ed0, v48
	s_delay_alu instid0(VALU_DEP_2) | instskip(SKIP_1) | instid1(VALU_DEP_2)
	v_rndne_f32_e32 v49, v30
	v_fma_f32 v50, 0x3fb8aa3b, v48, -v30
	v_sub_f32_e32 v30, v30, v49
	s_delay_alu instid0(VALU_DEP_2) | instskip(SKIP_1) | instid1(VALU_DEP_2)
	v_fmamk_f32 v50, v48, 0x32a5705f, v50
	v_cvt_i32_f32_e32 v49, v49
	v_add_f32_e32 v30, v30, v50
	s_delay_alu instid0(VALU_DEP_1) | instskip(SKIP_1) | instid1(TRANS32_DEP_1)
	v_exp_f32_e32 v30, v30
	v_nop
	v_ldexp_f32 v30, v30, v49
	v_cvt_f32_f16_e32 v49, v47
	s_delay_alu instid0(VALU_DEP_2) | instskip(SKIP_1) | instid1(VALU_DEP_2)
	v_cndmask_b32_e32 v30, 0, v30, vcc_lo
	v_cmp_nlt_f32_e32 vcc_lo, 0x42b17218, v48
	v_cndmask_b32_e32 v30, 0x7f800000, v30, vcc_lo
	s_delay_alu instid0(VALU_DEP_1) | instskip(NEXT) | instid1(VALU_DEP_1)
	v_dual_mul_f32 v48, v30, v49 :: v_dual_add_f32 v30, 1.0, v30
	v_div_scale_f32 v49, null, v30, v30, v48
	s_delay_alu instid0(VALU_DEP_1) | instskip(SKIP_1) | instid1(TRANS32_DEP_1)
	v_rcp_f32_e32 v50, v49
	v_nop
	v_fma_f32 v51, -v49, v50, 1.0
	s_delay_alu instid0(VALU_DEP_1) | instskip(SKIP_1) | instid1(VALU_DEP_1)
	v_fmac_f32_e32 v50, v51, v50
	v_div_scale_f32 v51, vcc_lo, v48, v30, v48
	v_mul_f32_e32 v52, v51, v50
	s_delay_alu instid0(VALU_DEP_1) | instskip(NEXT) | instid1(VALU_DEP_1)
	v_fma_f32 v53, -v49, v52, v51
	v_fmac_f32_e32 v52, v53, v50
	s_delay_alu instid0(VALU_DEP_1) | instskip(NEXT) | instid1(VALU_DEP_1)
	v_fma_f32 v49, -v49, v52, v51
	v_div_fmas_f32 v49, v49, v50, v52
	s_delay_alu instid0(VALU_DEP_1) | instskip(NEXT) | instid1(VALU_DEP_1)
	v_div_fixup_f32 v30, v49, v30, v48
	v_cvt_f16_f32_e32 v30, v30
.LBB69_9:
	s_or_b32 exec_lo, exec_lo, s10
	v_cvt_f16_f32_e32 v31, v31
	s_mov_b32 s10, exec_lo
	s_delay_alu instid0(VALU_DEP_1) | instskip(NEXT) | instid1(VALU_DEP_1)
	v_cvt_f32_f16_e32 v31, v31
	v_mul_f32_e32 v48, s13, v31
	v_lshrrev_b32_e32 v31, 16, v47
	s_delay_alu instid0(VALU_DEP_2)
	v_cmpx_nlt_f32_e32 s14, v48
	s_cbranch_execz .LBB69_11
; %bb.10:
	v_mul_f32_e32 v47, 0x3fb8aa3b, v48
	v_cmp_ngt_f32_e32 vcc_lo, 0xc2ce8ed0, v48
	v_cvt_f32_f16_e32 v31, v31
	s_delay_alu instid0(VALU_DEP_3) | instskip(SKIP_1) | instid1(VALU_DEP_1)
	v_rndne_f32_e32 v49, v47
	v_fma_f32 v50, 0x3fb8aa3b, v48, -v47
	v_dual_sub_f32 v47, v47, v49 :: v_dual_fmamk_f32 v50, v48, 0x32a5705f, v50
	v_cvt_i32_f32_e32 v49, v49
	s_delay_alu instid0(VALU_DEP_2) | instskip(NEXT) | instid1(VALU_DEP_1)
	v_add_f32_e32 v47, v47, v50
	v_exp_f32_e32 v47, v47
	v_nop
	s_delay_alu instid0(TRANS32_DEP_1) | instskip(NEXT) | instid1(VALU_DEP_1)
	v_ldexp_f32 v47, v47, v49
	v_cndmask_b32_e32 v47, 0, v47, vcc_lo
	v_cmp_nlt_f32_e32 vcc_lo, 0x42b17218, v48
	s_delay_alu instid0(VALU_DEP_2) | instskip(NEXT) | instid1(VALU_DEP_1)
	v_cndmask_b32_e32 v47, 0x7f800000, v47, vcc_lo
	v_mul_f32_e32 v31, v47, v31
	v_add_f32_e32 v47, 1.0, v47
	s_delay_alu instid0(VALU_DEP_1) | instskip(NEXT) | instid1(VALU_DEP_1)
	v_div_scale_f32 v48, null, v47, v47, v31
	v_rcp_f32_e32 v49, v48
	v_nop
	s_delay_alu instid0(TRANS32_DEP_1) | instskip(NEXT) | instid1(VALU_DEP_1)
	v_fma_f32 v50, -v48, v49, 1.0
	v_fmac_f32_e32 v49, v50, v49
	v_div_scale_f32 v50, vcc_lo, v31, v47, v31
	s_delay_alu instid0(VALU_DEP_1) | instskip(NEXT) | instid1(VALU_DEP_1)
	v_mul_f32_e32 v51, v50, v49
	v_fma_f32 v52, -v48, v51, v50
	s_delay_alu instid0(VALU_DEP_1) | instskip(NEXT) | instid1(VALU_DEP_1)
	v_fmac_f32_e32 v51, v52, v49
	v_fma_f32 v48, -v48, v51, v50
	s_delay_alu instid0(VALU_DEP_1) | instskip(NEXT) | instid1(VALU_DEP_1)
	v_div_fmas_f32 v48, v48, v49, v51
	v_div_fixup_f32 v31, v48, v47, v31
	s_delay_alu instid0(VALU_DEP_1)
	v_cvt_f16_f32_e32 v31, v31
.LBB69_11:
	s_or_b32 exec_lo, exec_lo, s10
	s_wait_loadcnt 0xd
	v_cvt_f16_f32_e32 v28, v28
	s_mov_b32 s10, exec_lo
	s_delay_alu instid0(VALU_DEP_1) | instskip(NEXT) | instid1(VALU_DEP_1)
	v_cvt_f32_f16_e32 v28, v28
	v_dual_mul_f32 v47, s13, v28 :: v_dual_mov_b32 v28, v46
	s_delay_alu instid0(VALU_DEP_1)
	v_cmpx_nlt_f32_e32 s14, v47
	s_cbranch_execz .LBB69_13
; %bb.12:
	v_mul_f32_e32 v28, 0x3fb8aa3b, v47
	v_cmp_ngt_f32_e32 vcc_lo, 0xc2ce8ed0, v47
	s_delay_alu instid0(VALU_DEP_2) | instskip(SKIP_1) | instid1(VALU_DEP_1)
	v_rndne_f32_e32 v48, v28
	v_fma_f32 v49, 0x3fb8aa3b, v47, -v28
	v_dual_sub_f32 v28, v28, v48 :: v_dual_fmamk_f32 v49, v47, 0x32a5705f, v49
	v_cvt_i32_f32_e32 v48, v48
	s_delay_alu instid0(VALU_DEP_2) | instskip(NEXT) | instid1(VALU_DEP_1)
	v_add_f32_e32 v28, v28, v49
	v_exp_f32_e32 v28, v28
	v_nop
	s_delay_alu instid0(TRANS32_DEP_1) | instskip(SKIP_1) | instid1(VALU_DEP_2)
	v_ldexp_f32 v28, v28, v48
	v_cvt_f32_f16_e32 v48, v46
	v_cndmask_b32_e32 v28, 0, v28, vcc_lo
	v_cmp_nlt_f32_e32 vcc_lo, 0x42b17218, v47
	s_delay_alu instid0(VALU_DEP_2) | instskip(NEXT) | instid1(VALU_DEP_1)
	v_cndmask_b32_e32 v28, 0x7f800000, v28, vcc_lo
	v_mul_f32_e32 v47, v28, v48
	v_add_f32_e32 v28, 1.0, v28
	s_delay_alu instid0(VALU_DEP_1) | instskip(NEXT) | instid1(VALU_DEP_1)
	v_div_scale_f32 v48, null, v28, v28, v47
	v_rcp_f32_e32 v49, v48
	v_nop
	s_delay_alu instid0(TRANS32_DEP_1) | instskip(NEXT) | instid1(VALU_DEP_1)
	v_fma_f32 v50, -v48, v49, 1.0
	v_fmac_f32_e32 v49, v50, v49
	v_div_scale_f32 v50, vcc_lo, v47, v28, v47
	s_delay_alu instid0(VALU_DEP_1) | instskip(NEXT) | instid1(VALU_DEP_1)
	v_mul_f32_e32 v51, v50, v49
	v_fma_f32 v52, -v48, v51, v50
	s_delay_alu instid0(VALU_DEP_1) | instskip(NEXT) | instid1(VALU_DEP_1)
	v_fmac_f32_e32 v51, v52, v49
	v_fma_f32 v48, -v48, v51, v50
	s_delay_alu instid0(VALU_DEP_1) | instskip(NEXT) | instid1(VALU_DEP_1)
	v_div_fmas_f32 v48, v48, v49, v51
	v_div_fixup_f32 v28, v48, v28, v47
	s_delay_alu instid0(VALU_DEP_1)
	v_cvt_f16_f32_e32 v28, v28
.LBB69_13:
	s_or_b32 exec_lo, exec_lo, s10
	v_cvt_f16_f32_e32 v29, v29
	s_mov_b32 s10, exec_lo
	s_delay_alu instid0(VALU_DEP_1) | instskip(NEXT) | instid1(VALU_DEP_1)
	v_cvt_f32_f16_e32 v29, v29
	v_dual_mul_f32 v47, s13, v29 :: v_dual_lshrrev_b32 v29, 16, v46
	s_delay_alu instid0(VALU_DEP_1)
	v_cmpx_nlt_f32_e32 s14, v47
	s_cbranch_execz .LBB69_15
; %bb.14:
	v_mul_f32_e32 v46, 0x3fb8aa3b, v47
	v_cmp_ngt_f32_e32 vcc_lo, 0xc2ce8ed0, v47
	v_cvt_f32_f16_e32 v29, v29
	s_delay_alu instid0(VALU_DEP_3) | instskip(SKIP_1) | instid1(VALU_DEP_1)
	v_rndne_f32_e32 v48, v46
	v_fma_f32 v49, 0x3fb8aa3b, v47, -v46
	v_dual_sub_f32 v46, v46, v48 :: v_dual_fmamk_f32 v49, v47, 0x32a5705f, v49
	v_cvt_i32_f32_e32 v48, v48
	s_delay_alu instid0(VALU_DEP_2) | instskip(NEXT) | instid1(VALU_DEP_1)
	v_add_f32_e32 v46, v46, v49
	v_exp_f32_e32 v46, v46
	v_nop
	s_delay_alu instid0(TRANS32_DEP_1) | instskip(NEXT) | instid1(VALU_DEP_1)
	v_ldexp_f32 v46, v46, v48
	v_cndmask_b32_e32 v46, 0, v46, vcc_lo
	v_cmp_nlt_f32_e32 vcc_lo, 0x42b17218, v47
	s_delay_alu instid0(VALU_DEP_2) | instskip(NEXT) | instid1(VALU_DEP_1)
	v_cndmask_b32_e32 v46, 0x7f800000, v46, vcc_lo
	v_dual_mul_f32 v29, v46, v29 :: v_dual_add_f32 v46, 1.0, v46
	s_delay_alu instid0(VALU_DEP_1) | instskip(NEXT) | instid1(VALU_DEP_1)
	v_div_scale_f32 v47, null, v46, v46, v29
	v_rcp_f32_e32 v48, v47
	v_nop
	s_delay_alu instid0(TRANS32_DEP_1) | instskip(NEXT) | instid1(VALU_DEP_1)
	v_fma_f32 v49, -v47, v48, 1.0
	v_fmac_f32_e32 v48, v49, v48
	v_div_scale_f32 v49, vcc_lo, v29, v46, v29
	s_delay_alu instid0(VALU_DEP_1) | instskip(NEXT) | instid1(VALU_DEP_1)
	v_mul_f32_e32 v50, v49, v48
	v_fma_f32 v51, -v47, v50, v49
	s_delay_alu instid0(VALU_DEP_1) | instskip(NEXT) | instid1(VALU_DEP_1)
	v_fmac_f32_e32 v50, v51, v48
	v_fma_f32 v47, -v47, v50, v49
	s_delay_alu instid0(VALU_DEP_1) | instskip(NEXT) | instid1(VALU_DEP_1)
	v_div_fmas_f32 v47, v47, v48, v50
	v_div_fixup_f32 v29, v47, v46, v29
	s_delay_alu instid0(VALU_DEP_1)
	v_cvt_f16_f32_e32 v29, v29
.LBB69_15:
	s_or_b32 exec_lo, exec_lo, s10
	s_wait_loadcnt 0xc
	v_cvt_f16_f32_e32 v26, v26
	s_mov_b32 s10, exec_lo
	s_delay_alu instid0(VALU_DEP_1) | instskip(NEXT) | instid1(VALU_DEP_1)
	v_cvt_f32_f16_e32 v26, v26
	v_dual_mul_f32 v46, s13, v26 :: v_dual_mov_b32 v26, v45
	s_delay_alu instid0(VALU_DEP_1)
	v_cmpx_nlt_f32_e32 s14, v46
	s_cbranch_execz .LBB69_17
; %bb.16:
	v_mul_f32_e32 v26, 0x3fb8aa3b, v46
	v_cmp_ngt_f32_e32 vcc_lo, 0xc2ce8ed0, v46
	s_delay_alu instid0(VALU_DEP_2) | instskip(SKIP_1) | instid1(VALU_DEP_2)
	v_rndne_f32_e32 v47, v26
	v_fma_f32 v48, 0x3fb8aa3b, v46, -v26
	v_sub_f32_e32 v26, v26, v47
	s_delay_alu instid0(VALU_DEP_2) | instskip(SKIP_1) | instid1(VALU_DEP_2)
	v_fmamk_f32 v48, v46, 0x32a5705f, v48
	v_cvt_i32_f32_e32 v47, v47
	v_add_f32_e32 v26, v26, v48
	s_delay_alu instid0(VALU_DEP_1) | instskip(SKIP_1) | instid1(TRANS32_DEP_1)
	v_exp_f32_e32 v26, v26
	v_nop
	v_ldexp_f32 v26, v26, v47
	v_cvt_f32_f16_e32 v47, v45
	s_delay_alu instid0(VALU_DEP_2) | instskip(SKIP_1) | instid1(VALU_DEP_2)
	v_cndmask_b32_e32 v26, 0, v26, vcc_lo
	v_cmp_nlt_f32_e32 vcc_lo, 0x42b17218, v46
	v_cndmask_b32_e32 v26, 0x7f800000, v26, vcc_lo
	s_delay_alu instid0(VALU_DEP_1) | instskip(NEXT) | instid1(VALU_DEP_1)
	v_dual_mul_f32 v46, v26, v47 :: v_dual_add_f32 v26, 1.0, v26
	v_div_scale_f32 v47, null, v26, v26, v46
	s_delay_alu instid0(VALU_DEP_1) | instskip(SKIP_1) | instid1(TRANS32_DEP_1)
	v_rcp_f32_e32 v48, v47
	v_nop
	v_fma_f32 v49, -v47, v48, 1.0
	s_delay_alu instid0(VALU_DEP_1) | instskip(SKIP_1) | instid1(VALU_DEP_1)
	v_fmac_f32_e32 v48, v49, v48
	v_div_scale_f32 v49, vcc_lo, v46, v26, v46
	v_mul_f32_e32 v50, v49, v48
	s_delay_alu instid0(VALU_DEP_1) | instskip(NEXT) | instid1(VALU_DEP_1)
	v_fma_f32 v51, -v47, v50, v49
	v_fmac_f32_e32 v50, v51, v48
	s_delay_alu instid0(VALU_DEP_1) | instskip(NEXT) | instid1(VALU_DEP_1)
	v_fma_f32 v47, -v47, v50, v49
	v_div_fmas_f32 v47, v47, v48, v50
	s_delay_alu instid0(VALU_DEP_1) | instskip(NEXT) | instid1(VALU_DEP_1)
	v_div_fixup_f32 v26, v47, v26, v46
	v_cvt_f16_f32_e32 v26, v26
.LBB69_17:
	s_or_b32 exec_lo, exec_lo, s10
	v_cvt_f16_f32_e32 v27, v27
	s_mov_b32 s10, exec_lo
	s_delay_alu instid0(VALU_DEP_1) | instskip(NEXT) | instid1(VALU_DEP_1)
	v_cvt_f32_f16_e32 v27, v27
	v_dual_mul_f32 v46, s13, v27 :: v_dual_lshrrev_b32 v27, 16, v45
	s_delay_alu instid0(VALU_DEP_1)
	v_cmpx_nlt_f32_e32 s14, v46
	s_cbranch_execz .LBB69_19
; %bb.18:
	v_mul_f32_e32 v45, 0x3fb8aa3b, v46
	v_cmp_ngt_f32_e32 vcc_lo, 0xc2ce8ed0, v46
	v_cvt_f32_f16_e32 v27, v27
	s_delay_alu instid0(VALU_DEP_3) | instskip(SKIP_1) | instid1(VALU_DEP_1)
	v_rndne_f32_e32 v47, v45
	v_fma_f32 v48, 0x3fb8aa3b, v46, -v45
	v_dual_sub_f32 v45, v45, v47 :: v_dual_fmamk_f32 v48, v46, 0x32a5705f, v48
	v_cvt_i32_f32_e32 v47, v47
	s_delay_alu instid0(VALU_DEP_2) | instskip(NEXT) | instid1(VALU_DEP_1)
	v_add_f32_e32 v45, v45, v48
	v_exp_f32_e32 v45, v45
	v_nop
	s_delay_alu instid0(TRANS32_DEP_1) | instskip(NEXT) | instid1(VALU_DEP_1)
	v_ldexp_f32 v45, v45, v47
	v_cndmask_b32_e32 v45, 0, v45, vcc_lo
	v_cmp_nlt_f32_e32 vcc_lo, 0x42b17218, v46
	s_delay_alu instid0(VALU_DEP_2) | instskip(NEXT) | instid1(VALU_DEP_1)
	v_cndmask_b32_e32 v45, 0x7f800000, v45, vcc_lo
	v_dual_mul_f32 v27, v45, v27 :: v_dual_add_f32 v45, 1.0, v45
	s_delay_alu instid0(VALU_DEP_1) | instskip(NEXT) | instid1(VALU_DEP_1)
	v_div_scale_f32 v46, null, v45, v45, v27
	v_rcp_f32_e32 v47, v46
	v_nop
	s_delay_alu instid0(TRANS32_DEP_1) | instskip(NEXT) | instid1(VALU_DEP_1)
	v_fma_f32 v48, -v46, v47, 1.0
	v_fmac_f32_e32 v47, v48, v47
	v_div_scale_f32 v48, vcc_lo, v27, v45, v27
	s_delay_alu instid0(VALU_DEP_1) | instskip(NEXT) | instid1(VALU_DEP_1)
	v_mul_f32_e32 v49, v48, v47
	v_fma_f32 v50, -v46, v49, v48
	s_delay_alu instid0(VALU_DEP_1) | instskip(NEXT) | instid1(VALU_DEP_1)
	v_fmac_f32_e32 v49, v50, v47
	v_fma_f32 v46, -v46, v49, v48
	s_delay_alu instid0(VALU_DEP_1) | instskip(NEXT) | instid1(VALU_DEP_1)
	v_div_fmas_f32 v46, v46, v47, v49
	v_div_fixup_f32 v27, v46, v45, v27
	s_delay_alu instid0(VALU_DEP_1)
	v_cvt_f16_f32_e32 v27, v27
.LBB69_19:
	s_or_b32 exec_lo, exec_lo, s10
	s_wait_loadcnt 0xb
	v_cvt_f16_f32_e32 v24, v24
	s_mov_b32 s10, exec_lo
	s_delay_alu instid0(VALU_DEP_1) | instskip(NEXT) | instid1(VALU_DEP_1)
	v_cvt_f32_f16_e32 v24, v24
	v_dual_mul_f32 v45, s13, v24 :: v_dual_mov_b32 v24, v44
	s_delay_alu instid0(VALU_DEP_1)
	v_cmpx_nlt_f32_e32 s14, v45
	s_cbranch_execz .LBB69_21
; %bb.20:
	v_mul_f32_e32 v24, 0x3fb8aa3b, v45
	v_cmp_ngt_f32_e32 vcc_lo, 0xc2ce8ed0, v45
	s_delay_alu instid0(VALU_DEP_2) | instskip(SKIP_1) | instid1(VALU_DEP_1)
	v_rndne_f32_e32 v46, v24
	v_fma_f32 v47, 0x3fb8aa3b, v45, -v24
	v_dual_sub_f32 v24, v24, v46 :: v_dual_fmamk_f32 v47, v45, 0x32a5705f, v47
	v_cvt_i32_f32_e32 v46, v46
	s_delay_alu instid0(VALU_DEP_2) | instskip(NEXT) | instid1(VALU_DEP_1)
	v_add_f32_e32 v24, v24, v47
	v_exp_f32_e32 v24, v24
	v_nop
	s_delay_alu instid0(TRANS32_DEP_1) | instskip(SKIP_1) | instid1(VALU_DEP_2)
	v_ldexp_f32 v24, v24, v46
	v_cvt_f32_f16_e32 v46, v44
	v_cndmask_b32_e32 v24, 0, v24, vcc_lo
	v_cmp_nlt_f32_e32 vcc_lo, 0x42b17218, v45
	s_delay_alu instid0(VALU_DEP_2) | instskip(NEXT) | instid1(VALU_DEP_1)
	v_cndmask_b32_e32 v24, 0x7f800000, v24, vcc_lo
	v_dual_mul_f32 v45, v24, v46 :: v_dual_add_f32 v24, 1.0, v24
	s_delay_alu instid0(VALU_DEP_1) | instskip(NEXT) | instid1(VALU_DEP_1)
	v_div_scale_f32 v46, null, v24, v24, v45
	v_rcp_f32_e32 v47, v46
	v_nop
	s_delay_alu instid0(TRANS32_DEP_1) | instskip(NEXT) | instid1(VALU_DEP_1)
	v_fma_f32 v48, -v46, v47, 1.0
	v_fmac_f32_e32 v47, v48, v47
	v_div_scale_f32 v48, vcc_lo, v45, v24, v45
	s_delay_alu instid0(VALU_DEP_1) | instskip(NEXT) | instid1(VALU_DEP_1)
	v_mul_f32_e32 v49, v48, v47
	v_fma_f32 v50, -v46, v49, v48
	s_delay_alu instid0(VALU_DEP_1) | instskip(NEXT) | instid1(VALU_DEP_1)
	v_fmac_f32_e32 v49, v50, v47
	v_fma_f32 v46, -v46, v49, v48
	s_delay_alu instid0(VALU_DEP_1) | instskip(NEXT) | instid1(VALU_DEP_1)
	v_div_fmas_f32 v46, v46, v47, v49
	v_div_fixup_f32 v24, v46, v24, v45
	s_delay_alu instid0(VALU_DEP_1)
	v_cvt_f16_f32_e32 v24, v24
.LBB69_21:
	s_or_b32 exec_lo, exec_lo, s10
	v_cvt_f16_f32_e32 v25, v25
	s_mov_b32 s10, exec_lo
	s_delay_alu instid0(VALU_DEP_1) | instskip(NEXT) | instid1(VALU_DEP_1)
	v_cvt_f32_f16_e32 v25, v25
	v_dual_mul_f32 v45, s13, v25 :: v_dual_lshrrev_b32 v25, 16, v44
	s_delay_alu instid0(VALU_DEP_1)
	v_cmpx_nlt_f32_e32 s14, v45
	s_cbranch_execz .LBB69_23
; %bb.22:
	v_mul_f32_e32 v44, 0x3fb8aa3b, v45
	v_cmp_ngt_f32_e32 vcc_lo, 0xc2ce8ed0, v45
	v_cvt_f32_f16_e32 v25, v25
	s_delay_alu instid0(VALU_DEP_3) | instskip(SKIP_1) | instid1(VALU_DEP_1)
	v_rndne_f32_e32 v46, v44
	v_fma_f32 v47, 0x3fb8aa3b, v45, -v44
	v_dual_sub_f32 v44, v44, v46 :: v_dual_fmamk_f32 v47, v45, 0x32a5705f, v47
	v_cvt_i32_f32_e32 v46, v46
	s_delay_alu instid0(VALU_DEP_2) | instskip(NEXT) | instid1(VALU_DEP_1)
	v_add_f32_e32 v44, v44, v47
	v_exp_f32_e32 v44, v44
	v_nop
	s_delay_alu instid0(TRANS32_DEP_1) | instskip(NEXT) | instid1(VALU_DEP_1)
	v_ldexp_f32 v44, v44, v46
	v_cndmask_b32_e32 v44, 0, v44, vcc_lo
	v_cmp_nlt_f32_e32 vcc_lo, 0x42b17218, v45
	s_delay_alu instid0(VALU_DEP_2) | instskip(NEXT) | instid1(VALU_DEP_1)
	v_cndmask_b32_e32 v44, 0x7f800000, v44, vcc_lo
	v_dual_mul_f32 v25, v44, v25 :: v_dual_add_f32 v44, 1.0, v44
	s_delay_alu instid0(VALU_DEP_1) | instskip(NEXT) | instid1(VALU_DEP_1)
	v_div_scale_f32 v45, null, v44, v44, v25
	v_rcp_f32_e32 v46, v45
	v_nop
	s_delay_alu instid0(TRANS32_DEP_1) | instskip(NEXT) | instid1(VALU_DEP_1)
	v_fma_f32 v47, -v45, v46, 1.0
	v_fmac_f32_e32 v46, v47, v46
	v_div_scale_f32 v47, vcc_lo, v25, v44, v25
	s_delay_alu instid0(VALU_DEP_1) | instskip(NEXT) | instid1(VALU_DEP_1)
	v_mul_f32_e32 v48, v47, v46
	v_fma_f32 v49, -v45, v48, v47
	s_delay_alu instid0(VALU_DEP_1) | instskip(NEXT) | instid1(VALU_DEP_1)
	v_fmac_f32_e32 v48, v49, v46
	v_fma_f32 v45, -v45, v48, v47
	s_delay_alu instid0(VALU_DEP_1) | instskip(NEXT) | instid1(VALU_DEP_1)
	v_div_fmas_f32 v45, v45, v46, v48
	v_div_fixup_f32 v25, v45, v44, v25
	s_delay_alu instid0(VALU_DEP_1)
	v_cvt_f16_f32_e32 v25, v25
.LBB69_23:
	s_or_b32 exec_lo, exec_lo, s10
	s_wait_loadcnt 0xa
	v_cvt_f16_f32_e32 v22, v22
	s_mov_b32 s10, exec_lo
	s_delay_alu instid0(VALU_DEP_1) | instskip(NEXT) | instid1(VALU_DEP_1)
	v_cvt_f32_f16_e32 v22, v22
	v_dual_mul_f32 v44, s13, v22 :: v_dual_mov_b32 v22, v43
	s_delay_alu instid0(VALU_DEP_1)
	v_cmpx_nlt_f32_e32 s14, v44
	s_cbranch_execz .LBB69_25
; %bb.24:
	v_mul_f32_e32 v22, 0x3fb8aa3b, v44
	v_cmp_ngt_f32_e32 vcc_lo, 0xc2ce8ed0, v44
	s_delay_alu instid0(VALU_DEP_2) | instskip(SKIP_1) | instid1(VALU_DEP_2)
	v_rndne_f32_e32 v45, v22
	v_fma_f32 v46, 0x3fb8aa3b, v44, -v22
	v_sub_f32_e32 v22, v22, v45
	s_delay_alu instid0(VALU_DEP_2) | instskip(SKIP_1) | instid1(VALU_DEP_2)
	v_fmamk_f32 v46, v44, 0x32a5705f, v46
	v_cvt_i32_f32_e32 v45, v45
	v_add_f32_e32 v22, v22, v46
	s_delay_alu instid0(VALU_DEP_1) | instskip(SKIP_1) | instid1(TRANS32_DEP_1)
	v_exp_f32_e32 v22, v22
	v_nop
	v_ldexp_f32 v22, v22, v45
	v_cvt_f32_f16_e32 v45, v43
	s_delay_alu instid0(VALU_DEP_2) | instskip(SKIP_1) | instid1(VALU_DEP_2)
	v_cndmask_b32_e32 v22, 0, v22, vcc_lo
	v_cmp_nlt_f32_e32 vcc_lo, 0x42b17218, v44
	v_cndmask_b32_e32 v22, 0x7f800000, v22, vcc_lo
	s_delay_alu instid0(VALU_DEP_1) | instskip(NEXT) | instid1(VALU_DEP_1)
	v_dual_mul_f32 v44, v22, v45 :: v_dual_add_f32 v22, 1.0, v22
	v_div_scale_f32 v45, null, v22, v22, v44
	s_delay_alu instid0(VALU_DEP_1) | instskip(SKIP_1) | instid1(TRANS32_DEP_1)
	v_rcp_f32_e32 v46, v45
	v_nop
	v_fma_f32 v47, -v45, v46, 1.0
	s_delay_alu instid0(VALU_DEP_1) | instskip(SKIP_1) | instid1(VALU_DEP_1)
	v_fmac_f32_e32 v46, v47, v46
	v_div_scale_f32 v47, vcc_lo, v44, v22, v44
	v_mul_f32_e32 v48, v47, v46
	s_delay_alu instid0(VALU_DEP_1) | instskip(NEXT) | instid1(VALU_DEP_1)
	v_fma_f32 v49, -v45, v48, v47
	v_fmac_f32_e32 v48, v49, v46
	s_delay_alu instid0(VALU_DEP_1) | instskip(NEXT) | instid1(VALU_DEP_1)
	v_fma_f32 v45, -v45, v48, v47
	v_div_fmas_f32 v45, v45, v46, v48
	s_delay_alu instid0(VALU_DEP_1) | instskip(NEXT) | instid1(VALU_DEP_1)
	v_div_fixup_f32 v22, v45, v22, v44
	v_cvt_f16_f32_e32 v22, v22
.LBB69_25:
	s_or_b32 exec_lo, exec_lo, s10
	v_cvt_f16_f32_e32 v23, v23
	s_mov_b32 s10, exec_lo
	s_delay_alu instid0(VALU_DEP_1) | instskip(NEXT) | instid1(VALU_DEP_1)
	v_cvt_f32_f16_e32 v23, v23
	v_mul_f32_e32 v44, s13, v23
	v_lshrrev_b32_e32 v23, 16, v43
	s_delay_alu instid0(VALU_DEP_2)
	v_cmpx_nlt_f32_e32 s14, v44
	s_cbranch_execz .LBB69_27
; %bb.26:
	v_mul_f32_e32 v43, 0x3fb8aa3b, v44
	v_cmp_ngt_f32_e32 vcc_lo, 0xc2ce8ed0, v44
	v_cvt_f32_f16_e32 v23, v23
	s_delay_alu instid0(VALU_DEP_3) | instskip(SKIP_1) | instid1(VALU_DEP_1)
	v_rndne_f32_e32 v45, v43
	v_fma_f32 v46, 0x3fb8aa3b, v44, -v43
	v_dual_sub_f32 v43, v43, v45 :: v_dual_fmamk_f32 v46, v44, 0x32a5705f, v46
	v_cvt_i32_f32_e32 v45, v45
	s_delay_alu instid0(VALU_DEP_2) | instskip(NEXT) | instid1(VALU_DEP_1)
	v_add_f32_e32 v43, v43, v46
	v_exp_f32_e32 v43, v43
	v_nop
	s_delay_alu instid0(TRANS32_DEP_1) | instskip(NEXT) | instid1(VALU_DEP_1)
	v_ldexp_f32 v43, v43, v45
	v_cndmask_b32_e32 v43, 0, v43, vcc_lo
	v_cmp_nlt_f32_e32 vcc_lo, 0x42b17218, v44
	s_delay_alu instid0(VALU_DEP_2) | instskip(NEXT) | instid1(VALU_DEP_1)
	v_cndmask_b32_e32 v43, 0x7f800000, v43, vcc_lo
	v_mul_f32_e32 v23, v43, v23
	v_add_f32_e32 v43, 1.0, v43
	s_delay_alu instid0(VALU_DEP_1) | instskip(NEXT) | instid1(VALU_DEP_1)
	v_div_scale_f32 v44, null, v43, v43, v23
	v_rcp_f32_e32 v45, v44
	v_nop
	s_delay_alu instid0(TRANS32_DEP_1) | instskip(NEXT) | instid1(VALU_DEP_1)
	v_fma_f32 v46, -v44, v45, 1.0
	v_fmac_f32_e32 v45, v46, v45
	v_div_scale_f32 v46, vcc_lo, v23, v43, v23
	s_delay_alu instid0(VALU_DEP_1) | instskip(NEXT) | instid1(VALU_DEP_1)
	v_mul_f32_e32 v47, v46, v45
	v_fma_f32 v48, -v44, v47, v46
	s_delay_alu instid0(VALU_DEP_1) | instskip(NEXT) | instid1(VALU_DEP_1)
	v_fmac_f32_e32 v47, v48, v45
	v_fma_f32 v44, -v44, v47, v46
	s_delay_alu instid0(VALU_DEP_1) | instskip(NEXT) | instid1(VALU_DEP_1)
	v_div_fmas_f32 v44, v44, v45, v47
	v_div_fixup_f32 v23, v44, v43, v23
	s_delay_alu instid0(VALU_DEP_1)
	v_cvt_f16_f32_e32 v23, v23
.LBB69_27:
	s_or_b32 exec_lo, exec_lo, s10
	s_wait_loadcnt 0x9
	v_cvt_f16_f32_e32 v20, v20
	s_mov_b32 s10, exec_lo
	s_delay_alu instid0(VALU_DEP_1) | instskip(NEXT) | instid1(VALU_DEP_1)
	v_cvt_f32_f16_e32 v20, v20
	v_dual_mul_f32 v43, s13, v20 :: v_dual_mov_b32 v20, v42
	s_delay_alu instid0(VALU_DEP_1)
	v_cmpx_nlt_f32_e32 s14, v43
	s_cbranch_execz .LBB69_29
; %bb.28:
	v_mul_f32_e32 v20, 0x3fb8aa3b, v43
	v_cmp_ngt_f32_e32 vcc_lo, 0xc2ce8ed0, v43
	s_delay_alu instid0(VALU_DEP_2) | instskip(SKIP_1) | instid1(VALU_DEP_1)
	v_rndne_f32_e32 v44, v20
	v_fma_f32 v45, 0x3fb8aa3b, v43, -v20
	v_dual_sub_f32 v20, v20, v44 :: v_dual_fmamk_f32 v45, v43, 0x32a5705f, v45
	v_cvt_i32_f32_e32 v44, v44
	s_delay_alu instid0(VALU_DEP_2) | instskip(NEXT) | instid1(VALU_DEP_1)
	v_add_f32_e32 v20, v20, v45
	v_exp_f32_e32 v20, v20
	v_nop
	s_delay_alu instid0(TRANS32_DEP_1) | instskip(SKIP_1) | instid1(VALU_DEP_2)
	v_ldexp_f32 v20, v20, v44
	v_cvt_f32_f16_e32 v44, v42
	v_cndmask_b32_e32 v20, 0, v20, vcc_lo
	v_cmp_nlt_f32_e32 vcc_lo, 0x42b17218, v43
	s_delay_alu instid0(VALU_DEP_2) | instskip(NEXT) | instid1(VALU_DEP_1)
	v_cndmask_b32_e32 v20, 0x7f800000, v20, vcc_lo
	v_mul_f32_e32 v43, v20, v44
	v_add_f32_e32 v20, 1.0, v20
	s_delay_alu instid0(VALU_DEP_1) | instskip(NEXT) | instid1(VALU_DEP_1)
	v_div_scale_f32 v44, null, v20, v20, v43
	v_rcp_f32_e32 v45, v44
	v_nop
	s_delay_alu instid0(TRANS32_DEP_1) | instskip(NEXT) | instid1(VALU_DEP_1)
	v_fma_f32 v46, -v44, v45, 1.0
	v_fmac_f32_e32 v45, v46, v45
	v_div_scale_f32 v46, vcc_lo, v43, v20, v43
	s_delay_alu instid0(VALU_DEP_1) | instskip(NEXT) | instid1(VALU_DEP_1)
	v_mul_f32_e32 v47, v46, v45
	v_fma_f32 v48, -v44, v47, v46
	s_delay_alu instid0(VALU_DEP_1) | instskip(NEXT) | instid1(VALU_DEP_1)
	v_fmac_f32_e32 v47, v48, v45
	v_fma_f32 v44, -v44, v47, v46
	s_delay_alu instid0(VALU_DEP_1) | instskip(NEXT) | instid1(VALU_DEP_1)
	v_div_fmas_f32 v44, v44, v45, v47
	v_div_fixup_f32 v20, v44, v20, v43
	s_delay_alu instid0(VALU_DEP_1)
	v_cvt_f16_f32_e32 v20, v20
.LBB69_29:
	s_or_b32 exec_lo, exec_lo, s10
	v_cvt_f16_f32_e32 v21, v21
	s_mov_b32 s10, exec_lo
	s_delay_alu instid0(VALU_DEP_1) | instskip(NEXT) | instid1(VALU_DEP_1)
	v_cvt_f32_f16_e32 v21, v21
	v_dual_mul_f32 v43, s13, v21 :: v_dual_lshrrev_b32 v21, 16, v42
	s_delay_alu instid0(VALU_DEP_1)
	v_cmpx_nlt_f32_e32 s14, v43
	s_cbranch_execz .LBB69_31
; %bb.30:
	v_mul_f32_e32 v42, 0x3fb8aa3b, v43
	v_cmp_ngt_f32_e32 vcc_lo, 0xc2ce8ed0, v43
	v_cvt_f32_f16_e32 v21, v21
	s_delay_alu instid0(VALU_DEP_3) | instskip(SKIP_1) | instid1(VALU_DEP_1)
	v_rndne_f32_e32 v44, v42
	v_fma_f32 v45, 0x3fb8aa3b, v43, -v42
	v_dual_sub_f32 v42, v42, v44 :: v_dual_fmamk_f32 v45, v43, 0x32a5705f, v45
	v_cvt_i32_f32_e32 v44, v44
	s_delay_alu instid0(VALU_DEP_2) | instskip(NEXT) | instid1(VALU_DEP_1)
	v_add_f32_e32 v42, v42, v45
	v_exp_f32_e32 v42, v42
	v_nop
	s_delay_alu instid0(TRANS32_DEP_1) | instskip(NEXT) | instid1(VALU_DEP_1)
	v_ldexp_f32 v42, v42, v44
	v_cndmask_b32_e32 v42, 0, v42, vcc_lo
	v_cmp_nlt_f32_e32 vcc_lo, 0x42b17218, v43
	s_delay_alu instid0(VALU_DEP_2) | instskip(NEXT) | instid1(VALU_DEP_1)
	v_cndmask_b32_e32 v42, 0x7f800000, v42, vcc_lo
	v_dual_mul_f32 v21, v42, v21 :: v_dual_add_f32 v42, 1.0, v42
	s_delay_alu instid0(VALU_DEP_1) | instskip(NEXT) | instid1(VALU_DEP_1)
	v_div_scale_f32 v43, null, v42, v42, v21
	v_rcp_f32_e32 v44, v43
	v_nop
	s_delay_alu instid0(TRANS32_DEP_1) | instskip(NEXT) | instid1(VALU_DEP_1)
	v_fma_f32 v45, -v43, v44, 1.0
	v_fmac_f32_e32 v44, v45, v44
	v_div_scale_f32 v45, vcc_lo, v21, v42, v21
	s_delay_alu instid0(VALU_DEP_1) | instskip(NEXT) | instid1(VALU_DEP_1)
	v_mul_f32_e32 v46, v45, v44
	v_fma_f32 v47, -v43, v46, v45
	s_delay_alu instid0(VALU_DEP_1) | instskip(NEXT) | instid1(VALU_DEP_1)
	v_fmac_f32_e32 v46, v47, v44
	v_fma_f32 v43, -v43, v46, v45
	s_delay_alu instid0(VALU_DEP_1) | instskip(NEXT) | instid1(VALU_DEP_1)
	v_div_fmas_f32 v43, v43, v44, v46
	v_div_fixup_f32 v21, v43, v42, v21
	s_delay_alu instid0(VALU_DEP_1)
	v_cvt_f16_f32_e32 v21, v21
.LBB69_31:
	s_or_b32 exec_lo, exec_lo, s10
	s_wait_loadcnt 0x8
	v_cvt_f16_f32_e32 v18, v18
	s_mov_b32 s10, exec_lo
	s_delay_alu instid0(VALU_DEP_1) | instskip(NEXT) | instid1(VALU_DEP_1)
	v_cvt_f32_f16_e32 v18, v18
	v_dual_mul_f32 v42, s13, v18 :: v_dual_mov_b32 v18, v41
	s_delay_alu instid0(VALU_DEP_1)
	v_cmpx_nlt_f32_e32 s14, v42
	s_cbranch_execz .LBB69_33
; %bb.32:
	v_mul_f32_e32 v18, 0x3fb8aa3b, v42
	v_cmp_ngt_f32_e32 vcc_lo, 0xc2ce8ed0, v42
	s_delay_alu instid0(VALU_DEP_2) | instskip(SKIP_1) | instid1(VALU_DEP_2)
	v_rndne_f32_e32 v43, v18
	v_fma_f32 v44, 0x3fb8aa3b, v42, -v18
	v_sub_f32_e32 v18, v18, v43
	s_delay_alu instid0(VALU_DEP_2) | instskip(SKIP_1) | instid1(VALU_DEP_2)
	v_fmamk_f32 v44, v42, 0x32a5705f, v44
	v_cvt_i32_f32_e32 v43, v43
	v_add_f32_e32 v18, v18, v44
	s_delay_alu instid0(VALU_DEP_1) | instskip(SKIP_1) | instid1(TRANS32_DEP_1)
	v_exp_f32_e32 v18, v18
	v_nop
	v_ldexp_f32 v18, v18, v43
	v_cvt_f32_f16_e32 v43, v41
	s_delay_alu instid0(VALU_DEP_2) | instskip(SKIP_1) | instid1(VALU_DEP_2)
	v_cndmask_b32_e32 v18, 0, v18, vcc_lo
	v_cmp_nlt_f32_e32 vcc_lo, 0x42b17218, v42
	v_cndmask_b32_e32 v18, 0x7f800000, v18, vcc_lo
	s_delay_alu instid0(VALU_DEP_1) | instskip(NEXT) | instid1(VALU_DEP_1)
	v_dual_mul_f32 v42, v18, v43 :: v_dual_add_f32 v18, 1.0, v18
	v_div_scale_f32 v43, null, v18, v18, v42
	s_delay_alu instid0(VALU_DEP_1) | instskip(SKIP_1) | instid1(TRANS32_DEP_1)
	v_rcp_f32_e32 v44, v43
	v_nop
	v_fma_f32 v45, -v43, v44, 1.0
	s_delay_alu instid0(VALU_DEP_1) | instskip(SKIP_1) | instid1(VALU_DEP_1)
	v_fmac_f32_e32 v44, v45, v44
	v_div_scale_f32 v45, vcc_lo, v42, v18, v42
	v_mul_f32_e32 v46, v45, v44
	s_delay_alu instid0(VALU_DEP_1) | instskip(NEXT) | instid1(VALU_DEP_1)
	v_fma_f32 v47, -v43, v46, v45
	v_fmac_f32_e32 v46, v47, v44
	s_delay_alu instid0(VALU_DEP_1) | instskip(NEXT) | instid1(VALU_DEP_1)
	v_fma_f32 v43, -v43, v46, v45
	v_div_fmas_f32 v43, v43, v44, v46
	s_delay_alu instid0(VALU_DEP_1) | instskip(NEXT) | instid1(VALU_DEP_1)
	v_div_fixup_f32 v18, v43, v18, v42
	v_cvt_f16_f32_e32 v18, v18
.LBB69_33:
	s_or_b32 exec_lo, exec_lo, s10
	v_cvt_f16_f32_e32 v19, v19
	s_mov_b32 s10, exec_lo
	s_delay_alu instid0(VALU_DEP_1) | instskip(NEXT) | instid1(VALU_DEP_1)
	v_cvt_f32_f16_e32 v19, v19
	v_dual_mul_f32 v42, s13, v19 :: v_dual_lshrrev_b32 v19, 16, v41
	s_delay_alu instid0(VALU_DEP_1)
	v_cmpx_nlt_f32_e32 s14, v42
	s_cbranch_execz .LBB69_35
; %bb.34:
	v_mul_f32_e32 v41, 0x3fb8aa3b, v42
	v_cmp_ngt_f32_e32 vcc_lo, 0xc2ce8ed0, v42
	v_cvt_f32_f16_e32 v19, v19
	s_delay_alu instid0(VALU_DEP_3) | instskip(SKIP_1) | instid1(VALU_DEP_1)
	v_rndne_f32_e32 v43, v41
	v_fma_f32 v44, 0x3fb8aa3b, v42, -v41
	v_dual_sub_f32 v41, v41, v43 :: v_dual_fmamk_f32 v44, v42, 0x32a5705f, v44
	v_cvt_i32_f32_e32 v43, v43
	s_delay_alu instid0(VALU_DEP_2) | instskip(NEXT) | instid1(VALU_DEP_1)
	v_add_f32_e32 v41, v41, v44
	v_exp_f32_e32 v41, v41
	v_nop
	s_delay_alu instid0(TRANS32_DEP_1) | instskip(NEXT) | instid1(VALU_DEP_1)
	v_ldexp_f32 v41, v41, v43
	v_cndmask_b32_e32 v41, 0, v41, vcc_lo
	v_cmp_nlt_f32_e32 vcc_lo, 0x42b17218, v42
	s_delay_alu instid0(VALU_DEP_2) | instskip(NEXT) | instid1(VALU_DEP_1)
	v_cndmask_b32_e32 v41, 0x7f800000, v41, vcc_lo
	v_dual_mul_f32 v19, v41, v19 :: v_dual_add_f32 v41, 1.0, v41
	s_delay_alu instid0(VALU_DEP_1) | instskip(NEXT) | instid1(VALU_DEP_1)
	v_div_scale_f32 v42, null, v41, v41, v19
	v_rcp_f32_e32 v43, v42
	v_nop
	s_delay_alu instid0(TRANS32_DEP_1) | instskip(NEXT) | instid1(VALU_DEP_1)
	v_fma_f32 v44, -v42, v43, 1.0
	v_fmac_f32_e32 v43, v44, v43
	v_div_scale_f32 v44, vcc_lo, v19, v41, v19
	s_delay_alu instid0(VALU_DEP_1) | instskip(NEXT) | instid1(VALU_DEP_1)
	v_mul_f32_e32 v45, v44, v43
	v_fma_f32 v46, -v42, v45, v44
	s_delay_alu instid0(VALU_DEP_1) | instskip(NEXT) | instid1(VALU_DEP_1)
	v_fmac_f32_e32 v45, v46, v43
	v_fma_f32 v42, -v42, v45, v44
	s_delay_alu instid0(VALU_DEP_1) | instskip(NEXT) | instid1(VALU_DEP_1)
	v_div_fmas_f32 v42, v42, v43, v45
	v_div_fixup_f32 v19, v42, v41, v19
	s_delay_alu instid0(VALU_DEP_1)
	v_cvt_f16_f32_e32 v19, v19
.LBB69_35:
	s_or_b32 exec_lo, exec_lo, s10
	s_wait_loadcnt 0x7
	v_cvt_f16_f32_e32 v16, v16
	s_mov_b32 s10, exec_lo
	s_delay_alu instid0(VALU_DEP_1) | instskip(NEXT) | instid1(VALU_DEP_1)
	v_cvt_f32_f16_e32 v16, v16
	v_dual_mul_f32 v41, s13, v16 :: v_dual_mov_b32 v16, v40
	s_delay_alu instid0(VALU_DEP_1)
	v_cmpx_nlt_f32_e32 s14, v41
	s_cbranch_execz .LBB69_37
; %bb.36:
	v_mul_f32_e32 v16, 0x3fb8aa3b, v41
	v_cmp_ngt_f32_e32 vcc_lo, 0xc2ce8ed0, v41
	s_delay_alu instid0(VALU_DEP_2) | instskip(SKIP_1) | instid1(VALU_DEP_1)
	v_rndne_f32_e32 v42, v16
	v_fma_f32 v43, 0x3fb8aa3b, v41, -v16
	v_dual_sub_f32 v16, v16, v42 :: v_dual_fmamk_f32 v43, v41, 0x32a5705f, v43
	v_cvt_i32_f32_e32 v42, v42
	s_delay_alu instid0(VALU_DEP_2) | instskip(NEXT) | instid1(VALU_DEP_1)
	v_add_f32_e32 v16, v16, v43
	v_exp_f32_e32 v16, v16
	v_nop
	s_delay_alu instid0(TRANS32_DEP_1) | instskip(SKIP_1) | instid1(VALU_DEP_2)
	v_ldexp_f32 v16, v16, v42
	v_cvt_f32_f16_e32 v42, v40
	v_cndmask_b32_e32 v16, 0, v16, vcc_lo
	v_cmp_nlt_f32_e32 vcc_lo, 0x42b17218, v41
	s_delay_alu instid0(VALU_DEP_2) | instskip(NEXT) | instid1(VALU_DEP_1)
	v_cndmask_b32_e32 v16, 0x7f800000, v16, vcc_lo
	v_dual_mul_f32 v41, v16, v42 :: v_dual_add_f32 v16, 1.0, v16
	s_delay_alu instid0(VALU_DEP_1) | instskip(NEXT) | instid1(VALU_DEP_1)
	v_div_scale_f32 v42, null, v16, v16, v41
	v_rcp_f32_e32 v43, v42
	v_nop
	s_delay_alu instid0(TRANS32_DEP_1) | instskip(NEXT) | instid1(VALU_DEP_1)
	v_fma_f32 v44, -v42, v43, 1.0
	v_fmac_f32_e32 v43, v44, v43
	v_div_scale_f32 v44, vcc_lo, v41, v16, v41
	s_delay_alu instid0(VALU_DEP_1) | instskip(NEXT) | instid1(VALU_DEP_1)
	v_mul_f32_e32 v45, v44, v43
	v_fma_f32 v46, -v42, v45, v44
	s_delay_alu instid0(VALU_DEP_1) | instskip(NEXT) | instid1(VALU_DEP_1)
	v_fmac_f32_e32 v45, v46, v43
	v_fma_f32 v42, -v42, v45, v44
	s_delay_alu instid0(VALU_DEP_1) | instskip(NEXT) | instid1(VALU_DEP_1)
	v_div_fmas_f32 v42, v42, v43, v45
	v_div_fixup_f32 v16, v42, v16, v41
	s_delay_alu instid0(VALU_DEP_1)
	v_cvt_f16_f32_e32 v16, v16
.LBB69_37:
	s_or_b32 exec_lo, exec_lo, s10
	v_cvt_f16_f32_e32 v17, v17
	s_mov_b32 s10, exec_lo
	s_delay_alu instid0(VALU_DEP_1) | instskip(NEXT) | instid1(VALU_DEP_1)
	v_cvt_f32_f16_e32 v17, v17
	v_dual_mul_f32 v41, s13, v17 :: v_dual_lshrrev_b32 v17, 16, v40
	s_delay_alu instid0(VALU_DEP_1)
	v_cmpx_nlt_f32_e32 s14, v41
	s_cbranch_execz .LBB69_39
; %bb.38:
	v_mul_f32_e32 v40, 0x3fb8aa3b, v41
	v_cmp_ngt_f32_e32 vcc_lo, 0xc2ce8ed0, v41
	v_cvt_f32_f16_e32 v17, v17
	s_delay_alu instid0(VALU_DEP_3) | instskip(SKIP_1) | instid1(VALU_DEP_1)
	v_rndne_f32_e32 v42, v40
	v_fma_f32 v43, 0x3fb8aa3b, v41, -v40
	v_dual_sub_f32 v40, v40, v42 :: v_dual_fmamk_f32 v43, v41, 0x32a5705f, v43
	v_cvt_i32_f32_e32 v42, v42
	s_delay_alu instid0(VALU_DEP_2) | instskip(NEXT) | instid1(VALU_DEP_1)
	v_add_f32_e32 v40, v40, v43
	v_exp_f32_e32 v40, v40
	v_nop
	s_delay_alu instid0(TRANS32_DEP_1) | instskip(NEXT) | instid1(VALU_DEP_1)
	v_ldexp_f32 v40, v40, v42
	v_cndmask_b32_e32 v40, 0, v40, vcc_lo
	v_cmp_nlt_f32_e32 vcc_lo, 0x42b17218, v41
	s_delay_alu instid0(VALU_DEP_2) | instskip(NEXT) | instid1(VALU_DEP_1)
	v_cndmask_b32_e32 v40, 0x7f800000, v40, vcc_lo
	v_dual_mul_f32 v17, v40, v17 :: v_dual_add_f32 v40, 1.0, v40
	s_delay_alu instid0(VALU_DEP_1) | instskip(NEXT) | instid1(VALU_DEP_1)
	v_div_scale_f32 v41, null, v40, v40, v17
	v_rcp_f32_e32 v42, v41
	v_nop
	s_delay_alu instid0(TRANS32_DEP_1) | instskip(NEXT) | instid1(VALU_DEP_1)
	v_fma_f32 v43, -v41, v42, 1.0
	v_fmac_f32_e32 v42, v43, v42
	v_div_scale_f32 v43, vcc_lo, v17, v40, v17
	s_delay_alu instid0(VALU_DEP_1) | instskip(NEXT) | instid1(VALU_DEP_1)
	v_mul_f32_e32 v44, v43, v42
	v_fma_f32 v45, -v41, v44, v43
	s_delay_alu instid0(VALU_DEP_1) | instskip(NEXT) | instid1(VALU_DEP_1)
	v_fmac_f32_e32 v44, v45, v42
	v_fma_f32 v41, -v41, v44, v43
	s_delay_alu instid0(VALU_DEP_1) | instskip(NEXT) | instid1(VALU_DEP_1)
	v_div_fmas_f32 v41, v41, v42, v44
	v_div_fixup_f32 v17, v41, v40, v17
	s_delay_alu instid0(VALU_DEP_1)
	v_cvt_f16_f32_e32 v17, v17
.LBB69_39:
	s_or_b32 exec_lo, exec_lo, s10
	s_wait_loadcnt 0x6
	v_cvt_f16_f32_e32 v14, v14
	s_mov_b32 s10, exec_lo
	s_delay_alu instid0(VALU_DEP_1) | instskip(NEXT) | instid1(VALU_DEP_1)
	v_cvt_f32_f16_e32 v14, v14
	v_dual_mul_f32 v40, s13, v14 :: v_dual_mov_b32 v14, v39
	s_delay_alu instid0(VALU_DEP_1)
	v_cmpx_nlt_f32_e32 s14, v40
	s_cbranch_execz .LBB69_41
; %bb.40:
	v_mul_f32_e32 v14, 0x3fb8aa3b, v40
	v_cmp_ngt_f32_e32 vcc_lo, 0xc2ce8ed0, v40
	s_delay_alu instid0(VALU_DEP_2) | instskip(SKIP_1) | instid1(VALU_DEP_2)
	v_rndne_f32_e32 v41, v14
	v_fma_f32 v42, 0x3fb8aa3b, v40, -v14
	v_sub_f32_e32 v14, v14, v41
	s_delay_alu instid0(VALU_DEP_2) | instskip(SKIP_1) | instid1(VALU_DEP_2)
	v_fmamk_f32 v42, v40, 0x32a5705f, v42
	v_cvt_i32_f32_e32 v41, v41
	v_add_f32_e32 v14, v14, v42
	s_delay_alu instid0(VALU_DEP_1) | instskip(SKIP_1) | instid1(TRANS32_DEP_1)
	v_exp_f32_e32 v14, v14
	v_nop
	v_ldexp_f32 v14, v14, v41
	v_cvt_f32_f16_e32 v41, v39
	s_delay_alu instid0(VALU_DEP_2) | instskip(SKIP_1) | instid1(VALU_DEP_2)
	v_cndmask_b32_e32 v14, 0, v14, vcc_lo
	v_cmp_nlt_f32_e32 vcc_lo, 0x42b17218, v40
	v_cndmask_b32_e32 v14, 0x7f800000, v14, vcc_lo
	s_delay_alu instid0(VALU_DEP_1) | instskip(NEXT) | instid1(VALU_DEP_1)
	v_dual_mul_f32 v40, v14, v41 :: v_dual_add_f32 v14, 1.0, v14
	v_div_scale_f32 v41, null, v14, v14, v40
	s_delay_alu instid0(VALU_DEP_1) | instskip(SKIP_1) | instid1(TRANS32_DEP_1)
	v_rcp_f32_e32 v42, v41
	v_nop
	v_fma_f32 v43, -v41, v42, 1.0
	s_delay_alu instid0(VALU_DEP_1) | instskip(SKIP_1) | instid1(VALU_DEP_1)
	v_fmac_f32_e32 v42, v43, v42
	v_div_scale_f32 v43, vcc_lo, v40, v14, v40
	v_mul_f32_e32 v44, v43, v42
	s_delay_alu instid0(VALU_DEP_1) | instskip(NEXT) | instid1(VALU_DEP_1)
	v_fma_f32 v45, -v41, v44, v43
	v_fmac_f32_e32 v44, v45, v42
	s_delay_alu instid0(VALU_DEP_1) | instskip(NEXT) | instid1(VALU_DEP_1)
	v_fma_f32 v41, -v41, v44, v43
	v_div_fmas_f32 v41, v41, v42, v44
	s_delay_alu instid0(VALU_DEP_1) | instskip(NEXT) | instid1(VALU_DEP_1)
	v_div_fixup_f32 v14, v41, v14, v40
	v_cvt_f16_f32_e32 v14, v14
.LBB69_41:
	s_or_b32 exec_lo, exec_lo, s10
	v_cvt_f16_f32_e32 v15, v15
	s_mov_b32 s10, exec_lo
	s_delay_alu instid0(VALU_DEP_1) | instskip(NEXT) | instid1(VALU_DEP_1)
	v_cvt_f32_f16_e32 v15, v15
	v_mul_f32_e32 v40, s13, v15
	v_lshrrev_b32_e32 v15, 16, v39
	s_delay_alu instid0(VALU_DEP_2)
	v_cmpx_nlt_f32_e32 s14, v40
	s_cbranch_execz .LBB69_43
; %bb.42:
	v_mul_f32_e32 v39, 0x3fb8aa3b, v40
	v_cmp_ngt_f32_e32 vcc_lo, 0xc2ce8ed0, v40
	v_cvt_f32_f16_e32 v15, v15
	s_delay_alu instid0(VALU_DEP_3) | instskip(SKIP_1) | instid1(VALU_DEP_1)
	v_rndne_f32_e32 v41, v39
	v_fma_f32 v42, 0x3fb8aa3b, v40, -v39
	v_dual_sub_f32 v39, v39, v41 :: v_dual_fmamk_f32 v42, v40, 0x32a5705f, v42
	v_cvt_i32_f32_e32 v41, v41
	s_delay_alu instid0(VALU_DEP_2) | instskip(NEXT) | instid1(VALU_DEP_1)
	v_add_f32_e32 v39, v39, v42
	v_exp_f32_e32 v39, v39
	v_nop
	s_delay_alu instid0(TRANS32_DEP_1) | instskip(NEXT) | instid1(VALU_DEP_1)
	v_ldexp_f32 v39, v39, v41
	v_cndmask_b32_e32 v39, 0, v39, vcc_lo
	v_cmp_nlt_f32_e32 vcc_lo, 0x42b17218, v40
	s_delay_alu instid0(VALU_DEP_2) | instskip(NEXT) | instid1(VALU_DEP_1)
	v_cndmask_b32_e32 v39, 0x7f800000, v39, vcc_lo
	v_mul_f32_e32 v15, v39, v15
	v_add_f32_e32 v39, 1.0, v39
	s_delay_alu instid0(VALU_DEP_1) | instskip(NEXT) | instid1(VALU_DEP_1)
	v_div_scale_f32 v40, null, v39, v39, v15
	v_rcp_f32_e32 v41, v40
	v_nop
	s_delay_alu instid0(TRANS32_DEP_1) | instskip(NEXT) | instid1(VALU_DEP_1)
	v_fma_f32 v42, -v40, v41, 1.0
	v_fmac_f32_e32 v41, v42, v41
	v_div_scale_f32 v42, vcc_lo, v15, v39, v15
	s_delay_alu instid0(VALU_DEP_1) | instskip(NEXT) | instid1(VALU_DEP_1)
	v_mul_f32_e32 v43, v42, v41
	v_fma_f32 v44, -v40, v43, v42
	s_delay_alu instid0(VALU_DEP_1) | instskip(NEXT) | instid1(VALU_DEP_1)
	v_fmac_f32_e32 v43, v44, v41
	v_fma_f32 v40, -v40, v43, v42
	s_delay_alu instid0(VALU_DEP_1) | instskip(NEXT) | instid1(VALU_DEP_1)
	v_div_fmas_f32 v40, v40, v41, v43
	v_div_fixup_f32 v15, v40, v39, v15
	s_delay_alu instid0(VALU_DEP_1)
	v_cvt_f16_f32_e32 v15, v15
.LBB69_43:
	s_or_b32 exec_lo, exec_lo, s10
	s_wait_loadcnt 0x5
	v_cvt_f16_f32_e32 v12, v12
	s_mov_b32 s10, exec_lo
	s_delay_alu instid0(VALU_DEP_1) | instskip(NEXT) | instid1(VALU_DEP_1)
	v_cvt_f32_f16_e32 v12, v12
	v_dual_mul_f32 v39, s13, v12 :: v_dual_mov_b32 v12, v38
	s_delay_alu instid0(VALU_DEP_1)
	v_cmpx_nlt_f32_e32 s14, v39
	s_cbranch_execz .LBB69_45
; %bb.44:
	v_mul_f32_e32 v12, 0x3fb8aa3b, v39
	v_cmp_ngt_f32_e32 vcc_lo, 0xc2ce8ed0, v39
	s_delay_alu instid0(VALU_DEP_2) | instskip(SKIP_1) | instid1(VALU_DEP_1)
	v_rndne_f32_e32 v40, v12
	v_fma_f32 v41, 0x3fb8aa3b, v39, -v12
	v_dual_sub_f32 v12, v12, v40 :: v_dual_fmamk_f32 v41, v39, 0x32a5705f, v41
	v_cvt_i32_f32_e32 v40, v40
	s_delay_alu instid0(VALU_DEP_2) | instskip(NEXT) | instid1(VALU_DEP_1)
	v_add_f32_e32 v12, v12, v41
	v_exp_f32_e32 v12, v12
	v_nop
	s_delay_alu instid0(TRANS32_DEP_1) | instskip(SKIP_1) | instid1(VALU_DEP_2)
	v_ldexp_f32 v12, v12, v40
	v_cvt_f32_f16_e32 v40, v38
	v_cndmask_b32_e32 v12, 0, v12, vcc_lo
	v_cmp_nlt_f32_e32 vcc_lo, 0x42b17218, v39
	s_delay_alu instid0(VALU_DEP_2) | instskip(NEXT) | instid1(VALU_DEP_1)
	v_cndmask_b32_e32 v12, 0x7f800000, v12, vcc_lo
	v_mul_f32_e32 v39, v12, v40
	v_add_f32_e32 v12, 1.0, v12
	s_delay_alu instid0(VALU_DEP_1) | instskip(NEXT) | instid1(VALU_DEP_1)
	v_div_scale_f32 v40, null, v12, v12, v39
	v_rcp_f32_e32 v41, v40
	v_nop
	s_delay_alu instid0(TRANS32_DEP_1) | instskip(NEXT) | instid1(VALU_DEP_1)
	v_fma_f32 v42, -v40, v41, 1.0
	v_fmac_f32_e32 v41, v42, v41
	v_div_scale_f32 v42, vcc_lo, v39, v12, v39
	s_delay_alu instid0(VALU_DEP_1) | instskip(NEXT) | instid1(VALU_DEP_1)
	v_mul_f32_e32 v43, v42, v41
	v_fma_f32 v44, -v40, v43, v42
	s_delay_alu instid0(VALU_DEP_1) | instskip(NEXT) | instid1(VALU_DEP_1)
	v_fmac_f32_e32 v43, v44, v41
	v_fma_f32 v40, -v40, v43, v42
	s_delay_alu instid0(VALU_DEP_1) | instskip(NEXT) | instid1(VALU_DEP_1)
	v_div_fmas_f32 v40, v40, v41, v43
	v_div_fixup_f32 v12, v40, v12, v39
	s_delay_alu instid0(VALU_DEP_1)
	v_cvt_f16_f32_e32 v12, v12
.LBB69_45:
	s_or_b32 exec_lo, exec_lo, s10
	v_cvt_f16_f32_e32 v13, v13
	s_mov_b32 s10, exec_lo
	s_delay_alu instid0(VALU_DEP_1) | instskip(NEXT) | instid1(VALU_DEP_1)
	v_cvt_f32_f16_e32 v13, v13
	v_dual_mul_f32 v39, s13, v13 :: v_dual_lshrrev_b32 v13, 16, v38
	s_delay_alu instid0(VALU_DEP_1)
	v_cmpx_nlt_f32_e32 s14, v39
	s_cbranch_execz .LBB69_47
; %bb.46:
	v_mul_f32_e32 v38, 0x3fb8aa3b, v39
	v_cmp_ngt_f32_e32 vcc_lo, 0xc2ce8ed0, v39
	v_cvt_f32_f16_e32 v13, v13
	s_delay_alu instid0(VALU_DEP_3) | instskip(SKIP_1) | instid1(VALU_DEP_1)
	v_rndne_f32_e32 v40, v38
	v_fma_f32 v41, 0x3fb8aa3b, v39, -v38
	v_dual_sub_f32 v38, v38, v40 :: v_dual_fmamk_f32 v41, v39, 0x32a5705f, v41
	v_cvt_i32_f32_e32 v40, v40
	s_delay_alu instid0(VALU_DEP_2) | instskip(NEXT) | instid1(VALU_DEP_1)
	v_add_f32_e32 v38, v38, v41
	v_exp_f32_e32 v38, v38
	v_nop
	s_delay_alu instid0(TRANS32_DEP_1) | instskip(NEXT) | instid1(VALU_DEP_1)
	v_ldexp_f32 v38, v38, v40
	v_cndmask_b32_e32 v38, 0, v38, vcc_lo
	v_cmp_nlt_f32_e32 vcc_lo, 0x42b17218, v39
	s_delay_alu instid0(VALU_DEP_2) | instskip(NEXT) | instid1(VALU_DEP_1)
	v_cndmask_b32_e32 v38, 0x7f800000, v38, vcc_lo
	v_dual_mul_f32 v13, v38, v13 :: v_dual_add_f32 v38, 1.0, v38
	s_delay_alu instid0(VALU_DEP_1) | instskip(NEXT) | instid1(VALU_DEP_1)
	v_div_scale_f32 v39, null, v38, v38, v13
	v_rcp_f32_e32 v40, v39
	v_nop
	s_delay_alu instid0(TRANS32_DEP_1) | instskip(NEXT) | instid1(VALU_DEP_1)
	v_fma_f32 v41, -v39, v40, 1.0
	v_fmac_f32_e32 v40, v41, v40
	v_div_scale_f32 v41, vcc_lo, v13, v38, v13
	s_delay_alu instid0(VALU_DEP_1) | instskip(NEXT) | instid1(VALU_DEP_1)
	v_mul_f32_e32 v42, v41, v40
	v_fma_f32 v43, -v39, v42, v41
	s_delay_alu instid0(VALU_DEP_1) | instskip(NEXT) | instid1(VALU_DEP_1)
	v_fmac_f32_e32 v42, v43, v40
	v_fma_f32 v39, -v39, v42, v41
	s_delay_alu instid0(VALU_DEP_1) | instskip(NEXT) | instid1(VALU_DEP_1)
	v_div_fmas_f32 v39, v39, v40, v42
	v_div_fixup_f32 v13, v39, v38, v13
	s_delay_alu instid0(VALU_DEP_1)
	v_cvt_f16_f32_e32 v13, v13
.LBB69_47:
	s_or_b32 exec_lo, exec_lo, s10
	s_wait_loadcnt 0x4
	v_cvt_f16_f32_e32 v10, v10
	s_mov_b32 s10, exec_lo
	s_delay_alu instid0(VALU_DEP_1) | instskip(NEXT) | instid1(VALU_DEP_1)
	v_cvt_f32_f16_e32 v10, v10
	v_dual_mul_f32 v38, s13, v10 :: v_dual_mov_b32 v10, v37
	s_delay_alu instid0(VALU_DEP_1)
	v_cmpx_nlt_f32_e32 s14, v38
	s_cbranch_execz .LBB69_49
; %bb.48:
	v_mul_f32_e32 v10, 0x3fb8aa3b, v38
	v_cmp_ngt_f32_e32 vcc_lo, 0xc2ce8ed0, v38
	s_delay_alu instid0(VALU_DEP_2) | instskip(SKIP_1) | instid1(VALU_DEP_2)
	v_rndne_f32_e32 v39, v10
	v_fma_f32 v40, 0x3fb8aa3b, v38, -v10
	v_sub_f32_e32 v10, v10, v39
	s_delay_alu instid0(VALU_DEP_2) | instskip(SKIP_1) | instid1(VALU_DEP_2)
	v_fmamk_f32 v40, v38, 0x32a5705f, v40
	v_cvt_i32_f32_e32 v39, v39
	v_add_f32_e32 v10, v10, v40
	s_delay_alu instid0(VALU_DEP_1) | instskip(SKIP_1) | instid1(TRANS32_DEP_1)
	v_exp_f32_e32 v10, v10
	v_nop
	v_ldexp_f32 v10, v10, v39
	v_cvt_f32_f16_e32 v39, v37
	s_delay_alu instid0(VALU_DEP_2) | instskip(SKIP_1) | instid1(VALU_DEP_2)
	v_cndmask_b32_e32 v10, 0, v10, vcc_lo
	v_cmp_nlt_f32_e32 vcc_lo, 0x42b17218, v38
	v_cndmask_b32_e32 v10, 0x7f800000, v10, vcc_lo
	s_delay_alu instid0(VALU_DEP_1) | instskip(NEXT) | instid1(VALU_DEP_1)
	v_dual_mul_f32 v38, v10, v39 :: v_dual_add_f32 v10, 1.0, v10
	v_div_scale_f32 v39, null, v10, v10, v38
	s_delay_alu instid0(VALU_DEP_1) | instskip(SKIP_1) | instid1(TRANS32_DEP_1)
	v_rcp_f32_e32 v40, v39
	v_nop
	v_fma_f32 v41, -v39, v40, 1.0
	s_delay_alu instid0(VALU_DEP_1) | instskip(SKIP_1) | instid1(VALU_DEP_1)
	v_fmac_f32_e32 v40, v41, v40
	v_div_scale_f32 v41, vcc_lo, v38, v10, v38
	v_mul_f32_e32 v42, v41, v40
	s_delay_alu instid0(VALU_DEP_1) | instskip(NEXT) | instid1(VALU_DEP_1)
	v_fma_f32 v43, -v39, v42, v41
	v_fmac_f32_e32 v42, v43, v40
	s_delay_alu instid0(VALU_DEP_1) | instskip(NEXT) | instid1(VALU_DEP_1)
	v_fma_f32 v39, -v39, v42, v41
	v_div_fmas_f32 v39, v39, v40, v42
	s_delay_alu instid0(VALU_DEP_1) | instskip(NEXT) | instid1(VALU_DEP_1)
	v_div_fixup_f32 v10, v39, v10, v38
	v_cvt_f16_f32_e32 v10, v10
.LBB69_49:
	s_or_b32 exec_lo, exec_lo, s10
	v_cvt_f16_f32_e32 v11, v11
	s_mov_b32 s10, exec_lo
	s_delay_alu instid0(VALU_DEP_1) | instskip(NEXT) | instid1(VALU_DEP_1)
	v_cvt_f32_f16_e32 v11, v11
	v_dual_mul_f32 v38, s13, v11 :: v_dual_lshrrev_b32 v11, 16, v37
	s_delay_alu instid0(VALU_DEP_1)
	v_cmpx_nlt_f32_e32 s14, v38
	s_cbranch_execz .LBB69_51
; %bb.50:
	v_mul_f32_e32 v37, 0x3fb8aa3b, v38
	v_cmp_ngt_f32_e32 vcc_lo, 0xc2ce8ed0, v38
	v_cvt_f32_f16_e32 v11, v11
	s_delay_alu instid0(VALU_DEP_3) | instskip(SKIP_1) | instid1(VALU_DEP_1)
	v_rndne_f32_e32 v39, v37
	v_fma_f32 v40, 0x3fb8aa3b, v38, -v37
	v_dual_sub_f32 v37, v37, v39 :: v_dual_fmamk_f32 v40, v38, 0x32a5705f, v40
	v_cvt_i32_f32_e32 v39, v39
	s_delay_alu instid0(VALU_DEP_2) | instskip(NEXT) | instid1(VALU_DEP_1)
	v_add_f32_e32 v37, v37, v40
	v_exp_f32_e32 v37, v37
	v_nop
	s_delay_alu instid0(TRANS32_DEP_1) | instskip(NEXT) | instid1(VALU_DEP_1)
	v_ldexp_f32 v37, v37, v39
	v_cndmask_b32_e32 v37, 0, v37, vcc_lo
	v_cmp_nlt_f32_e32 vcc_lo, 0x42b17218, v38
	s_delay_alu instid0(VALU_DEP_2) | instskip(NEXT) | instid1(VALU_DEP_1)
	v_cndmask_b32_e32 v37, 0x7f800000, v37, vcc_lo
	v_dual_mul_f32 v11, v37, v11 :: v_dual_add_f32 v37, 1.0, v37
	s_delay_alu instid0(VALU_DEP_1) | instskip(NEXT) | instid1(VALU_DEP_1)
	v_div_scale_f32 v38, null, v37, v37, v11
	v_rcp_f32_e32 v39, v38
	v_nop
	s_delay_alu instid0(TRANS32_DEP_1) | instskip(NEXT) | instid1(VALU_DEP_1)
	v_fma_f32 v40, -v38, v39, 1.0
	v_fmac_f32_e32 v39, v40, v39
	v_div_scale_f32 v40, vcc_lo, v11, v37, v11
	s_delay_alu instid0(VALU_DEP_1) | instskip(NEXT) | instid1(VALU_DEP_1)
	v_mul_f32_e32 v41, v40, v39
	v_fma_f32 v42, -v38, v41, v40
	s_delay_alu instid0(VALU_DEP_1) | instskip(NEXT) | instid1(VALU_DEP_1)
	v_fmac_f32_e32 v41, v42, v39
	v_fma_f32 v38, -v38, v41, v40
	s_delay_alu instid0(VALU_DEP_1) | instskip(NEXT) | instid1(VALU_DEP_1)
	v_div_fmas_f32 v38, v38, v39, v41
	v_div_fixup_f32 v11, v38, v37, v11
	s_delay_alu instid0(VALU_DEP_1)
	v_cvt_f16_f32_e32 v11, v11
.LBB69_51:
	s_or_b32 exec_lo, exec_lo, s10
	s_wait_loadcnt 0x3
	v_cvt_f16_f32_e32 v8, v8
	s_mov_b32 s10, exec_lo
	s_delay_alu instid0(VALU_DEP_1) | instskip(NEXT) | instid1(VALU_DEP_1)
	v_cvt_f32_f16_e32 v8, v8
	v_dual_mul_f32 v37, s13, v8 :: v_dual_mov_b32 v8, v36
	s_delay_alu instid0(VALU_DEP_1)
	v_cmpx_nlt_f32_e32 s14, v37
	s_cbranch_execz .LBB69_53
; %bb.52:
	v_mul_f32_e32 v8, 0x3fb8aa3b, v37
	v_cmp_ngt_f32_e32 vcc_lo, 0xc2ce8ed0, v37
	s_delay_alu instid0(VALU_DEP_2) | instskip(SKIP_1) | instid1(VALU_DEP_1)
	v_rndne_f32_e32 v38, v8
	v_fma_f32 v39, 0x3fb8aa3b, v37, -v8
	v_dual_sub_f32 v8, v8, v38 :: v_dual_fmamk_f32 v39, v37, 0x32a5705f, v39
	v_cvt_i32_f32_e32 v38, v38
	s_delay_alu instid0(VALU_DEP_2) | instskip(NEXT) | instid1(VALU_DEP_1)
	v_add_f32_e32 v8, v8, v39
	v_exp_f32_e32 v8, v8
	v_nop
	s_delay_alu instid0(TRANS32_DEP_1) | instskip(SKIP_1) | instid1(VALU_DEP_2)
	v_ldexp_f32 v8, v8, v38
	v_cvt_f32_f16_e32 v38, v36
	v_cndmask_b32_e32 v8, 0, v8, vcc_lo
	v_cmp_nlt_f32_e32 vcc_lo, 0x42b17218, v37
	s_delay_alu instid0(VALU_DEP_2) | instskip(NEXT) | instid1(VALU_DEP_1)
	v_cndmask_b32_e32 v8, 0x7f800000, v8, vcc_lo
	v_dual_mul_f32 v37, v8, v38 :: v_dual_add_f32 v8, 1.0, v8
	s_delay_alu instid0(VALU_DEP_1) | instskip(NEXT) | instid1(VALU_DEP_1)
	v_div_scale_f32 v38, null, v8, v8, v37
	v_rcp_f32_e32 v39, v38
	v_nop
	s_delay_alu instid0(TRANS32_DEP_1) | instskip(NEXT) | instid1(VALU_DEP_1)
	v_fma_f32 v40, -v38, v39, 1.0
	v_fmac_f32_e32 v39, v40, v39
	v_div_scale_f32 v40, vcc_lo, v37, v8, v37
	s_delay_alu instid0(VALU_DEP_1) | instskip(NEXT) | instid1(VALU_DEP_1)
	v_mul_f32_e32 v41, v40, v39
	v_fma_f32 v42, -v38, v41, v40
	s_delay_alu instid0(VALU_DEP_1) | instskip(NEXT) | instid1(VALU_DEP_1)
	v_fmac_f32_e32 v41, v42, v39
	v_fma_f32 v38, -v38, v41, v40
	s_delay_alu instid0(VALU_DEP_1) | instskip(NEXT) | instid1(VALU_DEP_1)
	v_div_fmas_f32 v38, v38, v39, v41
	v_div_fixup_f32 v8, v38, v8, v37
	s_delay_alu instid0(VALU_DEP_1)
	v_cvt_f16_f32_e32 v8, v8
.LBB69_53:
	s_or_b32 exec_lo, exec_lo, s10
	v_cvt_f16_f32_e32 v9, v9
	s_mov_b32 s10, exec_lo
	s_delay_alu instid0(VALU_DEP_1) | instskip(NEXT) | instid1(VALU_DEP_1)
	v_cvt_f32_f16_e32 v9, v9
	v_dual_mul_f32 v37, s13, v9 :: v_dual_lshrrev_b32 v9, 16, v36
	s_delay_alu instid0(VALU_DEP_1)
	v_cmpx_nlt_f32_e32 s14, v37
	s_cbranch_execz .LBB69_55
; %bb.54:
	v_mul_f32_e32 v36, 0x3fb8aa3b, v37
	v_cmp_ngt_f32_e32 vcc_lo, 0xc2ce8ed0, v37
	v_cvt_f32_f16_e32 v9, v9
	s_delay_alu instid0(VALU_DEP_3) | instskip(SKIP_1) | instid1(VALU_DEP_1)
	v_rndne_f32_e32 v38, v36
	v_fma_f32 v39, 0x3fb8aa3b, v37, -v36
	v_dual_sub_f32 v36, v36, v38 :: v_dual_fmamk_f32 v39, v37, 0x32a5705f, v39
	v_cvt_i32_f32_e32 v38, v38
	s_delay_alu instid0(VALU_DEP_2) | instskip(NEXT) | instid1(VALU_DEP_1)
	v_add_f32_e32 v36, v36, v39
	v_exp_f32_e32 v36, v36
	v_nop
	s_delay_alu instid0(TRANS32_DEP_1) | instskip(NEXT) | instid1(VALU_DEP_1)
	v_ldexp_f32 v36, v36, v38
	v_cndmask_b32_e32 v36, 0, v36, vcc_lo
	v_cmp_nlt_f32_e32 vcc_lo, 0x42b17218, v37
	s_delay_alu instid0(VALU_DEP_2) | instskip(NEXT) | instid1(VALU_DEP_1)
	v_cndmask_b32_e32 v36, 0x7f800000, v36, vcc_lo
	v_dual_mul_f32 v9, v36, v9 :: v_dual_add_f32 v36, 1.0, v36
	s_delay_alu instid0(VALU_DEP_1) | instskip(NEXT) | instid1(VALU_DEP_1)
	v_div_scale_f32 v37, null, v36, v36, v9
	v_rcp_f32_e32 v38, v37
	v_nop
	s_delay_alu instid0(TRANS32_DEP_1) | instskip(NEXT) | instid1(VALU_DEP_1)
	v_fma_f32 v39, -v37, v38, 1.0
	v_fmac_f32_e32 v38, v39, v38
	v_div_scale_f32 v39, vcc_lo, v9, v36, v9
	s_delay_alu instid0(VALU_DEP_1) | instskip(NEXT) | instid1(VALU_DEP_1)
	v_mul_f32_e32 v40, v39, v38
	v_fma_f32 v41, -v37, v40, v39
	s_delay_alu instid0(VALU_DEP_1) | instskip(NEXT) | instid1(VALU_DEP_1)
	v_fmac_f32_e32 v40, v41, v38
	v_fma_f32 v37, -v37, v40, v39
	s_delay_alu instid0(VALU_DEP_1) | instskip(NEXT) | instid1(VALU_DEP_1)
	v_div_fmas_f32 v37, v37, v38, v40
	v_div_fixup_f32 v9, v37, v36, v9
	s_delay_alu instid0(VALU_DEP_1)
	v_cvt_f16_f32_e32 v9, v9
.LBB69_55:
	s_or_b32 exec_lo, exec_lo, s10
	s_wait_loadcnt 0x2
	v_cvt_f16_f32_e32 v6, v6
	s_mov_b32 s10, exec_lo
	s_delay_alu instid0(VALU_DEP_1) | instskip(NEXT) | instid1(VALU_DEP_1)
	v_cvt_f32_f16_e32 v6, v6
	v_dual_mul_f32 v36, s13, v6 :: v_dual_mov_b32 v6, v35
	s_delay_alu instid0(VALU_DEP_1)
	v_cmpx_nlt_f32_e32 s14, v36
	s_cbranch_execz .LBB69_57
; %bb.56:
	v_mul_f32_e32 v6, 0x3fb8aa3b, v36
	v_cmp_ngt_f32_e32 vcc_lo, 0xc2ce8ed0, v36
	s_delay_alu instid0(VALU_DEP_2) | instskip(SKIP_1) | instid1(VALU_DEP_2)
	v_rndne_f32_e32 v37, v6
	v_fma_f32 v38, 0x3fb8aa3b, v36, -v6
	v_sub_f32_e32 v6, v6, v37
	s_delay_alu instid0(VALU_DEP_2) | instskip(SKIP_1) | instid1(VALU_DEP_2)
	v_fmamk_f32 v38, v36, 0x32a5705f, v38
	v_cvt_i32_f32_e32 v37, v37
	v_add_f32_e32 v6, v6, v38
	s_delay_alu instid0(VALU_DEP_1) | instskip(SKIP_1) | instid1(TRANS32_DEP_1)
	v_exp_f32_e32 v6, v6
	v_nop
	v_ldexp_f32 v6, v6, v37
	v_cvt_f32_f16_e32 v37, v35
	s_delay_alu instid0(VALU_DEP_2) | instskip(SKIP_1) | instid1(VALU_DEP_2)
	v_cndmask_b32_e32 v6, 0, v6, vcc_lo
	v_cmp_nlt_f32_e32 vcc_lo, 0x42b17218, v36
	v_cndmask_b32_e32 v6, 0x7f800000, v6, vcc_lo
	s_delay_alu instid0(VALU_DEP_1) | instskip(NEXT) | instid1(VALU_DEP_1)
	v_dual_mul_f32 v36, v6, v37 :: v_dual_add_f32 v6, 1.0, v6
	v_div_scale_f32 v37, null, v6, v6, v36
	s_delay_alu instid0(VALU_DEP_1) | instskip(SKIP_1) | instid1(TRANS32_DEP_1)
	v_rcp_f32_e32 v38, v37
	v_nop
	v_fma_f32 v39, -v37, v38, 1.0
	s_delay_alu instid0(VALU_DEP_1) | instskip(SKIP_1) | instid1(VALU_DEP_1)
	v_fmac_f32_e32 v38, v39, v38
	v_div_scale_f32 v39, vcc_lo, v36, v6, v36
	v_mul_f32_e32 v40, v39, v38
	s_delay_alu instid0(VALU_DEP_1) | instskip(NEXT) | instid1(VALU_DEP_1)
	v_fma_f32 v41, -v37, v40, v39
	v_fmac_f32_e32 v40, v41, v38
	s_delay_alu instid0(VALU_DEP_1) | instskip(NEXT) | instid1(VALU_DEP_1)
	v_fma_f32 v37, -v37, v40, v39
	v_div_fmas_f32 v37, v37, v38, v40
	s_delay_alu instid0(VALU_DEP_1) | instskip(NEXT) | instid1(VALU_DEP_1)
	v_div_fixup_f32 v6, v37, v6, v36
	v_cvt_f16_f32_e32 v6, v6
.LBB69_57:
	s_or_b32 exec_lo, exec_lo, s10
	v_cvt_f16_f32_e32 v7, v7
	s_mov_b32 s10, exec_lo
	s_delay_alu instid0(VALU_DEP_1) | instskip(NEXT) | instid1(VALU_DEP_1)
	v_cvt_f32_f16_e32 v7, v7
	v_mul_f32_e32 v36, s13, v7
	v_lshrrev_b32_e32 v7, 16, v35
	s_delay_alu instid0(VALU_DEP_2)
	v_cmpx_nlt_f32_e32 s14, v36
	s_cbranch_execz .LBB69_59
; %bb.58:
	v_mul_f32_e32 v35, 0x3fb8aa3b, v36
	v_cmp_ngt_f32_e32 vcc_lo, 0xc2ce8ed0, v36
	v_cvt_f32_f16_e32 v7, v7
	s_delay_alu instid0(VALU_DEP_3) | instskip(SKIP_1) | instid1(VALU_DEP_1)
	v_rndne_f32_e32 v37, v35
	v_fma_f32 v38, 0x3fb8aa3b, v36, -v35
	v_dual_sub_f32 v35, v35, v37 :: v_dual_fmamk_f32 v38, v36, 0x32a5705f, v38
	v_cvt_i32_f32_e32 v37, v37
	s_delay_alu instid0(VALU_DEP_2) | instskip(NEXT) | instid1(VALU_DEP_1)
	v_add_f32_e32 v35, v35, v38
	v_exp_f32_e32 v35, v35
	v_nop
	s_delay_alu instid0(TRANS32_DEP_1) | instskip(NEXT) | instid1(VALU_DEP_1)
	v_ldexp_f32 v35, v35, v37
	v_cndmask_b32_e32 v35, 0, v35, vcc_lo
	v_cmp_nlt_f32_e32 vcc_lo, 0x42b17218, v36
	s_delay_alu instid0(VALU_DEP_2) | instskip(NEXT) | instid1(VALU_DEP_1)
	v_cndmask_b32_e32 v35, 0x7f800000, v35, vcc_lo
	v_mul_f32_e32 v7, v35, v7
	v_add_f32_e32 v35, 1.0, v35
	s_delay_alu instid0(VALU_DEP_1) | instskip(NEXT) | instid1(VALU_DEP_1)
	v_div_scale_f32 v36, null, v35, v35, v7
	v_rcp_f32_e32 v37, v36
	v_nop
	s_delay_alu instid0(TRANS32_DEP_1) | instskip(NEXT) | instid1(VALU_DEP_1)
	v_fma_f32 v38, -v36, v37, 1.0
	v_fmac_f32_e32 v37, v38, v37
	v_div_scale_f32 v38, vcc_lo, v7, v35, v7
	s_delay_alu instid0(VALU_DEP_1) | instskip(NEXT) | instid1(VALU_DEP_1)
	v_mul_f32_e32 v39, v38, v37
	v_fma_f32 v40, -v36, v39, v38
	s_delay_alu instid0(VALU_DEP_1) | instskip(NEXT) | instid1(VALU_DEP_1)
	v_fmac_f32_e32 v39, v40, v37
	v_fma_f32 v36, -v36, v39, v38
	s_delay_alu instid0(VALU_DEP_1) | instskip(NEXT) | instid1(VALU_DEP_1)
	v_div_fmas_f32 v36, v36, v37, v39
	v_div_fixup_f32 v7, v36, v35, v7
	s_delay_alu instid0(VALU_DEP_1)
	v_cvt_f16_f32_e32 v7, v7
.LBB69_59:
	s_or_b32 exec_lo, exec_lo, s10
	s_wait_loadcnt 0x1
	v_cvt_f16_f32_e32 v4, v4
	s_mov_b32 s10, exec_lo
	s_delay_alu instid0(VALU_DEP_1) | instskip(NEXT) | instid1(VALU_DEP_1)
	v_cvt_f32_f16_e32 v4, v4
	v_dual_mul_f32 v35, s13, v4 :: v_dual_mov_b32 v4, v34
	s_delay_alu instid0(VALU_DEP_1)
	v_cmpx_nlt_f32_e32 s14, v35
	s_cbranch_execz .LBB69_61
; %bb.60:
	v_mul_f32_e32 v4, 0x3fb8aa3b, v35
	v_cmp_ngt_f32_e32 vcc_lo, 0xc2ce8ed0, v35
	s_delay_alu instid0(VALU_DEP_2) | instskip(SKIP_1) | instid1(VALU_DEP_1)
	v_rndne_f32_e32 v36, v4
	v_fma_f32 v37, 0x3fb8aa3b, v35, -v4
	v_dual_sub_f32 v4, v4, v36 :: v_dual_fmamk_f32 v37, v35, 0x32a5705f, v37
	v_cvt_i32_f32_e32 v36, v36
	s_delay_alu instid0(VALU_DEP_2) | instskip(NEXT) | instid1(VALU_DEP_1)
	v_add_f32_e32 v4, v4, v37
	v_exp_f32_e32 v4, v4
	v_nop
	s_delay_alu instid0(TRANS32_DEP_1) | instskip(SKIP_1) | instid1(VALU_DEP_2)
	v_ldexp_f32 v4, v4, v36
	v_cvt_f32_f16_e32 v36, v34
	v_cndmask_b32_e32 v4, 0, v4, vcc_lo
	v_cmp_nlt_f32_e32 vcc_lo, 0x42b17218, v35
	s_delay_alu instid0(VALU_DEP_2) | instskip(NEXT) | instid1(VALU_DEP_1)
	v_cndmask_b32_e32 v4, 0x7f800000, v4, vcc_lo
	v_mul_f32_e32 v35, v4, v36
	v_add_f32_e32 v4, 1.0, v4
	s_delay_alu instid0(VALU_DEP_1) | instskip(NEXT) | instid1(VALU_DEP_1)
	v_div_scale_f32 v36, null, v4, v4, v35
	v_rcp_f32_e32 v37, v36
	v_nop
	s_delay_alu instid0(TRANS32_DEP_1) | instskip(NEXT) | instid1(VALU_DEP_1)
	v_fma_f32 v38, -v36, v37, 1.0
	v_fmac_f32_e32 v37, v38, v37
	v_div_scale_f32 v38, vcc_lo, v35, v4, v35
	s_delay_alu instid0(VALU_DEP_1) | instskip(NEXT) | instid1(VALU_DEP_1)
	v_mul_f32_e32 v39, v38, v37
	v_fma_f32 v40, -v36, v39, v38
	s_delay_alu instid0(VALU_DEP_1) | instskip(NEXT) | instid1(VALU_DEP_1)
	v_fmac_f32_e32 v39, v40, v37
	v_fma_f32 v36, -v36, v39, v38
	s_delay_alu instid0(VALU_DEP_1) | instskip(NEXT) | instid1(VALU_DEP_1)
	v_div_fmas_f32 v36, v36, v37, v39
	v_div_fixup_f32 v4, v36, v4, v35
	s_delay_alu instid0(VALU_DEP_1)
	v_cvt_f16_f32_e32 v4, v4
.LBB69_61:
	s_or_b32 exec_lo, exec_lo, s10
	v_cvt_f16_f32_e32 v5, v5
	s_mov_b32 s10, exec_lo
	s_delay_alu instid0(VALU_DEP_1) | instskip(NEXT) | instid1(VALU_DEP_1)
	v_cvt_f32_f16_e32 v5, v5
	v_dual_mul_f32 v35, s13, v5 :: v_dual_lshrrev_b32 v5, 16, v34
	s_delay_alu instid0(VALU_DEP_1)
	v_cmpx_nlt_f32_e32 s14, v35
	s_cbranch_execz .LBB69_63
; %bb.62:
	v_mul_f32_e32 v34, 0x3fb8aa3b, v35
	v_cmp_ngt_f32_e32 vcc_lo, 0xc2ce8ed0, v35
	v_cvt_f32_f16_e32 v5, v5
	s_delay_alu instid0(VALU_DEP_3) | instskip(SKIP_1) | instid1(VALU_DEP_1)
	v_rndne_f32_e32 v36, v34
	v_fma_f32 v37, 0x3fb8aa3b, v35, -v34
	v_dual_sub_f32 v34, v34, v36 :: v_dual_fmamk_f32 v37, v35, 0x32a5705f, v37
	v_cvt_i32_f32_e32 v36, v36
	s_delay_alu instid0(VALU_DEP_2) | instskip(NEXT) | instid1(VALU_DEP_1)
	v_add_f32_e32 v34, v34, v37
	v_exp_f32_e32 v34, v34
	v_nop
	s_delay_alu instid0(TRANS32_DEP_1) | instskip(NEXT) | instid1(VALU_DEP_1)
	v_ldexp_f32 v34, v34, v36
	v_cndmask_b32_e32 v34, 0, v34, vcc_lo
	v_cmp_nlt_f32_e32 vcc_lo, 0x42b17218, v35
	s_delay_alu instid0(VALU_DEP_2) | instskip(NEXT) | instid1(VALU_DEP_1)
	v_cndmask_b32_e32 v34, 0x7f800000, v34, vcc_lo
	v_dual_mul_f32 v5, v34, v5 :: v_dual_add_f32 v34, 1.0, v34
	s_delay_alu instid0(VALU_DEP_1) | instskip(NEXT) | instid1(VALU_DEP_1)
	v_div_scale_f32 v35, null, v34, v34, v5
	v_rcp_f32_e32 v36, v35
	v_nop
	s_delay_alu instid0(TRANS32_DEP_1) | instskip(NEXT) | instid1(VALU_DEP_1)
	v_fma_f32 v37, -v35, v36, 1.0
	v_fmac_f32_e32 v36, v37, v36
	v_div_scale_f32 v37, vcc_lo, v5, v34, v5
	s_delay_alu instid0(VALU_DEP_1) | instskip(NEXT) | instid1(VALU_DEP_1)
	v_mul_f32_e32 v38, v37, v36
	v_fma_f32 v39, -v35, v38, v37
	s_delay_alu instid0(VALU_DEP_1) | instskip(NEXT) | instid1(VALU_DEP_1)
	v_fmac_f32_e32 v38, v39, v36
	v_fma_f32 v35, -v35, v38, v37
	s_delay_alu instid0(VALU_DEP_1) | instskip(NEXT) | instid1(VALU_DEP_1)
	v_div_fmas_f32 v35, v35, v36, v38
	v_div_fixup_f32 v5, v35, v34, v5
	s_delay_alu instid0(VALU_DEP_1)
	v_cvt_f16_f32_e32 v5, v5
.LBB69_63:
	s_or_b32 exec_lo, exec_lo, s10
	s_wait_loadcnt 0x0
	v_cvt_f16_f32_e32 v2, v2
	s_mov_b32 s10, exec_lo
	s_delay_alu instid0(VALU_DEP_1) | instskip(NEXT) | instid1(VALU_DEP_1)
	v_cvt_f32_f16_e32 v2, v2
	v_dual_mul_f32 v34, s13, v2 :: v_dual_mov_b32 v2, v1
	s_delay_alu instid0(VALU_DEP_1)
	v_cmpx_nlt_f32_e32 s14, v34
	s_cbranch_execz .LBB69_65
; %bb.64:
	v_mul_f32_e32 v2, 0x3fb8aa3b, v34
	v_cmp_ngt_f32_e32 vcc_lo, 0xc2ce8ed0, v34
	s_delay_alu instid0(VALU_DEP_2) | instskip(SKIP_1) | instid1(VALU_DEP_2)
	v_rndne_f32_e32 v35, v2
	v_fma_f32 v36, 0x3fb8aa3b, v34, -v2
	v_sub_f32_e32 v2, v2, v35
	s_delay_alu instid0(VALU_DEP_2) | instskip(SKIP_1) | instid1(VALU_DEP_2)
	v_fmamk_f32 v36, v34, 0x32a5705f, v36
	v_cvt_i32_f32_e32 v35, v35
	v_add_f32_e32 v2, v2, v36
	s_delay_alu instid0(VALU_DEP_1) | instskip(SKIP_1) | instid1(TRANS32_DEP_1)
	v_exp_f32_e32 v2, v2
	v_nop
	v_ldexp_f32 v2, v2, v35
	v_cvt_f32_f16_e32 v35, v1
	s_delay_alu instid0(VALU_DEP_2) | instskip(SKIP_1) | instid1(VALU_DEP_2)
	v_cndmask_b32_e32 v2, 0, v2, vcc_lo
	v_cmp_nlt_f32_e32 vcc_lo, 0x42b17218, v34
	v_cndmask_b32_e32 v2, 0x7f800000, v2, vcc_lo
	s_delay_alu instid0(VALU_DEP_1) | instskip(NEXT) | instid1(VALU_DEP_1)
	v_dual_mul_f32 v34, v2, v35 :: v_dual_add_f32 v2, 1.0, v2
	v_div_scale_f32 v35, null, v2, v2, v34
	s_delay_alu instid0(VALU_DEP_1) | instskip(SKIP_1) | instid1(TRANS32_DEP_1)
	v_rcp_f32_e32 v36, v35
	v_nop
	v_fma_f32 v37, -v35, v36, 1.0
	s_delay_alu instid0(VALU_DEP_1) | instskip(SKIP_1) | instid1(VALU_DEP_1)
	v_fmac_f32_e32 v36, v37, v36
	v_div_scale_f32 v37, vcc_lo, v34, v2, v34
	v_mul_f32_e32 v38, v37, v36
	s_delay_alu instid0(VALU_DEP_1) | instskip(NEXT) | instid1(VALU_DEP_1)
	v_fma_f32 v39, -v35, v38, v37
	v_fmac_f32_e32 v38, v39, v36
	s_delay_alu instid0(VALU_DEP_1) | instskip(NEXT) | instid1(VALU_DEP_1)
	v_fma_f32 v35, -v35, v38, v37
	v_div_fmas_f32 v35, v35, v36, v38
	s_delay_alu instid0(VALU_DEP_1) | instskip(NEXT) | instid1(VALU_DEP_1)
	v_div_fixup_f32 v2, v35, v2, v34
	v_cvt_f16_f32_e32 v2, v2
.LBB69_65:
	s_or_b32 exec_lo, exec_lo, s10
	v_cvt_f16_f32_e32 v3, v3
	s_mov_b32 s10, exec_lo
	v_lshrrev_b32_e32 v1, 16, v1
	s_delay_alu instid0(VALU_DEP_2) | instskip(NEXT) | instid1(VALU_DEP_1)
	v_cvt_f32_f16_e32 v3, v3
	v_mul_f32_e32 v3, s13, v3
	s_delay_alu instid0(VALU_DEP_1)
	v_cmpx_nlt_f32_e32 s14, v3
	s_cbranch_execz .LBB69_67
; %bb.66:
	v_cvt_f32_f16_e32 v1, v1
	v_mul_f32_e32 v34, 0x3fb8aa3b, v3
	v_cmp_ngt_f32_e32 vcc_lo, 0xc2ce8ed0, v3
	s_delay_alu instid0(VALU_DEP_2) | instskip(SKIP_1) | instid1(VALU_DEP_2)
	v_rndne_f32_e32 v35, v34
	v_fma_f32 v36, 0x3fb8aa3b, v3, -v34
	v_sub_f32_e32 v34, v34, v35
	s_delay_alu instid0(VALU_DEP_2) | instskip(SKIP_1) | instid1(VALU_DEP_2)
	v_fmamk_f32 v36, v3, 0x32a5705f, v36
	v_cvt_i32_f32_e32 v35, v35
	v_add_f32_e32 v34, v34, v36
	s_delay_alu instid0(VALU_DEP_1) | instskip(SKIP_1) | instid1(TRANS32_DEP_1)
	v_exp_f32_e32 v34, v34
	v_nop
	v_ldexp_f32 v34, v34, v35
	s_delay_alu instid0(VALU_DEP_1) | instskip(SKIP_1) | instid1(VALU_DEP_2)
	v_cndmask_b32_e32 v34, 0, v34, vcc_lo
	v_cmp_nlt_f32_e32 vcc_lo, 0x42b17218, v3
	v_cndmask_b32_e32 v3, 0x7f800000, v34, vcc_lo
	s_delay_alu instid0(VALU_DEP_1) | instskip(NEXT) | instid1(VALU_DEP_1)
	v_dual_mul_f32 v1, v3, v1 :: v_dual_add_f32 v3, 1.0, v3
	v_div_scale_f32 v34, null, v3, v3, v1
	s_delay_alu instid0(VALU_DEP_1) | instskip(SKIP_1) | instid1(TRANS32_DEP_1)
	v_rcp_f32_e32 v35, v34
	v_nop
	v_fma_f32 v36, -v34, v35, 1.0
	s_delay_alu instid0(VALU_DEP_1) | instskip(SKIP_1) | instid1(VALU_DEP_1)
	v_fmac_f32_e32 v35, v36, v35
	v_div_scale_f32 v36, vcc_lo, v1, v3, v1
	v_mul_f32_e32 v37, v36, v35
	s_delay_alu instid0(VALU_DEP_1) | instskip(NEXT) | instid1(VALU_DEP_1)
	v_fma_f32 v38, -v34, v37, v36
	v_fmac_f32_e32 v37, v38, v35
	s_delay_alu instid0(VALU_DEP_1) | instskip(NEXT) | instid1(VALU_DEP_1)
	v_fma_f32 v34, -v34, v37, v36
	v_div_fmas_f32 v34, v34, v35, v37
	s_delay_alu instid0(VALU_DEP_1) | instskip(NEXT) | instid1(VALU_DEP_1)
	v_div_fixup_f32 v1, v34, v3, v1
	v_cvt_f16_f32_e32 v1, v1
.LBB69_67:
	s_or_b32 exec_lo, exec_lo, s10
	v_perm_b32 v3, v33, v32, 0x5040100
	v_perm_b32 v30, v31, v30, 0x5040100
	;; [unrolled: 1-line block ×3, first 2 shown]
	s_add_nc_u64 s[10:11], s[4:5], s[8:9]
	v_perm_b32 v26, v27, v26, 0x5040100
	v_perm_b32 v24, v25, v24, 0x5040100
	;; [unrolled: 1-line block ×5, first 2 shown]
	s_clause 0x7
	global_store_b32 v0, v3, s[10:11] scale_offset
	global_store_b32 v0, v30, s[10:11] offset:2048 scale_offset
	global_store_b32 v0, v28, s[10:11] offset:4096 scale_offset
	;; [unrolled: 1-line block ×7, first 2 shown]
	s_wait_xcnt 0x7
	v_perm_b32 v3, v17, v16, 0x5040100
	v_perm_b32 v14, v15, v14, 0x5040100
	;; [unrolled: 1-line block ×8, first 2 shown]
	s_clause 0x7
	global_store_b32 v0, v3, s[10:11] offset:16384 scale_offset
	global_store_b32 v0, v14, s[10:11] offset:18432 scale_offset
	global_store_b32 v0, v12, s[10:11] offset:20480 scale_offset
	global_store_b32 v0, v10, s[10:11] offset:22528 scale_offset
	global_store_b32 v0, v8, s[10:11] offset:24576 scale_offset
	global_store_b32 v0, v6, s[10:11] offset:26624 scale_offset
	global_store_b32 v0, v4, s[10:11] offset:28672 scale_offset
	global_store_b32 v0, v1, s[10:11] offset:30720 scale_offset
	s_branch .LBB69_2
.LBB69_68:
	s_wait_xcnt 0x0
	s_clause 0x1
	s_load_b32 s10, s[0:1], 0x2c
	s_load_b128 s[16:19], s[0:1], 0x30
	v_dual_mov_b32 v31, v0 :: v_dual_mov_b32 v0, s13
	v_dual_mov_b32 v1, s14 :: v_dual_mov_b32 v2, s4
	;; [unrolled: 1-line block ×5, first 2 shown]
	s_add_nc_u64 s[8:9], s[0:1], 64
	s_wait_xcnt 0x0
	s_get_pc_i64 s[0:1]
	s_add_nc_u64 s[0:1], s[0:1], _ZN2at6native25elementwise_kernel_helperILb1EZZZNS0_12_GLOBAL__N_124softplus_backward_kernelERNS_18TensorIteratorBaseERKN3c106ScalarES8_ENKUlvE_clEvENKUlvE0_clEvEUlffE_NS0_6memory8policies11unroll_baseILi512ESt5arrayIPcLm3EE23TrivialOffsetCalculatorILi2EjESI_ILi1EjENSC_12LoadWithCastILi2EEENSC_13StoreWithCastILi1EEELi32ELi1EEEEEvT0_T1_@rel64+4
	s_wait_kmcnt 0x0
	s_bfe_u32 s11, s10, 0x80008
	v_dual_mov_b32 v9, s10 :: v_dual_mov_b32 v11, s16
	v_dual_mov_b32 v12, s17 :: v_dual_mov_b32 v13, s18
	;; [unrolled: 1-line block ×3, first 2 shown]
	s_swap_pc_i64 s[30:31], s[0:1]
	s_endpgm
	.section	.rodata,"a",@progbits
	.p2align	6, 0x0
	.amdhsa_kernel _ZN2at6native39vectorized_templated_elementwise_kernelILi2EZZZNS0_12_GLOBAL__N_124softplus_backward_kernelERNS_18TensorIteratorBaseERKN3c106ScalarES8_ENKUlvE_clEvENKUlvE0_clEvEUlffE_St5arrayIPcLm3EE23TrivialOffsetCalculatorILi2EjESF_ILi1EjENS0_6memory12LoadWithCastILi2EEENSI_13StoreWithCastILi1EEENS5_4HalfEJSN_fEEEviT0_T1_T2_T3_T4_T5_
		.amdhsa_group_segment_fixed_size 0
		.amdhsa_private_segment_fixed_size 272
		.amdhsa_kernarg_size 320
		.amdhsa_user_sgpr_count 2
		.amdhsa_user_sgpr_dispatch_ptr 0
		.amdhsa_user_sgpr_queue_ptr 0
		.amdhsa_user_sgpr_kernarg_segment_ptr 1
		.amdhsa_user_sgpr_dispatch_id 0
		.amdhsa_user_sgpr_kernarg_preload_length 0
		.amdhsa_user_sgpr_kernarg_preload_offset 0
		.amdhsa_user_sgpr_private_segment_size 0
		.amdhsa_wavefront_size32 1
		.amdhsa_uses_dynamic_stack 0
		.amdhsa_enable_private_segment 1
		.amdhsa_system_sgpr_workgroup_id_x 1
		.amdhsa_system_sgpr_workgroup_id_y 0
		.amdhsa_system_sgpr_workgroup_id_z 0
		.amdhsa_system_sgpr_workgroup_info 0
		.amdhsa_system_vgpr_workitem_id 0
		.amdhsa_next_free_vgpr 132
		.amdhsa_next_free_sgpr 96
		.amdhsa_named_barrier_count 0
		.amdhsa_reserve_vcc 1
		.amdhsa_float_round_mode_32 0
		.amdhsa_float_round_mode_16_64 0
		.amdhsa_float_denorm_mode_32 3
		.amdhsa_float_denorm_mode_16_64 3
		.amdhsa_fp16_overflow 0
		.amdhsa_memory_ordered 1
		.amdhsa_forward_progress 1
		.amdhsa_inst_pref_size 75
		.amdhsa_round_robin_scheduling 0
		.amdhsa_exception_fp_ieee_invalid_op 0
		.amdhsa_exception_fp_denorm_src 0
		.amdhsa_exception_fp_ieee_div_zero 0
		.amdhsa_exception_fp_ieee_overflow 0
		.amdhsa_exception_fp_ieee_underflow 0
		.amdhsa_exception_fp_ieee_inexact 0
		.amdhsa_exception_int_div_zero 0
	.end_amdhsa_kernel
	.section	.text._ZN2at6native39vectorized_templated_elementwise_kernelILi2EZZZNS0_12_GLOBAL__N_124softplus_backward_kernelERNS_18TensorIteratorBaseERKN3c106ScalarES8_ENKUlvE_clEvENKUlvE0_clEvEUlffE_St5arrayIPcLm3EE23TrivialOffsetCalculatorILi2EjESF_ILi1EjENS0_6memory12LoadWithCastILi2EEENSI_13StoreWithCastILi1EEENS5_4HalfEJSN_fEEEviT0_T1_T2_T3_T4_T5_,"axG",@progbits,_ZN2at6native39vectorized_templated_elementwise_kernelILi2EZZZNS0_12_GLOBAL__N_124softplus_backward_kernelERNS_18TensorIteratorBaseERKN3c106ScalarES8_ENKUlvE_clEvENKUlvE0_clEvEUlffE_St5arrayIPcLm3EE23TrivialOffsetCalculatorILi2EjESF_ILi1EjENS0_6memory12LoadWithCastILi2EEENSI_13StoreWithCastILi1EEENS5_4HalfEJSN_fEEEviT0_T1_T2_T3_T4_T5_,comdat
.Lfunc_end69:
	.size	_ZN2at6native39vectorized_templated_elementwise_kernelILi2EZZZNS0_12_GLOBAL__N_124softplus_backward_kernelERNS_18TensorIteratorBaseERKN3c106ScalarES8_ENKUlvE_clEvENKUlvE0_clEvEUlffE_St5arrayIPcLm3EE23TrivialOffsetCalculatorILi2EjESF_ILi1EjENS0_6memory12LoadWithCastILi2EEENSI_13StoreWithCastILi1EEENS5_4HalfEJSN_fEEEviT0_T1_T2_T3_T4_T5_, .Lfunc_end69-_ZN2at6native39vectorized_templated_elementwise_kernelILi2EZZZNS0_12_GLOBAL__N_124softplus_backward_kernelERNS_18TensorIteratorBaseERKN3c106ScalarES8_ENKUlvE_clEvENKUlvE0_clEvEUlffE_St5arrayIPcLm3EE23TrivialOffsetCalculatorILi2EjESF_ILi1EjENS0_6memory12LoadWithCastILi2EEENSI_13StoreWithCastILi1EEENS5_4HalfEJSN_fEEEviT0_T1_T2_T3_T4_T5_
                                        ; -- End function
	.set _ZN2at6native39vectorized_templated_elementwise_kernelILi2EZZZNS0_12_GLOBAL__N_124softplus_backward_kernelERNS_18TensorIteratorBaseERKN3c106ScalarES8_ENKUlvE_clEvENKUlvE0_clEvEUlffE_St5arrayIPcLm3EE23TrivialOffsetCalculatorILi2EjESF_ILi1EjENS0_6memory12LoadWithCastILi2EEENSI_13StoreWithCastILi1EEENS5_4HalfEJSN_fEEEviT0_T1_T2_T3_T4_T5_.num_vgpr, max(55, .L_ZN2at6native25elementwise_kernel_helperILb1EZZZNS0_12_GLOBAL__N_124softplus_backward_kernelERNS_18TensorIteratorBaseERKN3c106ScalarES8_ENKUlvE_clEvENKUlvE0_clEvEUlffE_NS0_6memory8policies11unroll_baseILi512ESt5arrayIPcLm3EE23TrivialOffsetCalculatorILi2EjESI_ILi1EjENSC_12LoadWithCastILi2EEENSC_13StoreWithCastILi1EEELi32ELi1EEEEEvT0_T1_.num_vgpr)
	.set _ZN2at6native39vectorized_templated_elementwise_kernelILi2EZZZNS0_12_GLOBAL__N_124softplus_backward_kernelERNS_18TensorIteratorBaseERKN3c106ScalarES8_ENKUlvE_clEvENKUlvE0_clEvEUlffE_St5arrayIPcLm3EE23TrivialOffsetCalculatorILi2EjESF_ILi1EjENS0_6memory12LoadWithCastILi2EEENSI_13StoreWithCastILi1EEENS5_4HalfEJSN_fEEEviT0_T1_T2_T3_T4_T5_.num_agpr, max(0, .L_ZN2at6native25elementwise_kernel_helperILb1EZZZNS0_12_GLOBAL__N_124softplus_backward_kernelERNS_18TensorIteratorBaseERKN3c106ScalarES8_ENKUlvE_clEvENKUlvE0_clEvEUlffE_NS0_6memory8policies11unroll_baseILi512ESt5arrayIPcLm3EE23TrivialOffsetCalculatorILi2EjESI_ILi1EjENSC_12LoadWithCastILi2EEENSC_13StoreWithCastILi1EEELi32ELi1EEEEEvT0_T1_.num_agpr)
	.set _ZN2at6native39vectorized_templated_elementwise_kernelILi2EZZZNS0_12_GLOBAL__N_124softplus_backward_kernelERNS_18TensorIteratorBaseERKN3c106ScalarES8_ENKUlvE_clEvENKUlvE0_clEvEUlffE_St5arrayIPcLm3EE23TrivialOffsetCalculatorILi2EjESF_ILi1EjENS0_6memory12LoadWithCastILi2EEENSI_13StoreWithCastILi1EEENS5_4HalfEJSN_fEEEviT0_T1_T2_T3_T4_T5_.numbered_sgpr, max(33, .L_ZN2at6native25elementwise_kernel_helperILb1EZZZNS0_12_GLOBAL__N_124softplus_backward_kernelERNS_18TensorIteratorBaseERKN3c106ScalarES8_ENKUlvE_clEvENKUlvE0_clEvEUlffE_NS0_6memory8policies11unroll_baseILi512ESt5arrayIPcLm3EE23TrivialOffsetCalculatorILi2EjESI_ILi1EjENSC_12LoadWithCastILi2EEENSC_13StoreWithCastILi1EEELi32ELi1EEEEEvT0_T1_.numbered_sgpr)
	.set _ZN2at6native39vectorized_templated_elementwise_kernelILi2EZZZNS0_12_GLOBAL__N_124softplus_backward_kernelERNS_18TensorIteratorBaseERKN3c106ScalarES8_ENKUlvE_clEvENKUlvE0_clEvEUlffE_St5arrayIPcLm3EE23TrivialOffsetCalculatorILi2EjESF_ILi1EjENS0_6memory12LoadWithCastILi2EEENSI_13StoreWithCastILi1EEENS5_4HalfEJSN_fEEEviT0_T1_T2_T3_T4_T5_.num_named_barrier, max(0, .L_ZN2at6native25elementwise_kernel_helperILb1EZZZNS0_12_GLOBAL__N_124softplus_backward_kernelERNS_18TensorIteratorBaseERKN3c106ScalarES8_ENKUlvE_clEvENKUlvE0_clEvEUlffE_NS0_6memory8policies11unroll_baseILi512ESt5arrayIPcLm3EE23TrivialOffsetCalculatorILi2EjESI_ILi1EjENSC_12LoadWithCastILi2EEENSC_13StoreWithCastILi1EEELi32ELi1EEEEEvT0_T1_.num_named_barrier)
	.set _ZN2at6native39vectorized_templated_elementwise_kernelILi2EZZZNS0_12_GLOBAL__N_124softplus_backward_kernelERNS_18TensorIteratorBaseERKN3c106ScalarES8_ENKUlvE_clEvENKUlvE0_clEvEUlffE_St5arrayIPcLm3EE23TrivialOffsetCalculatorILi2EjESF_ILi1EjENS0_6memory12LoadWithCastILi2EEENSI_13StoreWithCastILi1EEENS5_4HalfEJSN_fEEEviT0_T1_T2_T3_T4_T5_.private_seg_size, 0+max(.L_ZN2at6native25elementwise_kernel_helperILb1EZZZNS0_12_GLOBAL__N_124softplus_backward_kernelERNS_18TensorIteratorBaseERKN3c106ScalarES8_ENKUlvE_clEvENKUlvE0_clEvEUlffE_NS0_6memory8policies11unroll_baseILi512ESt5arrayIPcLm3EE23TrivialOffsetCalculatorILi2EjESI_ILi1EjENSC_12LoadWithCastILi2EEENSC_13StoreWithCastILi1EEELi32ELi1EEEEEvT0_T1_.private_seg_size)
	.set _ZN2at6native39vectorized_templated_elementwise_kernelILi2EZZZNS0_12_GLOBAL__N_124softplus_backward_kernelERNS_18TensorIteratorBaseERKN3c106ScalarES8_ENKUlvE_clEvENKUlvE0_clEvEUlffE_St5arrayIPcLm3EE23TrivialOffsetCalculatorILi2EjESF_ILi1EjENS0_6memory12LoadWithCastILi2EEENSI_13StoreWithCastILi1EEENS5_4HalfEJSN_fEEEviT0_T1_T2_T3_T4_T5_.uses_vcc, or(1, .L_ZN2at6native25elementwise_kernel_helperILb1EZZZNS0_12_GLOBAL__N_124softplus_backward_kernelERNS_18TensorIteratorBaseERKN3c106ScalarES8_ENKUlvE_clEvENKUlvE0_clEvEUlffE_NS0_6memory8policies11unroll_baseILi512ESt5arrayIPcLm3EE23TrivialOffsetCalculatorILi2EjESI_ILi1EjENSC_12LoadWithCastILi2EEENSC_13StoreWithCastILi1EEELi32ELi1EEEEEvT0_T1_.uses_vcc)
	.set _ZN2at6native39vectorized_templated_elementwise_kernelILi2EZZZNS0_12_GLOBAL__N_124softplus_backward_kernelERNS_18TensorIteratorBaseERKN3c106ScalarES8_ENKUlvE_clEvENKUlvE0_clEvEUlffE_St5arrayIPcLm3EE23TrivialOffsetCalculatorILi2EjESF_ILi1EjENS0_6memory12LoadWithCastILi2EEENSI_13StoreWithCastILi1EEENS5_4HalfEJSN_fEEEviT0_T1_T2_T3_T4_T5_.uses_flat_scratch, or(0, .L_ZN2at6native25elementwise_kernel_helperILb1EZZZNS0_12_GLOBAL__N_124softplus_backward_kernelERNS_18TensorIteratorBaseERKN3c106ScalarES8_ENKUlvE_clEvENKUlvE0_clEvEUlffE_NS0_6memory8policies11unroll_baseILi512ESt5arrayIPcLm3EE23TrivialOffsetCalculatorILi2EjESI_ILi1EjENSC_12LoadWithCastILi2EEENSC_13StoreWithCastILi1EEELi32ELi1EEEEEvT0_T1_.uses_flat_scratch)
	.set _ZN2at6native39vectorized_templated_elementwise_kernelILi2EZZZNS0_12_GLOBAL__N_124softplus_backward_kernelERNS_18TensorIteratorBaseERKN3c106ScalarES8_ENKUlvE_clEvENKUlvE0_clEvEUlffE_St5arrayIPcLm3EE23TrivialOffsetCalculatorILi2EjESF_ILi1EjENS0_6memory12LoadWithCastILi2EEENSI_13StoreWithCastILi1EEENS5_4HalfEJSN_fEEEviT0_T1_T2_T3_T4_T5_.has_dyn_sized_stack, or(0, .L_ZN2at6native25elementwise_kernel_helperILb1EZZZNS0_12_GLOBAL__N_124softplus_backward_kernelERNS_18TensorIteratorBaseERKN3c106ScalarES8_ENKUlvE_clEvENKUlvE0_clEvEUlffE_NS0_6memory8policies11unroll_baseILi512ESt5arrayIPcLm3EE23TrivialOffsetCalculatorILi2EjESI_ILi1EjENSC_12LoadWithCastILi2EEENSC_13StoreWithCastILi1EEELi32ELi1EEEEEvT0_T1_.has_dyn_sized_stack)
	.set _ZN2at6native39vectorized_templated_elementwise_kernelILi2EZZZNS0_12_GLOBAL__N_124softplus_backward_kernelERNS_18TensorIteratorBaseERKN3c106ScalarES8_ENKUlvE_clEvENKUlvE0_clEvEUlffE_St5arrayIPcLm3EE23TrivialOffsetCalculatorILi2EjESF_ILi1EjENS0_6memory12LoadWithCastILi2EEENSI_13StoreWithCastILi1EEENS5_4HalfEJSN_fEEEviT0_T1_T2_T3_T4_T5_.has_recursion, or(0, .L_ZN2at6native25elementwise_kernel_helperILb1EZZZNS0_12_GLOBAL__N_124softplus_backward_kernelERNS_18TensorIteratorBaseERKN3c106ScalarES8_ENKUlvE_clEvENKUlvE0_clEvEUlffE_NS0_6memory8policies11unroll_baseILi512ESt5arrayIPcLm3EE23TrivialOffsetCalculatorILi2EjESI_ILi1EjENSC_12LoadWithCastILi2EEENSC_13StoreWithCastILi1EEELi32ELi1EEEEEvT0_T1_.has_recursion)
	.set _ZN2at6native39vectorized_templated_elementwise_kernelILi2EZZZNS0_12_GLOBAL__N_124softplus_backward_kernelERNS_18TensorIteratorBaseERKN3c106ScalarES8_ENKUlvE_clEvENKUlvE0_clEvEUlffE_St5arrayIPcLm3EE23TrivialOffsetCalculatorILi2EjESF_ILi1EjENS0_6memory12LoadWithCastILi2EEENSI_13StoreWithCastILi1EEENS5_4HalfEJSN_fEEEviT0_T1_T2_T3_T4_T5_.has_indirect_call, or(0, .L_ZN2at6native25elementwise_kernel_helperILb1EZZZNS0_12_GLOBAL__N_124softplus_backward_kernelERNS_18TensorIteratorBaseERKN3c106ScalarES8_ENKUlvE_clEvENKUlvE0_clEvEUlffE_NS0_6memory8policies11unroll_baseILi512ESt5arrayIPcLm3EE23TrivialOffsetCalculatorILi2EjESI_ILi1EjENSC_12LoadWithCastILi2EEENSC_13StoreWithCastILi1EEELi32ELi1EEEEEvT0_T1_.has_indirect_call)
	.section	.AMDGPU.csdata,"",@progbits
; Kernel info:
; codeLenInByte = 9592
; TotalNumSgprs: 98
; NumVgprs: 132
; ScratchSize: 272
; MemoryBound: 0
; FloatMode: 240
; IeeeMode: 1
; LDSByteSize: 0 bytes/workgroup (compile time only)
; SGPRBlocks: 0
; VGPRBlocks: 8
; NumSGPRsForWavesPerEU: 98
; NumVGPRsForWavesPerEU: 132
; NamedBarCnt: 0
; Occupancy: 7
; WaveLimiterHint : 1
; COMPUTE_PGM_RSRC2:SCRATCH_EN: 1
; COMPUTE_PGM_RSRC2:USER_SGPR: 2
; COMPUTE_PGM_RSRC2:TRAP_HANDLER: 0
; COMPUTE_PGM_RSRC2:TGID_X_EN: 1
; COMPUTE_PGM_RSRC2:TGID_Y_EN: 0
; COMPUTE_PGM_RSRC2:TGID_Z_EN: 0
; COMPUTE_PGM_RSRC2:TIDIG_COMP_CNT: 0
	.section	.text._ZN2at6native32elementwise_kernel_manual_unrollILi128ELi4EZNS0_15gpu_kernel_implIZZZNS0_12_GLOBAL__N_124softplus_backward_kernelERNS_18TensorIteratorBaseERKN3c106ScalarES9_ENKUlvE_clEvENKUlvE0_clEvEUlffE_EEvS5_RKT_EUlibE_EEviT1_,"axG",@progbits,_ZN2at6native32elementwise_kernel_manual_unrollILi128ELi4EZNS0_15gpu_kernel_implIZZZNS0_12_GLOBAL__N_124softplus_backward_kernelERNS_18TensorIteratorBaseERKN3c106ScalarES9_ENKUlvE_clEvENKUlvE0_clEvEUlffE_EEvS5_RKT_EUlibE_EEviT1_,comdat
	.globl	_ZN2at6native32elementwise_kernel_manual_unrollILi128ELi4EZNS0_15gpu_kernel_implIZZZNS0_12_GLOBAL__N_124softplus_backward_kernelERNS_18TensorIteratorBaseERKN3c106ScalarES9_ENKUlvE_clEvENKUlvE0_clEvEUlffE_EEvS5_RKT_EUlibE_EEviT1_ ; -- Begin function _ZN2at6native32elementwise_kernel_manual_unrollILi128ELi4EZNS0_15gpu_kernel_implIZZZNS0_12_GLOBAL__N_124softplus_backward_kernelERNS_18TensorIteratorBaseERKN3c106ScalarES9_ENKUlvE_clEvENKUlvE0_clEvEUlffE_EEvS5_RKT_EUlibE_EEviT1_
	.p2align	8
	.type	_ZN2at6native32elementwise_kernel_manual_unrollILi128ELi4EZNS0_15gpu_kernel_implIZZZNS0_12_GLOBAL__N_124softplus_backward_kernelERNS_18TensorIteratorBaseERKN3c106ScalarES9_ENKUlvE_clEvENKUlvE0_clEvEUlffE_EEvS5_RKT_EUlibE_EEviT1_,@function
_ZN2at6native32elementwise_kernel_manual_unrollILi128ELi4EZNS0_15gpu_kernel_implIZZZNS0_12_GLOBAL__N_124softplus_backward_kernelERNS_18TensorIteratorBaseERKN3c106ScalarES9_ENKUlvE_clEvENKUlvE0_clEvEUlffE_EEvS5_RKT_EUlibE_EEviT1_: ; @_ZN2at6native32elementwise_kernel_manual_unrollILi128ELi4EZNS0_15gpu_kernel_implIZZZNS0_12_GLOBAL__N_124softplus_backward_kernelERNS_18TensorIteratorBaseERKN3c106ScalarES9_ENKUlvE_clEvENKUlvE0_clEvEUlffE_EEvS5_RKT_EUlibE_EEviT1_
; %bb.0:
	s_load_b64 s[2:3], s[0:1], 0x30
	s_bfe_u32 s8, ttmp6, 0x4000c
	s_clause 0x1
	s_load_b32 s18, s[0:1], 0x0
	s_load_b128 s[4:7], s[0:1], 0x8
	s_add_co_i32 s15, s8, 1
	s_clause 0x1
	s_load_b64 s[12:13], s[0:1], 0x18
	s_load_b128 s[8:11], s[0:1], 0x20
	s_and_b32 s14, ttmp6, 15
	s_wait_xcnt 0x0
	s_mul_i32 s0, ttmp9, s15
	s_getreg_b32 s16, hwreg(HW_REG_IB_STS2, 6, 4)
	s_add_co_i32 s14, s14, s0
	s_mov_b32 s17, 0
	s_wait_kmcnt 0x0
	s_lshr_b32 s15, s3, 8
	s_lshr_b32 s1, s3, 16
	s_cmp_eq_u32 s16, 0
	s_cselect_b32 s0, ttmp9, s14
	s_mov_b32 s14, 0
	v_lshl_or_b32 v12, s0, 9, v0
	s_mov_b32 s0, exec_lo
	s_delay_alu instid0(VALU_DEP_1) | instskip(NEXT) | instid1(VALU_DEP_1)
	v_or_b32_e32 v0, 0x180, v12
	v_cmpx_le_i32_e64 s18, v0
	s_xor_b32 s16, exec_lo, s0
	s_cbranch_execz .LBB70_1555
; %bb.1:
	s_mov_b32 s25, -1
	s_mov_b32 s22, 0
	s_mov_b32 s20, 0
	;; [unrolled: 1-line block ×3, first 2 shown]
	s_mov_b32 s21, exec_lo
	v_cmpx_gt_i32_e64 s18, v12
	s_cbranch_execz .LBB70_384
; %bb.2:
	v_mul_lo_u32 v0, v12, s9
	s_and_b32 s0, s15, 0xff
	s_delay_alu instid0(SALU_CYCLE_1) | instskip(NEXT) | instid1(VALU_DEP_1)
	s_cmp_lt_i32 s0, 11
	v_ashrrev_i32_e32 v1, 31, v0
	s_delay_alu instid0(VALU_DEP_1)
	v_add_nc_u64_e32 v[2:3], s[6:7], v[0:1]
	s_cbranch_scc1 .LBB70_9
; %bb.3:
	s_and_b32 s17, 0xffff, s0
	s_delay_alu instid0(SALU_CYCLE_1)
	s_cmp_gt_i32 s17, 25
	s_cbranch_scc0 .LBB70_18
; %bb.4:
	s_cmp_gt_i32 s17, 28
	s_cbranch_scc0 .LBB70_30
; %bb.5:
	;; [unrolled: 3-line block ×4, first 2 shown]
	s_cmp_eq_u32 s17, 46
	s_mov_b32 s23, 0
	s_cbranch_scc0 .LBB70_39
; %bb.8:
	global_load_b32 v0, v[2:3], off
	s_mov_b32 s19, -1
	s_wait_loadcnt 0x0
	v_lshlrev_b32_e32 v0, 16, v0
	s_branch .LBB70_41
.LBB70_9:
                                        ; implicit-def: $vgpr0
	s_cbranch_execnz .LBB70_107
.LBB70_10:
	s_and_not1_b32 vcc_lo, exec_lo, s19
	s_cbranch_vccnz .LBB70_154
.LBB70_11:
	s_wait_xcnt 0x0
	v_mul_lo_u32 v2, v12, s10
	s_and_b32 s0, s1, 0xff
	s_delay_alu instid0(SALU_CYCLE_1) | instskip(NEXT) | instid1(VALU_DEP_1)
	s_cmp_lt_i32 s0, 11
	v_ashrrev_i32_e32 v3, 31, v2
	s_delay_alu instid0(VALU_DEP_1)
	v_add_nc_u64_e32 v[2:3], s[12:13], v[2:3]
	s_cbranch_scc1 .LBB70_19
; %bb.12:
	s_and_b32 s17, 0xffff, s0
	s_delay_alu instid0(SALU_CYCLE_1)
	s_cmp_gt_i32 s17, 25
	s_cbranch_scc0 .LBB70_31
; %bb.13:
	s_cmp_gt_i32 s17, 28
	s_cbranch_scc0 .LBB70_34
; %bb.14:
	s_cmp_gt_i32 s17, 43
	s_cbranch_scc0 .LBB70_37
; %bb.15:
	s_cmp_gt_i32 s17, 45
	s_cbranch_scc0 .LBB70_44
; %bb.16:
	s_cmp_eq_u32 s17, 46
	s_mov_b32 s24, 0
	s_cbranch_scc0 .LBB70_155
; %bb.17:
	global_load_b32 v1, v[2:3], off
	s_mov_b32 s23, -1
	s_mov_b32 s19, 0
	s_wait_loadcnt 0x0
	v_lshlrev_b32_e32 v1, 16, v1
	s_branch .LBB70_157
.LBB70_18:
                                        ; implicit-def: $vgpr0
	s_cbranch_execnz .LBB70_72
	s_branch .LBB70_106
.LBB70_19:
	s_mov_b32 s19, 0
	s_mov_b32 s23, 0
                                        ; implicit-def: $vgpr1
	s_cbranch_execnz .LBB70_333
.LBB70_20:
	s_and_not1_b32 vcc_lo, exec_lo, s23
	s_cbranch_vccnz .LBB70_381
.LBB70_21:
	s_wait_loadcnt 0x0
	s_delay_alu instid0(VALU_DEP_1) | instskip(SKIP_1) | instid1(VALU_DEP_1)
	v_mul_f32_e32 v1, s11, v1
	s_mov_b32 s0, exec_lo
	v_cmpx_nlt_f32_e32 s2, v1
	s_cbranch_execz .LBB70_23
; %bb.22:
	v_mul_f32_e32 v2, 0x3fb8aa3b, v1
	v_cmp_ngt_f32_e32 vcc_lo, 0xc2ce8ed0, v1
	s_delay_alu instid0(VALU_DEP_2) | instskip(SKIP_1) | instid1(VALU_DEP_2)
	v_rndne_f32_e32 v3, v2
	v_fma_f32 v4, 0x3fb8aa3b, v1, -v2
	v_sub_f32_e32 v2, v2, v3
	s_delay_alu instid0(VALU_DEP_2) | instskip(SKIP_1) | instid1(VALU_DEP_2)
	v_fmamk_f32 v4, v1, 0x32a5705f, v4
	v_cvt_i32_f32_e32 v3, v3
	v_add_f32_e32 v2, v2, v4
	s_delay_alu instid0(VALU_DEP_1) | instskip(SKIP_1) | instid1(TRANS32_DEP_1)
	v_exp_f32_e32 v2, v2
	v_nop
	v_ldexp_f32 v2, v2, v3
	s_delay_alu instid0(VALU_DEP_1) | instskip(SKIP_1) | instid1(VALU_DEP_2)
	v_cndmask_b32_e32 v2, 0, v2, vcc_lo
	v_cmp_nlt_f32_e32 vcc_lo, 0x42b17218, v1
	v_cndmask_b32_e32 v1, 0x7f800000, v2, vcc_lo
	s_delay_alu instid0(VALU_DEP_1) | instskip(NEXT) | instid1(VALU_DEP_1)
	v_dual_mul_f32 v0, v0, v1 :: v_dual_add_f32 v1, 1.0, v1
	v_div_scale_f32 v2, null, v1, v1, v0
	s_delay_alu instid0(VALU_DEP_1) | instskip(SKIP_1) | instid1(TRANS32_DEP_1)
	v_rcp_f32_e32 v3, v2
	v_nop
	v_fma_f32 v4, -v2, v3, 1.0
	s_delay_alu instid0(VALU_DEP_1) | instskip(SKIP_1) | instid1(VALU_DEP_1)
	v_fmac_f32_e32 v3, v4, v3
	v_div_scale_f32 v4, vcc_lo, v0, v1, v0
	v_mul_f32_e32 v5, v4, v3
	s_delay_alu instid0(VALU_DEP_1) | instskip(NEXT) | instid1(VALU_DEP_1)
	v_fma_f32 v6, -v2, v5, v4
	v_fmac_f32_e32 v5, v6, v3
	s_delay_alu instid0(VALU_DEP_1) | instskip(NEXT) | instid1(VALU_DEP_1)
	v_fma_f32 v2, -v2, v5, v4
	v_div_fmas_f32 v2, v2, v3, v5
	s_delay_alu instid0(VALU_DEP_1)
	v_div_fixup_f32 v0, v2, v1, v0
.LBB70_23:
	s_or_b32 exec_lo, exec_lo, s0
	v_mul_lo_u32 v2, v12, s8
	s_and_b32 s17, s3, 0xff
	s_delay_alu instid0(SALU_CYCLE_1) | instskip(NEXT) | instid1(VALU_DEP_1)
	s_cmp_lt_i32 s17, 11
	v_ashrrev_i32_e32 v3, 31, v2
	s_delay_alu instid0(VALU_DEP_1)
	v_add_nc_u64_e32 v[2:3], s[4:5], v[2:3]
	s_cbranch_scc1 .LBB70_32
; %bb.24:
	s_and_b32 s23, 0xffff, s17
	s_delay_alu instid0(SALU_CYCLE_1)
	s_cmp_gt_i32 s23, 25
	s_cbranch_scc0 .LBB70_35
; %bb.25:
	s_cmp_gt_i32 s23, 28
	s_cbranch_scc0 .LBB70_38
; %bb.26:
	s_cmp_gt_i32 s23, 43
	s_cbranch_scc0 .LBB70_45
; %bb.27:
	s_cmp_gt_i32 s23, 45
	s_cbranch_scc0 .LBB70_160
; %bb.28:
	s_mov_b32 s25, 0
	s_mov_b32 s0, -1
	s_cmp_eq_u32 s23, 46
	s_mov_b32 s24, 0
	s_cbranch_scc0 .LBB70_161
; %bb.29:
	v_bfe_u32 v1, v0, 16, 1
	v_cmp_o_f32_e32 vcc_lo, v0, v0
	s_mov_b32 s24, -1
	s_mov_b32 s0, 0
	s_delay_alu instid0(VALU_DEP_2) | instskip(NEXT) | instid1(VALU_DEP_1)
	v_add3_u32 v1, v0, v1, 0x7fff
	v_lshrrev_b32_e32 v1, 16, v1
	s_delay_alu instid0(VALU_DEP_1)
	v_cndmask_b32_e32 v1, 0x7fc0, v1, vcc_lo
	global_store_b32 v[2:3], v1, off
	s_branch .LBB70_161
.LBB70_30:
	s_mov_b32 s23, -1
                                        ; implicit-def: $vgpr0
	s_branch .LBB70_53
.LBB70_31:
	s_mov_b32 s24, -1
	s_mov_b32 s19, 0
	s_mov_b32 s23, 0
                                        ; implicit-def: $vgpr1
	s_branch .LBB70_297
.LBB70_32:
	s_mov_b32 s23, -1
	s_mov_b32 s0, 0
	s_mov_b32 s24, 0
	s_branch .LBB70_230
.LBB70_33:
	s_mov_b32 s23, -1
                                        ; implicit-def: $vgpr0
	s_branch .LBB70_48
.LBB70_34:
	s_mov_b32 s24, -1
	s_mov_b32 s19, 0
	s_mov_b32 s23, 0
                                        ; implicit-def: $vgpr1
	s_branch .LBB70_278
.LBB70_35:
	s_mov_b32 s25, -1
	s_mov_b32 s0, 0
	s_mov_b32 s24, 0
	s_branch .LBB70_188
.LBB70_36:
	s_mov_b32 s23, -1
	s_branch .LBB70_40
.LBB70_37:
	s_mov_b32 s24, -1
	s_mov_b32 s19, 0
	s_mov_b32 s23, 0
                                        ; implicit-def: $vgpr1
	s_branch .LBB70_273
.LBB70_38:
	s_mov_b32 s25, -1
	s_mov_b32 s0, 0
	s_mov_b32 s24, 0
	s_branch .LBB70_171
.LBB70_39:
	s_mov_b32 s20, -1
.LBB70_40:
                                        ; implicit-def: $vgpr0
.LBB70_41:
	s_and_b32 vcc_lo, exec_lo, s23
	s_cbranch_vccz .LBB70_47
; %bb.42:
	s_cmp_eq_u32 s17, 44
	s_cbranch_scc0 .LBB70_46
; %bb.43:
	global_load_u8 v0, v[2:3], off
	s_mov_b32 s20, 0
	s_mov_b32 s19, -1
	s_wait_loadcnt 0x0
	v_lshlrev_b32_e32 v1, 23, v0
	v_cmp_ne_u32_e32 vcc_lo, 0xff, v0
	s_delay_alu instid0(VALU_DEP_2) | instskip(SKIP_1) | instid1(VALU_DEP_2)
	v_cndmask_b32_e32 v1, 0x7f800001, v1, vcc_lo
	v_cmp_ne_u32_e32 vcc_lo, 0, v0
	v_cndmask_b32_e32 v0, 0x400000, v1, vcc_lo
	s_branch .LBB70_47
.LBB70_44:
	s_mov_b32 s24, -1
	s_mov_b32 s19, 0
	s_branch .LBB70_156
.LBB70_45:
	s_mov_b32 s25, -1
	s_mov_b32 s0, 0
	s_mov_b32 s24, 0
	s_branch .LBB70_167
.LBB70_46:
	s_mov_b32 s20, -1
                                        ; implicit-def: $vgpr0
.LBB70_47:
	s_mov_b32 s23, 0
.LBB70_48:
	s_delay_alu instid0(SALU_CYCLE_1)
	s_and_b32 vcc_lo, exec_lo, s23
	s_cbranch_vccz .LBB70_52
; %bb.49:
	s_cmp_eq_u32 s17, 29
	s_cbranch_scc0 .LBB70_51
; %bb.50:
	global_load_b64 v[0:1], v[2:3], off
	s_mov_b32 s19, -1
	s_mov_b32 s20, 0
	s_mov_b32 s23, 0
	s_wait_loadcnt 0x0
	v_clz_i32_u32_e32 v4, v1
	s_delay_alu instid0(VALU_DEP_1) | instskip(NEXT) | instid1(VALU_DEP_1)
	v_min_u32_e32 v4, 32, v4
	v_lshlrev_b64_e32 v[0:1], v4, v[0:1]
	s_delay_alu instid0(VALU_DEP_1) | instskip(NEXT) | instid1(VALU_DEP_1)
	v_min_u32_e32 v0, 1, v0
	v_or_b32_e32 v0, v1, v0
	v_sub_nc_u32_e32 v1, 32, v4
	s_delay_alu instid0(VALU_DEP_2) | instskip(NEXT) | instid1(VALU_DEP_1)
	v_cvt_f32_u32_e32 v0, v0
	v_ldexp_f32 v0, v0, v1
	s_branch .LBB70_53
.LBB70_51:
	s_mov_b32 s20, -1
                                        ; implicit-def: $vgpr0
.LBB70_52:
	s_mov_b32 s23, 0
.LBB70_53:
	s_delay_alu instid0(SALU_CYCLE_1)
	s_and_b32 vcc_lo, exec_lo, s23
	s_cbranch_vccz .LBB70_71
; %bb.54:
	s_cmp_lt_i32 s17, 27
	s_cbranch_scc1 .LBB70_57
; %bb.55:
	s_cmp_gt_i32 s17, 27
	s_cbranch_scc0 .LBB70_58
; %bb.56:
	global_load_b32 v0, v[2:3], off
	s_mov_b32 s19, 0
	s_wait_loadcnt 0x0
	v_cvt_f32_u32_e32 v0, v0
	s_branch .LBB70_59
.LBB70_57:
	s_mov_b32 s19, -1
                                        ; implicit-def: $vgpr0
	s_branch .LBB70_62
.LBB70_58:
	s_mov_b32 s19, -1
                                        ; implicit-def: $vgpr0
.LBB70_59:
	s_delay_alu instid0(SALU_CYCLE_1)
	s_and_not1_b32 vcc_lo, exec_lo, s19
	s_cbranch_vccnz .LBB70_61
; %bb.60:
	global_load_u16 v0, v[2:3], off
	s_wait_loadcnt 0x0
	v_cvt_f32_u32_e32 v0, v0
.LBB70_61:
	s_mov_b32 s19, 0
.LBB70_62:
	s_delay_alu instid0(SALU_CYCLE_1)
	s_and_not1_b32 vcc_lo, exec_lo, s19
	s_cbranch_vccnz .LBB70_70
; %bb.63:
	global_load_u8 v1, v[2:3], off
	s_mov_b32 s19, 0
	s_mov_b32 s23, exec_lo
	s_wait_loadcnt 0x0
	v_cmpx_lt_i16_e32 0x7f, v1
	s_xor_b32 s23, exec_lo, s23
	s_cbranch_execz .LBB70_83
; %bb.64:
	s_mov_b32 s19, -1
	s_mov_b32 s24, exec_lo
	v_cmpx_eq_u16_e32 0x80, v1
; %bb.65:
	s_xor_b32 s19, exec_lo, -1
; %bb.66:
	s_or_b32 exec_lo, exec_lo, s24
	s_delay_alu instid0(SALU_CYCLE_1)
	s_and_b32 s19, s19, exec_lo
	s_or_saveexec_b32 s23, s23
	v_mov_b32_e32 v0, 0x7f800001
	s_xor_b32 exec_lo, exec_lo, s23
	s_cbranch_execnz .LBB70_84
.LBB70_67:
	s_or_b32 exec_lo, exec_lo, s23
	s_and_saveexec_b32 s23, s19
	s_cbranch_execz .LBB70_69
.LBB70_68:
	v_and_b32_e32 v0, 0xffff, v1
	s_delay_alu instid0(VALU_DEP_1) | instskip(SKIP_1) | instid1(VALU_DEP_2)
	v_and_b32_e32 v4, 7, v0
	v_bfe_u32 v7, v0, 3, 4
	v_clz_i32_u32_e32 v5, v4
	s_delay_alu instid0(VALU_DEP_2) | instskip(NEXT) | instid1(VALU_DEP_2)
	v_cmp_eq_u32_e32 vcc_lo, 0, v7
	v_min_u32_e32 v5, 32, v5
	s_delay_alu instid0(VALU_DEP_1) | instskip(NEXT) | instid1(VALU_DEP_1)
	v_subrev_nc_u32_e32 v6, 28, v5
	v_dual_lshlrev_b32 v0, v6, v0 :: v_dual_sub_nc_u32 v5, 29, v5
	s_delay_alu instid0(VALU_DEP_1) | instskip(NEXT) | instid1(VALU_DEP_1)
	v_dual_lshlrev_b32 v1, 24, v1 :: v_dual_bitop2_b32 v0, 7, v0 bitop3:0x40
	v_dual_cndmask_b32 v0, v4, v0 :: v_dual_cndmask_b32 v5, v7, v5
	s_delay_alu instid0(VALU_DEP_2) | instskip(NEXT) | instid1(VALU_DEP_2)
	v_and_b32_e32 v1, 0x80000000, v1
	v_lshlrev_b32_e32 v0, 20, v0
	s_delay_alu instid0(VALU_DEP_3) | instskip(NEXT) | instid1(VALU_DEP_1)
	v_lshl_add_u32 v4, v5, 23, 0x3b800000
	v_or3_b32 v0, v1, v4, v0
.LBB70_69:
	s_or_b32 exec_lo, exec_lo, s23
.LBB70_70:
	s_mov_b32 s19, -1
.LBB70_71:
	s_branch .LBB70_106
.LBB70_72:
	s_cmp_gt_i32 s17, 22
	s_cbranch_scc0 .LBB70_82
; %bb.73:
	s_cmp_lt_i32 s17, 24
	s_cbranch_scc1 .LBB70_85
; %bb.74:
	s_cmp_gt_i32 s17, 24
	s_cbranch_scc0 .LBB70_86
; %bb.75:
	global_load_u8 v1, v[2:3], off
	s_mov_b32 s19, 0
	s_mov_b32 s23, exec_lo
	s_wait_loadcnt 0x0
	v_cmpx_lt_i16_e32 0x7f, v1
	s_xor_b32 s23, exec_lo, s23
	s_cbranch_execz .LBB70_98
; %bb.76:
	s_mov_b32 s19, -1
	s_mov_b32 s24, exec_lo
	v_cmpx_eq_u16_e32 0x80, v1
; %bb.77:
	s_xor_b32 s19, exec_lo, -1
; %bb.78:
	s_or_b32 exec_lo, exec_lo, s24
	s_delay_alu instid0(SALU_CYCLE_1)
	s_and_b32 s19, s19, exec_lo
	s_or_saveexec_b32 s23, s23
	v_mov_b32_e32 v0, 0x7f800001
	s_xor_b32 exec_lo, exec_lo, s23
	s_cbranch_execnz .LBB70_99
.LBB70_79:
	s_or_b32 exec_lo, exec_lo, s23
	s_and_saveexec_b32 s23, s19
	s_cbranch_execz .LBB70_81
.LBB70_80:
	v_and_b32_e32 v0, 0xffff, v1
	s_delay_alu instid0(VALU_DEP_1) | instskip(SKIP_1) | instid1(VALU_DEP_2)
	v_and_b32_e32 v4, 3, v0
	v_bfe_u32 v7, v0, 2, 5
	v_clz_i32_u32_e32 v5, v4
	s_delay_alu instid0(VALU_DEP_2) | instskip(NEXT) | instid1(VALU_DEP_2)
	v_cmp_eq_u32_e32 vcc_lo, 0, v7
	v_min_u32_e32 v5, 32, v5
	s_delay_alu instid0(VALU_DEP_1) | instskip(NEXT) | instid1(VALU_DEP_1)
	v_subrev_nc_u32_e32 v6, 29, v5
	v_dual_lshlrev_b32 v0, v6, v0 :: v_dual_sub_nc_u32 v5, 30, v5
	s_delay_alu instid0(VALU_DEP_1) | instskip(NEXT) | instid1(VALU_DEP_1)
	v_dual_lshlrev_b32 v1, 24, v1 :: v_dual_bitop2_b32 v0, 3, v0 bitop3:0x40
	v_dual_cndmask_b32 v0, v4, v0 :: v_dual_cndmask_b32 v5, v7, v5
	s_delay_alu instid0(VALU_DEP_2) | instskip(NEXT) | instid1(VALU_DEP_2)
	v_and_b32_e32 v1, 0x80000000, v1
	v_lshlrev_b32_e32 v0, 21, v0
	s_delay_alu instid0(VALU_DEP_3) | instskip(NEXT) | instid1(VALU_DEP_1)
	v_lshl_add_u32 v4, v5, 23, 0x37800000
	v_or3_b32 v0, v1, v4, v0
.LBB70_81:
	s_or_b32 exec_lo, exec_lo, s23
	s_mov_b32 s19, 0
	s_branch .LBB70_87
.LBB70_82:
	s_mov_b32 s23, -1
                                        ; implicit-def: $vgpr0
	s_branch .LBB70_93
.LBB70_83:
	s_or_saveexec_b32 s23, s23
	v_mov_b32_e32 v0, 0x7f800001
	s_xor_b32 exec_lo, exec_lo, s23
	s_cbranch_execz .LBB70_67
.LBB70_84:
	v_cmp_ne_u16_e32 vcc_lo, 0, v1
	v_mov_b32_e32 v0, 0
	s_and_not1_b32 s19, s19, exec_lo
	s_and_b32 s24, vcc_lo, exec_lo
	s_delay_alu instid0(SALU_CYCLE_1)
	s_or_b32 s19, s19, s24
	s_or_b32 exec_lo, exec_lo, s23
	s_and_saveexec_b32 s23, s19
	s_cbranch_execnz .LBB70_68
	s_branch .LBB70_69
.LBB70_85:
	s_mov_b32 s19, -1
                                        ; implicit-def: $vgpr0
	s_branch .LBB70_90
.LBB70_86:
	s_mov_b32 s19, -1
                                        ; implicit-def: $vgpr0
.LBB70_87:
	s_delay_alu instid0(SALU_CYCLE_1)
	s_and_b32 vcc_lo, exec_lo, s19
	s_cbranch_vccz .LBB70_89
; %bb.88:
	global_load_u8 v0, v[2:3], off
	s_wait_loadcnt 0x0
	v_lshlrev_b32_e32 v0, 24, v0
	s_delay_alu instid0(VALU_DEP_1) | instskip(NEXT) | instid1(VALU_DEP_1)
	v_and_b32_e32 v1, 0x7f000000, v0
	v_clz_i32_u32_e32 v4, v1
	v_cmp_ne_u32_e32 vcc_lo, 0, v1
	v_add_nc_u32_e32 v6, 0x1000000, v1
	s_delay_alu instid0(VALU_DEP_3) | instskip(NEXT) | instid1(VALU_DEP_1)
	v_min_u32_e32 v4, 32, v4
	v_sub_nc_u32_e64 v4, v4, 4 clamp
	s_delay_alu instid0(VALU_DEP_1) | instskip(NEXT) | instid1(VALU_DEP_1)
	v_dual_lshlrev_b32 v5, v4, v1 :: v_dual_lshlrev_b32 v4, 23, v4
	v_lshrrev_b32_e32 v5, 4, v5
	s_delay_alu instid0(VALU_DEP_1) | instskip(NEXT) | instid1(VALU_DEP_1)
	v_dual_sub_nc_u32 v4, v5, v4 :: v_dual_ashrrev_i32 v5, 8, v6
	v_add_nc_u32_e32 v4, 0x3c000000, v4
	s_delay_alu instid0(VALU_DEP_1) | instskip(NEXT) | instid1(VALU_DEP_1)
	v_and_or_b32 v4, 0x7f800000, v5, v4
	v_cndmask_b32_e32 v1, 0, v4, vcc_lo
	s_delay_alu instid0(VALU_DEP_1)
	v_and_or_b32 v0, 0x80000000, v0, v1
.LBB70_89:
	s_mov_b32 s19, 0
.LBB70_90:
	s_delay_alu instid0(SALU_CYCLE_1)
	s_and_not1_b32 vcc_lo, exec_lo, s19
	s_cbranch_vccnz .LBB70_92
; %bb.91:
	global_load_u8 v0, v[2:3], off
	s_wait_loadcnt 0x0
	v_lshlrev_b32_e32 v1, 25, v0
	v_lshlrev_b16 v0, 8, v0
	s_delay_alu instid0(VALU_DEP_1) | instskip(SKIP_1) | instid1(VALU_DEP_2)
	v_and_or_b32 v5, 0x7f00, v0, 0.5
	v_bfe_i32 v0, v0, 0, 16
	v_add_f32_e32 v5, -0.5, v5
	v_lshrrev_b32_e32 v4, 4, v1
	v_cmp_gt_u32_e32 vcc_lo, 0x8000000, v1
	s_delay_alu instid0(VALU_DEP_2) | instskip(NEXT) | instid1(VALU_DEP_1)
	v_or_b32_e32 v4, 0x70000000, v4
	v_mul_f32_e32 v4, 0x7800000, v4
	s_delay_alu instid0(VALU_DEP_1) | instskip(NEXT) | instid1(VALU_DEP_1)
	v_cndmask_b32_e32 v1, v4, v5, vcc_lo
	v_and_or_b32 v0, 0x80000000, v0, v1
.LBB70_92:
	s_mov_b32 s23, 0
	s_mov_b32 s19, -1
.LBB70_93:
	s_and_not1_b32 vcc_lo, exec_lo, s23
	s_cbranch_vccnz .LBB70_106
; %bb.94:
	s_cmp_gt_i32 s17, 14
	s_cbranch_scc0 .LBB70_97
; %bb.95:
	s_cmp_eq_u32 s17, 15
	s_cbranch_scc0 .LBB70_100
; %bb.96:
	global_load_u16 v0, v[2:3], off
	s_mov_b32 s19, -1
	s_mov_b32 s20, 0
	s_wait_loadcnt 0x0
	v_lshlrev_b32_e32 v0, 16, v0
	s_branch .LBB70_101
.LBB70_97:
	s_mov_b32 s23, -1
                                        ; implicit-def: $vgpr0
	s_branch .LBB70_102
.LBB70_98:
	s_or_saveexec_b32 s23, s23
	v_mov_b32_e32 v0, 0x7f800001
	s_xor_b32 exec_lo, exec_lo, s23
	s_cbranch_execz .LBB70_79
.LBB70_99:
	v_cmp_ne_u16_e32 vcc_lo, 0, v1
	v_mov_b32_e32 v0, 0
	s_and_not1_b32 s19, s19, exec_lo
	s_and_b32 s24, vcc_lo, exec_lo
	s_delay_alu instid0(SALU_CYCLE_1)
	s_or_b32 s19, s19, s24
	s_or_b32 exec_lo, exec_lo, s23
	s_and_saveexec_b32 s23, s19
	s_cbranch_execnz .LBB70_80
	s_branch .LBB70_81
.LBB70_100:
	s_mov_b32 s20, -1
                                        ; implicit-def: $vgpr0
.LBB70_101:
	s_mov_b32 s23, 0
.LBB70_102:
	s_delay_alu instid0(SALU_CYCLE_1)
	s_and_b32 vcc_lo, exec_lo, s23
	s_cbranch_vccz .LBB70_106
; %bb.103:
	s_cmp_eq_u32 s17, 11
	s_cbranch_scc0 .LBB70_105
; %bb.104:
	global_load_u8 v0, v[2:3], off
	s_mov_b32 s20, 0
	s_mov_b32 s19, -1
	s_wait_loadcnt 0x0
	v_cmp_ne_u16_e32 vcc_lo, 0, v0
	v_cndmask_b32_e64 v0, 0, 1.0, vcc_lo
	s_branch .LBB70_106
.LBB70_105:
	s_mov_b32 s20, -1
                                        ; implicit-def: $vgpr0
.LBB70_106:
	s_branch .LBB70_10
.LBB70_107:
	s_and_b32 s0, 0xffff, s0
	s_delay_alu instid0(SALU_CYCLE_1)
	s_cmp_lt_i32 s0, 5
	s_cbranch_scc1 .LBB70_112
; %bb.108:
	s_cmp_lt_i32 s0, 8
	s_cbranch_scc1 .LBB70_113
; %bb.109:
	;; [unrolled: 3-line block ×3, first 2 shown]
	s_cmp_gt_i32 s0, 9
	s_cbranch_scc0 .LBB70_115
; %bb.111:
	global_load_b64 v[0:1], v[2:3], off
	s_mov_b32 s17, 0
	s_wait_loadcnt 0x0
	v_cvt_f32_f64_e32 v0, v[0:1]
	s_branch .LBB70_116
.LBB70_112:
                                        ; implicit-def: $vgpr0
	s_branch .LBB70_134
.LBB70_113:
	s_mov_b32 s17, -1
                                        ; implicit-def: $vgpr0
	s_branch .LBB70_122
.LBB70_114:
	s_mov_b32 s17, -1
                                        ; implicit-def: $vgpr0
	s_branch .LBB70_119
.LBB70_115:
	s_mov_b32 s17, -1
                                        ; implicit-def: $vgpr0
.LBB70_116:
	s_delay_alu instid0(SALU_CYCLE_1)
	s_and_not1_b32 vcc_lo, exec_lo, s17
	s_cbranch_vccnz .LBB70_118
; %bb.117:
	global_load_b32 v0, v[2:3], off
.LBB70_118:
	s_mov_b32 s17, 0
.LBB70_119:
	s_delay_alu instid0(SALU_CYCLE_1)
	s_and_not1_b32 vcc_lo, exec_lo, s17
	s_cbranch_vccnz .LBB70_121
; %bb.120:
	s_wait_loadcnt 0x0
	global_load_b32 v0, v[2:3], off
	s_wait_loadcnt 0x0
	v_cvt_f32_f16_e32 v0, v0
.LBB70_121:
	s_mov_b32 s17, 0
.LBB70_122:
	s_delay_alu instid0(SALU_CYCLE_1)
	s_and_not1_b32 vcc_lo, exec_lo, s17
	s_cbranch_vccnz .LBB70_133
; %bb.123:
	s_cmp_lt_i32 s0, 6
	s_cbranch_scc1 .LBB70_126
; %bb.124:
	s_cmp_gt_i32 s0, 6
	s_cbranch_scc0 .LBB70_127
; %bb.125:
	s_wait_loadcnt 0x0
	global_load_b64 v[0:1], v[2:3], off
	s_mov_b32 s17, 0
	s_wait_loadcnt 0x0
	v_cvt_f32_f64_e32 v0, v[0:1]
	s_branch .LBB70_128
.LBB70_126:
	s_mov_b32 s17, -1
                                        ; implicit-def: $vgpr0
	s_branch .LBB70_131
.LBB70_127:
	s_mov_b32 s17, -1
                                        ; implicit-def: $vgpr0
.LBB70_128:
	s_delay_alu instid0(SALU_CYCLE_1)
	s_and_not1_b32 vcc_lo, exec_lo, s17
	s_cbranch_vccnz .LBB70_130
; %bb.129:
	s_wait_loadcnt 0x0
	global_load_b32 v0, v[2:3], off
.LBB70_130:
	s_mov_b32 s17, 0
.LBB70_131:
	s_delay_alu instid0(SALU_CYCLE_1)
	s_and_not1_b32 vcc_lo, exec_lo, s17
	s_cbranch_vccnz .LBB70_133
; %bb.132:
	s_wait_loadcnt 0x0
	global_load_u16 v0, v[2:3], off
	s_wait_loadcnt 0x0
	v_cvt_f32_f16_e32 v0, v0
.LBB70_133:
	s_cbranch_execnz .LBB70_153
.LBB70_134:
	s_cmp_lt_i32 s0, 2
	s_cbranch_scc1 .LBB70_138
; %bb.135:
	s_cmp_lt_i32 s0, 3
	s_cbranch_scc1 .LBB70_139
; %bb.136:
	s_cmp_gt_i32 s0, 3
	s_cbranch_scc0 .LBB70_140
; %bb.137:
	s_wait_loadcnt 0x0
	global_load_b64 v[0:1], v[2:3], off
	s_mov_b32 s17, 0
	s_wait_loadcnt 0x0
	v_xor_b32_e32 v4, v0, v1
	v_cls_i32_e32 v5, v1
	s_delay_alu instid0(VALU_DEP_2) | instskip(NEXT) | instid1(VALU_DEP_1)
	v_ashrrev_i32_e32 v4, 31, v4
	v_add_nc_u32_e32 v4, 32, v4
	s_delay_alu instid0(VALU_DEP_1) | instskip(NEXT) | instid1(VALU_DEP_1)
	v_add_min_u32_e64 v4, v5, -1, v4
	v_lshlrev_b64_e32 v[0:1], v4, v[0:1]
	s_delay_alu instid0(VALU_DEP_1) | instskip(NEXT) | instid1(VALU_DEP_1)
	v_min_u32_e32 v0, 1, v0
	v_or_b32_e32 v0, v1, v0
	v_sub_nc_u32_e32 v1, 32, v4
	s_delay_alu instid0(VALU_DEP_2) | instskip(NEXT) | instid1(VALU_DEP_1)
	v_cvt_f32_i32_e32 v0, v0
	v_ldexp_f32 v0, v0, v1
	s_branch .LBB70_141
.LBB70_138:
	s_mov_b32 s17, -1
                                        ; implicit-def: $vgpr0
	s_branch .LBB70_147
.LBB70_139:
	s_mov_b32 s17, -1
                                        ; implicit-def: $vgpr0
	s_branch .LBB70_144
.LBB70_140:
	s_mov_b32 s17, -1
                                        ; implicit-def: $vgpr0
.LBB70_141:
	s_delay_alu instid0(SALU_CYCLE_1)
	s_and_not1_b32 vcc_lo, exec_lo, s17
	s_cbranch_vccnz .LBB70_143
; %bb.142:
	s_wait_loadcnt 0x0
	global_load_b32 v0, v[2:3], off
	s_wait_loadcnt 0x0
	v_cvt_f32_i32_e32 v0, v0
.LBB70_143:
	s_mov_b32 s17, 0
.LBB70_144:
	s_delay_alu instid0(SALU_CYCLE_1)
	s_and_not1_b32 vcc_lo, exec_lo, s17
	s_cbranch_vccnz .LBB70_146
; %bb.145:
	s_wait_loadcnt 0x0
	global_load_i16 v0, v[2:3], off
	s_wait_loadcnt 0x0
	v_cvt_f32_i32_e32 v0, v0
.LBB70_146:
	s_mov_b32 s17, 0
.LBB70_147:
	s_delay_alu instid0(SALU_CYCLE_1)
	s_and_not1_b32 vcc_lo, exec_lo, s17
	s_cbranch_vccnz .LBB70_153
; %bb.148:
	s_cmp_gt_i32 s0, 0
	s_mov_b32 s0, 0
	s_cbranch_scc0 .LBB70_150
; %bb.149:
	s_wait_loadcnt 0x0
	global_load_i8 v0, v[2:3], off
	s_wait_loadcnt 0x0
	v_cvt_f32_i32_e32 v0, v0
	s_branch .LBB70_151
.LBB70_150:
	s_mov_b32 s0, -1
                                        ; implicit-def: $vgpr0
.LBB70_151:
	s_delay_alu instid0(SALU_CYCLE_1)
	s_and_not1_b32 vcc_lo, exec_lo, s0
	s_cbranch_vccnz .LBB70_153
; %bb.152:
	s_wait_loadcnt 0x0
	global_load_u8 v0, v[2:3], off
	s_wait_loadcnt 0x0
	v_cvt_f32_ubyte0_e32 v0, v0
.LBB70_153:
	s_branch .LBB70_11
.LBB70_154:
	s_mov_b32 s0, 0
	s_mov_b32 s19, 0
	s_branch .LBB70_382
.LBB70_155:
	s_mov_b32 s19, -1
.LBB70_156:
	s_mov_b32 s23, 0
                                        ; implicit-def: $vgpr1
.LBB70_157:
	s_and_b32 vcc_lo, exec_lo, s24
	s_cbranch_vccz .LBB70_272
; %bb.158:
	s_cmp_eq_u32 s17, 44
	s_cbranch_scc0 .LBB70_271
; %bb.159:
	global_load_u8 v1, v[2:3], off
	s_mov_b32 s19, 0
	s_mov_b32 s23, -1
	s_wait_loadcnt 0x0
	v_lshlrev_b32_e32 v4, 23, v1
	v_cmp_ne_u32_e32 vcc_lo, 0xff, v1
	s_delay_alu instid0(VALU_DEP_2) | instskip(SKIP_1) | instid1(VALU_DEP_2)
	v_cndmask_b32_e32 v4, 0x7f800001, v4, vcc_lo
	v_cmp_ne_u32_e32 vcc_lo, 0, v1
	v_cndmask_b32_e32 v1, 0x400000, v4, vcc_lo
	s_branch .LBB70_272
.LBB70_160:
	s_mov_b32 s25, -1
	s_mov_b32 s0, 0
	s_mov_b32 s24, 0
.LBB70_161:
	s_and_b32 vcc_lo, exec_lo, s25
	s_cbranch_vccz .LBB70_166
; %bb.162:
	s_cmp_eq_u32 s23, 44
	s_mov_b32 s0, -1
	s_cbranch_scc0 .LBB70_166
; %bb.163:
	v_bfe_u32 v4, v0, 23, 8
	s_wait_xcnt 0x0
	v_mov_b32_e32 v1, 0xff
	s_mov_b32 s24, exec_lo
	s_delay_alu instid0(VALU_DEP_2)
	v_cmpx_ne_u32_e32 0xff, v4
	s_cbranch_execz .LBB70_165
; %bb.164:
	v_and_b32_e32 v1, 0x400000, v0
	v_and_or_b32 v4, 0x3fffff, v0, v4
	s_delay_alu instid0(VALU_DEP_2) | instskip(NEXT) | instid1(VALU_DEP_2)
	v_cmp_ne_u32_e32 vcc_lo, 0, v1
	v_cmp_ne_u32_e64 s0, 0, v4
	v_lshrrev_b32_e32 v1, 23, v0
	s_and_b32 s0, vcc_lo, s0
	s_delay_alu instid0(SALU_CYCLE_1) | instskip(NEXT) | instid1(VALU_DEP_1)
	v_cndmask_b32_e64 v4, 0, 1, s0
	v_add_nc_u32_e32 v1, v1, v4
.LBB70_165:
	s_or_b32 exec_lo, exec_lo, s24
	s_mov_b32 s24, -1
	s_mov_b32 s0, 0
	global_store_b8 v[2:3], v1, off
.LBB70_166:
	s_mov_b32 s25, 0
.LBB70_167:
	s_delay_alu instid0(SALU_CYCLE_1)
	s_and_b32 vcc_lo, exec_lo, s25
	s_cbranch_vccz .LBB70_170
; %bb.168:
	s_cmp_eq_u32 s23, 29
	s_mov_b32 s0, -1
	s_cbranch_scc0 .LBB70_170
; %bb.169:
	s_wait_xcnt 0x0
	v_trunc_f32_e32 v1, v0
	s_mov_b32 s24, -1
	s_mov_b32 s0, 0
	s_mov_b32 s25, 0
	s_delay_alu instid0(VALU_DEP_1) | instskip(NEXT) | instid1(VALU_DEP_1)
	v_mul_f32_e32 v4, 0x2f800000, v1
	v_floor_f32_e32 v4, v4
	s_delay_alu instid0(VALU_DEP_1) | instskip(SKIP_1) | instid1(VALU_DEP_2)
	v_fmamk_f32 v1, v4, 0xcf800000, v1
	v_cvt_u32_f32_e32 v5, v4
	v_cvt_u32_f32_e32 v4, v1
	global_store_b64 v[2:3], v[4:5], off
	s_branch .LBB70_171
.LBB70_170:
	s_mov_b32 s25, 0
.LBB70_171:
	s_delay_alu instid0(SALU_CYCLE_1)
	s_and_b32 vcc_lo, exec_lo, s25
	s_cbranch_vccz .LBB70_187
; %bb.172:
	s_cmp_lt_i32 s23, 27
	s_mov_b32 s24, -1
	s_cbranch_scc1 .LBB70_178
; %bb.173:
	s_wait_xcnt 0x0
	v_cvt_u32_f32_e32 v1, v0
	s_cmp_gt_i32 s23, 27
	s_cbranch_scc0 .LBB70_175
; %bb.174:
	s_mov_b32 s24, 0
	global_store_b32 v[2:3], v1, off
.LBB70_175:
	s_and_not1_b32 vcc_lo, exec_lo, s24
	s_cbranch_vccnz .LBB70_177
; %bb.176:
	global_store_b16 v[2:3], v1, off
.LBB70_177:
	s_mov_b32 s24, 0
.LBB70_178:
	s_delay_alu instid0(SALU_CYCLE_1)
	s_and_not1_b32 vcc_lo, exec_lo, s24
	s_cbranch_vccnz .LBB70_186
; %bb.179:
	s_wait_xcnt 0x0
	v_and_b32_e32 v1, 0x7fffffff, v0
	v_mov_b32_e32 v4, 0x80
	s_mov_b32 s24, exec_lo
	s_delay_alu instid0(VALU_DEP_2)
	v_cmpx_gt_u32_e32 0x43800000, v1
	s_cbranch_execz .LBB70_185
; %bb.180:
	v_cmp_lt_u32_e32 vcc_lo, 0x3bffffff, v1
	s_mov_b32 s25, 0
                                        ; implicit-def: $vgpr1
	s_and_saveexec_b32 s26, vcc_lo
	s_delay_alu instid0(SALU_CYCLE_1)
	s_xor_b32 s26, exec_lo, s26
	s_cbranch_execz .LBB70_413
; %bb.181:
	v_bfe_u32 v1, v0, 20, 1
	s_mov_b32 s25, exec_lo
	s_delay_alu instid0(VALU_DEP_1) | instskip(NEXT) | instid1(VALU_DEP_1)
	v_add3_u32 v1, v0, v1, 0x487ffff
	v_lshrrev_b32_e32 v1, 20, v1
	s_and_not1_saveexec_b32 s26, s26
	s_cbranch_execnz .LBB70_414
.LBB70_182:
	s_or_b32 exec_lo, exec_lo, s26
	v_mov_b32_e32 v4, 0
	s_and_saveexec_b32 s26, s25
.LBB70_183:
	v_lshrrev_b32_e32 v4, 24, v0
	s_delay_alu instid0(VALU_DEP_1)
	v_and_or_b32 v4, 0x80, v4, v1
.LBB70_184:
	s_or_b32 exec_lo, exec_lo, s26
.LBB70_185:
	s_delay_alu instid0(SALU_CYCLE_1)
	s_or_b32 exec_lo, exec_lo, s24
	global_store_b8 v[2:3], v4, off
.LBB70_186:
	s_mov_b32 s24, -1
.LBB70_187:
	s_mov_b32 s25, 0
.LBB70_188:
	s_delay_alu instid0(SALU_CYCLE_1)
	s_and_b32 vcc_lo, exec_lo, s25
	s_cbranch_vccz .LBB70_229
; %bb.189:
	s_cmp_gt_i32 s23, 22
	s_mov_b32 s25, -1
	s_cbranch_scc0 .LBB70_221
; %bb.190:
	s_cmp_lt_i32 s23, 24
	s_mov_b32 s24, -1
	s_cbranch_scc1 .LBB70_210
; %bb.191:
	s_cmp_gt_i32 s23, 24
	s_cbranch_scc0 .LBB70_199
; %bb.192:
	s_wait_xcnt 0x0
	v_and_b32_e32 v1, 0x7fffffff, v0
	v_mov_b32_e32 v4, 0x80
	s_mov_b32 s24, exec_lo
	s_delay_alu instid0(VALU_DEP_2)
	v_cmpx_gt_u32_e32 0x47800000, v1
	s_cbranch_execz .LBB70_198
; %bb.193:
	v_cmp_lt_u32_e32 vcc_lo, 0x37ffffff, v1
	s_mov_b32 s25, 0
                                        ; implicit-def: $vgpr1
	s_and_saveexec_b32 s26, vcc_lo
	s_delay_alu instid0(SALU_CYCLE_1)
	s_xor_b32 s26, exec_lo, s26
	s_cbranch_execz .LBB70_532
; %bb.194:
	v_bfe_u32 v1, v0, 21, 1
	s_mov_b32 s25, exec_lo
	s_delay_alu instid0(VALU_DEP_1) | instskip(NEXT) | instid1(VALU_DEP_1)
	v_add3_u32 v1, v0, v1, 0x88fffff
	v_lshrrev_b32_e32 v1, 21, v1
	s_and_not1_saveexec_b32 s26, s26
	s_cbranch_execnz .LBB70_533
.LBB70_195:
	s_or_b32 exec_lo, exec_lo, s26
	v_mov_b32_e32 v4, 0
	s_and_saveexec_b32 s26, s25
.LBB70_196:
	v_lshrrev_b32_e32 v4, 24, v0
	s_delay_alu instid0(VALU_DEP_1)
	v_and_or_b32 v4, 0x80, v4, v1
.LBB70_197:
	s_or_b32 exec_lo, exec_lo, s26
.LBB70_198:
	s_delay_alu instid0(SALU_CYCLE_1)
	s_or_b32 exec_lo, exec_lo, s24
	s_mov_b32 s24, 0
	global_store_b8 v[2:3], v4, off
.LBB70_199:
	s_and_b32 vcc_lo, exec_lo, s24
	s_cbranch_vccz .LBB70_209
; %bb.200:
	s_wait_xcnt 0x0
	v_and_b32_e32 v4, 0x7fffffff, v0
	s_mov_b32 s24, exec_lo
                                        ; implicit-def: $vgpr1
	s_delay_alu instid0(VALU_DEP_1)
	v_cmpx_gt_u32_e32 0x43f00000, v4
	s_xor_b32 s24, exec_lo, s24
	s_cbranch_execz .LBB70_206
; %bb.201:
	s_mov_b32 s25, exec_lo
                                        ; implicit-def: $vgpr1
	v_cmpx_lt_u32_e32 0x3c7fffff, v4
	s_xor_b32 s25, exec_lo, s25
; %bb.202:
	v_bfe_u32 v1, v0, 20, 1
	s_delay_alu instid0(VALU_DEP_1) | instskip(NEXT) | instid1(VALU_DEP_1)
	v_add3_u32 v1, v0, v1, 0x407ffff
	v_and_b32_e32 v4, 0xff00000, v1
	v_lshrrev_b32_e32 v1, 20, v1
	s_delay_alu instid0(VALU_DEP_2) | instskip(NEXT) | instid1(VALU_DEP_2)
	v_cmp_ne_u32_e32 vcc_lo, 0x7f00000, v4
	v_cndmask_b32_e32 v1, 0x7e, v1, vcc_lo
; %bb.203:
	s_and_not1_saveexec_b32 s25, s25
; %bb.204:
	v_add_f32_e64 v1, 0x46800000, |v0|
; %bb.205:
	s_or_b32 exec_lo, exec_lo, s25
                                        ; implicit-def: $vgpr4
.LBB70_206:
	s_and_not1_saveexec_b32 s24, s24
; %bb.207:
	v_mov_b32_e32 v1, 0x7f
	v_cmp_lt_u32_e32 vcc_lo, 0x7f800000, v4
	s_delay_alu instid0(VALU_DEP_2)
	v_cndmask_b32_e32 v1, 0x7e, v1, vcc_lo
; %bb.208:
	s_or_b32 exec_lo, exec_lo, s24
	v_lshrrev_b32_e32 v4, 24, v0
	s_delay_alu instid0(VALU_DEP_1)
	v_and_or_b32 v1, 0x80, v4, v1
	global_store_b8 v[2:3], v1, off
.LBB70_209:
	s_mov_b32 s24, 0
.LBB70_210:
	s_delay_alu instid0(SALU_CYCLE_1)
	s_and_not1_b32 vcc_lo, exec_lo, s24
	s_cbranch_vccnz .LBB70_220
; %bb.211:
	s_wait_xcnt 0x0
	v_and_b32_e32 v4, 0x7fffffff, v0
	s_mov_b32 s24, exec_lo
                                        ; implicit-def: $vgpr1
	s_delay_alu instid0(VALU_DEP_1)
	v_cmpx_gt_u32_e32 0x47800000, v4
	s_xor_b32 s24, exec_lo, s24
	s_cbranch_execz .LBB70_217
; %bb.212:
	s_mov_b32 s25, exec_lo
                                        ; implicit-def: $vgpr1
	v_cmpx_lt_u32_e32 0x387fffff, v4
	s_xor_b32 s25, exec_lo, s25
; %bb.213:
	v_bfe_u32 v1, v0, 21, 1
	s_delay_alu instid0(VALU_DEP_1) | instskip(NEXT) | instid1(VALU_DEP_1)
	v_add3_u32 v1, v0, v1, 0x80fffff
	v_lshrrev_b32_e32 v1, 21, v1
; %bb.214:
	s_and_not1_saveexec_b32 s25, s25
; %bb.215:
	v_add_f32_e64 v1, 0x43000000, |v0|
; %bb.216:
	s_or_b32 exec_lo, exec_lo, s25
                                        ; implicit-def: $vgpr4
.LBB70_217:
	s_and_not1_saveexec_b32 s24, s24
; %bb.218:
	v_mov_b32_e32 v1, 0x7f
	v_cmp_lt_u32_e32 vcc_lo, 0x7f800000, v4
	s_delay_alu instid0(VALU_DEP_2)
	v_cndmask_b32_e32 v1, 0x7c, v1, vcc_lo
; %bb.219:
	s_or_b32 exec_lo, exec_lo, s24
	v_lshrrev_b32_e32 v4, 24, v0
	s_delay_alu instid0(VALU_DEP_1)
	v_and_or_b32 v1, 0x80, v4, v1
	global_store_b8 v[2:3], v1, off
.LBB70_220:
	s_mov_b32 s25, 0
	s_mov_b32 s24, -1
.LBB70_221:
	s_and_not1_b32 vcc_lo, exec_lo, s25
	s_cbranch_vccnz .LBB70_229
; %bb.222:
	s_cmp_gt_i32 s23, 14
	s_mov_b32 s25, -1
	s_cbranch_scc0 .LBB70_226
; %bb.223:
	s_cmp_eq_u32 s23, 15
	s_mov_b32 s0, -1
	s_cbranch_scc0 .LBB70_225
; %bb.224:
	s_wait_xcnt 0x0
	v_bfe_u32 v1, v0, 16, 1
	v_cmp_o_f32_e32 vcc_lo, v0, v0
	s_mov_b32 s24, -1
	s_mov_b32 s0, 0
	s_delay_alu instid0(VALU_DEP_2) | instskip(NEXT) | instid1(VALU_DEP_1)
	v_add3_u32 v1, v0, v1, 0x7fff
	v_lshrrev_b32_e32 v1, 16, v1
	s_delay_alu instid0(VALU_DEP_1)
	v_cndmask_b32_e32 v1, 0x7fc0, v1, vcc_lo
	global_store_b16 v[2:3], v1, off
.LBB70_225:
	s_mov_b32 s25, 0
.LBB70_226:
	s_delay_alu instid0(SALU_CYCLE_1)
	s_and_b32 vcc_lo, exec_lo, s25
	s_cbranch_vccz .LBB70_229
; %bb.227:
	s_cmp_eq_u32 s23, 11
	s_mov_b32 s0, -1
	s_cbranch_scc0 .LBB70_229
; %bb.228:
	v_cmp_neq_f32_e32 vcc_lo, 0, v0
	s_mov_b32 s0, 0
	s_mov_b32 s24, -1
	s_wait_xcnt 0x0
	v_cndmask_b32_e64 v1, 0, 1, vcc_lo
	global_store_b8 v[2:3], v1, off
.LBB70_229:
	s_mov_b32 s23, 0
.LBB70_230:
	s_delay_alu instid0(SALU_CYCLE_1)
	s_and_b32 vcc_lo, exec_lo, s23
	s_cbranch_vccz .LBB70_269
; %bb.231:
	s_and_b32 s17, 0xffff, s17
	s_mov_b32 s23, -1
	s_cmp_lt_i32 s17, 5
	s_cbranch_scc1 .LBB70_252
; %bb.232:
	s_cmp_lt_i32 s17, 8
	s_cbranch_scc1 .LBB70_242
; %bb.233:
	;; [unrolled: 3-line block ×3, first 2 shown]
	s_cmp_gt_i32 s17, 9
	s_cbranch_scc0 .LBB70_236
; %bb.235:
	s_wait_xcnt 0x0
	v_cvt_f64_f32_e32 v[4:5], v0
	v_mov_b32_e32 v6, 0
	s_mov_b32 s23, 0
	s_delay_alu instid0(VALU_DEP_1)
	v_mov_b32_e32 v7, v6
	global_store_b128 v[2:3], v[4:7], off
.LBB70_236:
	s_and_not1_b32 vcc_lo, exec_lo, s23
	s_cbranch_vccnz .LBB70_238
; %bb.237:
	s_wait_xcnt 0x0
	v_mov_b32_e32 v1, 0
	global_store_b64 v[2:3], v[0:1], off
.LBB70_238:
	s_mov_b32 s23, 0
.LBB70_239:
	s_delay_alu instid0(SALU_CYCLE_1)
	s_and_not1_b32 vcc_lo, exec_lo, s23
	s_cbranch_vccnz .LBB70_241
; %bb.240:
	s_wait_xcnt 0x0
	v_cvt_f16_f32_e32 v1, v0
	s_delay_alu instid0(VALU_DEP_1)
	v_and_b32_e32 v1, 0xffff, v1
	global_store_b32 v[2:3], v1, off
.LBB70_241:
	s_mov_b32 s23, 0
.LBB70_242:
	s_delay_alu instid0(SALU_CYCLE_1)
	s_and_not1_b32 vcc_lo, exec_lo, s23
	s_cbranch_vccnz .LBB70_251
; %bb.243:
	s_cmp_lt_i32 s17, 6
	s_mov_b32 s23, -1
	s_cbranch_scc1 .LBB70_249
; %bb.244:
	s_cmp_gt_i32 s17, 6
	s_cbranch_scc0 .LBB70_246
; %bb.245:
	s_wait_xcnt 0x0
	v_cvt_f64_f32_e32 v[4:5], v0
	s_mov_b32 s23, 0
	global_store_b64 v[2:3], v[4:5], off
.LBB70_246:
	s_and_not1_b32 vcc_lo, exec_lo, s23
	s_cbranch_vccnz .LBB70_248
; %bb.247:
	global_store_b32 v[2:3], v0, off
.LBB70_248:
	s_mov_b32 s23, 0
.LBB70_249:
	s_delay_alu instid0(SALU_CYCLE_1)
	s_and_not1_b32 vcc_lo, exec_lo, s23
	s_cbranch_vccnz .LBB70_251
; %bb.250:
	s_wait_xcnt 0x0
	v_cvt_f16_f32_e32 v1, v0
	global_store_b16 v[2:3], v1, off
.LBB70_251:
	s_mov_b32 s23, 0
.LBB70_252:
	s_delay_alu instid0(SALU_CYCLE_1)
	s_and_not1_b32 vcc_lo, exec_lo, s23
	s_cbranch_vccnz .LBB70_268
; %bb.253:
	s_cmp_lt_i32 s17, 2
	s_mov_b32 s23, -1
	s_cbranch_scc1 .LBB70_263
; %bb.254:
	s_cmp_lt_i32 s17, 3
	s_cbranch_scc1 .LBB70_260
; %bb.255:
	s_cmp_gt_i32 s17, 3
	s_cbranch_scc0 .LBB70_257
; %bb.256:
	s_wait_xcnt 0x0
	v_trunc_f32_e32 v1, v0
	s_mov_b32 s23, 0
	s_delay_alu instid0(VALU_DEP_1) | instskip(NEXT) | instid1(VALU_DEP_1)
	v_mul_f32_e64 v4, 0x2f800000, |v1|
	v_floor_f32_e32 v5, v4
	v_ashrrev_i32_e32 v4, 31, v1
	s_delay_alu instid0(VALU_DEP_2) | instskip(SKIP_1) | instid1(VALU_DEP_3)
	v_fma_f32 v6, 0xcf800000, v5, |v1|
	v_cvt_u32_f32_e32 v1, v5
	v_mov_b32_e32 v5, v4
	s_delay_alu instid0(VALU_DEP_3) | instskip(NEXT) | instid1(VALU_DEP_3)
	v_cvt_u32_f32_e32 v6, v6
	v_xor_b32_e32 v7, v1, v4
	s_delay_alu instid0(VALU_DEP_2) | instskip(NEXT) | instid1(VALU_DEP_1)
	v_xor_b32_e32 v6, v6, v4
	v_sub_nc_u64_e32 v[4:5], v[6:7], v[4:5]
	global_store_b64 v[2:3], v[4:5], off
.LBB70_257:
	s_and_not1_b32 vcc_lo, exec_lo, s23
	s_cbranch_vccnz .LBB70_259
; %bb.258:
	s_wait_xcnt 0x0
	v_cvt_i32_f32_e32 v1, v0
	global_store_b32 v[2:3], v1, off
.LBB70_259:
	s_mov_b32 s23, 0
.LBB70_260:
	s_delay_alu instid0(SALU_CYCLE_1)
	s_and_not1_b32 vcc_lo, exec_lo, s23
	s_cbranch_vccnz .LBB70_262
; %bb.261:
	s_wait_xcnt 0x0
	v_cvt_i32_f32_e32 v1, v0
	global_store_b16 v[2:3], v1, off
.LBB70_262:
	s_mov_b32 s23, 0
.LBB70_263:
	s_delay_alu instid0(SALU_CYCLE_1)
	s_and_not1_b32 vcc_lo, exec_lo, s23
	s_cbranch_vccnz .LBB70_268
; %bb.264:
	s_cmp_gt_i32 s17, 0
	s_mov_b32 s17, -1
	s_cbranch_scc0 .LBB70_266
; %bb.265:
	s_wait_xcnt 0x0
	v_cvt_i32_f32_e32 v1, v0
	s_mov_b32 s17, 0
	global_store_b8 v[2:3], v1, off
.LBB70_266:
	s_and_not1_b32 vcc_lo, exec_lo, s17
	s_cbranch_vccnz .LBB70_268
; %bb.267:
	s_wait_xcnt 0x0
	v_trunc_f32_e32 v0, v0
	s_delay_alu instid0(VALU_DEP_1) | instskip(NEXT) | instid1(VALU_DEP_1)
	v_mul_f32_e64 v1, 0x2f800000, |v0|
	v_floor_f32_e32 v1, v1
	s_delay_alu instid0(VALU_DEP_1) | instskip(SKIP_1) | instid1(VALU_DEP_2)
	v_fma_f32 v1, 0xcf800000, v1, |v0|
	v_ashrrev_i32_e32 v0, 31, v0
	v_cvt_u32_f32_e32 v1, v1
	s_delay_alu instid0(VALU_DEP_1) | instskip(NEXT) | instid1(VALU_DEP_1)
	v_xor_b32_e32 v1, v1, v0
	v_sub_nc_u32_e32 v0, v1, v0
	global_store_b8 v[2:3], v0, off
.LBB70_268:
	s_mov_b32 s24, -1
.LBB70_269:
	s_delay_alu instid0(SALU_CYCLE_1)
	s_and_not1_b32 vcc_lo, exec_lo, s24
	s_cbranch_vccnz .LBB70_382
; %bb.270:
	v_add_nc_u32_e32 v12, 0x80, v12
	s_mov_b32 s23, -1
	s_branch .LBB70_383
.LBB70_271:
	s_mov_b32 s19, -1
                                        ; implicit-def: $vgpr1
.LBB70_272:
	s_mov_b32 s24, 0
.LBB70_273:
	s_delay_alu instid0(SALU_CYCLE_1)
	s_and_b32 vcc_lo, exec_lo, s24
	s_cbranch_vccz .LBB70_277
; %bb.274:
	s_cmp_eq_u32 s17, 29
	s_cbranch_scc0 .LBB70_276
; %bb.275:
	global_load_b64 v[4:5], v[2:3], off
	s_mov_b32 s23, -1
	s_mov_b32 s19, 0
	s_mov_b32 s24, 0
	s_wait_loadcnt 0x0
	v_clz_i32_u32_e32 v1, v5
	s_delay_alu instid0(VALU_DEP_1) | instskip(NEXT) | instid1(VALU_DEP_1)
	v_min_u32_e32 v1, 32, v1
	v_lshlrev_b64_e32 v[4:5], v1, v[4:5]
	v_sub_nc_u32_e32 v1, 32, v1
	s_delay_alu instid0(VALU_DEP_2) | instskip(NEXT) | instid1(VALU_DEP_1)
	v_min_u32_e32 v4, 1, v4
	v_or_b32_e32 v4, v5, v4
	s_delay_alu instid0(VALU_DEP_1) | instskip(NEXT) | instid1(VALU_DEP_1)
	v_cvt_f32_u32_e32 v4, v4
	v_ldexp_f32 v1, v4, v1
	s_branch .LBB70_278
.LBB70_276:
	s_mov_b32 s19, -1
                                        ; implicit-def: $vgpr1
.LBB70_277:
	s_mov_b32 s24, 0
.LBB70_278:
	s_delay_alu instid0(SALU_CYCLE_1)
	s_and_b32 vcc_lo, exec_lo, s24
	s_cbranch_vccz .LBB70_296
; %bb.279:
	s_cmp_lt_i32 s17, 27
	s_cbranch_scc1 .LBB70_282
; %bb.280:
	s_cmp_gt_i32 s17, 27
	s_cbranch_scc0 .LBB70_283
; %bb.281:
	global_load_b32 v1, v[2:3], off
	s_mov_b32 s23, 0
	s_wait_loadcnt 0x0
	v_cvt_f32_u32_e32 v1, v1
	s_branch .LBB70_284
.LBB70_282:
	s_mov_b32 s23, -1
                                        ; implicit-def: $vgpr1
	s_branch .LBB70_287
.LBB70_283:
	s_mov_b32 s23, -1
                                        ; implicit-def: $vgpr1
.LBB70_284:
	s_delay_alu instid0(SALU_CYCLE_1)
	s_and_not1_b32 vcc_lo, exec_lo, s23
	s_cbranch_vccnz .LBB70_286
; %bb.285:
	global_load_u16 v1, v[2:3], off
	s_wait_loadcnt 0x0
	v_cvt_f32_u32_e32 v1, v1
.LBB70_286:
	s_mov_b32 s23, 0
.LBB70_287:
	s_delay_alu instid0(SALU_CYCLE_1)
	s_and_not1_b32 vcc_lo, exec_lo, s23
	s_cbranch_vccnz .LBB70_295
; %bb.288:
	global_load_u8 v4, v[2:3], off
	s_mov_b32 s23, 0
	s_mov_b32 s24, exec_lo
	s_wait_loadcnt 0x0
	v_cmpx_lt_i16_e32 0x7f, v4
	s_xor_b32 s24, exec_lo, s24
	s_cbranch_execz .LBB70_309
; %bb.289:
	s_mov_b32 s23, -1
	s_mov_b32 s25, exec_lo
	v_cmpx_eq_u16_e32 0x80, v4
; %bb.290:
	s_xor_b32 s23, exec_lo, -1
; %bb.291:
	s_or_b32 exec_lo, exec_lo, s25
	s_delay_alu instid0(SALU_CYCLE_1)
	s_and_b32 s23, s23, exec_lo
	s_or_saveexec_b32 s24, s24
	v_mov_b32_e32 v1, 0x7f800001
	s_xor_b32 exec_lo, exec_lo, s24
	s_cbranch_execnz .LBB70_310
.LBB70_292:
	s_or_b32 exec_lo, exec_lo, s24
	s_and_saveexec_b32 s24, s23
	s_cbranch_execz .LBB70_294
.LBB70_293:
	v_and_b32_e32 v1, 0xffff, v4
	s_delay_alu instid0(VALU_DEP_1) | instskip(SKIP_1) | instid1(VALU_DEP_2)
	v_and_b32_e32 v5, 7, v1
	v_bfe_u32 v8, v1, 3, 4
	v_clz_i32_u32_e32 v6, v5
	s_delay_alu instid0(VALU_DEP_2) | instskip(NEXT) | instid1(VALU_DEP_2)
	v_cmp_eq_u32_e32 vcc_lo, 0, v8
	v_min_u32_e32 v6, 32, v6
	s_delay_alu instid0(VALU_DEP_1) | instskip(NEXT) | instid1(VALU_DEP_1)
	v_subrev_nc_u32_e32 v7, 28, v6
	v_dual_lshlrev_b32 v1, v7, v1 :: v_dual_sub_nc_u32 v6, 29, v6
	s_delay_alu instid0(VALU_DEP_1) | instskip(NEXT) | instid1(VALU_DEP_1)
	v_dual_lshlrev_b32 v4, 24, v4 :: v_dual_bitop2_b32 v1, 7, v1 bitop3:0x40
	v_dual_cndmask_b32 v6, v8, v6 :: v_dual_cndmask_b32 v1, v5, v1
	s_delay_alu instid0(VALU_DEP_2) | instskip(NEXT) | instid1(VALU_DEP_2)
	v_and_b32_e32 v4, 0x80000000, v4
	v_lshl_add_u32 v5, v6, 23, 0x3b800000
	s_delay_alu instid0(VALU_DEP_3) | instskip(NEXT) | instid1(VALU_DEP_1)
	v_lshlrev_b32_e32 v1, 20, v1
	v_or3_b32 v1, v4, v5, v1
.LBB70_294:
	s_or_b32 exec_lo, exec_lo, s24
.LBB70_295:
	s_mov_b32 s23, -1
.LBB70_296:
	s_mov_b32 s24, 0
.LBB70_297:
	s_delay_alu instid0(SALU_CYCLE_1)
	s_and_b32 vcc_lo, exec_lo, s24
	s_cbranch_vccz .LBB70_332
; %bb.298:
	s_cmp_gt_i32 s17, 22
	s_cbranch_scc0 .LBB70_308
; %bb.299:
	s_cmp_lt_i32 s17, 24
	s_cbranch_scc1 .LBB70_311
; %bb.300:
	s_cmp_gt_i32 s17, 24
	s_cbranch_scc0 .LBB70_312
; %bb.301:
	global_load_u8 v4, v[2:3], off
	s_mov_b32 s23, 0
	s_mov_b32 s24, exec_lo
	s_wait_loadcnt 0x0
	v_cmpx_lt_i16_e32 0x7f, v4
	s_xor_b32 s24, exec_lo, s24
	s_cbranch_execz .LBB70_324
; %bb.302:
	s_mov_b32 s23, -1
	s_mov_b32 s25, exec_lo
	v_cmpx_eq_u16_e32 0x80, v4
; %bb.303:
	s_xor_b32 s23, exec_lo, -1
; %bb.304:
	s_or_b32 exec_lo, exec_lo, s25
	s_delay_alu instid0(SALU_CYCLE_1)
	s_and_b32 s23, s23, exec_lo
	s_or_saveexec_b32 s24, s24
	v_mov_b32_e32 v1, 0x7f800001
	s_xor_b32 exec_lo, exec_lo, s24
	s_cbranch_execnz .LBB70_325
.LBB70_305:
	s_or_b32 exec_lo, exec_lo, s24
	s_and_saveexec_b32 s24, s23
	s_cbranch_execz .LBB70_307
.LBB70_306:
	v_and_b32_e32 v1, 0xffff, v4
	s_delay_alu instid0(VALU_DEP_1) | instskip(SKIP_1) | instid1(VALU_DEP_2)
	v_and_b32_e32 v5, 3, v1
	v_bfe_u32 v8, v1, 2, 5
	v_clz_i32_u32_e32 v6, v5
	s_delay_alu instid0(VALU_DEP_2) | instskip(NEXT) | instid1(VALU_DEP_2)
	v_cmp_eq_u32_e32 vcc_lo, 0, v8
	v_min_u32_e32 v6, 32, v6
	s_delay_alu instid0(VALU_DEP_1) | instskip(NEXT) | instid1(VALU_DEP_1)
	v_subrev_nc_u32_e32 v7, 29, v6
	v_dual_lshlrev_b32 v1, v7, v1 :: v_dual_sub_nc_u32 v6, 30, v6
	s_delay_alu instid0(VALU_DEP_1) | instskip(NEXT) | instid1(VALU_DEP_1)
	v_dual_lshlrev_b32 v4, 24, v4 :: v_dual_bitop2_b32 v1, 3, v1 bitop3:0x40
	v_dual_cndmask_b32 v6, v8, v6 :: v_dual_cndmask_b32 v1, v5, v1
	s_delay_alu instid0(VALU_DEP_2) | instskip(NEXT) | instid1(VALU_DEP_2)
	v_and_b32_e32 v4, 0x80000000, v4
	v_lshl_add_u32 v5, v6, 23, 0x37800000
	s_delay_alu instid0(VALU_DEP_3) | instskip(NEXT) | instid1(VALU_DEP_1)
	v_lshlrev_b32_e32 v1, 21, v1
	v_or3_b32 v1, v4, v5, v1
.LBB70_307:
	s_or_b32 exec_lo, exec_lo, s24
	s_mov_b32 s23, 0
	s_branch .LBB70_313
.LBB70_308:
	s_mov_b32 s24, -1
                                        ; implicit-def: $vgpr1
	s_branch .LBB70_319
.LBB70_309:
	s_or_saveexec_b32 s24, s24
	v_mov_b32_e32 v1, 0x7f800001
	s_xor_b32 exec_lo, exec_lo, s24
	s_cbranch_execz .LBB70_292
.LBB70_310:
	v_cmp_ne_u16_e32 vcc_lo, 0, v4
	v_mov_b32_e32 v1, 0
	s_and_not1_b32 s23, s23, exec_lo
	s_and_b32 s25, vcc_lo, exec_lo
	s_delay_alu instid0(SALU_CYCLE_1)
	s_or_b32 s23, s23, s25
	s_or_b32 exec_lo, exec_lo, s24
	s_and_saveexec_b32 s24, s23
	s_cbranch_execnz .LBB70_293
	s_branch .LBB70_294
.LBB70_311:
	s_mov_b32 s23, -1
                                        ; implicit-def: $vgpr1
	s_branch .LBB70_316
.LBB70_312:
	s_mov_b32 s23, -1
                                        ; implicit-def: $vgpr1
.LBB70_313:
	s_delay_alu instid0(SALU_CYCLE_1)
	s_and_b32 vcc_lo, exec_lo, s23
	s_cbranch_vccz .LBB70_315
; %bb.314:
	global_load_u8 v1, v[2:3], off
	s_wait_loadcnt 0x0
	v_lshlrev_b32_e32 v1, 24, v1
	s_delay_alu instid0(VALU_DEP_1) | instskip(NEXT) | instid1(VALU_DEP_1)
	v_and_b32_e32 v4, 0x7f000000, v1
	v_clz_i32_u32_e32 v5, v4
	v_cmp_ne_u32_e32 vcc_lo, 0, v4
	v_add_nc_u32_e32 v7, 0x1000000, v4
	s_delay_alu instid0(VALU_DEP_3) | instskip(NEXT) | instid1(VALU_DEP_1)
	v_min_u32_e32 v5, 32, v5
	v_sub_nc_u32_e64 v5, v5, 4 clamp
	s_delay_alu instid0(VALU_DEP_1) | instskip(NEXT) | instid1(VALU_DEP_1)
	v_dual_lshlrev_b32 v6, v5, v4 :: v_dual_lshlrev_b32 v5, 23, v5
	v_lshrrev_b32_e32 v6, 4, v6
	s_delay_alu instid0(VALU_DEP_1) | instskip(NEXT) | instid1(VALU_DEP_1)
	v_dual_sub_nc_u32 v5, v6, v5 :: v_dual_ashrrev_i32 v6, 8, v7
	v_add_nc_u32_e32 v5, 0x3c000000, v5
	s_delay_alu instid0(VALU_DEP_1) | instskip(NEXT) | instid1(VALU_DEP_1)
	v_and_or_b32 v5, 0x7f800000, v6, v5
	v_cndmask_b32_e32 v4, 0, v5, vcc_lo
	s_delay_alu instid0(VALU_DEP_1)
	v_and_or_b32 v1, 0x80000000, v1, v4
.LBB70_315:
	s_mov_b32 s23, 0
.LBB70_316:
	s_delay_alu instid0(SALU_CYCLE_1)
	s_and_not1_b32 vcc_lo, exec_lo, s23
	s_cbranch_vccnz .LBB70_318
; %bb.317:
	global_load_u8 v1, v[2:3], off
	s_wait_loadcnt 0x0
	v_lshlrev_b32_e32 v4, 25, v1
	v_lshlrev_b16 v1, 8, v1
	s_delay_alu instid0(VALU_DEP_1) | instskip(SKIP_1) | instid1(VALU_DEP_2)
	v_and_or_b32 v6, 0x7f00, v1, 0.5
	v_bfe_i32 v1, v1, 0, 16
	v_dual_add_f32 v6, -0.5, v6 :: v_dual_lshrrev_b32 v5, 4, v4
	v_cmp_gt_u32_e32 vcc_lo, 0x8000000, v4
	s_delay_alu instid0(VALU_DEP_2) | instskip(NEXT) | instid1(VALU_DEP_1)
	v_or_b32_e32 v5, 0x70000000, v5
	v_mul_f32_e32 v5, 0x7800000, v5
	s_delay_alu instid0(VALU_DEP_1) | instskip(NEXT) | instid1(VALU_DEP_1)
	v_cndmask_b32_e32 v4, v5, v6, vcc_lo
	v_and_or_b32 v1, 0x80000000, v1, v4
.LBB70_318:
	s_mov_b32 s24, 0
	s_mov_b32 s23, -1
.LBB70_319:
	s_and_not1_b32 vcc_lo, exec_lo, s24
	s_cbranch_vccnz .LBB70_332
; %bb.320:
	s_cmp_gt_i32 s17, 14
	s_cbranch_scc0 .LBB70_323
; %bb.321:
	s_cmp_eq_u32 s17, 15
	s_cbranch_scc0 .LBB70_326
; %bb.322:
	global_load_u16 v1, v[2:3], off
	s_mov_b32 s23, -1
	s_mov_b32 s19, 0
	s_wait_loadcnt 0x0
	v_lshlrev_b32_e32 v1, 16, v1
	s_branch .LBB70_327
.LBB70_323:
	s_mov_b32 s24, -1
                                        ; implicit-def: $vgpr1
	s_branch .LBB70_328
.LBB70_324:
	s_or_saveexec_b32 s24, s24
	v_mov_b32_e32 v1, 0x7f800001
	s_xor_b32 exec_lo, exec_lo, s24
	s_cbranch_execz .LBB70_305
.LBB70_325:
	v_cmp_ne_u16_e32 vcc_lo, 0, v4
	v_mov_b32_e32 v1, 0
	s_and_not1_b32 s23, s23, exec_lo
	s_and_b32 s25, vcc_lo, exec_lo
	s_delay_alu instid0(SALU_CYCLE_1)
	s_or_b32 s23, s23, s25
	s_or_b32 exec_lo, exec_lo, s24
	s_and_saveexec_b32 s24, s23
	s_cbranch_execnz .LBB70_306
	s_branch .LBB70_307
.LBB70_326:
	s_mov_b32 s19, -1
                                        ; implicit-def: $vgpr1
.LBB70_327:
	s_mov_b32 s24, 0
.LBB70_328:
	s_delay_alu instid0(SALU_CYCLE_1)
	s_and_b32 vcc_lo, exec_lo, s24
	s_cbranch_vccz .LBB70_332
; %bb.329:
	s_cmp_eq_u32 s17, 11
	s_cbranch_scc0 .LBB70_331
; %bb.330:
	global_load_u8 v1, v[2:3], off
	s_mov_b32 s19, 0
	s_mov_b32 s23, -1
	s_wait_loadcnt 0x0
	v_cmp_ne_u16_e32 vcc_lo, 0, v1
	v_cndmask_b32_e64 v1, 0, 1.0, vcc_lo
	s_branch .LBB70_332
.LBB70_331:
	s_mov_b32 s19, -1
                                        ; implicit-def: $vgpr1
.LBB70_332:
	s_branch .LBB70_20
.LBB70_333:
	s_and_b32 s0, 0xffff, s0
	s_delay_alu instid0(SALU_CYCLE_1)
	s_cmp_lt_i32 s0, 5
	s_cbranch_scc1 .LBB70_338
; %bb.334:
	s_cmp_lt_i32 s0, 8
	s_cbranch_scc1 .LBB70_339
; %bb.335:
	;; [unrolled: 3-line block ×3, first 2 shown]
	s_cmp_gt_i32 s0, 9
	s_cbranch_scc0 .LBB70_341
; %bb.337:
	global_load_b64 v[4:5], v[2:3], off
	s_mov_b32 s17, 0
	s_wait_loadcnt 0x0
	v_cvt_f32_f64_e32 v1, v[4:5]
	s_branch .LBB70_342
.LBB70_338:
	s_mov_b32 s17, -1
                                        ; implicit-def: $vgpr1
	s_branch .LBB70_360
.LBB70_339:
	s_mov_b32 s17, -1
                                        ; implicit-def: $vgpr1
	s_branch .LBB70_348
.LBB70_340:
	s_mov_b32 s17, -1
                                        ; implicit-def: $vgpr1
	s_branch .LBB70_345
.LBB70_341:
	s_mov_b32 s17, -1
                                        ; implicit-def: $vgpr1
.LBB70_342:
	s_delay_alu instid0(SALU_CYCLE_1)
	s_and_not1_b32 vcc_lo, exec_lo, s17
	s_cbranch_vccnz .LBB70_344
; %bb.343:
	global_load_b32 v1, v[2:3], off
.LBB70_344:
	s_mov_b32 s17, 0
.LBB70_345:
	s_delay_alu instid0(SALU_CYCLE_1)
	s_and_not1_b32 vcc_lo, exec_lo, s17
	s_cbranch_vccnz .LBB70_347
; %bb.346:
	s_wait_loadcnt 0x0
	global_load_b32 v1, v[2:3], off
	s_wait_loadcnt 0x0
	v_cvt_f32_f16_e32 v1, v1
.LBB70_347:
	s_mov_b32 s17, 0
.LBB70_348:
	s_delay_alu instid0(SALU_CYCLE_1)
	s_and_not1_b32 vcc_lo, exec_lo, s17
	s_cbranch_vccnz .LBB70_359
; %bb.349:
	s_cmp_lt_i32 s0, 6
	s_cbranch_scc1 .LBB70_352
; %bb.350:
	s_cmp_gt_i32 s0, 6
	s_cbranch_scc0 .LBB70_353
; %bb.351:
	global_load_b64 v[4:5], v[2:3], off
	s_mov_b32 s17, 0
	s_wait_loadcnt 0x0
	v_cvt_f32_f64_e32 v1, v[4:5]
	s_branch .LBB70_354
.LBB70_352:
	s_mov_b32 s17, -1
                                        ; implicit-def: $vgpr1
	s_branch .LBB70_357
.LBB70_353:
	s_mov_b32 s17, -1
                                        ; implicit-def: $vgpr1
.LBB70_354:
	s_delay_alu instid0(SALU_CYCLE_1)
	s_and_not1_b32 vcc_lo, exec_lo, s17
	s_cbranch_vccnz .LBB70_356
; %bb.355:
	s_wait_loadcnt 0x0
	global_load_b32 v1, v[2:3], off
.LBB70_356:
	s_mov_b32 s17, 0
.LBB70_357:
	s_delay_alu instid0(SALU_CYCLE_1)
	s_and_not1_b32 vcc_lo, exec_lo, s17
	s_cbranch_vccnz .LBB70_359
; %bb.358:
	s_wait_loadcnt 0x0
	global_load_u16 v1, v[2:3], off
	s_wait_loadcnt 0x0
	v_cvt_f32_f16_e32 v1, v1
.LBB70_359:
	s_mov_b32 s17, 0
.LBB70_360:
	s_delay_alu instid0(SALU_CYCLE_1)
	s_and_not1_b32 vcc_lo, exec_lo, s17
	s_cbranch_vccnz .LBB70_380
; %bb.361:
	s_cmp_lt_i32 s0, 2
	s_cbranch_scc1 .LBB70_365
; %bb.362:
	s_cmp_lt_i32 s0, 3
	s_cbranch_scc1 .LBB70_366
; %bb.363:
	s_cmp_gt_i32 s0, 3
	s_cbranch_scc0 .LBB70_367
; %bb.364:
	global_load_b64 v[4:5], v[2:3], off
	s_mov_b32 s17, 0
	s_wait_loadcnt 0x0
	v_xor_b32_e32 v1, v4, v5
	v_cls_i32_e32 v6, v5
	s_delay_alu instid0(VALU_DEP_2) | instskip(NEXT) | instid1(VALU_DEP_1)
	v_ashrrev_i32_e32 v1, 31, v1
	v_add_nc_u32_e32 v1, 32, v1
	s_delay_alu instid0(VALU_DEP_1) | instskip(NEXT) | instid1(VALU_DEP_1)
	v_add_min_u32_e64 v1, v6, -1, v1
	v_lshlrev_b64_e32 v[4:5], v1, v[4:5]
	v_sub_nc_u32_e32 v1, 32, v1
	s_delay_alu instid0(VALU_DEP_2) | instskip(NEXT) | instid1(VALU_DEP_1)
	v_min_u32_e32 v4, 1, v4
	v_or_b32_e32 v4, v5, v4
	s_delay_alu instid0(VALU_DEP_1) | instskip(NEXT) | instid1(VALU_DEP_1)
	v_cvt_f32_i32_e32 v4, v4
	v_ldexp_f32 v1, v4, v1
	s_branch .LBB70_368
.LBB70_365:
	s_mov_b32 s17, -1
                                        ; implicit-def: $vgpr1
	s_branch .LBB70_374
.LBB70_366:
	s_mov_b32 s17, -1
                                        ; implicit-def: $vgpr1
	s_branch .LBB70_371
.LBB70_367:
	s_mov_b32 s17, -1
                                        ; implicit-def: $vgpr1
.LBB70_368:
	s_delay_alu instid0(SALU_CYCLE_1)
	s_and_not1_b32 vcc_lo, exec_lo, s17
	s_cbranch_vccnz .LBB70_370
; %bb.369:
	s_wait_loadcnt 0x0
	global_load_b32 v1, v[2:3], off
	s_wait_loadcnt 0x0
	v_cvt_f32_i32_e32 v1, v1
.LBB70_370:
	s_mov_b32 s17, 0
.LBB70_371:
	s_delay_alu instid0(SALU_CYCLE_1)
	s_and_not1_b32 vcc_lo, exec_lo, s17
	s_cbranch_vccnz .LBB70_373
; %bb.372:
	s_wait_loadcnt 0x0
	global_load_i16 v1, v[2:3], off
	s_wait_loadcnt 0x0
	v_cvt_f32_i32_e32 v1, v1
.LBB70_373:
	s_mov_b32 s17, 0
.LBB70_374:
	s_delay_alu instid0(SALU_CYCLE_1)
	s_and_not1_b32 vcc_lo, exec_lo, s17
	s_cbranch_vccnz .LBB70_380
; %bb.375:
	s_cmp_gt_i32 s0, 0
	s_mov_b32 s0, 0
	s_cbranch_scc0 .LBB70_377
; %bb.376:
	s_wait_loadcnt 0x0
	global_load_i8 v1, v[2:3], off
	s_wait_loadcnt 0x0
	v_cvt_f32_i32_e32 v1, v1
	s_branch .LBB70_378
.LBB70_377:
	s_mov_b32 s0, -1
                                        ; implicit-def: $vgpr1
.LBB70_378:
	s_delay_alu instid0(SALU_CYCLE_1)
	s_and_not1_b32 vcc_lo, exec_lo, s0
	s_cbranch_vccnz .LBB70_380
; %bb.379:
	s_wait_loadcnt 0x0
	global_load_u8 v1, v[2:3], off
	s_wait_loadcnt 0x0
	v_cvt_f32_ubyte0_e32 v1, v1
.LBB70_380:
	s_branch .LBB70_21
.LBB70_381:
	s_mov_b32 s0, 0
.LBB70_382:
	s_mov_b32 s23, 0
                                        ; implicit-def: $vgpr12
.LBB70_383:
	s_and_b32 s17, s0, exec_lo
	s_and_b32 s19, s19, exec_lo
	;; [unrolled: 1-line block ×3, first 2 shown]
	s_or_not1_b32 s25, s23, exec_lo
.LBB70_384:
	s_wait_xcnt 0x0
	s_or_b32 exec_lo, exec_lo, s21
	s_mov_b32 s24, 0
	s_mov_b32 s23, 0
                                        ; implicit-def: $sgpr0
                                        ; implicit-def: $vgpr2_vgpr3
                                        ; implicit-def: $vgpr0
	s_and_saveexec_b32 s21, s25
	s_cbranch_execz .LBB70_393
; %bb.385:
	s_mov_b32 s27, -1
	s_mov_b32 s22, s20
	s_mov_b32 s24, s19
	;; [unrolled: 1-line block ×3, first 2 shown]
	s_mov_b32 s25, exec_lo
	v_cmpx_gt_i32_e64 s18, v12
	s_cbranch_execz .LBB70_779
; %bb.386:
	s_wait_loadcnt 0x0
	v_mul_lo_u32 v0, v12, s9
	s_and_b32 s0, s15, 0xff
	s_delay_alu instid0(SALU_CYCLE_1) | instskip(NEXT) | instid1(VALU_DEP_1)
	s_cmp_lt_i32 s0, 11
	v_ashrrev_i32_e32 v1, 31, v0
	s_delay_alu instid0(VALU_DEP_1)
	v_add_nc_u64_e32 v[2:3], s[6:7], v[0:1]
	s_cbranch_scc1 .LBB70_396
; %bb.387:
	s_and_b32 s23, 0xffff, s0
	s_delay_alu instid0(SALU_CYCLE_1)
	s_cmp_gt_i32 s23, 25
	s_cbranch_scc0 .LBB70_405
; %bb.388:
	s_cmp_gt_i32 s23, 28
	s_cbranch_scc0 .LBB70_407
; %bb.389:
	;; [unrolled: 3-line block ×4, first 2 shown]
	s_cmp_eq_u32 s23, 46
	s_mov_b32 s26, 0
	s_cbranch_scc0 .LBB70_415
; %bb.392:
	global_load_b32 v0, v[2:3], off
	s_mov_b32 s24, -1
	s_mov_b32 s22, 0
	s_wait_loadcnt 0x0
	v_lshlrev_b32_e32 v0, 16, v0
	s_branch .LBB70_417
.LBB70_393:
	s_or_b32 exec_lo, exec_lo, s21
	s_mov_b32 s18, 0
	s_and_saveexec_b32 s21, s20
	s_cbranch_execnz .LBB70_1257
.LBB70_394:
	s_or_b32 exec_lo, exec_lo, s21
	s_and_saveexec_b32 s20, s22
	s_delay_alu instid0(SALU_CYCLE_1)
	s_xor_b32 s20, exec_lo, s20
	s_cbranch_execz .LBB70_1258
.LBB70_395:
	s_wait_loadcnt 0x0
	global_load_u8 v0, v[2:3], off
	s_or_b32 s23, s23, exec_lo
	s_wait_loadcnt 0x0
	v_cmp_ne_u16_e32 vcc_lo, 0, v0
	v_cndmask_b32_e64 v0, 0, 1.0, vcc_lo
	s_wait_xcnt 0x0
	s_or_b32 exec_lo, exec_lo, s20
	s_and_saveexec_b32 s20, s24
	s_cbranch_execz .LBB70_1304
	s_branch .LBB70_1259
.LBB70_396:
	s_mov_b32 s24, 0
	s_mov_b32 s22, s20
                                        ; implicit-def: $vgpr0
	s_cbranch_execnz .LBB70_483
.LBB70_397:
	s_and_not1_b32 vcc_lo, exec_lo, s24
	s_cbranch_vccnz .LBB70_531
.LBB70_398:
	s_wait_xcnt 0x0
	v_mul_lo_u32 v2, v12, s10
	s_and_b32 s0, s1, 0xff
	s_delay_alu instid0(SALU_CYCLE_1) | instskip(NEXT) | instid1(VALU_DEP_1)
	s_cmp_lt_i32 s0, 11
	v_ashrrev_i32_e32 v3, 31, v2
	s_delay_alu instid0(VALU_DEP_1)
	v_add_nc_u64_e32 v[2:3], s[12:13], v[2:3]
	s_cbranch_scc1 .LBB70_406
; %bb.399:
	s_and_b32 s23, 0xffff, s0
	s_delay_alu instid0(SALU_CYCLE_1)
	s_cmp_gt_i32 s23, 25
	s_cbranch_scc0 .LBB70_408
; %bb.400:
	s_cmp_gt_i32 s23, 28
	s_cbranch_scc0 .LBB70_410
; %bb.401:
	;; [unrolled: 3-line block ×4, first 2 shown]
	s_cmp_eq_u32 s23, 46
	s_mov_b32 s27, 0
	s_cbranch_scc0 .LBB70_534
; %bb.404:
	global_load_b32 v1, v[2:3], off
	s_mov_b32 s26, -1
	s_mov_b32 s24, 0
	s_wait_loadcnt 0x0
	v_lshlrev_b32_e32 v1, 16, v1
	s_branch .LBB70_536
.LBB70_405:
	s_mov_b32 s26, -1
	s_mov_b32 s24, 0
	s_mov_b32 s22, s20
                                        ; implicit-def: $vgpr0
	s_branch .LBB70_447
.LBB70_406:
	s_mov_b32 s23, -1
	s_mov_b32 s26, 0
	s_mov_b32 s24, s19
                                        ; implicit-def: $vgpr1
	s_branch .LBB70_601
.LBB70_407:
	s_mov_b32 s26, -1
	s_mov_b32 s24, 0
	s_mov_b32 s22, s20
                                        ; implicit-def: $vgpr0
	s_branch .LBB70_428
.LBB70_408:
	s_mov_b32 s27, -1
	s_mov_b32 s26, 0
	s_mov_b32 s24, s19
                                        ; implicit-def: $vgpr1
	s_branch .LBB70_565
.LBB70_409:
	s_mov_b32 s26, -1
	s_mov_b32 s24, 0
	s_mov_b32 s22, s20
                                        ; implicit-def: $vgpr0
	s_branch .LBB70_423
.LBB70_410:
	s_mov_b32 s27, -1
	s_mov_b32 s26, 0
	s_mov_b32 s24, s19
                                        ; implicit-def: $vgpr1
	s_branch .LBB70_546
.LBB70_411:
	s_mov_b32 s26, -1
	s_mov_b32 s24, 0
	s_mov_b32 s22, s20
	s_branch .LBB70_416
.LBB70_412:
	s_mov_b32 s27, -1
	s_mov_b32 s26, 0
	s_mov_b32 s24, s19
                                        ; implicit-def: $vgpr1
	s_branch .LBB70_541
.LBB70_413:
	s_and_not1_saveexec_b32 s26, s26
	s_cbranch_execz .LBB70_182
.LBB70_414:
	v_add_f32_e64 v1, 0x46000000, |v0|
	s_and_not1_b32 s25, s25, exec_lo
	s_delay_alu instid0(VALU_DEP_1) | instskip(NEXT) | instid1(VALU_DEP_1)
	v_and_b32_e32 v1, 0xff, v1
	v_cmp_ne_u32_e32 vcc_lo, 0, v1
	s_and_b32 s27, vcc_lo, exec_lo
	s_delay_alu instid0(SALU_CYCLE_1)
	s_or_b32 s25, s25, s27
	s_or_b32 exec_lo, exec_lo, s26
	v_mov_b32_e32 v4, 0
	s_and_saveexec_b32 s26, s25
	s_cbranch_execnz .LBB70_183
	s_branch .LBB70_184
.LBB70_415:
	s_mov_b32 s22, -1
	s_mov_b32 s24, 0
.LBB70_416:
                                        ; implicit-def: $vgpr0
.LBB70_417:
	s_and_b32 vcc_lo, exec_lo, s26
	s_cbranch_vccz .LBB70_422
; %bb.418:
	s_cmp_eq_u32 s23, 44
	s_cbranch_scc0 .LBB70_421
; %bb.419:
	global_load_u8 v0, v[2:3], off
	s_mov_b32 s22, 0
	s_mov_b32 s24, -1
	s_wait_loadcnt 0x0
	v_lshlrev_b32_e32 v1, 23, v0
	v_cmp_ne_u32_e32 vcc_lo, 0xff, v0
	s_delay_alu instid0(VALU_DEP_2) | instskip(SKIP_1) | instid1(VALU_DEP_2)
	v_cndmask_b32_e32 v1, 0x7f800001, v1, vcc_lo
	v_cmp_ne_u32_e32 vcc_lo, 0, v0
	v_cndmask_b32_e32 v0, 0x400000, v1, vcc_lo
	s_branch .LBB70_422
.LBB70_420:
	s_mov_b32 s27, -1
	s_mov_b32 s26, 0
	s_mov_b32 s24, s19
	s_branch .LBB70_535
.LBB70_421:
	s_mov_b32 s22, -1
                                        ; implicit-def: $vgpr0
.LBB70_422:
	s_mov_b32 s26, 0
.LBB70_423:
	s_delay_alu instid0(SALU_CYCLE_1)
	s_and_b32 vcc_lo, exec_lo, s26
	s_cbranch_vccz .LBB70_427
; %bb.424:
	s_cmp_eq_u32 s23, 29
	s_cbranch_scc0 .LBB70_426
; %bb.425:
	global_load_b64 v[0:1], v[2:3], off
	s_mov_b32 s24, -1
	s_mov_b32 s22, 0
	s_mov_b32 s26, 0
	s_wait_loadcnt 0x0
	v_clz_i32_u32_e32 v4, v1
	s_delay_alu instid0(VALU_DEP_1) | instskip(NEXT) | instid1(VALU_DEP_1)
	v_min_u32_e32 v4, 32, v4
	v_lshlrev_b64_e32 v[0:1], v4, v[0:1]
	s_delay_alu instid0(VALU_DEP_1) | instskip(NEXT) | instid1(VALU_DEP_1)
	v_min_u32_e32 v0, 1, v0
	v_or_b32_e32 v0, v1, v0
	v_sub_nc_u32_e32 v1, 32, v4
	s_delay_alu instid0(VALU_DEP_2) | instskip(NEXT) | instid1(VALU_DEP_1)
	v_cvt_f32_u32_e32 v0, v0
	v_ldexp_f32 v0, v0, v1
	s_branch .LBB70_428
.LBB70_426:
	s_mov_b32 s22, -1
                                        ; implicit-def: $vgpr0
.LBB70_427:
	s_mov_b32 s26, 0
.LBB70_428:
	s_delay_alu instid0(SALU_CYCLE_1)
	s_and_b32 vcc_lo, exec_lo, s26
	s_cbranch_vccz .LBB70_446
; %bb.429:
	s_cmp_lt_i32 s23, 27
	s_cbranch_scc1 .LBB70_432
; %bb.430:
	s_cmp_gt_i32 s23, 27
	s_cbranch_scc0 .LBB70_433
; %bb.431:
	global_load_b32 v0, v[2:3], off
	s_mov_b32 s24, 0
	s_wait_loadcnt 0x0
	v_cvt_f32_u32_e32 v0, v0
	s_branch .LBB70_434
.LBB70_432:
	s_mov_b32 s24, -1
                                        ; implicit-def: $vgpr0
	s_branch .LBB70_437
.LBB70_433:
	s_mov_b32 s24, -1
                                        ; implicit-def: $vgpr0
.LBB70_434:
	s_delay_alu instid0(SALU_CYCLE_1)
	s_and_not1_b32 vcc_lo, exec_lo, s24
	s_cbranch_vccnz .LBB70_436
; %bb.435:
	global_load_u16 v0, v[2:3], off
	s_wait_loadcnt 0x0
	v_cvt_f32_u32_e32 v0, v0
.LBB70_436:
	s_mov_b32 s24, 0
.LBB70_437:
	s_delay_alu instid0(SALU_CYCLE_1)
	s_and_not1_b32 vcc_lo, exec_lo, s24
	s_cbranch_vccnz .LBB70_445
; %bb.438:
	global_load_u8 v1, v[2:3], off
	s_mov_b32 s24, 0
	s_mov_b32 s26, exec_lo
	s_wait_loadcnt 0x0
	v_cmpx_lt_i16_e32 0x7f, v1
	s_xor_b32 s26, exec_lo, s26
	s_cbranch_execz .LBB70_459
; %bb.439:
	s_mov_b32 s24, -1
	s_mov_b32 s27, exec_lo
	v_cmpx_eq_u16_e32 0x80, v1
; %bb.440:
	s_xor_b32 s24, exec_lo, -1
; %bb.441:
	s_or_b32 exec_lo, exec_lo, s27
	s_delay_alu instid0(SALU_CYCLE_1)
	s_and_b32 s24, s24, exec_lo
	s_or_saveexec_b32 s26, s26
	v_mov_b32_e32 v0, 0x7f800001
	s_xor_b32 exec_lo, exec_lo, s26
	s_cbranch_execnz .LBB70_460
.LBB70_442:
	s_or_b32 exec_lo, exec_lo, s26
	s_and_saveexec_b32 s26, s24
	s_cbranch_execz .LBB70_444
.LBB70_443:
	v_and_b32_e32 v0, 0xffff, v1
	s_delay_alu instid0(VALU_DEP_1) | instskip(SKIP_1) | instid1(VALU_DEP_2)
	v_and_b32_e32 v4, 7, v0
	v_bfe_u32 v7, v0, 3, 4
	v_clz_i32_u32_e32 v5, v4
	s_delay_alu instid0(VALU_DEP_2) | instskip(NEXT) | instid1(VALU_DEP_2)
	v_cmp_eq_u32_e32 vcc_lo, 0, v7
	v_min_u32_e32 v5, 32, v5
	s_delay_alu instid0(VALU_DEP_1) | instskip(NEXT) | instid1(VALU_DEP_1)
	v_subrev_nc_u32_e32 v6, 28, v5
	v_dual_lshlrev_b32 v0, v6, v0 :: v_dual_sub_nc_u32 v5, 29, v5
	s_delay_alu instid0(VALU_DEP_1) | instskip(NEXT) | instid1(VALU_DEP_1)
	v_dual_lshlrev_b32 v1, 24, v1 :: v_dual_bitop2_b32 v0, 7, v0 bitop3:0x40
	v_dual_cndmask_b32 v0, v4, v0 :: v_dual_cndmask_b32 v5, v7, v5
	s_delay_alu instid0(VALU_DEP_2) | instskip(NEXT) | instid1(VALU_DEP_2)
	v_and_b32_e32 v1, 0x80000000, v1
	v_lshlrev_b32_e32 v0, 20, v0
	s_delay_alu instid0(VALU_DEP_3) | instskip(NEXT) | instid1(VALU_DEP_1)
	v_lshl_add_u32 v4, v5, 23, 0x3b800000
	v_or3_b32 v0, v1, v4, v0
.LBB70_444:
	s_or_b32 exec_lo, exec_lo, s26
.LBB70_445:
	s_mov_b32 s24, -1
.LBB70_446:
	s_mov_b32 s26, 0
.LBB70_447:
	s_delay_alu instid0(SALU_CYCLE_1)
	s_and_b32 vcc_lo, exec_lo, s26
	s_cbranch_vccz .LBB70_482
; %bb.448:
	s_cmp_gt_i32 s23, 22
	s_cbranch_scc0 .LBB70_458
; %bb.449:
	s_cmp_lt_i32 s23, 24
	s_cbranch_scc1 .LBB70_461
; %bb.450:
	s_cmp_gt_i32 s23, 24
	s_cbranch_scc0 .LBB70_462
; %bb.451:
	global_load_u8 v1, v[2:3], off
	s_mov_b32 s24, 0
	s_mov_b32 s26, exec_lo
	s_wait_loadcnt 0x0
	v_cmpx_lt_i16_e32 0x7f, v1
	s_xor_b32 s26, exec_lo, s26
	s_cbranch_execz .LBB70_474
; %bb.452:
	s_mov_b32 s24, -1
	s_mov_b32 s27, exec_lo
	v_cmpx_eq_u16_e32 0x80, v1
; %bb.453:
	s_xor_b32 s24, exec_lo, -1
; %bb.454:
	s_or_b32 exec_lo, exec_lo, s27
	s_delay_alu instid0(SALU_CYCLE_1)
	s_and_b32 s24, s24, exec_lo
	s_or_saveexec_b32 s26, s26
	v_mov_b32_e32 v0, 0x7f800001
	s_xor_b32 exec_lo, exec_lo, s26
	s_cbranch_execnz .LBB70_475
.LBB70_455:
	s_or_b32 exec_lo, exec_lo, s26
	s_and_saveexec_b32 s26, s24
	s_cbranch_execz .LBB70_457
.LBB70_456:
	v_and_b32_e32 v0, 0xffff, v1
	s_delay_alu instid0(VALU_DEP_1) | instskip(SKIP_1) | instid1(VALU_DEP_2)
	v_and_b32_e32 v4, 3, v0
	v_bfe_u32 v7, v0, 2, 5
	v_clz_i32_u32_e32 v5, v4
	s_delay_alu instid0(VALU_DEP_2) | instskip(NEXT) | instid1(VALU_DEP_2)
	v_cmp_eq_u32_e32 vcc_lo, 0, v7
	v_min_u32_e32 v5, 32, v5
	s_delay_alu instid0(VALU_DEP_1) | instskip(NEXT) | instid1(VALU_DEP_1)
	v_subrev_nc_u32_e32 v6, 29, v5
	v_dual_lshlrev_b32 v0, v6, v0 :: v_dual_sub_nc_u32 v5, 30, v5
	s_delay_alu instid0(VALU_DEP_1) | instskip(NEXT) | instid1(VALU_DEP_1)
	v_dual_lshlrev_b32 v1, 24, v1 :: v_dual_bitop2_b32 v0, 3, v0 bitop3:0x40
	v_dual_cndmask_b32 v0, v4, v0 :: v_dual_cndmask_b32 v5, v7, v5
	s_delay_alu instid0(VALU_DEP_2) | instskip(NEXT) | instid1(VALU_DEP_2)
	v_and_b32_e32 v1, 0x80000000, v1
	v_lshlrev_b32_e32 v0, 21, v0
	s_delay_alu instid0(VALU_DEP_3) | instskip(NEXT) | instid1(VALU_DEP_1)
	v_lshl_add_u32 v4, v5, 23, 0x37800000
	v_or3_b32 v0, v1, v4, v0
.LBB70_457:
	s_or_b32 exec_lo, exec_lo, s26
	s_mov_b32 s24, 0
	s_branch .LBB70_463
.LBB70_458:
	s_mov_b32 s26, -1
                                        ; implicit-def: $vgpr0
	s_branch .LBB70_469
.LBB70_459:
	s_or_saveexec_b32 s26, s26
	v_mov_b32_e32 v0, 0x7f800001
	s_xor_b32 exec_lo, exec_lo, s26
	s_cbranch_execz .LBB70_442
.LBB70_460:
	v_cmp_ne_u16_e32 vcc_lo, 0, v1
	v_mov_b32_e32 v0, 0
	s_and_not1_b32 s24, s24, exec_lo
	s_and_b32 s27, vcc_lo, exec_lo
	s_delay_alu instid0(SALU_CYCLE_1)
	s_or_b32 s24, s24, s27
	s_or_b32 exec_lo, exec_lo, s26
	s_and_saveexec_b32 s26, s24
	s_cbranch_execnz .LBB70_443
	s_branch .LBB70_444
.LBB70_461:
	s_mov_b32 s24, -1
                                        ; implicit-def: $vgpr0
	s_branch .LBB70_466
.LBB70_462:
	s_mov_b32 s24, -1
                                        ; implicit-def: $vgpr0
.LBB70_463:
	s_delay_alu instid0(SALU_CYCLE_1)
	s_and_b32 vcc_lo, exec_lo, s24
	s_cbranch_vccz .LBB70_465
; %bb.464:
	global_load_u8 v0, v[2:3], off
	s_wait_loadcnt 0x0
	v_lshlrev_b32_e32 v0, 24, v0
	s_delay_alu instid0(VALU_DEP_1) | instskip(NEXT) | instid1(VALU_DEP_1)
	v_and_b32_e32 v1, 0x7f000000, v0
	v_clz_i32_u32_e32 v4, v1
	v_cmp_ne_u32_e32 vcc_lo, 0, v1
	v_add_nc_u32_e32 v6, 0x1000000, v1
	s_delay_alu instid0(VALU_DEP_3) | instskip(NEXT) | instid1(VALU_DEP_1)
	v_min_u32_e32 v4, 32, v4
	v_sub_nc_u32_e64 v4, v4, 4 clamp
	s_delay_alu instid0(VALU_DEP_1) | instskip(NEXT) | instid1(VALU_DEP_1)
	v_dual_lshlrev_b32 v5, v4, v1 :: v_dual_lshlrev_b32 v4, 23, v4
	v_lshrrev_b32_e32 v5, 4, v5
	s_delay_alu instid0(VALU_DEP_1) | instskip(NEXT) | instid1(VALU_DEP_1)
	v_dual_sub_nc_u32 v4, v5, v4 :: v_dual_ashrrev_i32 v5, 8, v6
	v_add_nc_u32_e32 v4, 0x3c000000, v4
	s_delay_alu instid0(VALU_DEP_1) | instskip(NEXT) | instid1(VALU_DEP_1)
	v_and_or_b32 v4, 0x7f800000, v5, v4
	v_cndmask_b32_e32 v1, 0, v4, vcc_lo
	s_delay_alu instid0(VALU_DEP_1)
	v_and_or_b32 v0, 0x80000000, v0, v1
.LBB70_465:
	s_mov_b32 s24, 0
.LBB70_466:
	s_delay_alu instid0(SALU_CYCLE_1)
	s_and_not1_b32 vcc_lo, exec_lo, s24
	s_cbranch_vccnz .LBB70_468
; %bb.467:
	global_load_u8 v0, v[2:3], off
	s_wait_loadcnt 0x0
	v_lshlrev_b32_e32 v1, 25, v0
	v_lshlrev_b16 v0, 8, v0
	s_delay_alu instid0(VALU_DEP_1) | instskip(SKIP_1) | instid1(VALU_DEP_2)
	v_and_or_b32 v5, 0x7f00, v0, 0.5
	v_bfe_i32 v0, v0, 0, 16
	v_add_f32_e32 v5, -0.5, v5
	v_lshrrev_b32_e32 v4, 4, v1
	v_cmp_gt_u32_e32 vcc_lo, 0x8000000, v1
	s_delay_alu instid0(VALU_DEP_2) | instskip(NEXT) | instid1(VALU_DEP_1)
	v_or_b32_e32 v4, 0x70000000, v4
	v_mul_f32_e32 v4, 0x7800000, v4
	s_delay_alu instid0(VALU_DEP_1) | instskip(NEXT) | instid1(VALU_DEP_1)
	v_cndmask_b32_e32 v1, v4, v5, vcc_lo
	v_and_or_b32 v0, 0x80000000, v0, v1
.LBB70_468:
	s_mov_b32 s26, 0
	s_mov_b32 s24, -1
.LBB70_469:
	s_and_not1_b32 vcc_lo, exec_lo, s26
	s_cbranch_vccnz .LBB70_482
; %bb.470:
	s_cmp_gt_i32 s23, 14
	s_cbranch_scc0 .LBB70_473
; %bb.471:
	s_cmp_eq_u32 s23, 15
	s_cbranch_scc0 .LBB70_476
; %bb.472:
	global_load_u16 v0, v[2:3], off
	s_mov_b32 s24, -1
	s_mov_b32 s22, 0
	s_wait_loadcnt 0x0
	v_lshlrev_b32_e32 v0, 16, v0
	s_branch .LBB70_477
.LBB70_473:
	s_mov_b32 s26, -1
                                        ; implicit-def: $vgpr0
	s_branch .LBB70_478
.LBB70_474:
	s_or_saveexec_b32 s26, s26
	v_mov_b32_e32 v0, 0x7f800001
	s_xor_b32 exec_lo, exec_lo, s26
	s_cbranch_execz .LBB70_455
.LBB70_475:
	v_cmp_ne_u16_e32 vcc_lo, 0, v1
	v_mov_b32_e32 v0, 0
	s_and_not1_b32 s24, s24, exec_lo
	s_and_b32 s27, vcc_lo, exec_lo
	s_delay_alu instid0(SALU_CYCLE_1)
	s_or_b32 s24, s24, s27
	s_or_b32 exec_lo, exec_lo, s26
	s_and_saveexec_b32 s26, s24
	s_cbranch_execnz .LBB70_456
	s_branch .LBB70_457
.LBB70_476:
	s_mov_b32 s22, -1
                                        ; implicit-def: $vgpr0
.LBB70_477:
	s_mov_b32 s26, 0
.LBB70_478:
	s_delay_alu instid0(SALU_CYCLE_1)
	s_and_b32 vcc_lo, exec_lo, s26
	s_cbranch_vccz .LBB70_482
; %bb.479:
	s_cmp_eq_u32 s23, 11
	s_cbranch_scc0 .LBB70_481
; %bb.480:
	global_load_u8 v0, v[2:3], off
	s_mov_b32 s22, 0
	s_mov_b32 s24, -1
	s_wait_loadcnt 0x0
	v_cmp_ne_u16_e32 vcc_lo, 0, v0
	v_cndmask_b32_e64 v0, 0, 1.0, vcc_lo
	s_branch .LBB70_482
.LBB70_481:
	s_mov_b32 s22, -1
                                        ; implicit-def: $vgpr0
.LBB70_482:
	s_branch .LBB70_397
.LBB70_483:
	s_and_b32 s0, 0xffff, s0
	s_delay_alu instid0(SALU_CYCLE_1)
	s_cmp_lt_i32 s0, 5
	s_cbranch_scc1 .LBB70_488
; %bb.484:
	s_cmp_lt_i32 s0, 8
	s_cbranch_scc1 .LBB70_489
; %bb.485:
	s_cmp_lt_i32 s0, 9
	s_cbranch_scc1 .LBB70_490
; %bb.486:
	s_cmp_gt_i32 s0, 9
	s_cbranch_scc0 .LBB70_491
; %bb.487:
	global_load_b64 v[0:1], v[2:3], off
	s_mov_b32 s23, 0
	s_wait_loadcnt 0x0
	v_cvt_f32_f64_e32 v0, v[0:1]
	s_branch .LBB70_492
.LBB70_488:
	s_mov_b32 s23, -1
                                        ; implicit-def: $vgpr0
	s_branch .LBB70_510
.LBB70_489:
	s_mov_b32 s23, -1
                                        ; implicit-def: $vgpr0
	s_branch .LBB70_498
.LBB70_490:
	s_mov_b32 s23, -1
                                        ; implicit-def: $vgpr0
	s_branch .LBB70_495
.LBB70_491:
	s_mov_b32 s23, -1
                                        ; implicit-def: $vgpr0
.LBB70_492:
	s_delay_alu instid0(SALU_CYCLE_1)
	s_and_not1_b32 vcc_lo, exec_lo, s23
	s_cbranch_vccnz .LBB70_494
; %bb.493:
	global_load_b32 v0, v[2:3], off
.LBB70_494:
	s_mov_b32 s23, 0
.LBB70_495:
	s_delay_alu instid0(SALU_CYCLE_1)
	s_and_not1_b32 vcc_lo, exec_lo, s23
	s_cbranch_vccnz .LBB70_497
; %bb.496:
	s_wait_loadcnt 0x0
	global_load_b32 v0, v[2:3], off
	s_wait_loadcnt 0x0
	v_cvt_f32_f16_e32 v0, v0
.LBB70_497:
	s_mov_b32 s23, 0
.LBB70_498:
	s_delay_alu instid0(SALU_CYCLE_1)
	s_and_not1_b32 vcc_lo, exec_lo, s23
	s_cbranch_vccnz .LBB70_509
; %bb.499:
	s_cmp_lt_i32 s0, 6
	s_cbranch_scc1 .LBB70_502
; %bb.500:
	s_cmp_gt_i32 s0, 6
	s_cbranch_scc0 .LBB70_503
; %bb.501:
	s_wait_loadcnt 0x0
	global_load_b64 v[0:1], v[2:3], off
	s_mov_b32 s23, 0
	s_wait_loadcnt 0x0
	v_cvt_f32_f64_e32 v0, v[0:1]
	s_branch .LBB70_504
.LBB70_502:
	s_mov_b32 s23, -1
                                        ; implicit-def: $vgpr0
	s_branch .LBB70_507
.LBB70_503:
	s_mov_b32 s23, -1
                                        ; implicit-def: $vgpr0
.LBB70_504:
	s_delay_alu instid0(SALU_CYCLE_1)
	s_and_not1_b32 vcc_lo, exec_lo, s23
	s_cbranch_vccnz .LBB70_506
; %bb.505:
	s_wait_loadcnt 0x0
	global_load_b32 v0, v[2:3], off
.LBB70_506:
	s_mov_b32 s23, 0
.LBB70_507:
	s_delay_alu instid0(SALU_CYCLE_1)
	s_and_not1_b32 vcc_lo, exec_lo, s23
	s_cbranch_vccnz .LBB70_509
; %bb.508:
	s_wait_loadcnt 0x0
	global_load_u16 v0, v[2:3], off
	s_wait_loadcnt 0x0
	v_cvt_f32_f16_e32 v0, v0
.LBB70_509:
	s_mov_b32 s23, 0
.LBB70_510:
	s_delay_alu instid0(SALU_CYCLE_1)
	s_and_not1_b32 vcc_lo, exec_lo, s23
	s_cbranch_vccnz .LBB70_530
; %bb.511:
	s_cmp_lt_i32 s0, 2
	s_cbranch_scc1 .LBB70_515
; %bb.512:
	s_cmp_lt_i32 s0, 3
	s_cbranch_scc1 .LBB70_516
; %bb.513:
	s_cmp_gt_i32 s0, 3
	s_cbranch_scc0 .LBB70_517
; %bb.514:
	s_wait_loadcnt 0x0
	global_load_b64 v[0:1], v[2:3], off
	s_mov_b32 s23, 0
	s_wait_loadcnt 0x0
	v_xor_b32_e32 v4, v0, v1
	v_cls_i32_e32 v5, v1
	s_delay_alu instid0(VALU_DEP_2) | instskip(NEXT) | instid1(VALU_DEP_1)
	v_ashrrev_i32_e32 v4, 31, v4
	v_add_nc_u32_e32 v4, 32, v4
	s_delay_alu instid0(VALU_DEP_1) | instskip(NEXT) | instid1(VALU_DEP_1)
	v_add_min_u32_e64 v4, v5, -1, v4
	v_lshlrev_b64_e32 v[0:1], v4, v[0:1]
	s_delay_alu instid0(VALU_DEP_1) | instskip(NEXT) | instid1(VALU_DEP_1)
	v_min_u32_e32 v0, 1, v0
	v_or_b32_e32 v0, v1, v0
	v_sub_nc_u32_e32 v1, 32, v4
	s_delay_alu instid0(VALU_DEP_2) | instskip(NEXT) | instid1(VALU_DEP_1)
	v_cvt_f32_i32_e32 v0, v0
	v_ldexp_f32 v0, v0, v1
	s_branch .LBB70_518
.LBB70_515:
	s_mov_b32 s23, -1
                                        ; implicit-def: $vgpr0
	s_branch .LBB70_524
.LBB70_516:
	s_mov_b32 s23, -1
                                        ; implicit-def: $vgpr0
	s_branch .LBB70_521
.LBB70_517:
	s_mov_b32 s23, -1
                                        ; implicit-def: $vgpr0
.LBB70_518:
	s_delay_alu instid0(SALU_CYCLE_1)
	s_and_not1_b32 vcc_lo, exec_lo, s23
	s_cbranch_vccnz .LBB70_520
; %bb.519:
	s_wait_loadcnt 0x0
	global_load_b32 v0, v[2:3], off
	s_wait_loadcnt 0x0
	v_cvt_f32_i32_e32 v0, v0
.LBB70_520:
	s_mov_b32 s23, 0
.LBB70_521:
	s_delay_alu instid0(SALU_CYCLE_1)
	s_and_not1_b32 vcc_lo, exec_lo, s23
	s_cbranch_vccnz .LBB70_523
; %bb.522:
	s_wait_loadcnt 0x0
	global_load_i16 v0, v[2:3], off
	s_wait_loadcnt 0x0
	v_cvt_f32_i32_e32 v0, v0
.LBB70_523:
	s_mov_b32 s23, 0
.LBB70_524:
	s_delay_alu instid0(SALU_CYCLE_1)
	s_and_not1_b32 vcc_lo, exec_lo, s23
	s_cbranch_vccnz .LBB70_530
; %bb.525:
	s_cmp_gt_i32 s0, 0
	s_mov_b32 s0, 0
	s_cbranch_scc0 .LBB70_527
; %bb.526:
	s_wait_loadcnt 0x0
	global_load_i8 v0, v[2:3], off
	s_wait_loadcnt 0x0
	v_cvt_f32_i32_e32 v0, v0
	s_branch .LBB70_528
.LBB70_527:
	s_mov_b32 s0, -1
                                        ; implicit-def: $vgpr0
.LBB70_528:
	s_delay_alu instid0(SALU_CYCLE_1)
	s_and_not1_b32 vcc_lo, exec_lo, s0
	s_cbranch_vccnz .LBB70_530
; %bb.529:
	s_wait_loadcnt 0x0
	global_load_u8 v0, v[2:3], off
	s_wait_loadcnt 0x0
	v_cvt_f32_ubyte0_e32 v0, v0
.LBB70_530:
	s_branch .LBB70_398
.LBB70_531:
	s_mov_b32 s26, 0
	s_mov_b32 s0, s17
	;; [unrolled: 1-line block ×3, first 2 shown]
	s_branch .LBB70_777
.LBB70_532:
	s_and_not1_saveexec_b32 s26, s26
	s_cbranch_execz .LBB70_195
.LBB70_533:
	v_add_f32_e64 v1, 0x42800000, |v0|
	s_and_not1_b32 s25, s25, exec_lo
	s_delay_alu instid0(VALU_DEP_1) | instskip(NEXT) | instid1(VALU_DEP_1)
	v_and_b32_e32 v1, 0xff, v1
	v_cmp_ne_u32_e32 vcc_lo, 0, v1
	s_and_b32 s27, vcc_lo, exec_lo
	s_delay_alu instid0(SALU_CYCLE_1)
	s_or_b32 s25, s25, s27
	s_or_b32 exec_lo, exec_lo, s26
	v_mov_b32_e32 v4, 0
	s_and_saveexec_b32 s26, s25
	s_cbranch_execnz .LBB70_196
	s_branch .LBB70_197
.LBB70_534:
	s_mov_b32 s24, -1
	s_mov_b32 s26, 0
.LBB70_535:
                                        ; implicit-def: $vgpr1
.LBB70_536:
	s_and_b32 vcc_lo, exec_lo, s27
	s_cbranch_vccz .LBB70_540
; %bb.537:
	s_cmp_eq_u32 s23, 44
	s_cbranch_scc0 .LBB70_539
; %bb.538:
	global_load_u8 v1, v[2:3], off
	s_mov_b32 s24, 0
	s_mov_b32 s26, -1
	s_wait_loadcnt 0x0
	v_lshlrev_b32_e32 v4, 23, v1
	v_cmp_ne_u32_e32 vcc_lo, 0xff, v1
	s_delay_alu instid0(VALU_DEP_2) | instskip(SKIP_1) | instid1(VALU_DEP_2)
	v_cndmask_b32_e32 v4, 0x7f800001, v4, vcc_lo
	v_cmp_ne_u32_e32 vcc_lo, 0, v1
	v_cndmask_b32_e32 v1, 0x400000, v4, vcc_lo
	s_branch .LBB70_540
.LBB70_539:
	s_mov_b32 s24, -1
                                        ; implicit-def: $vgpr1
.LBB70_540:
	s_mov_b32 s27, 0
.LBB70_541:
	s_delay_alu instid0(SALU_CYCLE_1)
	s_and_b32 vcc_lo, exec_lo, s27
	s_cbranch_vccz .LBB70_545
; %bb.542:
	s_cmp_eq_u32 s23, 29
	s_cbranch_scc0 .LBB70_544
; %bb.543:
	global_load_b64 v[4:5], v[2:3], off
	s_mov_b32 s26, -1
	s_mov_b32 s24, 0
	s_mov_b32 s27, 0
	s_wait_loadcnt 0x0
	v_clz_i32_u32_e32 v1, v5
	s_delay_alu instid0(VALU_DEP_1) | instskip(NEXT) | instid1(VALU_DEP_1)
	v_min_u32_e32 v1, 32, v1
	v_lshlrev_b64_e32 v[4:5], v1, v[4:5]
	v_sub_nc_u32_e32 v1, 32, v1
	s_delay_alu instid0(VALU_DEP_2) | instskip(NEXT) | instid1(VALU_DEP_1)
	v_min_u32_e32 v4, 1, v4
	v_or_b32_e32 v4, v5, v4
	s_delay_alu instid0(VALU_DEP_1) | instskip(NEXT) | instid1(VALU_DEP_1)
	v_cvt_f32_u32_e32 v4, v4
	v_ldexp_f32 v1, v4, v1
	s_branch .LBB70_546
.LBB70_544:
	s_mov_b32 s24, -1
                                        ; implicit-def: $vgpr1
.LBB70_545:
	s_mov_b32 s27, 0
.LBB70_546:
	s_delay_alu instid0(SALU_CYCLE_1)
	s_and_b32 vcc_lo, exec_lo, s27
	s_cbranch_vccz .LBB70_564
; %bb.547:
	s_cmp_lt_i32 s23, 27
	s_cbranch_scc1 .LBB70_550
; %bb.548:
	s_cmp_gt_i32 s23, 27
	s_cbranch_scc0 .LBB70_551
; %bb.549:
	global_load_b32 v1, v[2:3], off
	s_mov_b32 s26, 0
	s_wait_loadcnt 0x0
	v_cvt_f32_u32_e32 v1, v1
	s_branch .LBB70_552
.LBB70_550:
	s_mov_b32 s26, -1
                                        ; implicit-def: $vgpr1
	s_branch .LBB70_555
.LBB70_551:
	s_mov_b32 s26, -1
                                        ; implicit-def: $vgpr1
.LBB70_552:
	s_delay_alu instid0(SALU_CYCLE_1)
	s_and_not1_b32 vcc_lo, exec_lo, s26
	s_cbranch_vccnz .LBB70_554
; %bb.553:
	global_load_u16 v1, v[2:3], off
	s_wait_loadcnt 0x0
	v_cvt_f32_u32_e32 v1, v1
.LBB70_554:
	s_mov_b32 s26, 0
.LBB70_555:
	s_delay_alu instid0(SALU_CYCLE_1)
	s_and_not1_b32 vcc_lo, exec_lo, s26
	s_cbranch_vccnz .LBB70_563
; %bb.556:
	global_load_u8 v4, v[2:3], off
	s_mov_b32 s26, 0
	s_mov_b32 s27, exec_lo
	s_wait_loadcnt 0x0
	v_cmpx_lt_i16_e32 0x7f, v4
	s_xor_b32 s27, exec_lo, s27
	s_cbranch_execz .LBB70_577
; %bb.557:
	s_mov_b32 s26, -1
	s_mov_b32 s28, exec_lo
	v_cmpx_eq_u16_e32 0x80, v4
; %bb.558:
	s_xor_b32 s26, exec_lo, -1
; %bb.559:
	s_or_b32 exec_lo, exec_lo, s28
	s_delay_alu instid0(SALU_CYCLE_1)
	s_and_b32 s26, s26, exec_lo
	s_or_saveexec_b32 s27, s27
	v_mov_b32_e32 v1, 0x7f800001
	s_xor_b32 exec_lo, exec_lo, s27
	s_cbranch_execnz .LBB70_578
.LBB70_560:
	s_or_b32 exec_lo, exec_lo, s27
	s_and_saveexec_b32 s27, s26
	s_cbranch_execz .LBB70_562
.LBB70_561:
	v_and_b32_e32 v1, 0xffff, v4
	s_delay_alu instid0(VALU_DEP_1) | instskip(SKIP_1) | instid1(VALU_DEP_2)
	v_and_b32_e32 v5, 7, v1
	v_bfe_u32 v8, v1, 3, 4
	v_clz_i32_u32_e32 v6, v5
	s_delay_alu instid0(VALU_DEP_2) | instskip(NEXT) | instid1(VALU_DEP_2)
	v_cmp_eq_u32_e32 vcc_lo, 0, v8
	v_min_u32_e32 v6, 32, v6
	s_delay_alu instid0(VALU_DEP_1) | instskip(NEXT) | instid1(VALU_DEP_1)
	v_subrev_nc_u32_e32 v7, 28, v6
	v_dual_lshlrev_b32 v1, v7, v1 :: v_dual_sub_nc_u32 v6, 29, v6
	s_delay_alu instid0(VALU_DEP_1) | instskip(NEXT) | instid1(VALU_DEP_1)
	v_dual_lshlrev_b32 v4, 24, v4 :: v_dual_bitop2_b32 v1, 7, v1 bitop3:0x40
	v_dual_cndmask_b32 v6, v8, v6 :: v_dual_cndmask_b32 v1, v5, v1
	s_delay_alu instid0(VALU_DEP_2) | instskip(NEXT) | instid1(VALU_DEP_2)
	v_and_b32_e32 v4, 0x80000000, v4
	v_lshl_add_u32 v5, v6, 23, 0x3b800000
	s_delay_alu instid0(VALU_DEP_3) | instskip(NEXT) | instid1(VALU_DEP_1)
	v_lshlrev_b32_e32 v1, 20, v1
	v_or3_b32 v1, v4, v5, v1
.LBB70_562:
	s_or_b32 exec_lo, exec_lo, s27
.LBB70_563:
	s_mov_b32 s26, -1
.LBB70_564:
	s_mov_b32 s27, 0
.LBB70_565:
	s_delay_alu instid0(SALU_CYCLE_1)
	s_and_b32 vcc_lo, exec_lo, s27
	s_cbranch_vccz .LBB70_600
; %bb.566:
	s_cmp_gt_i32 s23, 22
	s_cbranch_scc0 .LBB70_576
; %bb.567:
	s_cmp_lt_i32 s23, 24
	s_cbranch_scc1 .LBB70_579
; %bb.568:
	s_cmp_gt_i32 s23, 24
	s_cbranch_scc0 .LBB70_580
; %bb.569:
	global_load_u8 v4, v[2:3], off
	s_mov_b32 s26, 0
	s_mov_b32 s27, exec_lo
	s_wait_loadcnt 0x0
	v_cmpx_lt_i16_e32 0x7f, v4
	s_xor_b32 s27, exec_lo, s27
	s_cbranch_execz .LBB70_592
; %bb.570:
	s_mov_b32 s26, -1
	s_mov_b32 s28, exec_lo
	v_cmpx_eq_u16_e32 0x80, v4
; %bb.571:
	s_xor_b32 s26, exec_lo, -1
; %bb.572:
	s_or_b32 exec_lo, exec_lo, s28
	s_delay_alu instid0(SALU_CYCLE_1)
	s_and_b32 s26, s26, exec_lo
	s_or_saveexec_b32 s27, s27
	v_mov_b32_e32 v1, 0x7f800001
	s_xor_b32 exec_lo, exec_lo, s27
	s_cbranch_execnz .LBB70_593
.LBB70_573:
	s_or_b32 exec_lo, exec_lo, s27
	s_and_saveexec_b32 s27, s26
	s_cbranch_execz .LBB70_575
.LBB70_574:
	v_and_b32_e32 v1, 0xffff, v4
	s_delay_alu instid0(VALU_DEP_1) | instskip(SKIP_1) | instid1(VALU_DEP_2)
	v_and_b32_e32 v5, 3, v1
	v_bfe_u32 v8, v1, 2, 5
	v_clz_i32_u32_e32 v6, v5
	s_delay_alu instid0(VALU_DEP_2) | instskip(NEXT) | instid1(VALU_DEP_2)
	v_cmp_eq_u32_e32 vcc_lo, 0, v8
	v_min_u32_e32 v6, 32, v6
	s_delay_alu instid0(VALU_DEP_1) | instskip(NEXT) | instid1(VALU_DEP_1)
	v_subrev_nc_u32_e32 v7, 29, v6
	v_dual_lshlrev_b32 v1, v7, v1 :: v_dual_sub_nc_u32 v6, 30, v6
	s_delay_alu instid0(VALU_DEP_1) | instskip(NEXT) | instid1(VALU_DEP_1)
	v_dual_lshlrev_b32 v4, 24, v4 :: v_dual_bitop2_b32 v1, 3, v1 bitop3:0x40
	v_dual_cndmask_b32 v6, v8, v6 :: v_dual_cndmask_b32 v1, v5, v1
	s_delay_alu instid0(VALU_DEP_2) | instskip(NEXT) | instid1(VALU_DEP_2)
	v_and_b32_e32 v4, 0x80000000, v4
	v_lshl_add_u32 v5, v6, 23, 0x37800000
	s_delay_alu instid0(VALU_DEP_3) | instskip(NEXT) | instid1(VALU_DEP_1)
	v_lshlrev_b32_e32 v1, 21, v1
	v_or3_b32 v1, v4, v5, v1
.LBB70_575:
	s_or_b32 exec_lo, exec_lo, s27
	s_mov_b32 s26, 0
	s_branch .LBB70_581
.LBB70_576:
	s_mov_b32 s27, -1
                                        ; implicit-def: $vgpr1
	s_branch .LBB70_587
.LBB70_577:
	s_or_saveexec_b32 s27, s27
	v_mov_b32_e32 v1, 0x7f800001
	s_xor_b32 exec_lo, exec_lo, s27
	s_cbranch_execz .LBB70_560
.LBB70_578:
	v_cmp_ne_u16_e32 vcc_lo, 0, v4
	v_mov_b32_e32 v1, 0
	s_and_not1_b32 s26, s26, exec_lo
	s_and_b32 s28, vcc_lo, exec_lo
	s_delay_alu instid0(SALU_CYCLE_1)
	s_or_b32 s26, s26, s28
	s_or_b32 exec_lo, exec_lo, s27
	s_and_saveexec_b32 s27, s26
	s_cbranch_execnz .LBB70_561
	s_branch .LBB70_562
.LBB70_579:
	s_mov_b32 s26, -1
                                        ; implicit-def: $vgpr1
	s_branch .LBB70_584
.LBB70_580:
	s_mov_b32 s26, -1
                                        ; implicit-def: $vgpr1
.LBB70_581:
	s_delay_alu instid0(SALU_CYCLE_1)
	s_and_b32 vcc_lo, exec_lo, s26
	s_cbranch_vccz .LBB70_583
; %bb.582:
	global_load_u8 v1, v[2:3], off
	s_wait_loadcnt 0x0
	v_lshlrev_b32_e32 v1, 24, v1
	s_delay_alu instid0(VALU_DEP_1) | instskip(NEXT) | instid1(VALU_DEP_1)
	v_and_b32_e32 v4, 0x7f000000, v1
	v_clz_i32_u32_e32 v5, v4
	v_cmp_ne_u32_e32 vcc_lo, 0, v4
	v_add_nc_u32_e32 v7, 0x1000000, v4
	s_delay_alu instid0(VALU_DEP_3) | instskip(NEXT) | instid1(VALU_DEP_1)
	v_min_u32_e32 v5, 32, v5
	v_sub_nc_u32_e64 v5, v5, 4 clamp
	s_delay_alu instid0(VALU_DEP_1) | instskip(NEXT) | instid1(VALU_DEP_1)
	v_dual_lshlrev_b32 v6, v5, v4 :: v_dual_lshlrev_b32 v5, 23, v5
	v_lshrrev_b32_e32 v6, 4, v6
	s_delay_alu instid0(VALU_DEP_1) | instskip(NEXT) | instid1(VALU_DEP_1)
	v_dual_sub_nc_u32 v5, v6, v5 :: v_dual_ashrrev_i32 v6, 8, v7
	v_add_nc_u32_e32 v5, 0x3c000000, v5
	s_delay_alu instid0(VALU_DEP_1) | instskip(NEXT) | instid1(VALU_DEP_1)
	v_and_or_b32 v5, 0x7f800000, v6, v5
	v_cndmask_b32_e32 v4, 0, v5, vcc_lo
	s_delay_alu instid0(VALU_DEP_1)
	v_and_or_b32 v1, 0x80000000, v1, v4
.LBB70_583:
	s_mov_b32 s26, 0
.LBB70_584:
	s_delay_alu instid0(SALU_CYCLE_1)
	s_and_not1_b32 vcc_lo, exec_lo, s26
	s_cbranch_vccnz .LBB70_586
; %bb.585:
	global_load_u8 v1, v[2:3], off
	s_wait_loadcnt 0x0
	v_lshlrev_b32_e32 v4, 25, v1
	v_lshlrev_b16 v1, 8, v1
	s_delay_alu instid0(VALU_DEP_1) | instskip(SKIP_1) | instid1(VALU_DEP_2)
	v_and_or_b32 v6, 0x7f00, v1, 0.5
	v_bfe_i32 v1, v1, 0, 16
	v_dual_add_f32 v6, -0.5, v6 :: v_dual_lshrrev_b32 v5, 4, v4
	v_cmp_gt_u32_e32 vcc_lo, 0x8000000, v4
	s_delay_alu instid0(VALU_DEP_2) | instskip(NEXT) | instid1(VALU_DEP_1)
	v_or_b32_e32 v5, 0x70000000, v5
	v_mul_f32_e32 v5, 0x7800000, v5
	s_delay_alu instid0(VALU_DEP_1) | instskip(NEXT) | instid1(VALU_DEP_1)
	v_cndmask_b32_e32 v4, v5, v6, vcc_lo
	v_and_or_b32 v1, 0x80000000, v1, v4
.LBB70_586:
	s_mov_b32 s27, 0
	s_mov_b32 s26, -1
.LBB70_587:
	s_and_not1_b32 vcc_lo, exec_lo, s27
	s_cbranch_vccnz .LBB70_600
; %bb.588:
	s_cmp_gt_i32 s23, 14
	s_cbranch_scc0 .LBB70_591
; %bb.589:
	s_cmp_eq_u32 s23, 15
	s_cbranch_scc0 .LBB70_594
; %bb.590:
	global_load_u16 v1, v[2:3], off
	s_mov_b32 s26, -1
	s_mov_b32 s24, 0
	s_wait_loadcnt 0x0
	v_lshlrev_b32_e32 v1, 16, v1
	s_branch .LBB70_595
.LBB70_591:
	s_mov_b32 s27, -1
                                        ; implicit-def: $vgpr1
	s_branch .LBB70_596
.LBB70_592:
	s_or_saveexec_b32 s27, s27
	v_mov_b32_e32 v1, 0x7f800001
	s_xor_b32 exec_lo, exec_lo, s27
	s_cbranch_execz .LBB70_573
.LBB70_593:
	v_cmp_ne_u16_e32 vcc_lo, 0, v4
	v_mov_b32_e32 v1, 0
	s_and_not1_b32 s26, s26, exec_lo
	s_and_b32 s28, vcc_lo, exec_lo
	s_delay_alu instid0(SALU_CYCLE_1)
	s_or_b32 s26, s26, s28
	s_or_b32 exec_lo, exec_lo, s27
	s_and_saveexec_b32 s27, s26
	s_cbranch_execnz .LBB70_574
	s_branch .LBB70_575
.LBB70_594:
	s_mov_b32 s24, -1
                                        ; implicit-def: $vgpr1
.LBB70_595:
	s_mov_b32 s27, 0
.LBB70_596:
	s_delay_alu instid0(SALU_CYCLE_1)
	s_and_b32 vcc_lo, exec_lo, s27
	s_cbranch_vccz .LBB70_600
; %bb.597:
	s_cmp_eq_u32 s23, 11
	s_cbranch_scc0 .LBB70_599
; %bb.598:
	global_load_u8 v1, v[2:3], off
	s_mov_b32 s24, 0
	s_mov_b32 s26, -1
	s_wait_loadcnt 0x0
	v_cmp_ne_u16_e32 vcc_lo, 0, v1
	v_cndmask_b32_e64 v1, 0, 1.0, vcc_lo
	s_branch .LBB70_600
.LBB70_599:
	s_mov_b32 s24, -1
                                        ; implicit-def: $vgpr1
.LBB70_600:
	s_mov_b32 s23, 0
.LBB70_601:
	s_delay_alu instid0(SALU_CYCLE_1)
	s_and_b32 vcc_lo, exec_lo, s23
	s_cbranch_vccz .LBB70_650
; %bb.602:
	s_and_b32 s0, 0xffff, s0
	s_delay_alu instid0(SALU_CYCLE_1)
	s_cmp_lt_i32 s0, 5
	s_cbranch_scc1 .LBB70_607
; %bb.603:
	s_cmp_lt_i32 s0, 8
	s_cbranch_scc1 .LBB70_608
; %bb.604:
	;; [unrolled: 3-line block ×3, first 2 shown]
	s_cmp_gt_i32 s0, 9
	s_cbranch_scc0 .LBB70_610
; %bb.606:
	global_load_b64 v[4:5], v[2:3], off
	s_mov_b32 s23, 0
	s_wait_loadcnt 0x0
	v_cvt_f32_f64_e32 v1, v[4:5]
	s_branch .LBB70_611
.LBB70_607:
	s_mov_b32 s23, -1
                                        ; implicit-def: $vgpr1
	s_branch .LBB70_629
.LBB70_608:
	s_mov_b32 s23, -1
                                        ; implicit-def: $vgpr1
	s_branch .LBB70_617
.LBB70_609:
	s_mov_b32 s23, -1
                                        ; implicit-def: $vgpr1
	s_branch .LBB70_614
.LBB70_610:
	s_mov_b32 s23, -1
                                        ; implicit-def: $vgpr1
.LBB70_611:
	s_delay_alu instid0(SALU_CYCLE_1)
	s_and_not1_b32 vcc_lo, exec_lo, s23
	s_cbranch_vccnz .LBB70_613
; %bb.612:
	global_load_b32 v1, v[2:3], off
.LBB70_613:
	s_mov_b32 s23, 0
.LBB70_614:
	s_delay_alu instid0(SALU_CYCLE_1)
	s_and_not1_b32 vcc_lo, exec_lo, s23
	s_cbranch_vccnz .LBB70_616
; %bb.615:
	s_wait_loadcnt 0x0
	global_load_b32 v1, v[2:3], off
	s_wait_loadcnt 0x0
	v_cvt_f32_f16_e32 v1, v1
.LBB70_616:
	s_mov_b32 s23, 0
.LBB70_617:
	s_delay_alu instid0(SALU_CYCLE_1)
	s_and_not1_b32 vcc_lo, exec_lo, s23
	s_cbranch_vccnz .LBB70_628
; %bb.618:
	s_cmp_lt_i32 s0, 6
	s_cbranch_scc1 .LBB70_621
; %bb.619:
	s_cmp_gt_i32 s0, 6
	s_cbranch_scc0 .LBB70_622
; %bb.620:
	global_load_b64 v[4:5], v[2:3], off
	s_mov_b32 s23, 0
	s_wait_loadcnt 0x0
	v_cvt_f32_f64_e32 v1, v[4:5]
	s_branch .LBB70_623
.LBB70_621:
	s_mov_b32 s23, -1
                                        ; implicit-def: $vgpr1
	s_branch .LBB70_626
.LBB70_622:
	s_mov_b32 s23, -1
                                        ; implicit-def: $vgpr1
.LBB70_623:
	s_delay_alu instid0(SALU_CYCLE_1)
	s_and_not1_b32 vcc_lo, exec_lo, s23
	s_cbranch_vccnz .LBB70_625
; %bb.624:
	s_wait_loadcnt 0x0
	global_load_b32 v1, v[2:3], off
.LBB70_625:
	s_mov_b32 s23, 0
.LBB70_626:
	s_delay_alu instid0(SALU_CYCLE_1)
	s_and_not1_b32 vcc_lo, exec_lo, s23
	s_cbranch_vccnz .LBB70_628
; %bb.627:
	s_wait_loadcnt 0x0
	global_load_u16 v1, v[2:3], off
	s_wait_loadcnt 0x0
	v_cvt_f32_f16_e32 v1, v1
.LBB70_628:
	s_mov_b32 s23, 0
.LBB70_629:
	s_delay_alu instid0(SALU_CYCLE_1)
	s_and_not1_b32 vcc_lo, exec_lo, s23
	s_cbranch_vccnz .LBB70_649
; %bb.630:
	s_cmp_lt_i32 s0, 2
	s_cbranch_scc1 .LBB70_634
; %bb.631:
	s_cmp_lt_i32 s0, 3
	s_cbranch_scc1 .LBB70_635
; %bb.632:
	s_cmp_gt_i32 s0, 3
	s_cbranch_scc0 .LBB70_636
; %bb.633:
	global_load_b64 v[4:5], v[2:3], off
	s_mov_b32 s23, 0
	s_wait_loadcnt 0x0
	v_xor_b32_e32 v1, v4, v5
	v_cls_i32_e32 v6, v5
	s_delay_alu instid0(VALU_DEP_2) | instskip(NEXT) | instid1(VALU_DEP_1)
	v_ashrrev_i32_e32 v1, 31, v1
	v_add_nc_u32_e32 v1, 32, v1
	s_delay_alu instid0(VALU_DEP_1) | instskip(NEXT) | instid1(VALU_DEP_1)
	v_add_min_u32_e64 v1, v6, -1, v1
	v_lshlrev_b64_e32 v[4:5], v1, v[4:5]
	v_sub_nc_u32_e32 v1, 32, v1
	s_delay_alu instid0(VALU_DEP_2) | instskip(NEXT) | instid1(VALU_DEP_1)
	v_min_u32_e32 v4, 1, v4
	v_or_b32_e32 v4, v5, v4
	s_delay_alu instid0(VALU_DEP_1) | instskip(NEXT) | instid1(VALU_DEP_1)
	v_cvt_f32_i32_e32 v4, v4
	v_ldexp_f32 v1, v4, v1
	s_branch .LBB70_637
.LBB70_634:
	s_mov_b32 s23, -1
                                        ; implicit-def: $vgpr1
	s_branch .LBB70_643
.LBB70_635:
	s_mov_b32 s23, -1
                                        ; implicit-def: $vgpr1
	s_branch .LBB70_640
.LBB70_636:
	s_mov_b32 s23, -1
                                        ; implicit-def: $vgpr1
.LBB70_637:
	s_delay_alu instid0(SALU_CYCLE_1)
	s_and_not1_b32 vcc_lo, exec_lo, s23
	s_cbranch_vccnz .LBB70_639
; %bb.638:
	s_wait_loadcnt 0x0
	global_load_b32 v1, v[2:3], off
	s_wait_loadcnt 0x0
	v_cvt_f32_i32_e32 v1, v1
.LBB70_639:
	s_mov_b32 s23, 0
.LBB70_640:
	s_delay_alu instid0(SALU_CYCLE_1)
	s_and_not1_b32 vcc_lo, exec_lo, s23
	s_cbranch_vccnz .LBB70_642
; %bb.641:
	s_wait_loadcnt 0x0
	global_load_i16 v1, v[2:3], off
	s_wait_loadcnt 0x0
	v_cvt_f32_i32_e32 v1, v1
.LBB70_642:
	s_mov_b32 s23, 0
.LBB70_643:
	s_delay_alu instid0(SALU_CYCLE_1)
	s_and_not1_b32 vcc_lo, exec_lo, s23
	s_cbranch_vccnz .LBB70_649
; %bb.644:
	s_cmp_gt_i32 s0, 0
	s_mov_b32 s0, 0
	s_cbranch_scc0 .LBB70_646
; %bb.645:
	s_wait_loadcnt 0x0
	global_load_i8 v1, v[2:3], off
	s_wait_loadcnt 0x0
	v_cvt_f32_i32_e32 v1, v1
	s_branch .LBB70_647
.LBB70_646:
	s_mov_b32 s0, -1
                                        ; implicit-def: $vgpr1
.LBB70_647:
	s_delay_alu instid0(SALU_CYCLE_1)
	s_and_not1_b32 vcc_lo, exec_lo, s0
	s_cbranch_vccnz .LBB70_649
; %bb.648:
	s_wait_loadcnt 0x0
	global_load_u8 v1, v[2:3], off
	s_wait_loadcnt 0x0
	v_cvt_f32_ubyte0_e32 v1, v1
.LBB70_649:
	s_mov_b32 s26, -1
.LBB70_650:
	s_delay_alu instid0(SALU_CYCLE_1)
	s_and_not1_b32 vcc_lo, exec_lo, s26
	s_cbranch_vccnz .LBB70_660
; %bb.651:
	s_wait_loadcnt 0x0
	s_delay_alu instid0(VALU_DEP_1) | instskip(SKIP_2) | instid1(VALU_DEP_1)
	v_mul_f32_e32 v1, s11, v1
	s_mov_b32 s0, exec_lo
	s_wait_xcnt 0x0
	v_cmpx_nlt_f32_e32 s2, v1
	s_cbranch_execz .LBB70_653
; %bb.652:
	v_mul_f32_e32 v2, 0x3fb8aa3b, v1
	v_cmp_ngt_f32_e32 vcc_lo, 0xc2ce8ed0, v1
	s_delay_alu instid0(VALU_DEP_2) | instskip(SKIP_1) | instid1(VALU_DEP_2)
	v_rndne_f32_e32 v3, v2
	v_fma_f32 v4, 0x3fb8aa3b, v1, -v2
	v_sub_f32_e32 v2, v2, v3
	s_delay_alu instid0(VALU_DEP_2) | instskip(SKIP_1) | instid1(VALU_DEP_2)
	v_fmamk_f32 v4, v1, 0x32a5705f, v4
	v_cvt_i32_f32_e32 v3, v3
	v_add_f32_e32 v2, v2, v4
	s_delay_alu instid0(VALU_DEP_1) | instskip(SKIP_1) | instid1(TRANS32_DEP_1)
	v_exp_f32_e32 v2, v2
	v_nop
	v_ldexp_f32 v2, v2, v3
	s_delay_alu instid0(VALU_DEP_1) | instskip(SKIP_1) | instid1(VALU_DEP_2)
	v_cndmask_b32_e32 v2, 0, v2, vcc_lo
	v_cmp_nlt_f32_e32 vcc_lo, 0x42b17218, v1
	v_cndmask_b32_e32 v1, 0x7f800000, v2, vcc_lo
	s_delay_alu instid0(VALU_DEP_1) | instskip(NEXT) | instid1(VALU_DEP_1)
	v_dual_mul_f32 v0, v0, v1 :: v_dual_add_f32 v1, 1.0, v1
	v_div_scale_f32 v2, null, v1, v1, v0
	s_delay_alu instid0(VALU_DEP_1) | instskip(SKIP_1) | instid1(TRANS32_DEP_1)
	v_rcp_f32_e32 v3, v2
	v_nop
	v_fma_f32 v4, -v2, v3, 1.0
	s_delay_alu instid0(VALU_DEP_1) | instskip(SKIP_1) | instid1(VALU_DEP_1)
	v_fmac_f32_e32 v3, v4, v3
	v_div_scale_f32 v4, vcc_lo, v0, v1, v0
	v_mul_f32_e32 v5, v4, v3
	s_delay_alu instid0(VALU_DEP_1) | instskip(NEXT) | instid1(VALU_DEP_1)
	v_fma_f32 v6, -v2, v5, v4
	v_fmac_f32_e32 v5, v6, v3
	s_delay_alu instid0(VALU_DEP_1) | instskip(NEXT) | instid1(VALU_DEP_1)
	v_fma_f32 v2, -v2, v5, v4
	v_div_fmas_f32 v2, v2, v3, v5
	s_delay_alu instid0(VALU_DEP_1)
	v_div_fixup_f32 v0, v2, v1, v0
.LBB70_653:
	s_or_b32 exec_lo, exec_lo, s0
	v_mul_lo_u32 v2, v12, s8
	s_and_b32 s23, s3, 0xff
	s_delay_alu instid0(SALU_CYCLE_1) | instskip(NEXT) | instid1(VALU_DEP_1)
	s_cmp_lt_i32 s23, 11
	v_ashrrev_i32_e32 v3, 31, v2
	s_delay_alu instid0(VALU_DEP_1)
	v_add_nc_u64_e32 v[2:3], s[4:5], v[2:3]
	s_cbranch_scc1 .LBB70_661
; %bb.654:
	s_and_b32 s26, 0xffff, s23
	s_delay_alu instid0(SALU_CYCLE_1)
	s_cmp_gt_i32 s26, 25
	s_cbranch_scc0 .LBB70_662
; %bb.655:
	s_cmp_gt_i32 s26, 28
	s_cbranch_scc0 .LBB70_663
; %bb.656:
	;; [unrolled: 3-line block ×4, first 2 shown]
	s_mov_b32 s28, 0
	s_mov_b32 s0, -1
	s_cmp_eq_u32 s26, 46
	s_mov_b32 s27, 0
	s_cbranch_scc0 .LBB70_666
; %bb.659:
	v_bfe_u32 v1, v0, 16, 1
	v_cmp_o_f32_e32 vcc_lo, v0, v0
	s_mov_b32 s27, -1
	s_mov_b32 s0, 0
	s_delay_alu instid0(VALU_DEP_2) | instskip(NEXT) | instid1(VALU_DEP_1)
	v_add3_u32 v1, v0, v1, 0x7fff
	v_lshrrev_b32_e32 v1, 16, v1
	s_delay_alu instid0(VALU_DEP_1)
	v_cndmask_b32_e32 v1, 0x7fc0, v1, vcc_lo
	global_store_b32 v[2:3], v1, off
	s_branch .LBB70_666
.LBB70_660:
	s_mov_b32 s26, 0
	s_mov_b32 s0, s17
	s_branch .LBB70_777
.LBB70_661:
	s_mov_b32 s26, -1
	s_mov_b32 s27, 0
	s_mov_b32 s0, s17
	s_branch .LBB70_735
.LBB70_662:
	s_mov_b32 s28, -1
	s_mov_b32 s27, 0
	s_mov_b32 s0, s17
	s_branch .LBB70_693
.LBB70_663:
	s_mov_b32 s28, -1
	s_mov_b32 s27, 0
	s_mov_b32 s0, s17
	s_branch .LBB70_676
.LBB70_664:
	s_mov_b32 s28, -1
	s_mov_b32 s27, 0
	s_mov_b32 s0, s17
	s_branch .LBB70_672
.LBB70_665:
	s_mov_b32 s28, -1
	s_mov_b32 s27, 0
	s_mov_b32 s0, s17
.LBB70_666:
	s_and_b32 vcc_lo, exec_lo, s28
	s_cbranch_vccz .LBB70_671
; %bb.667:
	s_cmp_eq_u32 s26, 44
	s_mov_b32 s0, -1
	s_cbranch_scc0 .LBB70_671
; %bb.668:
	v_bfe_u32 v4, v0, 23, 8
	s_wait_xcnt 0x0
	v_mov_b32_e32 v1, 0xff
	s_mov_b32 s27, exec_lo
	s_delay_alu instid0(VALU_DEP_2)
	v_cmpx_ne_u32_e32 0xff, v4
	s_cbranch_execz .LBB70_670
; %bb.669:
	v_and_b32_e32 v1, 0x400000, v0
	v_and_or_b32 v4, 0x3fffff, v0, v4
	s_delay_alu instid0(VALU_DEP_2) | instskip(NEXT) | instid1(VALU_DEP_2)
	v_cmp_ne_u32_e32 vcc_lo, 0, v1
	v_cmp_ne_u32_e64 s0, 0, v4
	v_lshrrev_b32_e32 v1, 23, v0
	s_and_b32 s0, vcc_lo, s0
	s_delay_alu instid0(SALU_CYCLE_1) | instskip(NEXT) | instid1(VALU_DEP_1)
	v_cndmask_b32_e64 v4, 0, 1, s0
	v_add_nc_u32_e32 v1, v1, v4
.LBB70_670:
	s_or_b32 exec_lo, exec_lo, s27
	s_mov_b32 s27, -1
	s_mov_b32 s0, 0
	global_store_b8 v[2:3], v1, off
.LBB70_671:
	s_mov_b32 s28, 0
.LBB70_672:
	s_delay_alu instid0(SALU_CYCLE_1)
	s_and_b32 vcc_lo, exec_lo, s28
	s_cbranch_vccz .LBB70_675
; %bb.673:
	s_cmp_eq_u32 s26, 29
	s_mov_b32 s0, -1
	s_cbranch_scc0 .LBB70_675
; %bb.674:
	s_wait_xcnt 0x0
	v_trunc_f32_e32 v1, v0
	s_mov_b32 s27, -1
	s_mov_b32 s0, 0
	s_mov_b32 s28, 0
	s_delay_alu instid0(VALU_DEP_1) | instskip(NEXT) | instid1(VALU_DEP_1)
	v_mul_f32_e32 v4, 0x2f800000, v1
	v_floor_f32_e32 v4, v4
	s_delay_alu instid0(VALU_DEP_1) | instskip(SKIP_1) | instid1(VALU_DEP_2)
	v_fmamk_f32 v1, v4, 0xcf800000, v1
	v_cvt_u32_f32_e32 v5, v4
	v_cvt_u32_f32_e32 v4, v1
	global_store_b64 v[2:3], v[4:5], off
	s_branch .LBB70_676
.LBB70_675:
	s_mov_b32 s28, 0
.LBB70_676:
	s_delay_alu instid0(SALU_CYCLE_1)
	s_and_b32 vcc_lo, exec_lo, s28
	s_cbranch_vccz .LBB70_692
; %bb.677:
	s_cmp_lt_i32 s26, 27
	s_mov_b32 s27, -1
	s_cbranch_scc1 .LBB70_683
; %bb.678:
	s_wait_xcnt 0x0
	v_cvt_u32_f32_e32 v1, v0
	s_cmp_gt_i32 s26, 27
	s_cbranch_scc0 .LBB70_680
; %bb.679:
	s_mov_b32 s27, 0
	global_store_b32 v[2:3], v1, off
.LBB70_680:
	s_and_not1_b32 vcc_lo, exec_lo, s27
	s_cbranch_vccnz .LBB70_682
; %bb.681:
	global_store_b16 v[2:3], v1, off
.LBB70_682:
	s_mov_b32 s27, 0
.LBB70_683:
	s_delay_alu instid0(SALU_CYCLE_1)
	s_and_not1_b32 vcc_lo, exec_lo, s27
	s_cbranch_vccnz .LBB70_691
; %bb.684:
	s_wait_xcnt 0x0
	v_and_b32_e32 v1, 0x7fffffff, v0
	v_mov_b32_e32 v4, 0x80
	s_mov_b32 s27, exec_lo
	s_delay_alu instid0(VALU_DEP_2)
	v_cmpx_gt_u32_e32 0x43800000, v1
	s_cbranch_execz .LBB70_690
; %bb.685:
	v_cmp_lt_u32_e32 vcc_lo, 0x3bffffff, v1
	s_mov_b32 s28, 0
                                        ; implicit-def: $vgpr1
	s_and_saveexec_b32 s29, vcc_lo
	s_delay_alu instid0(SALU_CYCLE_1)
	s_xor_b32 s29, exec_lo, s29
	s_cbranch_execz .LBB70_793
; %bb.686:
	v_bfe_u32 v1, v0, 20, 1
	s_mov_b32 s28, exec_lo
	s_delay_alu instid0(VALU_DEP_1) | instskip(NEXT) | instid1(VALU_DEP_1)
	v_add3_u32 v1, v0, v1, 0x487ffff
	v_lshrrev_b32_e32 v1, 20, v1
	s_and_not1_saveexec_b32 s29, s29
	s_cbranch_execnz .LBB70_794
.LBB70_687:
	s_or_b32 exec_lo, exec_lo, s29
	v_mov_b32_e32 v4, 0
	s_and_saveexec_b32 s29, s28
.LBB70_688:
	v_lshrrev_b32_e32 v4, 24, v0
	s_delay_alu instid0(VALU_DEP_1)
	v_and_or_b32 v4, 0x80, v4, v1
.LBB70_689:
	s_or_b32 exec_lo, exec_lo, s29
.LBB70_690:
	s_delay_alu instid0(SALU_CYCLE_1)
	s_or_b32 exec_lo, exec_lo, s27
	global_store_b8 v[2:3], v4, off
.LBB70_691:
	s_mov_b32 s27, -1
.LBB70_692:
	s_mov_b32 s28, 0
.LBB70_693:
	s_delay_alu instid0(SALU_CYCLE_1)
	s_and_b32 vcc_lo, exec_lo, s28
	s_cbranch_vccz .LBB70_734
; %bb.694:
	s_cmp_gt_i32 s26, 22
	s_mov_b32 s28, -1
	s_cbranch_scc0 .LBB70_726
; %bb.695:
	s_cmp_lt_i32 s26, 24
	s_mov_b32 s27, -1
	s_cbranch_scc1 .LBB70_715
; %bb.696:
	s_cmp_gt_i32 s26, 24
	s_cbranch_scc0 .LBB70_704
; %bb.697:
	s_wait_xcnt 0x0
	v_and_b32_e32 v1, 0x7fffffff, v0
	v_mov_b32_e32 v4, 0x80
	s_mov_b32 s27, exec_lo
	s_delay_alu instid0(VALU_DEP_2)
	v_cmpx_gt_u32_e32 0x47800000, v1
	s_cbranch_execz .LBB70_703
; %bb.698:
	v_cmp_lt_u32_e32 vcc_lo, 0x37ffffff, v1
	s_mov_b32 s28, 0
                                        ; implicit-def: $vgpr1
	s_and_saveexec_b32 s29, vcc_lo
	s_delay_alu instid0(SALU_CYCLE_1)
	s_xor_b32 s29, exec_lo, s29
	s_cbranch_execz .LBB70_925
; %bb.699:
	v_bfe_u32 v1, v0, 21, 1
	s_mov_b32 s28, exec_lo
	s_delay_alu instid0(VALU_DEP_1) | instskip(NEXT) | instid1(VALU_DEP_1)
	v_add3_u32 v1, v0, v1, 0x88fffff
	v_lshrrev_b32_e32 v1, 21, v1
	s_and_not1_saveexec_b32 s29, s29
	s_cbranch_execnz .LBB70_926
.LBB70_700:
	s_or_b32 exec_lo, exec_lo, s29
	v_mov_b32_e32 v4, 0
	s_and_saveexec_b32 s29, s28
.LBB70_701:
	v_lshrrev_b32_e32 v4, 24, v0
	s_delay_alu instid0(VALU_DEP_1)
	v_and_or_b32 v4, 0x80, v4, v1
.LBB70_702:
	s_or_b32 exec_lo, exec_lo, s29
.LBB70_703:
	s_delay_alu instid0(SALU_CYCLE_1)
	s_or_b32 exec_lo, exec_lo, s27
	s_mov_b32 s27, 0
	global_store_b8 v[2:3], v4, off
.LBB70_704:
	s_and_b32 vcc_lo, exec_lo, s27
	s_cbranch_vccz .LBB70_714
; %bb.705:
	s_wait_xcnt 0x0
	v_and_b32_e32 v4, 0x7fffffff, v0
	s_mov_b32 s27, exec_lo
                                        ; implicit-def: $vgpr1
	s_delay_alu instid0(VALU_DEP_1)
	v_cmpx_gt_u32_e32 0x43f00000, v4
	s_xor_b32 s27, exec_lo, s27
	s_cbranch_execz .LBB70_711
; %bb.706:
	s_mov_b32 s28, exec_lo
                                        ; implicit-def: $vgpr1
	v_cmpx_lt_u32_e32 0x3c7fffff, v4
	s_xor_b32 s28, exec_lo, s28
; %bb.707:
	v_bfe_u32 v1, v0, 20, 1
	s_delay_alu instid0(VALU_DEP_1) | instskip(NEXT) | instid1(VALU_DEP_1)
	v_add3_u32 v1, v0, v1, 0x407ffff
	v_and_b32_e32 v4, 0xff00000, v1
	v_lshrrev_b32_e32 v1, 20, v1
	s_delay_alu instid0(VALU_DEP_2) | instskip(NEXT) | instid1(VALU_DEP_2)
	v_cmp_ne_u32_e32 vcc_lo, 0x7f00000, v4
	v_cndmask_b32_e32 v1, 0x7e, v1, vcc_lo
; %bb.708:
	s_and_not1_saveexec_b32 s28, s28
; %bb.709:
	v_add_f32_e64 v1, 0x46800000, |v0|
; %bb.710:
	s_or_b32 exec_lo, exec_lo, s28
                                        ; implicit-def: $vgpr4
.LBB70_711:
	s_and_not1_saveexec_b32 s27, s27
; %bb.712:
	v_mov_b32_e32 v1, 0x7f
	v_cmp_lt_u32_e32 vcc_lo, 0x7f800000, v4
	s_delay_alu instid0(VALU_DEP_2)
	v_cndmask_b32_e32 v1, 0x7e, v1, vcc_lo
; %bb.713:
	s_or_b32 exec_lo, exec_lo, s27
	v_lshrrev_b32_e32 v4, 24, v0
	s_delay_alu instid0(VALU_DEP_1)
	v_and_or_b32 v1, 0x80, v4, v1
	global_store_b8 v[2:3], v1, off
.LBB70_714:
	s_mov_b32 s27, 0
.LBB70_715:
	s_delay_alu instid0(SALU_CYCLE_1)
	s_and_not1_b32 vcc_lo, exec_lo, s27
	s_cbranch_vccnz .LBB70_725
; %bb.716:
	s_wait_xcnt 0x0
	v_and_b32_e32 v4, 0x7fffffff, v0
	s_mov_b32 s27, exec_lo
                                        ; implicit-def: $vgpr1
	s_delay_alu instid0(VALU_DEP_1)
	v_cmpx_gt_u32_e32 0x47800000, v4
	s_xor_b32 s27, exec_lo, s27
	s_cbranch_execz .LBB70_722
; %bb.717:
	s_mov_b32 s28, exec_lo
                                        ; implicit-def: $vgpr1
	v_cmpx_lt_u32_e32 0x387fffff, v4
	s_xor_b32 s28, exec_lo, s28
; %bb.718:
	v_bfe_u32 v1, v0, 21, 1
	s_delay_alu instid0(VALU_DEP_1) | instskip(NEXT) | instid1(VALU_DEP_1)
	v_add3_u32 v1, v0, v1, 0x80fffff
	v_lshrrev_b32_e32 v1, 21, v1
; %bb.719:
	s_and_not1_saveexec_b32 s28, s28
; %bb.720:
	v_add_f32_e64 v1, 0x43000000, |v0|
; %bb.721:
	s_or_b32 exec_lo, exec_lo, s28
                                        ; implicit-def: $vgpr4
.LBB70_722:
	s_and_not1_saveexec_b32 s27, s27
; %bb.723:
	v_mov_b32_e32 v1, 0x7f
	v_cmp_lt_u32_e32 vcc_lo, 0x7f800000, v4
	s_delay_alu instid0(VALU_DEP_2)
	v_cndmask_b32_e32 v1, 0x7c, v1, vcc_lo
; %bb.724:
	s_or_b32 exec_lo, exec_lo, s27
	v_lshrrev_b32_e32 v4, 24, v0
	s_delay_alu instid0(VALU_DEP_1)
	v_and_or_b32 v1, 0x80, v4, v1
	global_store_b8 v[2:3], v1, off
.LBB70_725:
	s_mov_b32 s28, 0
	s_mov_b32 s27, -1
.LBB70_726:
	s_and_not1_b32 vcc_lo, exec_lo, s28
	s_cbranch_vccnz .LBB70_734
; %bb.727:
	s_cmp_gt_i32 s26, 14
	s_mov_b32 s28, -1
	s_cbranch_scc0 .LBB70_731
; %bb.728:
	s_cmp_eq_u32 s26, 15
	s_mov_b32 s0, -1
	s_cbranch_scc0 .LBB70_730
; %bb.729:
	s_wait_xcnt 0x0
	v_bfe_u32 v1, v0, 16, 1
	v_cmp_o_f32_e32 vcc_lo, v0, v0
	s_mov_b32 s27, -1
	s_mov_b32 s0, 0
	s_delay_alu instid0(VALU_DEP_2) | instskip(NEXT) | instid1(VALU_DEP_1)
	v_add3_u32 v1, v0, v1, 0x7fff
	v_lshrrev_b32_e32 v1, 16, v1
	s_delay_alu instid0(VALU_DEP_1)
	v_cndmask_b32_e32 v1, 0x7fc0, v1, vcc_lo
	global_store_b16 v[2:3], v1, off
.LBB70_730:
	s_mov_b32 s28, 0
.LBB70_731:
	s_delay_alu instid0(SALU_CYCLE_1)
	s_and_b32 vcc_lo, exec_lo, s28
	s_cbranch_vccz .LBB70_734
; %bb.732:
	s_cmp_eq_u32 s26, 11
	s_mov_b32 s0, -1
	s_cbranch_scc0 .LBB70_734
; %bb.733:
	v_cmp_neq_f32_e32 vcc_lo, 0, v0
	s_mov_b32 s0, 0
	s_mov_b32 s27, -1
	s_wait_xcnt 0x0
	v_cndmask_b32_e64 v1, 0, 1, vcc_lo
	global_store_b8 v[2:3], v1, off
.LBB70_734:
	s_mov_b32 s26, 0
.LBB70_735:
	s_delay_alu instid0(SALU_CYCLE_1)
	s_and_b32 vcc_lo, exec_lo, s26
	s_cbranch_vccz .LBB70_774
; %bb.736:
	s_and_b32 s23, 0xffff, s23
	s_mov_b32 s26, -1
	s_cmp_lt_i32 s23, 5
	s_cbranch_scc1 .LBB70_757
; %bb.737:
	s_cmp_lt_i32 s23, 8
	s_cbranch_scc1 .LBB70_747
; %bb.738:
	;; [unrolled: 3-line block ×3, first 2 shown]
	s_cmp_gt_i32 s23, 9
	s_cbranch_scc0 .LBB70_741
; %bb.740:
	s_wait_xcnt 0x0
	v_cvt_f64_f32_e32 v[4:5], v0
	v_mov_b32_e32 v6, 0
	s_mov_b32 s26, 0
	s_delay_alu instid0(VALU_DEP_1)
	v_mov_b32_e32 v7, v6
	global_store_b128 v[2:3], v[4:7], off
.LBB70_741:
	s_and_not1_b32 vcc_lo, exec_lo, s26
	s_cbranch_vccnz .LBB70_743
; %bb.742:
	s_wait_xcnt 0x0
	v_mov_b32_e32 v1, 0
	global_store_b64 v[2:3], v[0:1], off
.LBB70_743:
	s_mov_b32 s26, 0
.LBB70_744:
	s_delay_alu instid0(SALU_CYCLE_1)
	s_and_not1_b32 vcc_lo, exec_lo, s26
	s_cbranch_vccnz .LBB70_746
; %bb.745:
	s_wait_xcnt 0x0
	v_cvt_f16_f32_e32 v1, v0
	s_delay_alu instid0(VALU_DEP_1)
	v_and_b32_e32 v1, 0xffff, v1
	global_store_b32 v[2:3], v1, off
.LBB70_746:
	s_mov_b32 s26, 0
.LBB70_747:
	s_delay_alu instid0(SALU_CYCLE_1)
	s_and_not1_b32 vcc_lo, exec_lo, s26
	s_cbranch_vccnz .LBB70_756
; %bb.748:
	s_cmp_lt_i32 s23, 6
	s_mov_b32 s26, -1
	s_cbranch_scc1 .LBB70_754
; %bb.749:
	s_cmp_gt_i32 s23, 6
	s_cbranch_scc0 .LBB70_751
; %bb.750:
	s_wait_xcnt 0x0
	v_cvt_f64_f32_e32 v[4:5], v0
	s_mov_b32 s26, 0
	global_store_b64 v[2:3], v[4:5], off
.LBB70_751:
	s_and_not1_b32 vcc_lo, exec_lo, s26
	s_cbranch_vccnz .LBB70_753
; %bb.752:
	global_store_b32 v[2:3], v0, off
.LBB70_753:
	s_mov_b32 s26, 0
.LBB70_754:
	s_delay_alu instid0(SALU_CYCLE_1)
	s_and_not1_b32 vcc_lo, exec_lo, s26
	s_cbranch_vccnz .LBB70_756
; %bb.755:
	s_wait_xcnt 0x0
	v_cvt_f16_f32_e32 v1, v0
	global_store_b16 v[2:3], v1, off
.LBB70_756:
	s_mov_b32 s26, 0
.LBB70_757:
	s_delay_alu instid0(SALU_CYCLE_1)
	s_and_not1_b32 vcc_lo, exec_lo, s26
	s_cbranch_vccnz .LBB70_773
; %bb.758:
	s_cmp_lt_i32 s23, 2
	s_mov_b32 s26, -1
	s_cbranch_scc1 .LBB70_768
; %bb.759:
	s_cmp_lt_i32 s23, 3
	s_cbranch_scc1 .LBB70_765
; %bb.760:
	s_cmp_gt_i32 s23, 3
	s_cbranch_scc0 .LBB70_762
; %bb.761:
	s_wait_xcnt 0x0
	v_trunc_f32_e32 v1, v0
	s_mov_b32 s26, 0
	s_delay_alu instid0(VALU_DEP_1) | instskip(NEXT) | instid1(VALU_DEP_1)
	v_mul_f32_e64 v4, 0x2f800000, |v1|
	v_floor_f32_e32 v5, v4
	v_ashrrev_i32_e32 v4, 31, v1
	s_delay_alu instid0(VALU_DEP_2) | instskip(SKIP_1) | instid1(VALU_DEP_3)
	v_fma_f32 v6, 0xcf800000, v5, |v1|
	v_cvt_u32_f32_e32 v1, v5
	v_mov_b32_e32 v5, v4
	s_delay_alu instid0(VALU_DEP_3) | instskip(NEXT) | instid1(VALU_DEP_3)
	v_cvt_u32_f32_e32 v6, v6
	v_xor_b32_e32 v7, v1, v4
	s_delay_alu instid0(VALU_DEP_2) | instskip(NEXT) | instid1(VALU_DEP_1)
	v_xor_b32_e32 v6, v6, v4
	v_sub_nc_u64_e32 v[4:5], v[6:7], v[4:5]
	global_store_b64 v[2:3], v[4:5], off
.LBB70_762:
	s_and_not1_b32 vcc_lo, exec_lo, s26
	s_cbranch_vccnz .LBB70_764
; %bb.763:
	s_wait_xcnt 0x0
	v_cvt_i32_f32_e32 v1, v0
	global_store_b32 v[2:3], v1, off
.LBB70_764:
	s_mov_b32 s26, 0
.LBB70_765:
	s_delay_alu instid0(SALU_CYCLE_1)
	s_and_not1_b32 vcc_lo, exec_lo, s26
	s_cbranch_vccnz .LBB70_767
; %bb.766:
	s_wait_xcnt 0x0
	v_cvt_i32_f32_e32 v1, v0
	global_store_b16 v[2:3], v1, off
.LBB70_767:
	s_mov_b32 s26, 0
.LBB70_768:
	s_delay_alu instid0(SALU_CYCLE_1)
	s_and_not1_b32 vcc_lo, exec_lo, s26
	s_cbranch_vccnz .LBB70_773
; %bb.769:
	s_cmp_gt_i32 s23, 0
	s_mov_b32 s23, -1
	s_cbranch_scc0 .LBB70_771
; %bb.770:
	s_wait_xcnt 0x0
	v_cvt_i32_f32_e32 v1, v0
	s_mov_b32 s23, 0
	global_store_b8 v[2:3], v1, off
.LBB70_771:
	s_and_not1_b32 vcc_lo, exec_lo, s23
	s_cbranch_vccnz .LBB70_773
; %bb.772:
	s_wait_xcnt 0x0
	v_trunc_f32_e32 v0, v0
	s_delay_alu instid0(VALU_DEP_1) | instskip(NEXT) | instid1(VALU_DEP_1)
	v_mul_f32_e64 v1, 0x2f800000, |v0|
	v_floor_f32_e32 v1, v1
	s_delay_alu instid0(VALU_DEP_1) | instskip(SKIP_1) | instid1(VALU_DEP_2)
	v_fma_f32 v1, 0xcf800000, v1, |v0|
	v_ashrrev_i32_e32 v0, 31, v0
	v_cvt_u32_f32_e32 v1, v1
	s_delay_alu instid0(VALU_DEP_1) | instskip(NEXT) | instid1(VALU_DEP_1)
	v_xor_b32_e32 v1, v1, v0
	v_sub_nc_u32_e32 v0, v1, v0
	global_store_b8 v[2:3], v0, off
.LBB70_773:
	s_mov_b32 s27, -1
.LBB70_774:
	s_delay_alu instid0(SALU_CYCLE_1)
	s_and_not1_b32 vcc_lo, exec_lo, s27
	s_cbranch_vccnz .LBB70_776
; %bb.775:
	v_add_nc_u32_e32 v12, 0x80, v12
	s_mov_b32 s26, -1
	s_branch .LBB70_778
.LBB70_776:
	s_mov_b32 s26, 0
.LBB70_777:
                                        ; implicit-def: $vgpr12
.LBB70_778:
	s_and_not1_b32 s23, s17, exec_lo
	s_and_b32 s0, s0, exec_lo
	s_and_b32 s24, s24, exec_lo
	s_or_b32 s23, s23, s0
	s_and_not1_b32 s0, s19, exec_lo
	s_and_not1_b32 s27, s20, exec_lo
	s_and_b32 s22, s22, exec_lo
	s_or_b32 s24, s0, s24
	s_or_b32 s22, s27, s22
	s_or_not1_b32 s27, s26, exec_lo
.LBB70_779:
	s_wait_xcnt 0x0
	s_or_b32 exec_lo, exec_lo, s25
	s_mov_b32 s26, 0
	s_mov_b32 s28, 0
	;; [unrolled: 1-line block ×3, first 2 shown]
                                        ; implicit-def: $sgpr0
                                        ; implicit-def: $vgpr2_vgpr3
                                        ; implicit-def: $vgpr0
	s_and_saveexec_b32 s25, s27
	s_cbranch_execz .LBB70_1256
; %bb.780:
	s_mov_b32 s34, -1
	s_mov_b32 s27, s22
	s_mov_b32 s28, s24
	s_mov_b32 s29, s23
	s_mov_b32 s26, exec_lo
	v_cmpx_gt_i32_e64 s18, v12
	s_cbranch_execz .LBB70_1172
; %bb.781:
	s_wait_loadcnt 0x0
	v_mul_lo_u32 v0, v12, s9
	s_and_b32 s0, s15, 0xff
	s_delay_alu instid0(SALU_CYCLE_1) | instskip(NEXT) | instid1(VALU_DEP_1)
	s_cmp_lt_i32 s0, 11
	v_ashrrev_i32_e32 v1, 31, v0
	s_delay_alu instid0(VALU_DEP_1)
	v_add_nc_u64_e32 v[2:3], s[6:7], v[0:1]
	s_cbranch_scc1 .LBB70_788
; %bb.782:
	s_and_b32 s28, 0xffff, s0
	s_delay_alu instid0(SALU_CYCLE_1)
	s_cmp_gt_i32 s28, 25
	s_cbranch_scc0 .LBB70_789
; %bb.783:
	s_cmp_gt_i32 s28, 28
	s_cbranch_scc0 .LBB70_790
; %bb.784:
	;; [unrolled: 3-line block ×4, first 2 shown]
	s_cmp_eq_u32 s28, 46
	s_mov_b32 s30, 0
	s_cbranch_scc0 .LBB70_795
; %bb.787:
	global_load_b32 v0, v[2:3], off
	s_mov_b32 s29, -1
	s_mov_b32 s27, 0
	s_wait_loadcnt 0x0
	v_lshlrev_b32_e32 v0, 16, v0
	s_branch .LBB70_797
.LBB70_788:
	s_mov_b32 s28, -1
	s_mov_b32 s29, 0
	s_mov_b32 s27, s22
                                        ; implicit-def: $vgpr0
	s_branch .LBB70_862
.LBB70_789:
	s_mov_b32 s30, -1
	s_mov_b32 s29, 0
	s_mov_b32 s27, s22
                                        ; implicit-def: $vgpr0
	s_branch .LBB70_826
.LBB70_790:
	s_mov_b32 s30, -1
	s_mov_b32 s29, 0
	s_mov_b32 s27, s22
                                        ; implicit-def: $vgpr0
	s_branch .LBB70_807
.LBB70_791:
	s_mov_b32 s30, -1
	s_mov_b32 s29, 0
	s_mov_b32 s27, s22
                                        ; implicit-def: $vgpr0
	s_branch .LBB70_802
.LBB70_792:
	s_mov_b32 s30, -1
	s_mov_b32 s29, 0
	s_mov_b32 s27, s22
	s_branch .LBB70_796
.LBB70_793:
	s_and_not1_saveexec_b32 s29, s29
	s_cbranch_execz .LBB70_687
.LBB70_794:
	v_add_f32_e64 v1, 0x46000000, |v0|
	s_and_not1_b32 s28, s28, exec_lo
	s_delay_alu instid0(VALU_DEP_1) | instskip(NEXT) | instid1(VALU_DEP_1)
	v_and_b32_e32 v1, 0xff, v1
	v_cmp_ne_u32_e32 vcc_lo, 0, v1
	s_and_b32 s30, vcc_lo, exec_lo
	s_delay_alu instid0(SALU_CYCLE_1)
	s_or_b32 s28, s28, s30
	s_or_b32 exec_lo, exec_lo, s29
	v_mov_b32_e32 v4, 0
	s_and_saveexec_b32 s29, s28
	s_cbranch_execnz .LBB70_688
	s_branch .LBB70_689
.LBB70_795:
	s_mov_b32 s27, -1
	s_mov_b32 s29, 0
.LBB70_796:
                                        ; implicit-def: $vgpr0
.LBB70_797:
	s_and_b32 vcc_lo, exec_lo, s30
	s_cbranch_vccz .LBB70_801
; %bb.798:
	s_cmp_eq_u32 s28, 44
	s_cbranch_scc0 .LBB70_800
; %bb.799:
	global_load_u8 v0, v[2:3], off
	s_mov_b32 s27, 0
	s_mov_b32 s29, -1
	s_wait_loadcnt 0x0
	v_lshlrev_b32_e32 v1, 23, v0
	v_cmp_ne_u32_e32 vcc_lo, 0xff, v0
	s_delay_alu instid0(VALU_DEP_2) | instskip(SKIP_1) | instid1(VALU_DEP_2)
	v_cndmask_b32_e32 v1, 0x7f800001, v1, vcc_lo
	v_cmp_ne_u32_e32 vcc_lo, 0, v0
	v_cndmask_b32_e32 v0, 0x400000, v1, vcc_lo
	s_branch .LBB70_801
.LBB70_800:
	s_mov_b32 s27, -1
                                        ; implicit-def: $vgpr0
.LBB70_801:
	s_mov_b32 s30, 0
.LBB70_802:
	s_delay_alu instid0(SALU_CYCLE_1)
	s_and_b32 vcc_lo, exec_lo, s30
	s_cbranch_vccz .LBB70_806
; %bb.803:
	s_cmp_eq_u32 s28, 29
	s_cbranch_scc0 .LBB70_805
; %bb.804:
	global_load_b64 v[0:1], v[2:3], off
	s_mov_b32 s29, -1
	s_mov_b32 s27, 0
	s_mov_b32 s30, 0
	s_wait_loadcnt 0x0
	v_clz_i32_u32_e32 v4, v1
	s_delay_alu instid0(VALU_DEP_1) | instskip(NEXT) | instid1(VALU_DEP_1)
	v_min_u32_e32 v4, 32, v4
	v_lshlrev_b64_e32 v[0:1], v4, v[0:1]
	s_delay_alu instid0(VALU_DEP_1) | instskip(NEXT) | instid1(VALU_DEP_1)
	v_min_u32_e32 v0, 1, v0
	v_or_b32_e32 v0, v1, v0
	v_sub_nc_u32_e32 v1, 32, v4
	s_delay_alu instid0(VALU_DEP_2) | instskip(NEXT) | instid1(VALU_DEP_1)
	v_cvt_f32_u32_e32 v0, v0
	v_ldexp_f32 v0, v0, v1
	s_branch .LBB70_807
.LBB70_805:
	s_mov_b32 s27, -1
                                        ; implicit-def: $vgpr0
.LBB70_806:
	s_mov_b32 s30, 0
.LBB70_807:
	s_delay_alu instid0(SALU_CYCLE_1)
	s_and_b32 vcc_lo, exec_lo, s30
	s_cbranch_vccz .LBB70_825
; %bb.808:
	s_cmp_lt_i32 s28, 27
	s_cbranch_scc1 .LBB70_811
; %bb.809:
	s_cmp_gt_i32 s28, 27
	s_cbranch_scc0 .LBB70_812
; %bb.810:
	global_load_b32 v0, v[2:3], off
	s_mov_b32 s29, 0
	s_wait_loadcnt 0x0
	v_cvt_f32_u32_e32 v0, v0
	s_branch .LBB70_813
.LBB70_811:
	s_mov_b32 s29, -1
                                        ; implicit-def: $vgpr0
	s_branch .LBB70_816
.LBB70_812:
	s_mov_b32 s29, -1
                                        ; implicit-def: $vgpr0
.LBB70_813:
	s_delay_alu instid0(SALU_CYCLE_1)
	s_and_not1_b32 vcc_lo, exec_lo, s29
	s_cbranch_vccnz .LBB70_815
; %bb.814:
	global_load_u16 v0, v[2:3], off
	s_wait_loadcnt 0x0
	v_cvt_f32_u32_e32 v0, v0
.LBB70_815:
	s_mov_b32 s29, 0
.LBB70_816:
	s_delay_alu instid0(SALU_CYCLE_1)
	s_and_not1_b32 vcc_lo, exec_lo, s29
	s_cbranch_vccnz .LBB70_824
; %bb.817:
	global_load_u8 v1, v[2:3], off
	s_mov_b32 s29, 0
	s_mov_b32 s30, exec_lo
	s_wait_loadcnt 0x0
	v_cmpx_lt_i16_e32 0x7f, v1
	s_xor_b32 s30, exec_lo, s30
	s_cbranch_execz .LBB70_838
; %bb.818:
	s_mov_b32 s29, -1
	s_mov_b32 s31, exec_lo
	v_cmpx_eq_u16_e32 0x80, v1
; %bb.819:
	s_xor_b32 s29, exec_lo, -1
; %bb.820:
	s_or_b32 exec_lo, exec_lo, s31
	s_delay_alu instid0(SALU_CYCLE_1)
	s_and_b32 s29, s29, exec_lo
	s_or_saveexec_b32 s30, s30
	v_mov_b32_e32 v0, 0x7f800001
	s_xor_b32 exec_lo, exec_lo, s30
	s_cbranch_execnz .LBB70_839
.LBB70_821:
	s_or_b32 exec_lo, exec_lo, s30
	s_and_saveexec_b32 s30, s29
	s_cbranch_execz .LBB70_823
.LBB70_822:
	v_and_b32_e32 v0, 0xffff, v1
	s_delay_alu instid0(VALU_DEP_1) | instskip(SKIP_1) | instid1(VALU_DEP_2)
	v_and_b32_e32 v4, 7, v0
	v_bfe_u32 v7, v0, 3, 4
	v_clz_i32_u32_e32 v5, v4
	s_delay_alu instid0(VALU_DEP_2) | instskip(NEXT) | instid1(VALU_DEP_2)
	v_cmp_eq_u32_e32 vcc_lo, 0, v7
	v_min_u32_e32 v5, 32, v5
	s_delay_alu instid0(VALU_DEP_1) | instskip(NEXT) | instid1(VALU_DEP_1)
	v_subrev_nc_u32_e32 v6, 28, v5
	v_dual_lshlrev_b32 v0, v6, v0 :: v_dual_sub_nc_u32 v5, 29, v5
	s_delay_alu instid0(VALU_DEP_1) | instskip(NEXT) | instid1(VALU_DEP_1)
	v_dual_lshlrev_b32 v1, 24, v1 :: v_dual_bitop2_b32 v0, 7, v0 bitop3:0x40
	v_dual_cndmask_b32 v0, v4, v0 :: v_dual_cndmask_b32 v5, v7, v5
	s_delay_alu instid0(VALU_DEP_2) | instskip(NEXT) | instid1(VALU_DEP_2)
	v_and_b32_e32 v1, 0x80000000, v1
	v_lshlrev_b32_e32 v0, 20, v0
	s_delay_alu instid0(VALU_DEP_3) | instskip(NEXT) | instid1(VALU_DEP_1)
	v_lshl_add_u32 v4, v5, 23, 0x3b800000
	v_or3_b32 v0, v1, v4, v0
.LBB70_823:
	s_or_b32 exec_lo, exec_lo, s30
.LBB70_824:
	s_mov_b32 s29, -1
.LBB70_825:
	s_mov_b32 s30, 0
.LBB70_826:
	s_delay_alu instid0(SALU_CYCLE_1)
	s_and_b32 vcc_lo, exec_lo, s30
	s_cbranch_vccz .LBB70_861
; %bb.827:
	s_cmp_gt_i32 s28, 22
	s_cbranch_scc0 .LBB70_837
; %bb.828:
	s_cmp_lt_i32 s28, 24
	s_cbranch_scc1 .LBB70_840
; %bb.829:
	s_cmp_gt_i32 s28, 24
	s_cbranch_scc0 .LBB70_841
; %bb.830:
	global_load_u8 v1, v[2:3], off
	s_mov_b32 s29, 0
	s_mov_b32 s30, exec_lo
	s_wait_loadcnt 0x0
	v_cmpx_lt_i16_e32 0x7f, v1
	s_xor_b32 s30, exec_lo, s30
	s_cbranch_execz .LBB70_853
; %bb.831:
	s_mov_b32 s29, -1
	s_mov_b32 s31, exec_lo
	v_cmpx_eq_u16_e32 0x80, v1
; %bb.832:
	s_xor_b32 s29, exec_lo, -1
; %bb.833:
	s_or_b32 exec_lo, exec_lo, s31
	s_delay_alu instid0(SALU_CYCLE_1)
	s_and_b32 s29, s29, exec_lo
	s_or_saveexec_b32 s30, s30
	v_mov_b32_e32 v0, 0x7f800001
	s_xor_b32 exec_lo, exec_lo, s30
	s_cbranch_execnz .LBB70_854
.LBB70_834:
	s_or_b32 exec_lo, exec_lo, s30
	s_and_saveexec_b32 s30, s29
	s_cbranch_execz .LBB70_836
.LBB70_835:
	v_and_b32_e32 v0, 0xffff, v1
	s_delay_alu instid0(VALU_DEP_1) | instskip(SKIP_1) | instid1(VALU_DEP_2)
	v_and_b32_e32 v4, 3, v0
	v_bfe_u32 v7, v0, 2, 5
	v_clz_i32_u32_e32 v5, v4
	s_delay_alu instid0(VALU_DEP_2) | instskip(NEXT) | instid1(VALU_DEP_2)
	v_cmp_eq_u32_e32 vcc_lo, 0, v7
	v_min_u32_e32 v5, 32, v5
	s_delay_alu instid0(VALU_DEP_1) | instskip(NEXT) | instid1(VALU_DEP_1)
	v_subrev_nc_u32_e32 v6, 29, v5
	v_dual_lshlrev_b32 v0, v6, v0 :: v_dual_sub_nc_u32 v5, 30, v5
	s_delay_alu instid0(VALU_DEP_1) | instskip(NEXT) | instid1(VALU_DEP_1)
	v_dual_lshlrev_b32 v1, 24, v1 :: v_dual_bitop2_b32 v0, 3, v0 bitop3:0x40
	v_dual_cndmask_b32 v0, v4, v0 :: v_dual_cndmask_b32 v5, v7, v5
	s_delay_alu instid0(VALU_DEP_2) | instskip(NEXT) | instid1(VALU_DEP_2)
	v_and_b32_e32 v1, 0x80000000, v1
	v_lshlrev_b32_e32 v0, 21, v0
	s_delay_alu instid0(VALU_DEP_3) | instskip(NEXT) | instid1(VALU_DEP_1)
	v_lshl_add_u32 v4, v5, 23, 0x37800000
	v_or3_b32 v0, v1, v4, v0
.LBB70_836:
	s_or_b32 exec_lo, exec_lo, s30
	s_mov_b32 s29, 0
	s_branch .LBB70_842
.LBB70_837:
	s_mov_b32 s30, -1
                                        ; implicit-def: $vgpr0
	s_branch .LBB70_848
.LBB70_838:
	s_or_saveexec_b32 s30, s30
	v_mov_b32_e32 v0, 0x7f800001
	s_xor_b32 exec_lo, exec_lo, s30
	s_cbranch_execz .LBB70_821
.LBB70_839:
	v_cmp_ne_u16_e32 vcc_lo, 0, v1
	v_mov_b32_e32 v0, 0
	s_and_not1_b32 s29, s29, exec_lo
	s_and_b32 s31, vcc_lo, exec_lo
	s_delay_alu instid0(SALU_CYCLE_1)
	s_or_b32 s29, s29, s31
	s_or_b32 exec_lo, exec_lo, s30
	s_and_saveexec_b32 s30, s29
	s_cbranch_execnz .LBB70_822
	s_branch .LBB70_823
.LBB70_840:
	s_mov_b32 s29, -1
                                        ; implicit-def: $vgpr0
	s_branch .LBB70_845
.LBB70_841:
	s_mov_b32 s29, -1
                                        ; implicit-def: $vgpr0
.LBB70_842:
	s_delay_alu instid0(SALU_CYCLE_1)
	s_and_b32 vcc_lo, exec_lo, s29
	s_cbranch_vccz .LBB70_844
; %bb.843:
	global_load_u8 v0, v[2:3], off
	s_wait_loadcnt 0x0
	v_lshlrev_b32_e32 v0, 24, v0
	s_delay_alu instid0(VALU_DEP_1) | instskip(NEXT) | instid1(VALU_DEP_1)
	v_and_b32_e32 v1, 0x7f000000, v0
	v_clz_i32_u32_e32 v4, v1
	v_cmp_ne_u32_e32 vcc_lo, 0, v1
	v_add_nc_u32_e32 v6, 0x1000000, v1
	s_delay_alu instid0(VALU_DEP_3) | instskip(NEXT) | instid1(VALU_DEP_1)
	v_min_u32_e32 v4, 32, v4
	v_sub_nc_u32_e64 v4, v4, 4 clamp
	s_delay_alu instid0(VALU_DEP_1) | instskip(NEXT) | instid1(VALU_DEP_1)
	v_dual_lshlrev_b32 v5, v4, v1 :: v_dual_lshlrev_b32 v4, 23, v4
	v_lshrrev_b32_e32 v5, 4, v5
	s_delay_alu instid0(VALU_DEP_1) | instskip(NEXT) | instid1(VALU_DEP_1)
	v_dual_sub_nc_u32 v4, v5, v4 :: v_dual_ashrrev_i32 v5, 8, v6
	v_add_nc_u32_e32 v4, 0x3c000000, v4
	s_delay_alu instid0(VALU_DEP_1) | instskip(NEXT) | instid1(VALU_DEP_1)
	v_and_or_b32 v4, 0x7f800000, v5, v4
	v_cndmask_b32_e32 v1, 0, v4, vcc_lo
	s_delay_alu instid0(VALU_DEP_1)
	v_and_or_b32 v0, 0x80000000, v0, v1
.LBB70_844:
	s_mov_b32 s29, 0
.LBB70_845:
	s_delay_alu instid0(SALU_CYCLE_1)
	s_and_not1_b32 vcc_lo, exec_lo, s29
	s_cbranch_vccnz .LBB70_847
; %bb.846:
	global_load_u8 v0, v[2:3], off
	s_wait_loadcnt 0x0
	v_lshlrev_b32_e32 v1, 25, v0
	v_lshlrev_b16 v0, 8, v0
	s_delay_alu instid0(VALU_DEP_1) | instskip(SKIP_1) | instid1(VALU_DEP_2)
	v_and_or_b32 v5, 0x7f00, v0, 0.5
	v_bfe_i32 v0, v0, 0, 16
	v_add_f32_e32 v5, -0.5, v5
	v_lshrrev_b32_e32 v4, 4, v1
	v_cmp_gt_u32_e32 vcc_lo, 0x8000000, v1
	s_delay_alu instid0(VALU_DEP_2) | instskip(NEXT) | instid1(VALU_DEP_1)
	v_or_b32_e32 v4, 0x70000000, v4
	v_mul_f32_e32 v4, 0x7800000, v4
	s_delay_alu instid0(VALU_DEP_1) | instskip(NEXT) | instid1(VALU_DEP_1)
	v_cndmask_b32_e32 v1, v4, v5, vcc_lo
	v_and_or_b32 v0, 0x80000000, v0, v1
.LBB70_847:
	s_mov_b32 s30, 0
	s_mov_b32 s29, -1
.LBB70_848:
	s_and_not1_b32 vcc_lo, exec_lo, s30
	s_cbranch_vccnz .LBB70_861
; %bb.849:
	s_cmp_gt_i32 s28, 14
	s_cbranch_scc0 .LBB70_852
; %bb.850:
	s_cmp_eq_u32 s28, 15
	s_cbranch_scc0 .LBB70_855
; %bb.851:
	global_load_u16 v0, v[2:3], off
	s_mov_b32 s29, -1
	s_mov_b32 s27, 0
	s_wait_loadcnt 0x0
	v_lshlrev_b32_e32 v0, 16, v0
	s_branch .LBB70_856
.LBB70_852:
	s_mov_b32 s30, -1
                                        ; implicit-def: $vgpr0
	s_branch .LBB70_857
.LBB70_853:
	s_or_saveexec_b32 s30, s30
	v_mov_b32_e32 v0, 0x7f800001
	s_xor_b32 exec_lo, exec_lo, s30
	s_cbranch_execz .LBB70_834
.LBB70_854:
	v_cmp_ne_u16_e32 vcc_lo, 0, v1
	v_mov_b32_e32 v0, 0
	s_and_not1_b32 s29, s29, exec_lo
	s_and_b32 s31, vcc_lo, exec_lo
	s_delay_alu instid0(SALU_CYCLE_1)
	s_or_b32 s29, s29, s31
	s_or_b32 exec_lo, exec_lo, s30
	s_and_saveexec_b32 s30, s29
	s_cbranch_execnz .LBB70_835
	s_branch .LBB70_836
.LBB70_855:
	s_mov_b32 s27, -1
                                        ; implicit-def: $vgpr0
.LBB70_856:
	s_mov_b32 s30, 0
.LBB70_857:
	s_delay_alu instid0(SALU_CYCLE_1)
	s_and_b32 vcc_lo, exec_lo, s30
	s_cbranch_vccz .LBB70_861
; %bb.858:
	s_cmp_eq_u32 s28, 11
	s_cbranch_scc0 .LBB70_860
; %bb.859:
	global_load_u8 v0, v[2:3], off
	s_mov_b32 s27, 0
	s_mov_b32 s29, -1
	s_wait_loadcnt 0x0
	v_cmp_ne_u16_e32 vcc_lo, 0, v0
	v_cndmask_b32_e64 v0, 0, 1.0, vcc_lo
	s_branch .LBB70_861
.LBB70_860:
	s_mov_b32 s27, -1
                                        ; implicit-def: $vgpr0
.LBB70_861:
	s_mov_b32 s28, 0
.LBB70_862:
	s_delay_alu instid0(SALU_CYCLE_1)
	s_and_b32 vcc_lo, exec_lo, s28
	s_cbranch_vccz .LBB70_911
; %bb.863:
	s_and_b32 s0, 0xffff, s0
	s_delay_alu instid0(SALU_CYCLE_1)
	s_cmp_lt_i32 s0, 5
	s_cbranch_scc1 .LBB70_868
; %bb.864:
	s_cmp_lt_i32 s0, 8
	s_cbranch_scc1 .LBB70_869
; %bb.865:
	;; [unrolled: 3-line block ×3, first 2 shown]
	s_cmp_gt_i32 s0, 9
	s_cbranch_scc0 .LBB70_871
; %bb.867:
	global_load_b64 v[0:1], v[2:3], off
	s_mov_b32 s28, 0
	s_wait_loadcnt 0x0
	v_cvt_f32_f64_e32 v0, v[0:1]
	s_branch .LBB70_872
.LBB70_868:
	s_mov_b32 s28, -1
                                        ; implicit-def: $vgpr0
	s_branch .LBB70_890
.LBB70_869:
	s_mov_b32 s28, -1
                                        ; implicit-def: $vgpr0
	s_branch .LBB70_878
.LBB70_870:
	s_mov_b32 s28, -1
                                        ; implicit-def: $vgpr0
	s_branch .LBB70_875
.LBB70_871:
	s_mov_b32 s28, -1
                                        ; implicit-def: $vgpr0
.LBB70_872:
	s_delay_alu instid0(SALU_CYCLE_1)
	s_and_not1_b32 vcc_lo, exec_lo, s28
	s_cbranch_vccnz .LBB70_874
; %bb.873:
	global_load_b32 v0, v[2:3], off
.LBB70_874:
	s_mov_b32 s28, 0
.LBB70_875:
	s_delay_alu instid0(SALU_CYCLE_1)
	s_and_not1_b32 vcc_lo, exec_lo, s28
	s_cbranch_vccnz .LBB70_877
; %bb.876:
	s_wait_loadcnt 0x0
	global_load_b32 v0, v[2:3], off
	s_wait_loadcnt 0x0
	v_cvt_f32_f16_e32 v0, v0
.LBB70_877:
	s_mov_b32 s28, 0
.LBB70_878:
	s_delay_alu instid0(SALU_CYCLE_1)
	s_and_not1_b32 vcc_lo, exec_lo, s28
	s_cbranch_vccnz .LBB70_889
; %bb.879:
	s_cmp_lt_i32 s0, 6
	s_cbranch_scc1 .LBB70_882
; %bb.880:
	s_cmp_gt_i32 s0, 6
	s_cbranch_scc0 .LBB70_883
; %bb.881:
	s_wait_loadcnt 0x0
	global_load_b64 v[0:1], v[2:3], off
	s_mov_b32 s28, 0
	s_wait_loadcnt 0x0
	v_cvt_f32_f64_e32 v0, v[0:1]
	s_branch .LBB70_884
.LBB70_882:
	s_mov_b32 s28, -1
                                        ; implicit-def: $vgpr0
	s_branch .LBB70_887
.LBB70_883:
	s_mov_b32 s28, -1
                                        ; implicit-def: $vgpr0
.LBB70_884:
	s_delay_alu instid0(SALU_CYCLE_1)
	s_and_not1_b32 vcc_lo, exec_lo, s28
	s_cbranch_vccnz .LBB70_886
; %bb.885:
	s_wait_loadcnt 0x0
	global_load_b32 v0, v[2:3], off
.LBB70_886:
	s_mov_b32 s28, 0
.LBB70_887:
	s_delay_alu instid0(SALU_CYCLE_1)
	s_and_not1_b32 vcc_lo, exec_lo, s28
	s_cbranch_vccnz .LBB70_889
; %bb.888:
	s_wait_loadcnt 0x0
	global_load_u16 v0, v[2:3], off
	s_wait_loadcnt 0x0
	v_cvt_f32_f16_e32 v0, v0
.LBB70_889:
	s_mov_b32 s28, 0
.LBB70_890:
	s_delay_alu instid0(SALU_CYCLE_1)
	s_and_not1_b32 vcc_lo, exec_lo, s28
	s_cbranch_vccnz .LBB70_910
; %bb.891:
	s_cmp_lt_i32 s0, 2
	s_cbranch_scc1 .LBB70_895
; %bb.892:
	s_cmp_lt_i32 s0, 3
	s_cbranch_scc1 .LBB70_896
; %bb.893:
	s_cmp_gt_i32 s0, 3
	s_cbranch_scc0 .LBB70_897
; %bb.894:
	s_wait_loadcnt 0x0
	global_load_b64 v[0:1], v[2:3], off
	s_mov_b32 s28, 0
	s_wait_loadcnt 0x0
	v_xor_b32_e32 v4, v0, v1
	v_cls_i32_e32 v5, v1
	s_delay_alu instid0(VALU_DEP_2) | instskip(NEXT) | instid1(VALU_DEP_1)
	v_ashrrev_i32_e32 v4, 31, v4
	v_add_nc_u32_e32 v4, 32, v4
	s_delay_alu instid0(VALU_DEP_1) | instskip(NEXT) | instid1(VALU_DEP_1)
	v_add_min_u32_e64 v4, v5, -1, v4
	v_lshlrev_b64_e32 v[0:1], v4, v[0:1]
	s_delay_alu instid0(VALU_DEP_1) | instskip(NEXT) | instid1(VALU_DEP_1)
	v_min_u32_e32 v0, 1, v0
	v_or_b32_e32 v0, v1, v0
	v_sub_nc_u32_e32 v1, 32, v4
	s_delay_alu instid0(VALU_DEP_2) | instskip(NEXT) | instid1(VALU_DEP_1)
	v_cvt_f32_i32_e32 v0, v0
	v_ldexp_f32 v0, v0, v1
	s_branch .LBB70_898
.LBB70_895:
	s_mov_b32 s28, -1
                                        ; implicit-def: $vgpr0
	s_branch .LBB70_904
.LBB70_896:
	s_mov_b32 s28, -1
                                        ; implicit-def: $vgpr0
	s_branch .LBB70_901
.LBB70_897:
	s_mov_b32 s28, -1
                                        ; implicit-def: $vgpr0
.LBB70_898:
	s_delay_alu instid0(SALU_CYCLE_1)
	s_and_not1_b32 vcc_lo, exec_lo, s28
	s_cbranch_vccnz .LBB70_900
; %bb.899:
	s_wait_loadcnt 0x0
	global_load_b32 v0, v[2:3], off
	s_wait_loadcnt 0x0
	v_cvt_f32_i32_e32 v0, v0
.LBB70_900:
	s_mov_b32 s28, 0
.LBB70_901:
	s_delay_alu instid0(SALU_CYCLE_1)
	s_and_not1_b32 vcc_lo, exec_lo, s28
	s_cbranch_vccnz .LBB70_903
; %bb.902:
	s_wait_loadcnt 0x0
	global_load_i16 v0, v[2:3], off
	s_wait_loadcnt 0x0
	v_cvt_f32_i32_e32 v0, v0
.LBB70_903:
	s_mov_b32 s28, 0
.LBB70_904:
	s_delay_alu instid0(SALU_CYCLE_1)
	s_and_not1_b32 vcc_lo, exec_lo, s28
	s_cbranch_vccnz .LBB70_910
; %bb.905:
	s_cmp_gt_i32 s0, 0
	s_mov_b32 s0, 0
	s_cbranch_scc0 .LBB70_907
; %bb.906:
	s_wait_loadcnt 0x0
	global_load_i8 v0, v[2:3], off
	s_wait_loadcnt 0x0
	v_cvt_f32_i32_e32 v0, v0
	s_branch .LBB70_908
.LBB70_907:
	s_mov_b32 s0, -1
                                        ; implicit-def: $vgpr0
.LBB70_908:
	s_delay_alu instid0(SALU_CYCLE_1)
	s_and_not1_b32 vcc_lo, exec_lo, s0
	s_cbranch_vccnz .LBB70_910
; %bb.909:
	s_wait_loadcnt 0x0
	global_load_u8 v0, v[2:3], off
	s_wait_loadcnt 0x0
	v_cvt_f32_ubyte0_e32 v0, v0
.LBB70_910:
	s_mov_b32 s29, -1
.LBB70_911:
	s_delay_alu instid0(SALU_CYCLE_1)
	s_and_not1_b32 vcc_lo, exec_lo, s29
	s_cbranch_vccnz .LBB70_919
; %bb.912:
	s_wait_xcnt 0x0
	v_mul_lo_u32 v2, v12, s10
	s_and_b32 s0, s1, 0xff
	s_delay_alu instid0(SALU_CYCLE_1) | instskip(NEXT) | instid1(VALU_DEP_1)
	s_cmp_lt_i32 s0, 11
	v_ashrrev_i32_e32 v3, 31, v2
	s_delay_alu instid0(VALU_DEP_1)
	v_add_nc_u64_e32 v[2:3], s[12:13], v[2:3]
	s_cbranch_scc1 .LBB70_920
; %bb.913:
	s_and_b32 s29, 0xffff, s0
	s_delay_alu instid0(SALU_CYCLE_1)
	s_cmp_gt_i32 s29, 25
	s_cbranch_scc0 .LBB70_921
; %bb.914:
	s_cmp_gt_i32 s29, 28
	s_cbranch_scc0 .LBB70_922
; %bb.915:
	;; [unrolled: 3-line block ×4, first 2 shown]
	s_cmp_eq_u32 s29, 46
	s_mov_b32 s31, 0
	s_cbranch_scc0 .LBB70_927
; %bb.918:
	global_load_b32 v1, v[2:3], off
	s_mov_b32 s30, -1
	s_mov_b32 s28, 0
	s_wait_loadcnt 0x0
	v_lshlrev_b32_e32 v1, 16, v1
	s_branch .LBB70_929
.LBB70_919:
	s_mov_b32 s30, 0
	s_mov_b32 s0, s23
	;; [unrolled: 1-line block ×3, first 2 shown]
	s_branch .LBB70_1170
.LBB70_920:
	s_mov_b32 s29, -1
	s_mov_b32 s30, 0
	s_mov_b32 s28, s24
                                        ; implicit-def: $vgpr1
	s_branch .LBB70_994
.LBB70_921:
	s_mov_b32 s31, -1
	s_mov_b32 s30, 0
	s_mov_b32 s28, s24
                                        ; implicit-def: $vgpr1
	s_branch .LBB70_958
.LBB70_922:
	s_mov_b32 s31, -1
	s_mov_b32 s30, 0
	s_mov_b32 s28, s24
                                        ; implicit-def: $vgpr1
	s_branch .LBB70_939
.LBB70_923:
	s_mov_b32 s31, -1
	s_mov_b32 s30, 0
	s_mov_b32 s28, s24
                                        ; implicit-def: $vgpr1
	s_branch .LBB70_934
.LBB70_924:
	s_mov_b32 s31, -1
	s_mov_b32 s30, 0
	s_mov_b32 s28, s24
	s_branch .LBB70_928
.LBB70_925:
	s_and_not1_saveexec_b32 s29, s29
	s_cbranch_execz .LBB70_700
.LBB70_926:
	v_add_f32_e64 v1, 0x42800000, |v0|
	s_and_not1_b32 s28, s28, exec_lo
	s_delay_alu instid0(VALU_DEP_1) | instskip(NEXT) | instid1(VALU_DEP_1)
	v_and_b32_e32 v1, 0xff, v1
	v_cmp_ne_u32_e32 vcc_lo, 0, v1
	s_and_b32 s30, vcc_lo, exec_lo
	s_delay_alu instid0(SALU_CYCLE_1)
	s_or_b32 s28, s28, s30
	s_or_b32 exec_lo, exec_lo, s29
	v_mov_b32_e32 v4, 0
	s_and_saveexec_b32 s29, s28
	s_cbranch_execnz .LBB70_701
	s_branch .LBB70_702
.LBB70_927:
	s_mov_b32 s28, -1
	s_mov_b32 s30, 0
.LBB70_928:
                                        ; implicit-def: $vgpr1
.LBB70_929:
	s_and_b32 vcc_lo, exec_lo, s31
	s_cbranch_vccz .LBB70_933
; %bb.930:
	s_cmp_eq_u32 s29, 44
	s_cbranch_scc0 .LBB70_932
; %bb.931:
	global_load_u8 v1, v[2:3], off
	s_mov_b32 s28, 0
	s_mov_b32 s30, -1
	s_wait_loadcnt 0x0
	v_lshlrev_b32_e32 v4, 23, v1
	v_cmp_ne_u32_e32 vcc_lo, 0xff, v1
	s_delay_alu instid0(VALU_DEP_2) | instskip(SKIP_1) | instid1(VALU_DEP_2)
	v_cndmask_b32_e32 v4, 0x7f800001, v4, vcc_lo
	v_cmp_ne_u32_e32 vcc_lo, 0, v1
	v_cndmask_b32_e32 v1, 0x400000, v4, vcc_lo
	s_branch .LBB70_933
.LBB70_932:
	s_mov_b32 s28, -1
                                        ; implicit-def: $vgpr1
.LBB70_933:
	s_mov_b32 s31, 0
.LBB70_934:
	s_delay_alu instid0(SALU_CYCLE_1)
	s_and_b32 vcc_lo, exec_lo, s31
	s_cbranch_vccz .LBB70_938
; %bb.935:
	s_cmp_eq_u32 s29, 29
	s_cbranch_scc0 .LBB70_937
; %bb.936:
	global_load_b64 v[4:5], v[2:3], off
	s_mov_b32 s30, -1
	s_mov_b32 s28, 0
	s_mov_b32 s31, 0
	s_wait_loadcnt 0x0
	v_clz_i32_u32_e32 v1, v5
	s_delay_alu instid0(VALU_DEP_1) | instskip(NEXT) | instid1(VALU_DEP_1)
	v_min_u32_e32 v1, 32, v1
	v_lshlrev_b64_e32 v[4:5], v1, v[4:5]
	v_sub_nc_u32_e32 v1, 32, v1
	s_delay_alu instid0(VALU_DEP_2) | instskip(NEXT) | instid1(VALU_DEP_1)
	v_min_u32_e32 v4, 1, v4
	v_or_b32_e32 v4, v5, v4
	s_delay_alu instid0(VALU_DEP_1) | instskip(NEXT) | instid1(VALU_DEP_1)
	v_cvt_f32_u32_e32 v4, v4
	v_ldexp_f32 v1, v4, v1
	s_branch .LBB70_939
.LBB70_937:
	s_mov_b32 s28, -1
                                        ; implicit-def: $vgpr1
.LBB70_938:
	s_mov_b32 s31, 0
.LBB70_939:
	s_delay_alu instid0(SALU_CYCLE_1)
	s_and_b32 vcc_lo, exec_lo, s31
	s_cbranch_vccz .LBB70_957
; %bb.940:
	s_cmp_lt_i32 s29, 27
	s_cbranch_scc1 .LBB70_943
; %bb.941:
	s_cmp_gt_i32 s29, 27
	s_cbranch_scc0 .LBB70_944
; %bb.942:
	global_load_b32 v1, v[2:3], off
	s_mov_b32 s30, 0
	s_wait_loadcnt 0x0
	v_cvt_f32_u32_e32 v1, v1
	s_branch .LBB70_945
.LBB70_943:
	s_mov_b32 s30, -1
                                        ; implicit-def: $vgpr1
	s_branch .LBB70_948
.LBB70_944:
	s_mov_b32 s30, -1
                                        ; implicit-def: $vgpr1
.LBB70_945:
	s_delay_alu instid0(SALU_CYCLE_1)
	s_and_not1_b32 vcc_lo, exec_lo, s30
	s_cbranch_vccnz .LBB70_947
; %bb.946:
	global_load_u16 v1, v[2:3], off
	s_wait_loadcnt 0x0
	v_cvt_f32_u32_e32 v1, v1
.LBB70_947:
	s_mov_b32 s30, 0
.LBB70_948:
	s_delay_alu instid0(SALU_CYCLE_1)
	s_and_not1_b32 vcc_lo, exec_lo, s30
	s_cbranch_vccnz .LBB70_956
; %bb.949:
	global_load_u8 v4, v[2:3], off
	s_mov_b32 s30, 0
	s_mov_b32 s31, exec_lo
	s_wait_loadcnt 0x0
	v_cmpx_lt_i16_e32 0x7f, v4
	s_xor_b32 s31, exec_lo, s31
	s_cbranch_execz .LBB70_970
; %bb.950:
	s_mov_b32 s30, -1
	s_mov_b32 s33, exec_lo
	v_cmpx_eq_u16_e32 0x80, v4
; %bb.951:
	s_xor_b32 s30, exec_lo, -1
; %bb.952:
	s_or_b32 exec_lo, exec_lo, s33
	s_delay_alu instid0(SALU_CYCLE_1)
	s_and_b32 s30, s30, exec_lo
	s_or_saveexec_b32 s31, s31
	v_mov_b32_e32 v1, 0x7f800001
	s_xor_b32 exec_lo, exec_lo, s31
	s_cbranch_execnz .LBB70_971
.LBB70_953:
	s_or_b32 exec_lo, exec_lo, s31
	s_and_saveexec_b32 s31, s30
	s_cbranch_execz .LBB70_955
.LBB70_954:
	v_and_b32_e32 v1, 0xffff, v4
	s_delay_alu instid0(VALU_DEP_1) | instskip(SKIP_1) | instid1(VALU_DEP_2)
	v_and_b32_e32 v5, 7, v1
	v_bfe_u32 v8, v1, 3, 4
	v_clz_i32_u32_e32 v6, v5
	s_delay_alu instid0(VALU_DEP_2) | instskip(NEXT) | instid1(VALU_DEP_2)
	v_cmp_eq_u32_e32 vcc_lo, 0, v8
	v_min_u32_e32 v6, 32, v6
	s_delay_alu instid0(VALU_DEP_1) | instskip(NEXT) | instid1(VALU_DEP_1)
	v_subrev_nc_u32_e32 v7, 28, v6
	v_dual_lshlrev_b32 v1, v7, v1 :: v_dual_sub_nc_u32 v6, 29, v6
	s_delay_alu instid0(VALU_DEP_1) | instskip(NEXT) | instid1(VALU_DEP_1)
	v_dual_lshlrev_b32 v4, 24, v4 :: v_dual_bitop2_b32 v1, 7, v1 bitop3:0x40
	v_dual_cndmask_b32 v6, v8, v6 :: v_dual_cndmask_b32 v1, v5, v1
	s_delay_alu instid0(VALU_DEP_2) | instskip(NEXT) | instid1(VALU_DEP_2)
	v_and_b32_e32 v4, 0x80000000, v4
	v_lshl_add_u32 v5, v6, 23, 0x3b800000
	s_delay_alu instid0(VALU_DEP_3) | instskip(NEXT) | instid1(VALU_DEP_1)
	v_lshlrev_b32_e32 v1, 20, v1
	v_or3_b32 v1, v4, v5, v1
.LBB70_955:
	s_or_b32 exec_lo, exec_lo, s31
.LBB70_956:
	s_mov_b32 s30, -1
.LBB70_957:
	s_mov_b32 s31, 0
.LBB70_958:
	s_delay_alu instid0(SALU_CYCLE_1)
	s_and_b32 vcc_lo, exec_lo, s31
	s_cbranch_vccz .LBB70_993
; %bb.959:
	s_cmp_gt_i32 s29, 22
	s_cbranch_scc0 .LBB70_969
; %bb.960:
	s_cmp_lt_i32 s29, 24
	s_cbranch_scc1 .LBB70_972
; %bb.961:
	s_cmp_gt_i32 s29, 24
	s_cbranch_scc0 .LBB70_973
; %bb.962:
	global_load_u8 v4, v[2:3], off
	s_mov_b32 s30, 0
	s_mov_b32 s31, exec_lo
	s_wait_loadcnt 0x0
	v_cmpx_lt_i16_e32 0x7f, v4
	s_xor_b32 s31, exec_lo, s31
	s_cbranch_execz .LBB70_985
; %bb.963:
	s_mov_b32 s30, -1
	s_mov_b32 s33, exec_lo
	v_cmpx_eq_u16_e32 0x80, v4
; %bb.964:
	s_xor_b32 s30, exec_lo, -1
; %bb.965:
	s_or_b32 exec_lo, exec_lo, s33
	s_delay_alu instid0(SALU_CYCLE_1)
	s_and_b32 s30, s30, exec_lo
	s_or_saveexec_b32 s31, s31
	v_mov_b32_e32 v1, 0x7f800001
	s_xor_b32 exec_lo, exec_lo, s31
	s_cbranch_execnz .LBB70_986
.LBB70_966:
	s_or_b32 exec_lo, exec_lo, s31
	s_and_saveexec_b32 s31, s30
	s_cbranch_execz .LBB70_968
.LBB70_967:
	v_and_b32_e32 v1, 0xffff, v4
	s_delay_alu instid0(VALU_DEP_1) | instskip(SKIP_1) | instid1(VALU_DEP_2)
	v_and_b32_e32 v5, 3, v1
	v_bfe_u32 v8, v1, 2, 5
	v_clz_i32_u32_e32 v6, v5
	s_delay_alu instid0(VALU_DEP_2) | instskip(NEXT) | instid1(VALU_DEP_2)
	v_cmp_eq_u32_e32 vcc_lo, 0, v8
	v_min_u32_e32 v6, 32, v6
	s_delay_alu instid0(VALU_DEP_1) | instskip(NEXT) | instid1(VALU_DEP_1)
	v_subrev_nc_u32_e32 v7, 29, v6
	v_dual_lshlrev_b32 v1, v7, v1 :: v_dual_sub_nc_u32 v6, 30, v6
	s_delay_alu instid0(VALU_DEP_1) | instskip(NEXT) | instid1(VALU_DEP_1)
	v_dual_lshlrev_b32 v4, 24, v4 :: v_dual_bitop2_b32 v1, 3, v1 bitop3:0x40
	v_dual_cndmask_b32 v6, v8, v6 :: v_dual_cndmask_b32 v1, v5, v1
	s_delay_alu instid0(VALU_DEP_2) | instskip(NEXT) | instid1(VALU_DEP_2)
	v_and_b32_e32 v4, 0x80000000, v4
	v_lshl_add_u32 v5, v6, 23, 0x37800000
	s_delay_alu instid0(VALU_DEP_3) | instskip(NEXT) | instid1(VALU_DEP_1)
	v_lshlrev_b32_e32 v1, 21, v1
	v_or3_b32 v1, v4, v5, v1
.LBB70_968:
	s_or_b32 exec_lo, exec_lo, s31
	s_mov_b32 s30, 0
	s_branch .LBB70_974
.LBB70_969:
	s_mov_b32 s31, -1
                                        ; implicit-def: $vgpr1
	s_branch .LBB70_980
.LBB70_970:
	s_or_saveexec_b32 s31, s31
	v_mov_b32_e32 v1, 0x7f800001
	s_xor_b32 exec_lo, exec_lo, s31
	s_cbranch_execz .LBB70_953
.LBB70_971:
	v_cmp_ne_u16_e32 vcc_lo, 0, v4
	v_mov_b32_e32 v1, 0
	s_and_not1_b32 s30, s30, exec_lo
	s_and_b32 s33, vcc_lo, exec_lo
	s_delay_alu instid0(SALU_CYCLE_1)
	s_or_b32 s30, s30, s33
	s_or_b32 exec_lo, exec_lo, s31
	s_and_saveexec_b32 s31, s30
	s_cbranch_execnz .LBB70_954
	s_branch .LBB70_955
.LBB70_972:
	s_mov_b32 s30, -1
                                        ; implicit-def: $vgpr1
	s_branch .LBB70_977
.LBB70_973:
	s_mov_b32 s30, -1
                                        ; implicit-def: $vgpr1
.LBB70_974:
	s_delay_alu instid0(SALU_CYCLE_1)
	s_and_b32 vcc_lo, exec_lo, s30
	s_cbranch_vccz .LBB70_976
; %bb.975:
	global_load_u8 v1, v[2:3], off
	s_wait_loadcnt 0x0
	v_lshlrev_b32_e32 v1, 24, v1
	s_delay_alu instid0(VALU_DEP_1) | instskip(NEXT) | instid1(VALU_DEP_1)
	v_and_b32_e32 v4, 0x7f000000, v1
	v_clz_i32_u32_e32 v5, v4
	v_cmp_ne_u32_e32 vcc_lo, 0, v4
	v_add_nc_u32_e32 v7, 0x1000000, v4
	s_delay_alu instid0(VALU_DEP_3) | instskip(NEXT) | instid1(VALU_DEP_1)
	v_min_u32_e32 v5, 32, v5
	v_sub_nc_u32_e64 v5, v5, 4 clamp
	s_delay_alu instid0(VALU_DEP_1) | instskip(NEXT) | instid1(VALU_DEP_1)
	v_dual_lshlrev_b32 v6, v5, v4 :: v_dual_lshlrev_b32 v5, 23, v5
	v_lshrrev_b32_e32 v6, 4, v6
	s_delay_alu instid0(VALU_DEP_1) | instskip(NEXT) | instid1(VALU_DEP_1)
	v_dual_sub_nc_u32 v5, v6, v5 :: v_dual_ashrrev_i32 v6, 8, v7
	v_add_nc_u32_e32 v5, 0x3c000000, v5
	s_delay_alu instid0(VALU_DEP_1) | instskip(NEXT) | instid1(VALU_DEP_1)
	v_and_or_b32 v5, 0x7f800000, v6, v5
	v_cndmask_b32_e32 v4, 0, v5, vcc_lo
	s_delay_alu instid0(VALU_DEP_1)
	v_and_or_b32 v1, 0x80000000, v1, v4
.LBB70_976:
	s_mov_b32 s30, 0
.LBB70_977:
	s_delay_alu instid0(SALU_CYCLE_1)
	s_and_not1_b32 vcc_lo, exec_lo, s30
	s_cbranch_vccnz .LBB70_979
; %bb.978:
	global_load_u8 v1, v[2:3], off
	s_wait_loadcnt 0x0
	v_lshlrev_b32_e32 v4, 25, v1
	v_lshlrev_b16 v1, 8, v1
	s_delay_alu instid0(VALU_DEP_1) | instskip(SKIP_1) | instid1(VALU_DEP_2)
	v_and_or_b32 v6, 0x7f00, v1, 0.5
	v_bfe_i32 v1, v1, 0, 16
	v_dual_add_f32 v6, -0.5, v6 :: v_dual_lshrrev_b32 v5, 4, v4
	v_cmp_gt_u32_e32 vcc_lo, 0x8000000, v4
	s_delay_alu instid0(VALU_DEP_2) | instskip(NEXT) | instid1(VALU_DEP_1)
	v_or_b32_e32 v5, 0x70000000, v5
	v_mul_f32_e32 v5, 0x7800000, v5
	s_delay_alu instid0(VALU_DEP_1) | instskip(NEXT) | instid1(VALU_DEP_1)
	v_cndmask_b32_e32 v4, v5, v6, vcc_lo
	v_and_or_b32 v1, 0x80000000, v1, v4
.LBB70_979:
	s_mov_b32 s31, 0
	s_mov_b32 s30, -1
.LBB70_980:
	s_and_not1_b32 vcc_lo, exec_lo, s31
	s_cbranch_vccnz .LBB70_993
; %bb.981:
	s_cmp_gt_i32 s29, 14
	s_cbranch_scc0 .LBB70_984
; %bb.982:
	s_cmp_eq_u32 s29, 15
	s_cbranch_scc0 .LBB70_987
; %bb.983:
	global_load_u16 v1, v[2:3], off
	s_mov_b32 s30, -1
	s_mov_b32 s28, 0
	s_wait_loadcnt 0x0
	v_lshlrev_b32_e32 v1, 16, v1
	s_branch .LBB70_988
.LBB70_984:
	s_mov_b32 s31, -1
                                        ; implicit-def: $vgpr1
	s_branch .LBB70_989
.LBB70_985:
	s_or_saveexec_b32 s31, s31
	v_mov_b32_e32 v1, 0x7f800001
	s_xor_b32 exec_lo, exec_lo, s31
	s_cbranch_execz .LBB70_966
.LBB70_986:
	v_cmp_ne_u16_e32 vcc_lo, 0, v4
	v_mov_b32_e32 v1, 0
	s_and_not1_b32 s30, s30, exec_lo
	s_and_b32 s33, vcc_lo, exec_lo
	s_delay_alu instid0(SALU_CYCLE_1)
	s_or_b32 s30, s30, s33
	s_or_b32 exec_lo, exec_lo, s31
	s_and_saveexec_b32 s31, s30
	s_cbranch_execnz .LBB70_967
	s_branch .LBB70_968
.LBB70_987:
	s_mov_b32 s28, -1
                                        ; implicit-def: $vgpr1
.LBB70_988:
	s_mov_b32 s31, 0
.LBB70_989:
	s_delay_alu instid0(SALU_CYCLE_1)
	s_and_b32 vcc_lo, exec_lo, s31
	s_cbranch_vccz .LBB70_993
; %bb.990:
	s_cmp_eq_u32 s29, 11
	s_cbranch_scc0 .LBB70_992
; %bb.991:
	global_load_u8 v1, v[2:3], off
	s_mov_b32 s28, 0
	s_mov_b32 s30, -1
	s_wait_loadcnt 0x0
	v_cmp_ne_u16_e32 vcc_lo, 0, v1
	v_cndmask_b32_e64 v1, 0, 1.0, vcc_lo
	s_branch .LBB70_993
.LBB70_992:
	s_mov_b32 s28, -1
                                        ; implicit-def: $vgpr1
.LBB70_993:
	s_mov_b32 s29, 0
.LBB70_994:
	s_delay_alu instid0(SALU_CYCLE_1)
	s_and_b32 vcc_lo, exec_lo, s29
	s_cbranch_vccz .LBB70_1043
; %bb.995:
	s_and_b32 s0, 0xffff, s0
	s_delay_alu instid0(SALU_CYCLE_1)
	s_cmp_lt_i32 s0, 5
	s_cbranch_scc1 .LBB70_1000
; %bb.996:
	s_cmp_lt_i32 s0, 8
	s_cbranch_scc1 .LBB70_1001
; %bb.997:
	;; [unrolled: 3-line block ×3, first 2 shown]
	s_cmp_gt_i32 s0, 9
	s_cbranch_scc0 .LBB70_1003
; %bb.999:
	global_load_b64 v[4:5], v[2:3], off
	s_mov_b32 s29, 0
	s_wait_loadcnt 0x0
	v_cvt_f32_f64_e32 v1, v[4:5]
	s_branch .LBB70_1004
.LBB70_1000:
	s_mov_b32 s29, -1
                                        ; implicit-def: $vgpr1
	s_branch .LBB70_1022
.LBB70_1001:
	s_mov_b32 s29, -1
                                        ; implicit-def: $vgpr1
	s_branch .LBB70_1010
.LBB70_1002:
	s_mov_b32 s29, -1
                                        ; implicit-def: $vgpr1
	s_branch .LBB70_1007
.LBB70_1003:
	s_mov_b32 s29, -1
                                        ; implicit-def: $vgpr1
.LBB70_1004:
	s_delay_alu instid0(SALU_CYCLE_1)
	s_and_not1_b32 vcc_lo, exec_lo, s29
	s_cbranch_vccnz .LBB70_1006
; %bb.1005:
	global_load_b32 v1, v[2:3], off
.LBB70_1006:
	s_mov_b32 s29, 0
.LBB70_1007:
	s_delay_alu instid0(SALU_CYCLE_1)
	s_and_not1_b32 vcc_lo, exec_lo, s29
	s_cbranch_vccnz .LBB70_1009
; %bb.1008:
	s_wait_loadcnt 0x0
	global_load_b32 v1, v[2:3], off
	s_wait_loadcnt 0x0
	v_cvt_f32_f16_e32 v1, v1
.LBB70_1009:
	s_mov_b32 s29, 0
.LBB70_1010:
	s_delay_alu instid0(SALU_CYCLE_1)
	s_and_not1_b32 vcc_lo, exec_lo, s29
	s_cbranch_vccnz .LBB70_1021
; %bb.1011:
	s_cmp_lt_i32 s0, 6
	s_cbranch_scc1 .LBB70_1014
; %bb.1012:
	s_cmp_gt_i32 s0, 6
	s_cbranch_scc0 .LBB70_1015
; %bb.1013:
	global_load_b64 v[4:5], v[2:3], off
	s_mov_b32 s29, 0
	s_wait_loadcnt 0x0
	v_cvt_f32_f64_e32 v1, v[4:5]
	s_branch .LBB70_1016
.LBB70_1014:
	s_mov_b32 s29, -1
                                        ; implicit-def: $vgpr1
	s_branch .LBB70_1019
.LBB70_1015:
	s_mov_b32 s29, -1
                                        ; implicit-def: $vgpr1
.LBB70_1016:
	s_delay_alu instid0(SALU_CYCLE_1)
	s_and_not1_b32 vcc_lo, exec_lo, s29
	s_cbranch_vccnz .LBB70_1018
; %bb.1017:
	s_wait_loadcnt 0x0
	global_load_b32 v1, v[2:3], off
.LBB70_1018:
	s_mov_b32 s29, 0
.LBB70_1019:
	s_delay_alu instid0(SALU_CYCLE_1)
	s_and_not1_b32 vcc_lo, exec_lo, s29
	s_cbranch_vccnz .LBB70_1021
; %bb.1020:
	s_wait_loadcnt 0x0
	global_load_u16 v1, v[2:3], off
	s_wait_loadcnt 0x0
	v_cvt_f32_f16_e32 v1, v1
.LBB70_1021:
	s_mov_b32 s29, 0
.LBB70_1022:
	s_delay_alu instid0(SALU_CYCLE_1)
	s_and_not1_b32 vcc_lo, exec_lo, s29
	s_cbranch_vccnz .LBB70_1042
; %bb.1023:
	s_cmp_lt_i32 s0, 2
	s_cbranch_scc1 .LBB70_1027
; %bb.1024:
	s_cmp_lt_i32 s0, 3
	s_cbranch_scc1 .LBB70_1028
; %bb.1025:
	s_cmp_gt_i32 s0, 3
	s_cbranch_scc0 .LBB70_1029
; %bb.1026:
	global_load_b64 v[4:5], v[2:3], off
	s_mov_b32 s29, 0
	s_wait_loadcnt 0x0
	v_xor_b32_e32 v1, v4, v5
	v_cls_i32_e32 v6, v5
	s_delay_alu instid0(VALU_DEP_2) | instskip(NEXT) | instid1(VALU_DEP_1)
	v_ashrrev_i32_e32 v1, 31, v1
	v_add_nc_u32_e32 v1, 32, v1
	s_delay_alu instid0(VALU_DEP_1) | instskip(NEXT) | instid1(VALU_DEP_1)
	v_add_min_u32_e64 v1, v6, -1, v1
	v_lshlrev_b64_e32 v[4:5], v1, v[4:5]
	v_sub_nc_u32_e32 v1, 32, v1
	s_delay_alu instid0(VALU_DEP_2) | instskip(NEXT) | instid1(VALU_DEP_1)
	v_min_u32_e32 v4, 1, v4
	v_or_b32_e32 v4, v5, v4
	s_delay_alu instid0(VALU_DEP_1) | instskip(NEXT) | instid1(VALU_DEP_1)
	v_cvt_f32_i32_e32 v4, v4
	v_ldexp_f32 v1, v4, v1
	s_branch .LBB70_1030
.LBB70_1027:
	s_mov_b32 s29, -1
                                        ; implicit-def: $vgpr1
	s_branch .LBB70_1036
.LBB70_1028:
	s_mov_b32 s29, -1
                                        ; implicit-def: $vgpr1
	s_branch .LBB70_1033
.LBB70_1029:
	s_mov_b32 s29, -1
                                        ; implicit-def: $vgpr1
.LBB70_1030:
	s_delay_alu instid0(SALU_CYCLE_1)
	s_and_not1_b32 vcc_lo, exec_lo, s29
	s_cbranch_vccnz .LBB70_1032
; %bb.1031:
	s_wait_loadcnt 0x0
	global_load_b32 v1, v[2:3], off
	s_wait_loadcnt 0x0
	v_cvt_f32_i32_e32 v1, v1
.LBB70_1032:
	s_mov_b32 s29, 0
.LBB70_1033:
	s_delay_alu instid0(SALU_CYCLE_1)
	s_and_not1_b32 vcc_lo, exec_lo, s29
	s_cbranch_vccnz .LBB70_1035
; %bb.1034:
	s_wait_loadcnt 0x0
	global_load_i16 v1, v[2:3], off
	s_wait_loadcnt 0x0
	v_cvt_f32_i32_e32 v1, v1
.LBB70_1035:
	s_mov_b32 s29, 0
.LBB70_1036:
	s_delay_alu instid0(SALU_CYCLE_1)
	s_and_not1_b32 vcc_lo, exec_lo, s29
	s_cbranch_vccnz .LBB70_1042
; %bb.1037:
	s_cmp_gt_i32 s0, 0
	s_mov_b32 s0, 0
	s_cbranch_scc0 .LBB70_1039
; %bb.1038:
	s_wait_loadcnt 0x0
	global_load_i8 v1, v[2:3], off
	s_wait_loadcnt 0x0
	v_cvt_f32_i32_e32 v1, v1
	s_branch .LBB70_1040
.LBB70_1039:
	s_mov_b32 s0, -1
                                        ; implicit-def: $vgpr1
.LBB70_1040:
	s_delay_alu instid0(SALU_CYCLE_1)
	s_and_not1_b32 vcc_lo, exec_lo, s0
	s_cbranch_vccnz .LBB70_1042
; %bb.1041:
	s_wait_loadcnt 0x0
	global_load_u8 v1, v[2:3], off
	s_wait_loadcnt 0x0
	v_cvt_f32_ubyte0_e32 v1, v1
.LBB70_1042:
	s_mov_b32 s30, -1
.LBB70_1043:
	s_delay_alu instid0(SALU_CYCLE_1)
	s_and_not1_b32 vcc_lo, exec_lo, s30
	s_cbranch_vccnz .LBB70_1053
; %bb.1044:
	s_wait_loadcnt 0x0
	s_delay_alu instid0(VALU_DEP_1) | instskip(SKIP_2) | instid1(VALU_DEP_1)
	v_mul_f32_e32 v1, s11, v1
	s_mov_b32 s0, exec_lo
	s_wait_xcnt 0x0
	v_cmpx_nlt_f32_e32 s2, v1
	s_cbranch_execz .LBB70_1046
; %bb.1045:
	v_mul_f32_e32 v2, 0x3fb8aa3b, v1
	v_cmp_ngt_f32_e32 vcc_lo, 0xc2ce8ed0, v1
	s_delay_alu instid0(VALU_DEP_2) | instskip(SKIP_1) | instid1(VALU_DEP_2)
	v_rndne_f32_e32 v3, v2
	v_fma_f32 v4, 0x3fb8aa3b, v1, -v2
	v_sub_f32_e32 v2, v2, v3
	s_delay_alu instid0(VALU_DEP_2) | instskip(SKIP_1) | instid1(VALU_DEP_2)
	v_fmamk_f32 v4, v1, 0x32a5705f, v4
	v_cvt_i32_f32_e32 v3, v3
	v_add_f32_e32 v2, v2, v4
	s_delay_alu instid0(VALU_DEP_1) | instskip(SKIP_1) | instid1(TRANS32_DEP_1)
	v_exp_f32_e32 v2, v2
	v_nop
	v_ldexp_f32 v2, v2, v3
	s_delay_alu instid0(VALU_DEP_1) | instskip(SKIP_1) | instid1(VALU_DEP_2)
	v_cndmask_b32_e32 v2, 0, v2, vcc_lo
	v_cmp_nlt_f32_e32 vcc_lo, 0x42b17218, v1
	v_cndmask_b32_e32 v1, 0x7f800000, v2, vcc_lo
	s_delay_alu instid0(VALU_DEP_1) | instskip(NEXT) | instid1(VALU_DEP_1)
	v_dual_mul_f32 v0, v0, v1 :: v_dual_add_f32 v1, 1.0, v1
	v_div_scale_f32 v2, null, v1, v1, v0
	s_delay_alu instid0(VALU_DEP_1) | instskip(SKIP_1) | instid1(TRANS32_DEP_1)
	v_rcp_f32_e32 v3, v2
	v_nop
	v_fma_f32 v4, -v2, v3, 1.0
	s_delay_alu instid0(VALU_DEP_1) | instskip(SKIP_1) | instid1(VALU_DEP_1)
	v_fmac_f32_e32 v3, v4, v3
	v_div_scale_f32 v4, vcc_lo, v0, v1, v0
	v_mul_f32_e32 v5, v4, v3
	s_delay_alu instid0(VALU_DEP_1) | instskip(NEXT) | instid1(VALU_DEP_1)
	v_fma_f32 v6, -v2, v5, v4
	v_fmac_f32_e32 v5, v6, v3
	s_delay_alu instid0(VALU_DEP_1) | instskip(NEXT) | instid1(VALU_DEP_1)
	v_fma_f32 v2, -v2, v5, v4
	v_div_fmas_f32 v2, v2, v3, v5
	s_delay_alu instid0(VALU_DEP_1)
	v_div_fixup_f32 v0, v2, v1, v0
.LBB70_1046:
	s_or_b32 exec_lo, exec_lo, s0
	v_mul_lo_u32 v2, v12, s8
	s_and_b32 s29, s3, 0xff
	s_delay_alu instid0(SALU_CYCLE_1) | instskip(NEXT) | instid1(VALU_DEP_1)
	s_cmp_lt_i32 s29, 11
	v_ashrrev_i32_e32 v3, 31, v2
	s_delay_alu instid0(VALU_DEP_1)
	v_add_nc_u64_e32 v[2:3], s[4:5], v[2:3]
	s_cbranch_scc1 .LBB70_1054
; %bb.1047:
	s_and_b32 s30, 0xffff, s29
	s_delay_alu instid0(SALU_CYCLE_1)
	s_cmp_gt_i32 s30, 25
	s_cbranch_scc0 .LBB70_1055
; %bb.1048:
	s_cmp_gt_i32 s30, 28
	s_cbranch_scc0 .LBB70_1056
; %bb.1049:
	s_cmp_gt_i32 s30, 43
	s_cbranch_scc0 .LBB70_1057
; %bb.1050:
	s_cmp_gt_i32 s30, 45
	s_cbranch_scc0 .LBB70_1058
; %bb.1051:
	s_mov_b32 s33, 0
	s_mov_b32 s0, -1
	s_cmp_eq_u32 s30, 46
	s_mov_b32 s31, 0
	s_cbranch_scc0 .LBB70_1059
; %bb.1052:
	v_bfe_u32 v1, v0, 16, 1
	v_cmp_o_f32_e32 vcc_lo, v0, v0
	s_mov_b32 s31, -1
	s_mov_b32 s0, 0
	s_delay_alu instid0(VALU_DEP_2) | instskip(NEXT) | instid1(VALU_DEP_1)
	v_add3_u32 v1, v0, v1, 0x7fff
	v_lshrrev_b32_e32 v1, 16, v1
	s_delay_alu instid0(VALU_DEP_1)
	v_cndmask_b32_e32 v1, 0x7fc0, v1, vcc_lo
	global_store_b32 v[2:3], v1, off
	s_branch .LBB70_1059
.LBB70_1053:
	s_mov_b32 s30, 0
	s_mov_b32 s0, s23
	s_branch .LBB70_1170
.LBB70_1054:
	s_mov_b32 s30, -1
	s_mov_b32 s31, 0
	s_mov_b32 s0, s23
	s_branch .LBB70_1128
.LBB70_1055:
	s_mov_b32 s33, -1
	s_mov_b32 s31, 0
	s_mov_b32 s0, s23
	s_branch .LBB70_1086
.LBB70_1056:
	s_mov_b32 s33, -1
	s_mov_b32 s31, 0
	s_mov_b32 s0, s23
	s_branch .LBB70_1069
.LBB70_1057:
	s_mov_b32 s33, -1
	s_mov_b32 s31, 0
	s_mov_b32 s0, s23
	s_branch .LBB70_1065
.LBB70_1058:
	s_mov_b32 s33, -1
	s_mov_b32 s31, 0
	s_mov_b32 s0, s23
.LBB70_1059:
	s_and_b32 vcc_lo, exec_lo, s33
	s_cbranch_vccz .LBB70_1064
; %bb.1060:
	s_cmp_eq_u32 s30, 44
	s_mov_b32 s0, -1
	s_cbranch_scc0 .LBB70_1064
; %bb.1061:
	v_bfe_u32 v4, v0, 23, 8
	s_wait_xcnt 0x0
	v_mov_b32_e32 v1, 0xff
	s_mov_b32 s31, exec_lo
	s_delay_alu instid0(VALU_DEP_2)
	v_cmpx_ne_u32_e32 0xff, v4
	s_cbranch_execz .LBB70_1063
; %bb.1062:
	v_and_b32_e32 v1, 0x400000, v0
	v_and_or_b32 v4, 0x3fffff, v0, v4
	s_delay_alu instid0(VALU_DEP_2) | instskip(NEXT) | instid1(VALU_DEP_2)
	v_cmp_ne_u32_e32 vcc_lo, 0, v1
	v_cmp_ne_u32_e64 s0, 0, v4
	v_lshrrev_b32_e32 v1, 23, v0
	s_and_b32 s0, vcc_lo, s0
	s_delay_alu instid0(SALU_CYCLE_1) | instskip(NEXT) | instid1(VALU_DEP_1)
	v_cndmask_b32_e64 v4, 0, 1, s0
	v_add_nc_u32_e32 v1, v1, v4
.LBB70_1063:
	s_or_b32 exec_lo, exec_lo, s31
	s_mov_b32 s31, -1
	s_mov_b32 s0, 0
	global_store_b8 v[2:3], v1, off
.LBB70_1064:
	s_mov_b32 s33, 0
.LBB70_1065:
	s_delay_alu instid0(SALU_CYCLE_1)
	s_and_b32 vcc_lo, exec_lo, s33
	s_cbranch_vccz .LBB70_1068
; %bb.1066:
	s_cmp_eq_u32 s30, 29
	s_mov_b32 s0, -1
	s_cbranch_scc0 .LBB70_1068
; %bb.1067:
	s_wait_xcnt 0x0
	v_trunc_f32_e32 v1, v0
	s_mov_b32 s31, -1
	s_mov_b32 s0, 0
	s_mov_b32 s33, 0
	s_delay_alu instid0(VALU_DEP_1) | instskip(NEXT) | instid1(VALU_DEP_1)
	v_mul_f32_e32 v4, 0x2f800000, v1
	v_floor_f32_e32 v4, v4
	s_delay_alu instid0(VALU_DEP_1) | instskip(SKIP_1) | instid1(VALU_DEP_2)
	v_fmamk_f32 v1, v4, 0xcf800000, v1
	v_cvt_u32_f32_e32 v5, v4
	v_cvt_u32_f32_e32 v4, v1
	global_store_b64 v[2:3], v[4:5], off
	s_branch .LBB70_1069
.LBB70_1068:
	s_mov_b32 s33, 0
.LBB70_1069:
	s_delay_alu instid0(SALU_CYCLE_1)
	s_and_b32 vcc_lo, exec_lo, s33
	s_cbranch_vccz .LBB70_1085
; %bb.1070:
	s_cmp_lt_i32 s30, 27
	s_mov_b32 s31, -1
	s_cbranch_scc1 .LBB70_1076
; %bb.1071:
	s_wait_xcnt 0x0
	v_cvt_u32_f32_e32 v1, v0
	s_cmp_gt_i32 s30, 27
	s_cbranch_scc0 .LBB70_1073
; %bb.1072:
	s_mov_b32 s31, 0
	global_store_b32 v[2:3], v1, off
.LBB70_1073:
	s_and_not1_b32 vcc_lo, exec_lo, s31
	s_cbranch_vccnz .LBB70_1075
; %bb.1074:
	global_store_b16 v[2:3], v1, off
.LBB70_1075:
	s_mov_b32 s31, 0
.LBB70_1076:
	s_delay_alu instid0(SALU_CYCLE_1)
	s_and_not1_b32 vcc_lo, exec_lo, s31
	s_cbranch_vccnz .LBB70_1084
; %bb.1077:
	s_wait_xcnt 0x0
	v_and_b32_e32 v1, 0x7fffffff, v0
	v_mov_b32_e32 v4, 0x80
	s_mov_b32 s31, exec_lo
	s_delay_alu instid0(VALU_DEP_2)
	v_cmpx_gt_u32_e32 0x43800000, v1
	s_cbranch_execz .LBB70_1083
; %bb.1078:
	v_cmp_lt_u32_e32 vcc_lo, 0x3bffffff, v1
	s_mov_b32 s33, 0
                                        ; implicit-def: $vgpr1
	s_and_saveexec_b32 s34, vcc_lo
	s_delay_alu instid0(SALU_CYCLE_1)
	s_xor_b32 s34, exec_lo, s34
	s_cbranch_execz .LBB70_1186
; %bb.1079:
	v_bfe_u32 v1, v0, 20, 1
	s_mov_b32 s33, exec_lo
	s_delay_alu instid0(VALU_DEP_1) | instskip(NEXT) | instid1(VALU_DEP_1)
	v_add3_u32 v1, v0, v1, 0x487ffff
	v_lshrrev_b32_e32 v1, 20, v1
	s_and_not1_saveexec_b32 s34, s34
	s_cbranch_execnz .LBB70_1187
.LBB70_1080:
	s_or_b32 exec_lo, exec_lo, s34
	v_mov_b32_e32 v4, 0
	s_and_saveexec_b32 s34, s33
.LBB70_1081:
	v_lshrrev_b32_e32 v4, 24, v0
	s_delay_alu instid0(VALU_DEP_1)
	v_and_or_b32 v4, 0x80, v4, v1
.LBB70_1082:
	s_or_b32 exec_lo, exec_lo, s34
.LBB70_1083:
	s_delay_alu instid0(SALU_CYCLE_1)
	s_or_b32 exec_lo, exec_lo, s31
	global_store_b8 v[2:3], v4, off
.LBB70_1084:
	s_mov_b32 s31, -1
.LBB70_1085:
	s_mov_b32 s33, 0
.LBB70_1086:
	s_delay_alu instid0(SALU_CYCLE_1)
	s_and_b32 vcc_lo, exec_lo, s33
	s_cbranch_vccz .LBB70_1127
; %bb.1087:
	s_cmp_gt_i32 s30, 22
	s_mov_b32 s33, -1
	s_cbranch_scc0 .LBB70_1119
; %bb.1088:
	s_cmp_lt_i32 s30, 24
	s_mov_b32 s31, -1
	s_cbranch_scc1 .LBB70_1108
; %bb.1089:
	s_cmp_gt_i32 s30, 24
	s_cbranch_scc0 .LBB70_1097
; %bb.1090:
	s_wait_xcnt 0x0
	v_and_b32_e32 v1, 0x7fffffff, v0
	v_mov_b32_e32 v4, 0x80
	s_mov_b32 s31, exec_lo
	s_delay_alu instid0(VALU_DEP_2)
	v_cmpx_gt_u32_e32 0x47800000, v1
	s_cbranch_execz .LBB70_1096
; %bb.1091:
	v_cmp_lt_u32_e32 vcc_lo, 0x37ffffff, v1
	s_mov_b32 s33, 0
                                        ; implicit-def: $vgpr1
	s_and_saveexec_b32 s34, vcc_lo
	s_delay_alu instid0(SALU_CYCLE_1)
	s_xor_b32 s34, exec_lo, s34
	s_cbranch_execz .LBB70_2220
; %bb.1092:
	v_bfe_u32 v1, v0, 21, 1
	s_mov_b32 s33, exec_lo
	s_delay_alu instid0(VALU_DEP_1) | instskip(NEXT) | instid1(VALU_DEP_1)
	v_add3_u32 v1, v0, v1, 0x88fffff
	v_lshrrev_b32_e32 v1, 21, v1
	s_and_not1_saveexec_b32 s34, s34
	s_cbranch_execnz .LBB70_2221
.LBB70_1093:
	s_or_b32 exec_lo, exec_lo, s34
	v_mov_b32_e32 v4, 0
	s_and_saveexec_b32 s34, s33
.LBB70_1094:
	v_lshrrev_b32_e32 v4, 24, v0
	s_delay_alu instid0(VALU_DEP_1)
	v_and_or_b32 v4, 0x80, v4, v1
.LBB70_1095:
	s_or_b32 exec_lo, exec_lo, s34
.LBB70_1096:
	s_delay_alu instid0(SALU_CYCLE_1)
	s_or_b32 exec_lo, exec_lo, s31
	s_mov_b32 s31, 0
	global_store_b8 v[2:3], v4, off
.LBB70_1097:
	s_and_b32 vcc_lo, exec_lo, s31
	s_cbranch_vccz .LBB70_1107
; %bb.1098:
	s_wait_xcnt 0x0
	v_and_b32_e32 v4, 0x7fffffff, v0
	s_mov_b32 s31, exec_lo
                                        ; implicit-def: $vgpr1
	s_delay_alu instid0(VALU_DEP_1)
	v_cmpx_gt_u32_e32 0x43f00000, v4
	s_xor_b32 s31, exec_lo, s31
	s_cbranch_execz .LBB70_1104
; %bb.1099:
	s_mov_b32 s33, exec_lo
                                        ; implicit-def: $vgpr1
	v_cmpx_lt_u32_e32 0x3c7fffff, v4
	s_xor_b32 s33, exec_lo, s33
; %bb.1100:
	v_bfe_u32 v1, v0, 20, 1
	s_delay_alu instid0(VALU_DEP_1) | instskip(NEXT) | instid1(VALU_DEP_1)
	v_add3_u32 v1, v0, v1, 0x407ffff
	v_and_b32_e32 v4, 0xff00000, v1
	v_lshrrev_b32_e32 v1, 20, v1
	s_delay_alu instid0(VALU_DEP_2) | instskip(NEXT) | instid1(VALU_DEP_2)
	v_cmp_ne_u32_e32 vcc_lo, 0x7f00000, v4
	v_cndmask_b32_e32 v1, 0x7e, v1, vcc_lo
; %bb.1101:
	s_and_not1_saveexec_b32 s33, s33
; %bb.1102:
	v_add_f32_e64 v1, 0x46800000, |v0|
; %bb.1103:
	s_or_b32 exec_lo, exec_lo, s33
                                        ; implicit-def: $vgpr4
.LBB70_1104:
	s_and_not1_saveexec_b32 s31, s31
; %bb.1105:
	v_mov_b32_e32 v1, 0x7f
	v_cmp_lt_u32_e32 vcc_lo, 0x7f800000, v4
	s_delay_alu instid0(VALU_DEP_2)
	v_cndmask_b32_e32 v1, 0x7e, v1, vcc_lo
; %bb.1106:
	s_or_b32 exec_lo, exec_lo, s31
	v_lshrrev_b32_e32 v4, 24, v0
	s_delay_alu instid0(VALU_DEP_1)
	v_and_or_b32 v1, 0x80, v4, v1
	global_store_b8 v[2:3], v1, off
.LBB70_1107:
	s_mov_b32 s31, 0
.LBB70_1108:
	s_delay_alu instid0(SALU_CYCLE_1)
	s_and_not1_b32 vcc_lo, exec_lo, s31
	s_cbranch_vccnz .LBB70_1118
; %bb.1109:
	s_wait_xcnt 0x0
	v_and_b32_e32 v4, 0x7fffffff, v0
	s_mov_b32 s31, exec_lo
                                        ; implicit-def: $vgpr1
	s_delay_alu instid0(VALU_DEP_1)
	v_cmpx_gt_u32_e32 0x47800000, v4
	s_xor_b32 s31, exec_lo, s31
	s_cbranch_execz .LBB70_1115
; %bb.1110:
	s_mov_b32 s33, exec_lo
                                        ; implicit-def: $vgpr1
	v_cmpx_lt_u32_e32 0x387fffff, v4
	s_xor_b32 s33, exec_lo, s33
; %bb.1111:
	v_bfe_u32 v1, v0, 21, 1
	s_delay_alu instid0(VALU_DEP_1) | instskip(NEXT) | instid1(VALU_DEP_1)
	v_add3_u32 v1, v0, v1, 0x80fffff
	v_lshrrev_b32_e32 v1, 21, v1
; %bb.1112:
	s_and_not1_saveexec_b32 s33, s33
; %bb.1113:
	v_add_f32_e64 v1, 0x43000000, |v0|
; %bb.1114:
	s_or_b32 exec_lo, exec_lo, s33
                                        ; implicit-def: $vgpr4
.LBB70_1115:
	s_and_not1_saveexec_b32 s31, s31
; %bb.1116:
	v_mov_b32_e32 v1, 0x7f
	v_cmp_lt_u32_e32 vcc_lo, 0x7f800000, v4
	s_delay_alu instid0(VALU_DEP_2)
	v_cndmask_b32_e32 v1, 0x7c, v1, vcc_lo
; %bb.1117:
	s_or_b32 exec_lo, exec_lo, s31
	v_lshrrev_b32_e32 v4, 24, v0
	s_delay_alu instid0(VALU_DEP_1)
	v_and_or_b32 v1, 0x80, v4, v1
	global_store_b8 v[2:3], v1, off
.LBB70_1118:
	s_mov_b32 s33, 0
	s_mov_b32 s31, -1
.LBB70_1119:
	s_and_not1_b32 vcc_lo, exec_lo, s33
	s_cbranch_vccnz .LBB70_1127
; %bb.1120:
	s_cmp_gt_i32 s30, 14
	s_mov_b32 s33, -1
	s_cbranch_scc0 .LBB70_1124
; %bb.1121:
	s_cmp_eq_u32 s30, 15
	s_mov_b32 s0, -1
	s_cbranch_scc0 .LBB70_1123
; %bb.1122:
	s_wait_xcnt 0x0
	v_bfe_u32 v1, v0, 16, 1
	v_cmp_o_f32_e32 vcc_lo, v0, v0
	s_mov_b32 s31, -1
	s_mov_b32 s0, 0
	s_delay_alu instid0(VALU_DEP_2) | instskip(NEXT) | instid1(VALU_DEP_1)
	v_add3_u32 v1, v0, v1, 0x7fff
	v_lshrrev_b32_e32 v1, 16, v1
	s_delay_alu instid0(VALU_DEP_1)
	v_cndmask_b32_e32 v1, 0x7fc0, v1, vcc_lo
	global_store_b16 v[2:3], v1, off
.LBB70_1123:
	s_mov_b32 s33, 0
.LBB70_1124:
	s_delay_alu instid0(SALU_CYCLE_1)
	s_and_b32 vcc_lo, exec_lo, s33
	s_cbranch_vccz .LBB70_1127
; %bb.1125:
	s_cmp_eq_u32 s30, 11
	s_mov_b32 s0, -1
	s_cbranch_scc0 .LBB70_1127
; %bb.1126:
	v_cmp_neq_f32_e32 vcc_lo, 0, v0
	s_mov_b32 s0, 0
	s_mov_b32 s31, -1
	s_wait_xcnt 0x0
	v_cndmask_b32_e64 v1, 0, 1, vcc_lo
	global_store_b8 v[2:3], v1, off
.LBB70_1127:
	s_mov_b32 s30, 0
.LBB70_1128:
	s_delay_alu instid0(SALU_CYCLE_1)
	s_and_b32 vcc_lo, exec_lo, s30
	s_cbranch_vccz .LBB70_1167
; %bb.1129:
	s_and_b32 s29, 0xffff, s29
	s_mov_b32 s30, -1
	s_cmp_lt_i32 s29, 5
	s_cbranch_scc1 .LBB70_1150
; %bb.1130:
	s_cmp_lt_i32 s29, 8
	s_cbranch_scc1 .LBB70_1140
; %bb.1131:
	;; [unrolled: 3-line block ×3, first 2 shown]
	s_cmp_gt_i32 s29, 9
	s_cbranch_scc0 .LBB70_1134
; %bb.1133:
	s_wait_xcnt 0x0
	v_cvt_f64_f32_e32 v[4:5], v0
	v_mov_b32_e32 v6, 0
	s_mov_b32 s30, 0
	s_delay_alu instid0(VALU_DEP_1)
	v_mov_b32_e32 v7, v6
	global_store_b128 v[2:3], v[4:7], off
.LBB70_1134:
	s_and_not1_b32 vcc_lo, exec_lo, s30
	s_cbranch_vccnz .LBB70_1136
; %bb.1135:
	s_wait_xcnt 0x0
	v_mov_b32_e32 v1, 0
	global_store_b64 v[2:3], v[0:1], off
.LBB70_1136:
	s_mov_b32 s30, 0
.LBB70_1137:
	s_delay_alu instid0(SALU_CYCLE_1)
	s_and_not1_b32 vcc_lo, exec_lo, s30
	s_cbranch_vccnz .LBB70_1139
; %bb.1138:
	s_wait_xcnt 0x0
	v_cvt_f16_f32_e32 v1, v0
	s_delay_alu instid0(VALU_DEP_1)
	v_and_b32_e32 v1, 0xffff, v1
	global_store_b32 v[2:3], v1, off
.LBB70_1139:
	s_mov_b32 s30, 0
.LBB70_1140:
	s_delay_alu instid0(SALU_CYCLE_1)
	s_and_not1_b32 vcc_lo, exec_lo, s30
	s_cbranch_vccnz .LBB70_1149
; %bb.1141:
	s_cmp_lt_i32 s29, 6
	s_mov_b32 s30, -1
	s_cbranch_scc1 .LBB70_1147
; %bb.1142:
	s_cmp_gt_i32 s29, 6
	s_cbranch_scc0 .LBB70_1144
; %bb.1143:
	s_wait_xcnt 0x0
	v_cvt_f64_f32_e32 v[4:5], v0
	s_mov_b32 s30, 0
	global_store_b64 v[2:3], v[4:5], off
.LBB70_1144:
	s_and_not1_b32 vcc_lo, exec_lo, s30
	s_cbranch_vccnz .LBB70_1146
; %bb.1145:
	global_store_b32 v[2:3], v0, off
.LBB70_1146:
	s_mov_b32 s30, 0
.LBB70_1147:
	s_delay_alu instid0(SALU_CYCLE_1)
	s_and_not1_b32 vcc_lo, exec_lo, s30
	s_cbranch_vccnz .LBB70_1149
; %bb.1148:
	s_wait_xcnt 0x0
	v_cvt_f16_f32_e32 v1, v0
	global_store_b16 v[2:3], v1, off
.LBB70_1149:
	s_mov_b32 s30, 0
.LBB70_1150:
	s_delay_alu instid0(SALU_CYCLE_1)
	s_and_not1_b32 vcc_lo, exec_lo, s30
	s_cbranch_vccnz .LBB70_1166
; %bb.1151:
	s_cmp_lt_i32 s29, 2
	s_mov_b32 s30, -1
	s_cbranch_scc1 .LBB70_1161
; %bb.1152:
	s_cmp_lt_i32 s29, 3
	s_cbranch_scc1 .LBB70_1158
; %bb.1153:
	s_cmp_gt_i32 s29, 3
	s_cbranch_scc0 .LBB70_1155
; %bb.1154:
	s_wait_xcnt 0x0
	v_trunc_f32_e32 v1, v0
	s_mov_b32 s30, 0
	s_delay_alu instid0(VALU_DEP_1) | instskip(NEXT) | instid1(VALU_DEP_1)
	v_mul_f32_e64 v4, 0x2f800000, |v1|
	v_floor_f32_e32 v5, v4
	v_ashrrev_i32_e32 v4, 31, v1
	s_delay_alu instid0(VALU_DEP_2) | instskip(SKIP_1) | instid1(VALU_DEP_3)
	v_fma_f32 v6, 0xcf800000, v5, |v1|
	v_cvt_u32_f32_e32 v1, v5
	v_mov_b32_e32 v5, v4
	s_delay_alu instid0(VALU_DEP_3) | instskip(NEXT) | instid1(VALU_DEP_3)
	v_cvt_u32_f32_e32 v6, v6
	v_xor_b32_e32 v7, v1, v4
	s_delay_alu instid0(VALU_DEP_2) | instskip(NEXT) | instid1(VALU_DEP_1)
	v_xor_b32_e32 v6, v6, v4
	v_sub_nc_u64_e32 v[4:5], v[6:7], v[4:5]
	global_store_b64 v[2:3], v[4:5], off
.LBB70_1155:
	s_and_not1_b32 vcc_lo, exec_lo, s30
	s_cbranch_vccnz .LBB70_1157
; %bb.1156:
	s_wait_xcnt 0x0
	v_cvt_i32_f32_e32 v1, v0
	global_store_b32 v[2:3], v1, off
.LBB70_1157:
	s_mov_b32 s30, 0
.LBB70_1158:
	s_delay_alu instid0(SALU_CYCLE_1)
	s_and_not1_b32 vcc_lo, exec_lo, s30
	s_cbranch_vccnz .LBB70_1160
; %bb.1159:
	s_wait_xcnt 0x0
	v_cvt_i32_f32_e32 v1, v0
	global_store_b16 v[2:3], v1, off
.LBB70_1160:
	s_mov_b32 s30, 0
.LBB70_1161:
	s_delay_alu instid0(SALU_CYCLE_1)
	s_and_not1_b32 vcc_lo, exec_lo, s30
	s_cbranch_vccnz .LBB70_1166
; %bb.1162:
	s_cmp_gt_i32 s29, 0
	s_mov_b32 s29, -1
	s_cbranch_scc0 .LBB70_1164
; %bb.1163:
	s_wait_xcnt 0x0
	v_cvt_i32_f32_e32 v1, v0
	s_mov_b32 s29, 0
	global_store_b8 v[2:3], v1, off
.LBB70_1164:
	s_and_not1_b32 vcc_lo, exec_lo, s29
	s_cbranch_vccnz .LBB70_1166
; %bb.1165:
	s_wait_xcnt 0x0
	v_trunc_f32_e32 v0, v0
	s_delay_alu instid0(VALU_DEP_1) | instskip(NEXT) | instid1(VALU_DEP_1)
	v_mul_f32_e64 v1, 0x2f800000, |v0|
	v_floor_f32_e32 v1, v1
	s_delay_alu instid0(VALU_DEP_1) | instskip(SKIP_1) | instid1(VALU_DEP_2)
	v_fma_f32 v1, 0xcf800000, v1, |v0|
	v_ashrrev_i32_e32 v0, 31, v0
	v_cvt_u32_f32_e32 v1, v1
	s_delay_alu instid0(VALU_DEP_1) | instskip(NEXT) | instid1(VALU_DEP_1)
	v_xor_b32_e32 v1, v1, v0
	v_sub_nc_u32_e32 v0, v1, v0
	global_store_b8 v[2:3], v0, off
.LBB70_1166:
	s_mov_b32 s31, -1
.LBB70_1167:
	s_delay_alu instid0(SALU_CYCLE_1)
	s_and_not1_b32 vcc_lo, exec_lo, s31
	s_cbranch_vccnz .LBB70_1169
; %bb.1168:
	v_add_nc_u32_e32 v12, 0x80, v12
	s_mov_b32 s30, -1
	s_branch .LBB70_1171
.LBB70_1169:
	s_mov_b32 s30, 0
.LBB70_1170:
                                        ; implicit-def: $vgpr12
.LBB70_1171:
	s_and_not1_b32 s29, s23, exec_lo
	s_and_b32 s0, s0, exec_lo
	s_and_b32 s28, s28, exec_lo
	s_or_b32 s29, s29, s0
	s_and_not1_b32 s0, s24, exec_lo
	s_and_not1_b32 s31, s22, exec_lo
	s_and_b32 s27, s27, exec_lo
	s_or_b32 s28, s0, s28
	s_or_b32 s27, s31, s27
	s_or_not1_b32 s34, s30, exec_lo
.LBB70_1172:
	s_wait_xcnt 0x0
	s_or_b32 exec_lo, exec_lo, s26
	s_mov_b32 s30, 0
	s_mov_b32 s31, 0
	;; [unrolled: 1-line block ×3, first 2 shown]
                                        ; implicit-def: $sgpr0
                                        ; implicit-def: $vgpr2_vgpr3
                                        ; implicit-def: $vgpr0
	s_and_saveexec_b32 s26, s34
	s_cbranch_execz .LBB70_1255
; %bb.1173:
	v_cmp_gt_i32_e32 vcc_lo, s18, v12
	s_mov_b32 s35, s27
	s_mov_b32 s34, 0
	;; [unrolled: 1-line block ×3, first 2 shown]
                                        ; implicit-def: $sgpr0
                                        ; implicit-def: $vgpr2_vgpr3
                                        ; implicit-def: $vgpr0
	s_and_saveexec_b32 s18, vcc_lo
	s_cbranch_execz .LBB70_1254
; %bb.1174:
	s_wait_loadcnt 0x0
	v_mul_lo_u32 v0, v12, s9
	s_and_b32 s0, s15, 0xff
	s_delay_alu instid0(SALU_CYCLE_1) | instskip(NEXT) | instid1(VALU_DEP_1)
	s_cmp_lt_i32 s0, 11
	v_ashrrev_i32_e32 v1, 31, v0
	s_delay_alu instid0(VALU_DEP_1)
	v_add_nc_u64_e32 v[2:3], s[6:7], v[0:1]
	s_cbranch_scc1 .LBB70_1181
; %bb.1175:
	s_and_b32 s30, 0xffff, s0
	s_delay_alu instid0(SALU_CYCLE_1)
	s_cmp_gt_i32 s30, 25
	s_cbranch_scc0 .LBB70_1182
; %bb.1176:
	s_cmp_gt_i32 s30, 28
	s_cbranch_scc0 .LBB70_1183
; %bb.1177:
	s_cmp_gt_i32 s30, 43
	s_cbranch_scc0 .LBB70_1184
; %bb.1178:
	s_cmp_gt_i32 s30, 45
	s_cbranch_scc0 .LBB70_1185
; %bb.1179:
	s_cmp_eq_u32 s30, 46
	s_mov_b32 s35, 0
	s_cbranch_scc0 .LBB70_1188
; %bb.1180:
	global_load_b32 v0, v[2:3], off
	s_mov_b32 s34, -1
	s_wait_loadcnt 0x0
	v_lshlrev_b32_e32 v0, 16, v0
	s_branch .LBB70_1190
.LBB70_1181:
	s_mov_b32 s30, -1
	s_mov_b32 s31, s27
                                        ; implicit-def: $vgpr0
	s_branch .LBB70_1253
.LBB70_1182:
	s_mov_b32 s35, -1
	s_mov_b32 s31, s27
                                        ; implicit-def: $vgpr0
	s_branch .LBB70_1219
.LBB70_1183:
	s_mov_b32 s35, -1
	s_mov_b32 s31, s27
                                        ; implicit-def: $vgpr0
	s_branch .LBB70_1200
.LBB70_1184:
	s_mov_b32 s35, -1
	s_mov_b32 s31, s27
                                        ; implicit-def: $vgpr0
	s_branch .LBB70_1195
.LBB70_1185:
	s_mov_b32 s35, -1
	s_mov_b32 s31, s27
	s_branch .LBB70_1189
.LBB70_1186:
	s_and_not1_saveexec_b32 s34, s34
	s_cbranch_execz .LBB70_1080
.LBB70_1187:
	v_add_f32_e64 v1, 0x46000000, |v0|
	s_and_not1_b32 s33, s33, exec_lo
	s_delay_alu instid0(VALU_DEP_1) | instskip(NEXT) | instid1(VALU_DEP_1)
	v_and_b32_e32 v1, 0xff, v1
	v_cmp_ne_u32_e32 vcc_lo, 0, v1
	s_and_b32 s35, vcc_lo, exec_lo
	s_delay_alu instid0(SALU_CYCLE_1)
	s_or_b32 s33, s33, s35
	s_or_b32 exec_lo, exec_lo, s34
	v_mov_b32_e32 v4, 0
	s_and_saveexec_b32 s34, s33
	s_cbranch_execnz .LBB70_1081
	s_branch .LBB70_1082
.LBB70_1188:
	s_mov_b32 s31, -1
.LBB70_1189:
                                        ; implicit-def: $vgpr0
.LBB70_1190:
	s_and_b32 vcc_lo, exec_lo, s35
	s_cbranch_vccz .LBB70_1194
; %bb.1191:
	s_cmp_eq_u32 s30, 44
	s_cbranch_scc0 .LBB70_1193
; %bb.1192:
	global_load_u8 v0, v[2:3], off
	s_mov_b32 s31, 0
	s_mov_b32 s34, -1
	s_wait_loadcnt 0x0
	v_lshlrev_b32_e32 v1, 23, v0
	v_cmp_ne_u32_e32 vcc_lo, 0xff, v0
	s_delay_alu instid0(VALU_DEP_2) | instskip(SKIP_1) | instid1(VALU_DEP_2)
	v_cndmask_b32_e32 v1, 0x7f800001, v1, vcc_lo
	v_cmp_ne_u32_e32 vcc_lo, 0, v0
	v_cndmask_b32_e32 v0, 0x400000, v1, vcc_lo
	s_branch .LBB70_1194
.LBB70_1193:
	s_mov_b32 s31, -1
                                        ; implicit-def: $vgpr0
.LBB70_1194:
	s_mov_b32 s35, 0
.LBB70_1195:
	s_delay_alu instid0(SALU_CYCLE_1)
	s_and_b32 vcc_lo, exec_lo, s35
	s_cbranch_vccz .LBB70_1199
; %bb.1196:
	s_cmp_eq_u32 s30, 29
	s_cbranch_scc0 .LBB70_1198
; %bb.1197:
	global_load_b64 v[0:1], v[2:3], off
	s_mov_b32 s31, 0
	s_mov_b32 s34, -1
	s_mov_b32 s35, 0
	s_wait_loadcnt 0x0
	v_clz_i32_u32_e32 v4, v1
	s_delay_alu instid0(VALU_DEP_1) | instskip(NEXT) | instid1(VALU_DEP_1)
	v_min_u32_e32 v4, 32, v4
	v_lshlrev_b64_e32 v[0:1], v4, v[0:1]
	s_delay_alu instid0(VALU_DEP_1) | instskip(NEXT) | instid1(VALU_DEP_1)
	v_min_u32_e32 v0, 1, v0
	v_or_b32_e32 v0, v1, v0
	v_sub_nc_u32_e32 v1, 32, v4
	s_delay_alu instid0(VALU_DEP_2) | instskip(NEXT) | instid1(VALU_DEP_1)
	v_cvt_f32_u32_e32 v0, v0
	v_ldexp_f32 v0, v0, v1
	s_branch .LBB70_1200
.LBB70_1198:
	s_mov_b32 s31, -1
                                        ; implicit-def: $vgpr0
.LBB70_1199:
	s_mov_b32 s35, 0
.LBB70_1200:
	s_delay_alu instid0(SALU_CYCLE_1)
	s_and_b32 vcc_lo, exec_lo, s35
	s_cbranch_vccz .LBB70_1218
; %bb.1201:
	s_cmp_lt_i32 s30, 27
	s_cbranch_scc1 .LBB70_1204
; %bb.1202:
	s_cmp_gt_i32 s30, 27
	s_cbranch_scc0 .LBB70_1205
; %bb.1203:
	global_load_b32 v0, v[2:3], off
	s_mov_b32 s34, 0
	s_wait_loadcnt 0x0
	v_cvt_f32_u32_e32 v0, v0
	s_branch .LBB70_1206
.LBB70_1204:
	s_mov_b32 s34, -1
                                        ; implicit-def: $vgpr0
	s_branch .LBB70_1209
.LBB70_1205:
	s_mov_b32 s34, -1
                                        ; implicit-def: $vgpr0
.LBB70_1206:
	s_delay_alu instid0(SALU_CYCLE_1)
	s_and_not1_b32 vcc_lo, exec_lo, s34
	s_cbranch_vccnz .LBB70_1208
; %bb.1207:
	global_load_u16 v0, v[2:3], off
	s_wait_loadcnt 0x0
	v_cvt_f32_u32_e32 v0, v0
.LBB70_1208:
	s_mov_b32 s34, 0
.LBB70_1209:
	s_delay_alu instid0(SALU_CYCLE_1)
	s_and_not1_b32 vcc_lo, exec_lo, s34
	s_cbranch_vccnz .LBB70_1217
; %bb.1210:
	global_load_u8 v1, v[2:3], off
	s_mov_b32 s34, 0
	s_mov_b32 s35, exec_lo
	s_wait_loadcnt 0x0
	v_cmpx_lt_i16_e32 0x7f, v1
	s_xor_b32 s35, exec_lo, s35
	s_cbranch_execz .LBB70_1231
; %bb.1211:
	s_mov_b32 s34, -1
	s_mov_b32 s36, exec_lo
	v_cmpx_eq_u16_e32 0x80, v1
; %bb.1212:
	s_xor_b32 s34, exec_lo, -1
; %bb.1213:
	s_or_b32 exec_lo, exec_lo, s36
	s_delay_alu instid0(SALU_CYCLE_1)
	s_and_b32 s34, s34, exec_lo
	s_or_saveexec_b32 s35, s35
	v_mov_b32_e32 v0, 0x7f800001
	s_xor_b32 exec_lo, exec_lo, s35
	s_cbranch_execnz .LBB70_1232
.LBB70_1214:
	s_or_b32 exec_lo, exec_lo, s35
	s_and_saveexec_b32 s35, s34
	s_cbranch_execz .LBB70_1216
.LBB70_1215:
	v_and_b32_e32 v0, 0xffff, v1
	s_delay_alu instid0(VALU_DEP_1) | instskip(SKIP_1) | instid1(VALU_DEP_2)
	v_and_b32_e32 v4, 7, v0
	v_bfe_u32 v7, v0, 3, 4
	v_clz_i32_u32_e32 v5, v4
	s_delay_alu instid0(VALU_DEP_2) | instskip(NEXT) | instid1(VALU_DEP_2)
	v_cmp_eq_u32_e32 vcc_lo, 0, v7
	v_min_u32_e32 v5, 32, v5
	s_delay_alu instid0(VALU_DEP_1) | instskip(NEXT) | instid1(VALU_DEP_1)
	v_subrev_nc_u32_e32 v6, 28, v5
	v_dual_lshlrev_b32 v0, v6, v0 :: v_dual_sub_nc_u32 v5, 29, v5
	s_delay_alu instid0(VALU_DEP_1) | instskip(NEXT) | instid1(VALU_DEP_1)
	v_dual_lshlrev_b32 v1, 24, v1 :: v_dual_bitop2_b32 v0, 7, v0 bitop3:0x40
	v_dual_cndmask_b32 v0, v4, v0 :: v_dual_cndmask_b32 v5, v7, v5
	s_delay_alu instid0(VALU_DEP_2) | instskip(NEXT) | instid1(VALU_DEP_2)
	v_and_b32_e32 v1, 0x80000000, v1
	v_lshlrev_b32_e32 v0, 20, v0
	s_delay_alu instid0(VALU_DEP_3) | instskip(NEXT) | instid1(VALU_DEP_1)
	v_lshl_add_u32 v4, v5, 23, 0x3b800000
	v_or3_b32 v0, v1, v4, v0
.LBB70_1216:
	s_or_b32 exec_lo, exec_lo, s35
.LBB70_1217:
	s_mov_b32 s34, -1
.LBB70_1218:
	s_mov_b32 s35, 0
.LBB70_1219:
	s_delay_alu instid0(SALU_CYCLE_1)
	s_and_b32 vcc_lo, exec_lo, s35
	s_cbranch_vccz .LBB70_1252
; %bb.1220:
	s_cmp_gt_i32 s30, 22
	s_cbranch_scc0 .LBB70_1230
; %bb.1221:
	s_cmp_lt_i32 s30, 24
	s_cbranch_scc1 .LBB70_1233
; %bb.1222:
	s_cmp_gt_i32 s30, 24
	s_cbranch_scc0 .LBB70_1234
; %bb.1223:
	global_load_u8 v1, v[2:3], off
	s_mov_b32 s34, exec_lo
	s_wait_loadcnt 0x0
	v_cmpx_lt_i16_e32 0x7f, v1
	s_xor_b32 s34, exec_lo, s34
	s_cbranch_execz .LBB70_1246
; %bb.1224:
	s_mov_b32 s33, -1
	s_mov_b32 s35, exec_lo
	v_cmpx_eq_u16_e32 0x80, v1
; %bb.1225:
	s_xor_b32 s33, exec_lo, -1
; %bb.1226:
	s_or_b32 exec_lo, exec_lo, s35
	s_delay_alu instid0(SALU_CYCLE_1)
	s_and_b32 s33, s33, exec_lo
	s_or_saveexec_b32 s34, s34
	v_mov_b32_e32 v0, 0x7f800001
	s_xor_b32 exec_lo, exec_lo, s34
	s_cbranch_execnz .LBB70_1247
.LBB70_1227:
	s_or_b32 exec_lo, exec_lo, s34
	s_and_saveexec_b32 s34, s33
	s_cbranch_execz .LBB70_1229
.LBB70_1228:
	v_and_b32_e32 v0, 0xffff, v1
	s_delay_alu instid0(VALU_DEP_1) | instskip(SKIP_1) | instid1(VALU_DEP_2)
	v_and_b32_e32 v4, 3, v0
	v_bfe_u32 v7, v0, 2, 5
	v_clz_i32_u32_e32 v5, v4
	s_delay_alu instid0(VALU_DEP_2) | instskip(NEXT) | instid1(VALU_DEP_2)
	v_cmp_eq_u32_e32 vcc_lo, 0, v7
	v_min_u32_e32 v5, 32, v5
	s_delay_alu instid0(VALU_DEP_1) | instskip(NEXT) | instid1(VALU_DEP_1)
	v_subrev_nc_u32_e32 v6, 29, v5
	v_dual_lshlrev_b32 v0, v6, v0 :: v_dual_sub_nc_u32 v5, 30, v5
	s_delay_alu instid0(VALU_DEP_1) | instskip(NEXT) | instid1(VALU_DEP_1)
	v_dual_lshlrev_b32 v1, 24, v1 :: v_dual_bitop2_b32 v0, 3, v0 bitop3:0x40
	v_dual_cndmask_b32 v0, v4, v0 :: v_dual_cndmask_b32 v5, v7, v5
	s_delay_alu instid0(VALU_DEP_2) | instskip(NEXT) | instid1(VALU_DEP_2)
	v_and_b32_e32 v1, 0x80000000, v1
	v_lshlrev_b32_e32 v0, 21, v0
	s_delay_alu instid0(VALU_DEP_3) | instskip(NEXT) | instid1(VALU_DEP_1)
	v_lshl_add_u32 v4, v5, 23, 0x37800000
	v_or3_b32 v0, v1, v4, v0
.LBB70_1229:
	s_or_b32 exec_lo, exec_lo, s34
	s_mov_b32 s33, 0
	s_branch .LBB70_1235
.LBB70_1230:
	s_mov_b32 s33, -1
                                        ; implicit-def: $vgpr0
	s_branch .LBB70_1241
.LBB70_1231:
	s_or_saveexec_b32 s35, s35
	v_mov_b32_e32 v0, 0x7f800001
	s_xor_b32 exec_lo, exec_lo, s35
	s_cbranch_execz .LBB70_1214
.LBB70_1232:
	v_cmp_ne_u16_e32 vcc_lo, 0, v1
	v_mov_b32_e32 v0, 0
	s_and_not1_b32 s34, s34, exec_lo
	s_and_b32 s36, vcc_lo, exec_lo
	s_delay_alu instid0(SALU_CYCLE_1)
	s_or_b32 s34, s34, s36
	s_or_b32 exec_lo, exec_lo, s35
	s_and_saveexec_b32 s35, s34
	s_cbranch_execnz .LBB70_1215
	s_branch .LBB70_1216
.LBB70_1233:
	s_mov_b32 s33, -1
                                        ; implicit-def: $vgpr0
	s_branch .LBB70_1238
.LBB70_1234:
	s_mov_b32 s33, -1
                                        ; implicit-def: $vgpr0
.LBB70_1235:
	s_delay_alu instid0(SALU_CYCLE_1)
	s_and_b32 vcc_lo, exec_lo, s33
	s_cbranch_vccz .LBB70_1237
; %bb.1236:
	global_load_u8 v0, v[2:3], off
	s_wait_loadcnt 0x0
	v_lshlrev_b32_e32 v0, 24, v0
	s_delay_alu instid0(VALU_DEP_1) | instskip(NEXT) | instid1(VALU_DEP_1)
	v_and_b32_e32 v1, 0x7f000000, v0
	v_clz_i32_u32_e32 v4, v1
	v_cmp_ne_u32_e32 vcc_lo, 0, v1
	v_add_nc_u32_e32 v6, 0x1000000, v1
	s_delay_alu instid0(VALU_DEP_3) | instskip(NEXT) | instid1(VALU_DEP_1)
	v_min_u32_e32 v4, 32, v4
	v_sub_nc_u32_e64 v4, v4, 4 clamp
	s_delay_alu instid0(VALU_DEP_1) | instskip(NEXT) | instid1(VALU_DEP_1)
	v_dual_lshlrev_b32 v5, v4, v1 :: v_dual_lshlrev_b32 v4, 23, v4
	v_lshrrev_b32_e32 v5, 4, v5
	s_delay_alu instid0(VALU_DEP_1) | instskip(NEXT) | instid1(VALU_DEP_1)
	v_dual_sub_nc_u32 v4, v5, v4 :: v_dual_ashrrev_i32 v5, 8, v6
	v_add_nc_u32_e32 v4, 0x3c000000, v4
	s_delay_alu instid0(VALU_DEP_1) | instskip(NEXT) | instid1(VALU_DEP_1)
	v_and_or_b32 v4, 0x7f800000, v5, v4
	v_cndmask_b32_e32 v1, 0, v4, vcc_lo
	s_delay_alu instid0(VALU_DEP_1)
	v_and_or_b32 v0, 0x80000000, v0, v1
.LBB70_1237:
	s_mov_b32 s33, 0
.LBB70_1238:
	s_delay_alu instid0(SALU_CYCLE_1)
	s_and_not1_b32 vcc_lo, exec_lo, s33
	s_cbranch_vccnz .LBB70_1240
; %bb.1239:
	global_load_u8 v0, v[2:3], off
	s_wait_loadcnt 0x0
	v_lshlrev_b32_e32 v1, 25, v0
	v_lshlrev_b16 v0, 8, v0
	s_delay_alu instid0(VALU_DEP_1) | instskip(SKIP_1) | instid1(VALU_DEP_2)
	v_and_or_b32 v5, 0x7f00, v0, 0.5
	v_bfe_i32 v0, v0, 0, 16
	v_add_f32_e32 v5, -0.5, v5
	v_lshrrev_b32_e32 v4, 4, v1
	v_cmp_gt_u32_e32 vcc_lo, 0x8000000, v1
	s_delay_alu instid0(VALU_DEP_2) | instskip(NEXT) | instid1(VALU_DEP_1)
	v_or_b32_e32 v4, 0x70000000, v4
	v_mul_f32_e32 v4, 0x7800000, v4
	s_delay_alu instid0(VALU_DEP_1) | instskip(NEXT) | instid1(VALU_DEP_1)
	v_cndmask_b32_e32 v1, v4, v5, vcc_lo
	v_and_or_b32 v0, 0x80000000, v0, v1
.LBB70_1240:
	s_mov_b32 s33, 0
	s_mov_b32 s34, -1
.LBB70_1241:
	s_and_not1_b32 vcc_lo, exec_lo, s33
	s_mov_b32 s33, 0
	s_cbranch_vccnz .LBB70_1252
; %bb.1242:
	s_cmp_gt_i32 s30, 14
	s_cbranch_scc0 .LBB70_1245
; %bb.1243:
	s_cmp_eq_u32 s30, 15
	s_cbranch_scc0 .LBB70_1248
; %bb.1244:
	global_load_u16 v0, v[2:3], off
	s_mov_b32 s31, 0
	s_mov_b32 s34, -1
	s_wait_loadcnt 0x0
	v_lshlrev_b32_e32 v0, 16, v0
	s_branch .LBB70_1250
.LBB70_1245:
	s_mov_b32 s33, -1
	s_branch .LBB70_1249
.LBB70_1246:
	s_or_saveexec_b32 s34, s34
	v_mov_b32_e32 v0, 0x7f800001
	s_xor_b32 exec_lo, exec_lo, s34
	s_cbranch_execz .LBB70_1227
.LBB70_1247:
	v_cmp_ne_u16_e32 vcc_lo, 0, v1
	v_mov_b32_e32 v0, 0
	s_and_not1_b32 s33, s33, exec_lo
	s_and_b32 s35, vcc_lo, exec_lo
	s_delay_alu instid0(SALU_CYCLE_1)
	s_or_b32 s33, s33, s35
	s_or_b32 exec_lo, exec_lo, s34
	s_and_saveexec_b32 s34, s33
	s_cbranch_execnz .LBB70_1228
	s_branch .LBB70_1229
.LBB70_1248:
	s_mov_b32 s31, -1
.LBB70_1249:
                                        ; implicit-def: $vgpr0
.LBB70_1250:
	s_and_b32 vcc_lo, exec_lo, s33
	s_mov_b32 s33, 0
	s_cbranch_vccz .LBB70_1252
; %bb.1251:
	s_cmp_lg_u32 s30, 11
	s_mov_b32 s33, -1
	s_cselect_b32 s30, -1, 0
	s_and_not1_b32 s31, s31, exec_lo
	s_and_b32 s30, s30, exec_lo
	s_delay_alu instid0(SALU_CYCLE_1)
	s_or_b32 s31, s31, s30
.LBB70_1252:
	s_mov_b32 s30, 0
.LBB70_1253:
	s_and_not1_b32 s35, s27, exec_lo
	s_and_b32 s31, s31, exec_lo
	s_and_b32 s36, s34, exec_lo
	;; [unrolled: 1-line block ×4, first 2 shown]
	s_or_b32 s35, s35, s31
.LBB70_1254:
	s_wait_xcnt 0x0
	s_or_b32 exec_lo, exec_lo, s18
	s_delay_alu instid0(SALU_CYCLE_1)
	s_and_not1_b32 s18, s27, exec_lo
	s_and_b32 s27, s35, exec_lo
	s_and_b32 s33, s36, exec_lo
	;; [unrolled: 1-line block ×4, first 2 shown]
	s_or_b32 s27, s18, s27
.LBB70_1255:
	s_or_b32 exec_lo, exec_lo, s26
	s_delay_alu instid0(SALU_CYCLE_1)
	s_and_not1_b32 s18, s23, exec_lo
	s_and_b32 s23, s29, exec_lo
	s_and_not1_b32 s24, s24, exec_lo
	s_and_b32 s26, s28, exec_lo
	s_or_b32 s23, s18, s23
	s_and_not1_b32 s18, s22, exec_lo
	s_and_b32 s22, s27, exec_lo
	s_or_b32 s24, s24, s26
	s_and_b32 s29, s33, exec_lo
	s_and_b32 s28, s31, exec_lo
	;; [unrolled: 1-line block ×3, first 2 shown]
	s_or_b32 s22, s18, s22
.LBB70_1256:
	s_or_b32 exec_lo, exec_lo, s25
	s_delay_alu instid0(SALU_CYCLE_1)
	s_and_not1_b32 s17, s17, exec_lo
	s_and_b32 s18, s23, exec_lo
	s_and_not1_b32 s19, s19, exec_lo
	s_and_b32 s23, s24, exec_lo
	s_or_b32 s17, s17, s18
	s_and_not1_b32 s18, s20, exec_lo
	s_and_b32 s20, s22, exec_lo
	s_or_b32 s19, s19, s23
	s_and_b32 s23, s29, exec_lo
	s_and_b32 s24, s28, exec_lo
	;; [unrolled: 1-line block ×3, first 2 shown]
	s_or_b32 s20, s18, s20
	s_or_b32 exec_lo, exec_lo, s21
	s_mov_b32 s18, 0
	s_and_saveexec_b32 s21, s20
	s_cbranch_execz .LBB70_394
.LBB70_1257:
	s_mov_b32 s18, exec_lo
	s_and_not1_b32 s22, s22, exec_lo
	s_trap 2
	s_or_b32 exec_lo, exec_lo, s21
	s_and_saveexec_b32 s20, s22
	s_delay_alu instid0(SALU_CYCLE_1)
	s_xor_b32 s20, exec_lo, s20
	s_cbranch_execnz .LBB70_395
.LBB70_1258:
	s_or_b32 exec_lo, exec_lo, s20
	s_and_saveexec_b32 s20, s24
	s_cbranch_execz .LBB70_1304
.LBB70_1259:
	s_sext_i32_i16 s21, s0
	s_delay_alu instid0(SALU_CYCLE_1)
	s_cmp_lt_i32 s21, 5
	s_cbranch_scc1 .LBB70_1264
; %bb.1260:
	s_cmp_lt_i32 s21, 8
	s_cbranch_scc1 .LBB70_1265
; %bb.1261:
	;; [unrolled: 3-line block ×3, first 2 shown]
	s_cmp_gt_i32 s21, 9
	s_cbranch_scc0 .LBB70_1267
; %bb.1263:
	s_wait_loadcnt 0x0
	global_load_b64 v[0:1], v[2:3], off
	s_mov_b32 s21, 0
	s_wait_loadcnt 0x0
	v_cvt_f32_f64_e32 v0, v[0:1]
	s_branch .LBB70_1268
.LBB70_1264:
                                        ; implicit-def: $vgpr0
	s_branch .LBB70_1285
.LBB70_1265:
                                        ; implicit-def: $vgpr0
	s_branch .LBB70_1274
.LBB70_1266:
	s_mov_b32 s21, -1
                                        ; implicit-def: $vgpr0
	s_branch .LBB70_1271
.LBB70_1267:
	s_mov_b32 s21, -1
                                        ; implicit-def: $vgpr0
.LBB70_1268:
	s_delay_alu instid0(SALU_CYCLE_1)
	s_and_not1_b32 vcc_lo, exec_lo, s21
	s_cbranch_vccnz .LBB70_1270
; %bb.1269:
	s_wait_loadcnt 0x0
	global_load_b32 v0, v[2:3], off
.LBB70_1270:
	s_mov_b32 s21, 0
.LBB70_1271:
	s_delay_alu instid0(SALU_CYCLE_1)
	s_and_not1_b32 vcc_lo, exec_lo, s21
	s_cbranch_vccnz .LBB70_1273
; %bb.1272:
	s_wait_loadcnt 0x0
	global_load_b32 v0, v[2:3], off
	s_wait_loadcnt 0x0
	v_cvt_f32_f16_e32 v0, v0
.LBB70_1273:
	s_cbranch_execnz .LBB70_1284
.LBB70_1274:
	s_sext_i32_i16 s21, s0
	s_delay_alu instid0(SALU_CYCLE_1)
	s_cmp_lt_i32 s21, 6
	s_cbranch_scc1 .LBB70_1277
; %bb.1275:
	s_cmp_gt_i32 s21, 6
	s_cbranch_scc0 .LBB70_1278
; %bb.1276:
	s_wait_loadcnt 0x0
	global_load_b64 v[0:1], v[2:3], off
	s_mov_b32 s21, 0
	s_wait_loadcnt 0x0
	v_cvt_f32_f64_e32 v0, v[0:1]
	s_branch .LBB70_1279
.LBB70_1277:
	s_mov_b32 s21, -1
                                        ; implicit-def: $vgpr0
	s_branch .LBB70_1282
.LBB70_1278:
	s_mov_b32 s21, -1
                                        ; implicit-def: $vgpr0
.LBB70_1279:
	s_delay_alu instid0(SALU_CYCLE_1)
	s_and_not1_b32 vcc_lo, exec_lo, s21
	s_cbranch_vccnz .LBB70_1281
; %bb.1280:
	s_wait_loadcnt 0x0
	global_load_b32 v0, v[2:3], off
.LBB70_1281:
	s_mov_b32 s21, 0
.LBB70_1282:
	s_delay_alu instid0(SALU_CYCLE_1)
	s_and_not1_b32 vcc_lo, exec_lo, s21
	s_cbranch_vccnz .LBB70_1284
; %bb.1283:
	s_wait_loadcnt 0x0
	global_load_u16 v0, v[2:3], off
	s_wait_loadcnt 0x0
	v_cvt_f32_f16_e32 v0, v0
.LBB70_1284:
	s_cbranch_execnz .LBB70_1303
.LBB70_1285:
	s_sext_i32_i16 s21, s0
	s_delay_alu instid0(SALU_CYCLE_1)
	s_cmp_lt_i32 s21, 2
	s_cbranch_scc1 .LBB70_1289
; %bb.1286:
	s_cmp_lt_i32 s21, 3
	s_cbranch_scc1 .LBB70_1290
; %bb.1287:
	s_cmp_gt_i32 s21, 3
	s_cbranch_scc0 .LBB70_1291
; %bb.1288:
	s_wait_loadcnt 0x0
	global_load_b64 v[0:1], v[2:3], off
	s_mov_b32 s21, 0
	s_wait_loadcnt 0x0
	v_xor_b32_e32 v4, v0, v1
	v_cls_i32_e32 v5, v1
	s_delay_alu instid0(VALU_DEP_2) | instskip(NEXT) | instid1(VALU_DEP_1)
	v_ashrrev_i32_e32 v4, 31, v4
	v_add_nc_u32_e32 v4, 32, v4
	s_delay_alu instid0(VALU_DEP_1) | instskip(NEXT) | instid1(VALU_DEP_1)
	v_add_min_u32_e64 v4, v5, -1, v4
	v_lshlrev_b64_e32 v[0:1], v4, v[0:1]
	s_delay_alu instid0(VALU_DEP_1) | instskip(NEXT) | instid1(VALU_DEP_1)
	v_min_u32_e32 v0, 1, v0
	v_or_b32_e32 v0, v1, v0
	v_sub_nc_u32_e32 v1, 32, v4
	s_delay_alu instid0(VALU_DEP_2) | instskip(NEXT) | instid1(VALU_DEP_1)
	v_cvt_f32_i32_e32 v0, v0
	v_ldexp_f32 v0, v0, v1
	s_branch .LBB70_1292
.LBB70_1289:
                                        ; implicit-def: $vgpr0
	s_branch .LBB70_1298
.LBB70_1290:
	s_mov_b32 s21, -1
                                        ; implicit-def: $vgpr0
	s_branch .LBB70_1295
.LBB70_1291:
	s_mov_b32 s21, -1
                                        ; implicit-def: $vgpr0
.LBB70_1292:
	s_delay_alu instid0(SALU_CYCLE_1)
	s_and_not1_b32 vcc_lo, exec_lo, s21
	s_cbranch_vccnz .LBB70_1294
; %bb.1293:
	s_wait_loadcnt 0x0
	global_load_b32 v0, v[2:3], off
	s_wait_loadcnt 0x0
	v_cvt_f32_i32_e32 v0, v0
.LBB70_1294:
	s_mov_b32 s21, 0
.LBB70_1295:
	s_delay_alu instid0(SALU_CYCLE_1)
	s_and_not1_b32 vcc_lo, exec_lo, s21
	s_cbranch_vccnz .LBB70_1297
; %bb.1296:
	s_wait_loadcnt 0x0
	global_load_i16 v0, v[2:3], off
	s_wait_loadcnt 0x0
	v_cvt_f32_i32_e32 v0, v0
.LBB70_1297:
	s_cbranch_execnz .LBB70_1303
.LBB70_1298:
	s_sext_i32_i16 s0, s0
	s_delay_alu instid0(SALU_CYCLE_1)
	s_cmp_gt_i32 s0, 0
	s_mov_b32 s0, 0
	s_cbranch_scc0 .LBB70_1300
; %bb.1299:
	s_wait_loadcnt 0x0
	global_load_i8 v0, v[2:3], off
	s_wait_loadcnt 0x0
	v_cvt_f32_i32_e32 v0, v0
	s_branch .LBB70_1301
.LBB70_1300:
	s_mov_b32 s0, -1
                                        ; implicit-def: $vgpr0
.LBB70_1301:
	s_delay_alu instid0(SALU_CYCLE_1)
	s_and_not1_b32 vcc_lo, exec_lo, s0
	s_cbranch_vccnz .LBB70_1303
; %bb.1302:
	s_wait_loadcnt 0x0
	global_load_u8 v0, v[2:3], off
	s_wait_loadcnt 0x0
	v_cvt_f32_ubyte0_e32 v0, v0
.LBB70_1303:
	s_or_b32 s23, s23, exec_lo
.LBB70_1304:
	s_wait_xcnt 0x0
	s_or_b32 exec_lo, exec_lo, s20
	s_mov_b32 s22, 0
	s_mov_b32 s24, 0
	;; [unrolled: 1-line block ×3, first 2 shown]
                                        ; implicit-def: $sgpr0
                                        ; implicit-def: $vgpr2_vgpr3
                                        ; implicit-def: $vgpr1
	s_and_saveexec_b32 s20, s23
	s_cbranch_execz .LBB70_1312
; %bb.1305:
	v_mul_lo_u32 v2, v12, s10
	s_and_b32 s0, s1, 0xff
	s_delay_alu instid0(SALU_CYCLE_1) | instskip(NEXT) | instid1(VALU_DEP_1)
	s_cmp_lt_i32 s0, 11
	v_ashrrev_i32_e32 v3, 31, v2
	s_delay_alu instid0(VALU_DEP_1)
	v_add_nc_u64_e32 v[2:3], s[12:13], v[2:3]
	s_cbranch_scc1 .LBB70_1315
; %bb.1306:
	s_and_b32 s21, 0xffff, s0
	s_mov_b32 s23, 0
	s_cmp_gt_i32 s21, 25
	s_cbranch_scc0 .LBB70_1316
; %bb.1307:
	s_cmp_gt_i32 s21, 28
	s_cbranch_scc0 .LBB70_1317
; %bb.1308:
	;; [unrolled: 3-line block ×4, first 2 shown]
	s_cmp_eq_u32 s21, 46
	s_mov_b32 s25, 0
	s_cbranch_scc0 .LBB70_1320
; %bb.1311:
	s_wait_loadcnt 0x0
	global_load_b32 v1, v[2:3], off
	s_mov_b32 s24, -1
	s_wait_loadcnt 0x0
	v_lshlrev_b32_e32 v1, 16, v1
	s_branch .LBB70_1322
.LBB70_1312:
	s_or_b32 exec_lo, exec_lo, s20
	s_and_saveexec_b32 s20, s19
	s_cbranch_execnz .LBB70_1385
.LBB70_1313:
	s_or_b32 exec_lo, exec_lo, s20
	s_and_saveexec_b32 s19, s22
	s_delay_alu instid0(SALU_CYCLE_1)
	s_xor_b32 s19, exec_lo, s19
	s_cbranch_execz .LBB70_1386
.LBB70_1314:
	s_wait_loadcnt 0x0
	global_load_u8 v1, v[2:3], off
	s_or_b32 s21, s21, exec_lo
	s_wait_loadcnt 0x0
	v_cmp_ne_u16_e32 vcc_lo, 0, v1
	v_cndmask_b32_e64 v1, 0, 1.0, vcc_lo
	s_wait_xcnt 0x0
	s_or_b32 exec_lo, exec_lo, s19
	s_and_saveexec_b32 s19, s24
	s_cbranch_execz .LBB70_1432
	s_branch .LBB70_1387
.LBB70_1315:
	s_mov_b32 s25, -1
	s_mov_b32 s23, 0
	s_mov_b32 s22, s19
                                        ; implicit-def: $vgpr1
	s_branch .LBB70_1384
.LBB70_1316:
	s_mov_b32 s22, s19
                                        ; implicit-def: $vgpr1
	s_cbranch_execnz .LBB70_1351
	s_branch .LBB70_1383
.LBB70_1317:
	s_mov_b32 s25, -1
	s_mov_b32 s22, s19
                                        ; implicit-def: $vgpr1
	s_branch .LBB70_1332
.LBB70_1318:
	s_mov_b32 s25, -1
	s_mov_b32 s22, s19
                                        ; implicit-def: $vgpr1
	s_branch .LBB70_1327
.LBB70_1319:
	s_mov_b32 s25, -1
	s_mov_b32 s22, s19
	s_branch .LBB70_1321
.LBB70_1320:
	s_mov_b32 s22, -1
.LBB70_1321:
                                        ; implicit-def: $vgpr1
.LBB70_1322:
	s_and_b32 vcc_lo, exec_lo, s25
	s_cbranch_vccz .LBB70_1326
; %bb.1323:
	s_cmp_eq_u32 s21, 44
	s_cbranch_scc0 .LBB70_1325
; %bb.1324:
	s_wait_loadcnt 0x0
	global_load_u8 v1, v[2:3], off
	s_mov_b32 s22, 0
	s_mov_b32 s24, -1
	s_wait_loadcnt 0x0
	v_lshlrev_b32_e32 v4, 23, v1
	v_cmp_ne_u32_e32 vcc_lo, 0xff, v1
	s_delay_alu instid0(VALU_DEP_2) | instskip(SKIP_1) | instid1(VALU_DEP_2)
	v_cndmask_b32_e32 v4, 0x7f800001, v4, vcc_lo
	v_cmp_ne_u32_e32 vcc_lo, 0, v1
	v_cndmask_b32_e32 v1, 0x400000, v4, vcc_lo
	s_branch .LBB70_1326
.LBB70_1325:
	s_mov_b32 s22, -1
                                        ; implicit-def: $vgpr1
.LBB70_1326:
	s_mov_b32 s25, 0
.LBB70_1327:
	s_delay_alu instid0(SALU_CYCLE_1)
	s_and_b32 vcc_lo, exec_lo, s25
	s_cbranch_vccz .LBB70_1331
; %bb.1328:
	s_cmp_eq_u32 s21, 29
	s_cbranch_scc0 .LBB70_1330
; %bb.1329:
	global_load_b64 v[4:5], v[2:3], off
	s_mov_b32 s22, 0
	s_mov_b32 s24, -1
	s_mov_b32 s25, 0
	s_wait_loadcnt 0x0
	v_clz_i32_u32_e32 v1, v5
	s_delay_alu instid0(VALU_DEP_1) | instskip(NEXT) | instid1(VALU_DEP_1)
	v_min_u32_e32 v1, 32, v1
	v_lshlrev_b64_e32 v[4:5], v1, v[4:5]
	v_sub_nc_u32_e32 v1, 32, v1
	s_delay_alu instid0(VALU_DEP_2) | instskip(NEXT) | instid1(VALU_DEP_1)
	v_min_u32_e32 v4, 1, v4
	v_or_b32_e32 v4, v5, v4
	s_delay_alu instid0(VALU_DEP_1) | instskip(NEXT) | instid1(VALU_DEP_1)
	v_cvt_f32_u32_e32 v4, v4
	v_ldexp_f32 v1, v4, v1
	s_branch .LBB70_1332
.LBB70_1330:
	s_mov_b32 s22, -1
                                        ; implicit-def: $vgpr1
.LBB70_1331:
	s_mov_b32 s25, 0
.LBB70_1332:
	s_delay_alu instid0(SALU_CYCLE_1)
	s_and_b32 vcc_lo, exec_lo, s25
	s_cbranch_vccz .LBB70_1350
; %bb.1333:
	s_cmp_lt_i32 s21, 27
	s_cbranch_scc1 .LBB70_1336
; %bb.1334:
	s_cmp_gt_i32 s21, 27
	s_cbranch_scc0 .LBB70_1337
; %bb.1335:
	s_wait_loadcnt 0x0
	global_load_b32 v1, v[2:3], off
	s_mov_b32 s24, 0
	s_wait_loadcnt 0x0
	v_cvt_f32_u32_e32 v1, v1
	s_branch .LBB70_1338
.LBB70_1336:
	s_mov_b32 s24, -1
                                        ; implicit-def: $vgpr1
	s_branch .LBB70_1341
.LBB70_1337:
	s_mov_b32 s24, -1
                                        ; implicit-def: $vgpr1
.LBB70_1338:
	s_delay_alu instid0(SALU_CYCLE_1)
	s_and_not1_b32 vcc_lo, exec_lo, s24
	s_cbranch_vccnz .LBB70_1340
; %bb.1339:
	s_wait_loadcnt 0x0
	global_load_u16 v1, v[2:3], off
	s_wait_loadcnt 0x0
	v_cvt_f32_u32_e32 v1, v1
.LBB70_1340:
	s_mov_b32 s24, 0
.LBB70_1341:
	s_delay_alu instid0(SALU_CYCLE_1)
	s_and_not1_b32 vcc_lo, exec_lo, s24
	s_cbranch_vccnz .LBB70_1349
; %bb.1342:
	global_load_u8 v4, v[2:3], off
	s_mov_b32 s24, 0
	s_mov_b32 s25, exec_lo
	s_wait_loadcnt 0x0
	v_cmpx_lt_i16_e32 0x7f, v4
	s_xor_b32 s25, exec_lo, s25
	s_cbranch_execz .LBB70_1362
; %bb.1343:
	s_mov_b32 s24, -1
	s_mov_b32 s26, exec_lo
	v_cmpx_eq_u16_e32 0x80, v4
; %bb.1344:
	s_xor_b32 s24, exec_lo, -1
; %bb.1345:
	s_or_b32 exec_lo, exec_lo, s26
	s_delay_alu instid0(SALU_CYCLE_1)
	s_and_b32 s24, s24, exec_lo
	s_or_saveexec_b32 s25, s25
	v_mov_b32_e32 v1, 0x7f800001
	s_xor_b32 exec_lo, exec_lo, s25
	s_cbranch_execnz .LBB70_1363
.LBB70_1346:
	s_or_b32 exec_lo, exec_lo, s25
	s_and_saveexec_b32 s25, s24
	s_cbranch_execz .LBB70_1348
.LBB70_1347:
	v_and_b32_e32 v1, 0xffff, v4
	s_delay_alu instid0(VALU_DEP_1) | instskip(SKIP_1) | instid1(VALU_DEP_2)
	v_and_b32_e32 v5, 7, v1
	v_bfe_u32 v8, v1, 3, 4
	v_clz_i32_u32_e32 v6, v5
	s_delay_alu instid0(VALU_DEP_2) | instskip(NEXT) | instid1(VALU_DEP_2)
	v_cmp_eq_u32_e32 vcc_lo, 0, v8
	v_min_u32_e32 v6, 32, v6
	s_delay_alu instid0(VALU_DEP_1) | instskip(NEXT) | instid1(VALU_DEP_1)
	v_subrev_nc_u32_e32 v7, 28, v6
	v_dual_lshlrev_b32 v1, v7, v1 :: v_dual_sub_nc_u32 v6, 29, v6
	s_delay_alu instid0(VALU_DEP_1) | instskip(NEXT) | instid1(VALU_DEP_1)
	v_dual_lshlrev_b32 v4, 24, v4 :: v_dual_bitop2_b32 v1, 7, v1 bitop3:0x40
	v_dual_cndmask_b32 v6, v8, v6 :: v_dual_cndmask_b32 v1, v5, v1
	s_delay_alu instid0(VALU_DEP_2) | instskip(NEXT) | instid1(VALU_DEP_2)
	v_and_b32_e32 v4, 0x80000000, v4
	v_lshl_add_u32 v5, v6, 23, 0x3b800000
	s_delay_alu instid0(VALU_DEP_3) | instskip(NEXT) | instid1(VALU_DEP_1)
	v_lshlrev_b32_e32 v1, 20, v1
	v_or3_b32 v1, v4, v5, v1
.LBB70_1348:
	s_or_b32 exec_lo, exec_lo, s25
.LBB70_1349:
	s_mov_b32 s24, -1
.LBB70_1350:
	s_branch .LBB70_1383
.LBB70_1351:
	s_cmp_gt_i32 s21, 22
	s_cbranch_scc0 .LBB70_1361
; %bb.1352:
	s_cmp_lt_i32 s21, 24
	s_cbranch_scc1 .LBB70_1364
; %bb.1353:
	s_cmp_gt_i32 s21, 24
	s_cbranch_scc0 .LBB70_1365
; %bb.1354:
	global_load_u8 v4, v[2:3], off
	s_mov_b32 s24, exec_lo
	s_wait_loadcnt 0x0
	v_cmpx_lt_i16_e32 0x7f, v4
	s_xor_b32 s24, exec_lo, s24
	s_cbranch_execz .LBB70_1377
; %bb.1355:
	s_mov_b32 s23, -1
	s_mov_b32 s25, exec_lo
	v_cmpx_eq_u16_e32 0x80, v4
; %bb.1356:
	s_xor_b32 s23, exec_lo, -1
; %bb.1357:
	s_or_b32 exec_lo, exec_lo, s25
	s_delay_alu instid0(SALU_CYCLE_1)
	s_and_b32 s23, s23, exec_lo
	s_or_saveexec_b32 s24, s24
	v_mov_b32_e32 v1, 0x7f800001
	s_xor_b32 exec_lo, exec_lo, s24
	s_cbranch_execnz .LBB70_1378
.LBB70_1358:
	s_or_b32 exec_lo, exec_lo, s24
	s_and_saveexec_b32 s24, s23
	s_cbranch_execz .LBB70_1360
.LBB70_1359:
	v_and_b32_e32 v1, 0xffff, v4
	s_delay_alu instid0(VALU_DEP_1) | instskip(SKIP_1) | instid1(VALU_DEP_2)
	v_and_b32_e32 v5, 3, v1
	v_bfe_u32 v8, v1, 2, 5
	v_clz_i32_u32_e32 v6, v5
	s_delay_alu instid0(VALU_DEP_2) | instskip(NEXT) | instid1(VALU_DEP_2)
	v_cmp_eq_u32_e32 vcc_lo, 0, v8
	v_min_u32_e32 v6, 32, v6
	s_delay_alu instid0(VALU_DEP_1) | instskip(NEXT) | instid1(VALU_DEP_1)
	v_subrev_nc_u32_e32 v7, 29, v6
	v_dual_lshlrev_b32 v1, v7, v1 :: v_dual_sub_nc_u32 v6, 30, v6
	s_delay_alu instid0(VALU_DEP_1) | instskip(NEXT) | instid1(VALU_DEP_1)
	v_dual_lshlrev_b32 v4, 24, v4 :: v_dual_bitop2_b32 v1, 3, v1 bitop3:0x40
	v_dual_cndmask_b32 v6, v8, v6 :: v_dual_cndmask_b32 v1, v5, v1
	s_delay_alu instid0(VALU_DEP_2) | instskip(NEXT) | instid1(VALU_DEP_2)
	v_and_b32_e32 v4, 0x80000000, v4
	v_lshl_add_u32 v5, v6, 23, 0x37800000
	s_delay_alu instid0(VALU_DEP_3) | instskip(NEXT) | instid1(VALU_DEP_1)
	v_lshlrev_b32_e32 v1, 21, v1
	v_or3_b32 v1, v4, v5, v1
.LBB70_1360:
	s_or_b32 exec_lo, exec_lo, s24
	s_mov_b32 s23, 0
	s_branch .LBB70_1366
.LBB70_1361:
	s_mov_b32 s23, -1
                                        ; implicit-def: $vgpr1
	s_branch .LBB70_1372
.LBB70_1362:
	s_or_saveexec_b32 s25, s25
	v_mov_b32_e32 v1, 0x7f800001
	s_xor_b32 exec_lo, exec_lo, s25
	s_cbranch_execz .LBB70_1346
.LBB70_1363:
	v_cmp_ne_u16_e32 vcc_lo, 0, v4
	v_mov_b32_e32 v1, 0
	s_and_not1_b32 s24, s24, exec_lo
	s_and_b32 s26, vcc_lo, exec_lo
	s_delay_alu instid0(SALU_CYCLE_1)
	s_or_b32 s24, s24, s26
	s_or_b32 exec_lo, exec_lo, s25
	s_and_saveexec_b32 s25, s24
	s_cbranch_execnz .LBB70_1347
	s_branch .LBB70_1348
.LBB70_1364:
	s_mov_b32 s23, -1
                                        ; implicit-def: $vgpr1
	s_branch .LBB70_1369
.LBB70_1365:
	s_mov_b32 s23, -1
                                        ; implicit-def: $vgpr1
.LBB70_1366:
	s_delay_alu instid0(SALU_CYCLE_1)
	s_and_b32 vcc_lo, exec_lo, s23
	s_cbranch_vccz .LBB70_1368
; %bb.1367:
	s_wait_loadcnt 0x0
	global_load_u8 v1, v[2:3], off
	s_wait_loadcnt 0x0
	v_lshlrev_b32_e32 v1, 24, v1
	s_delay_alu instid0(VALU_DEP_1) | instskip(NEXT) | instid1(VALU_DEP_1)
	v_and_b32_e32 v4, 0x7f000000, v1
	v_clz_i32_u32_e32 v5, v4
	v_cmp_ne_u32_e32 vcc_lo, 0, v4
	v_add_nc_u32_e32 v7, 0x1000000, v4
	s_delay_alu instid0(VALU_DEP_3) | instskip(NEXT) | instid1(VALU_DEP_1)
	v_min_u32_e32 v5, 32, v5
	v_sub_nc_u32_e64 v5, v5, 4 clamp
	s_delay_alu instid0(VALU_DEP_1) | instskip(NEXT) | instid1(VALU_DEP_1)
	v_dual_lshlrev_b32 v6, v5, v4 :: v_dual_lshlrev_b32 v5, 23, v5
	v_lshrrev_b32_e32 v6, 4, v6
	s_delay_alu instid0(VALU_DEP_1) | instskip(NEXT) | instid1(VALU_DEP_1)
	v_dual_sub_nc_u32 v5, v6, v5 :: v_dual_ashrrev_i32 v6, 8, v7
	v_add_nc_u32_e32 v5, 0x3c000000, v5
	s_delay_alu instid0(VALU_DEP_1) | instskip(NEXT) | instid1(VALU_DEP_1)
	v_and_or_b32 v5, 0x7f800000, v6, v5
	v_cndmask_b32_e32 v4, 0, v5, vcc_lo
	s_delay_alu instid0(VALU_DEP_1)
	v_and_or_b32 v1, 0x80000000, v1, v4
.LBB70_1368:
	s_mov_b32 s23, 0
.LBB70_1369:
	s_delay_alu instid0(SALU_CYCLE_1)
	s_and_not1_b32 vcc_lo, exec_lo, s23
	s_cbranch_vccnz .LBB70_1371
; %bb.1370:
	s_wait_loadcnt 0x0
	global_load_u8 v1, v[2:3], off
	s_wait_loadcnt 0x0
	v_lshlrev_b32_e32 v4, 25, v1
	v_lshlrev_b16 v1, 8, v1
	s_delay_alu instid0(VALU_DEP_1) | instskip(SKIP_1) | instid1(VALU_DEP_2)
	v_and_or_b32 v6, 0x7f00, v1, 0.5
	v_bfe_i32 v1, v1, 0, 16
	v_dual_add_f32 v6, -0.5, v6 :: v_dual_lshrrev_b32 v5, 4, v4
	v_cmp_gt_u32_e32 vcc_lo, 0x8000000, v4
	s_delay_alu instid0(VALU_DEP_2) | instskip(NEXT) | instid1(VALU_DEP_1)
	v_or_b32_e32 v5, 0x70000000, v5
	v_mul_f32_e32 v5, 0x7800000, v5
	s_delay_alu instid0(VALU_DEP_1) | instskip(NEXT) | instid1(VALU_DEP_1)
	v_cndmask_b32_e32 v4, v5, v6, vcc_lo
	v_and_or_b32 v1, 0x80000000, v1, v4
.LBB70_1371:
	s_mov_b32 s23, 0
	s_mov_b32 s24, -1
.LBB70_1372:
	s_and_not1_b32 vcc_lo, exec_lo, s23
	s_mov_b32 s23, 0
	s_cbranch_vccnz .LBB70_1383
; %bb.1373:
	s_cmp_gt_i32 s21, 14
	s_cbranch_scc0 .LBB70_1376
; %bb.1374:
	s_cmp_eq_u32 s21, 15
	s_cbranch_scc0 .LBB70_1379
; %bb.1375:
	s_wait_loadcnt 0x0
	global_load_u16 v1, v[2:3], off
	s_mov_b32 s22, 0
	s_mov_b32 s24, -1
	s_wait_loadcnt 0x0
	v_lshlrev_b32_e32 v1, 16, v1
	s_branch .LBB70_1381
.LBB70_1376:
	s_mov_b32 s23, -1
	s_branch .LBB70_1380
.LBB70_1377:
	s_or_saveexec_b32 s24, s24
	v_mov_b32_e32 v1, 0x7f800001
	s_xor_b32 exec_lo, exec_lo, s24
	s_cbranch_execz .LBB70_1358
.LBB70_1378:
	v_cmp_ne_u16_e32 vcc_lo, 0, v4
	v_mov_b32_e32 v1, 0
	s_and_not1_b32 s23, s23, exec_lo
	s_and_b32 s25, vcc_lo, exec_lo
	s_delay_alu instid0(SALU_CYCLE_1)
	s_or_b32 s23, s23, s25
	s_or_b32 exec_lo, exec_lo, s24
	s_and_saveexec_b32 s24, s23
	s_cbranch_execnz .LBB70_1359
	s_branch .LBB70_1360
.LBB70_1379:
	s_mov_b32 s22, -1
.LBB70_1380:
                                        ; implicit-def: $vgpr1
.LBB70_1381:
	s_and_b32 vcc_lo, exec_lo, s23
	s_mov_b32 s23, 0
	s_cbranch_vccz .LBB70_1383
; %bb.1382:
	s_cmp_lg_u32 s21, 11
	s_mov_b32 s23, -1
	s_cselect_b32 s21, -1, 0
	s_and_not1_b32 s22, s22, exec_lo
	s_and_b32 s21, s21, exec_lo
	s_delay_alu instid0(SALU_CYCLE_1)
	s_or_b32 s22, s22, s21
.LBB70_1383:
	s_mov_b32 s25, 0
.LBB70_1384:
	s_and_b32 s21, s24, exec_lo
	s_and_b32 s24, s25, exec_lo
	s_and_not1_b32 s19, s19, exec_lo
	s_and_b32 s25, s22, exec_lo
	s_and_b32 s22, s23, exec_lo
	s_or_b32 s19, s19, s25
	s_wait_xcnt 0x0
	s_or_b32 exec_lo, exec_lo, s20
	s_and_saveexec_b32 s20, s19
	s_cbranch_execz .LBB70_1313
.LBB70_1385:
	s_or_b32 s18, s18, exec_lo
	s_and_not1_b32 s22, s22, exec_lo
	s_trap 2
	s_or_b32 exec_lo, exec_lo, s20
	s_and_saveexec_b32 s19, s22
	s_delay_alu instid0(SALU_CYCLE_1)
	s_xor_b32 s19, exec_lo, s19
	s_cbranch_execnz .LBB70_1314
.LBB70_1386:
	s_or_b32 exec_lo, exec_lo, s19
	s_and_saveexec_b32 s19, s24
	s_cbranch_execz .LBB70_1432
.LBB70_1387:
	s_sext_i32_i16 s20, s0
	s_delay_alu instid0(SALU_CYCLE_1)
	s_cmp_lt_i32 s20, 5
	s_cbranch_scc1 .LBB70_1392
; %bb.1388:
	s_cmp_lt_i32 s20, 8
	s_cbranch_scc1 .LBB70_1393
; %bb.1389:
	s_cmp_lt_i32 s20, 9
	s_cbranch_scc1 .LBB70_1394
; %bb.1390:
	s_cmp_gt_i32 s20, 9
	s_cbranch_scc0 .LBB70_1395
; %bb.1391:
	global_load_b64 v[4:5], v[2:3], off
	s_mov_b32 s20, 0
	s_wait_loadcnt 0x0
	v_cvt_f32_f64_e32 v1, v[4:5]
	s_branch .LBB70_1396
.LBB70_1392:
                                        ; implicit-def: $vgpr1
	s_branch .LBB70_1413
.LBB70_1393:
                                        ; implicit-def: $vgpr1
	s_branch .LBB70_1402
.LBB70_1394:
	s_mov_b32 s20, -1
                                        ; implicit-def: $vgpr1
	s_branch .LBB70_1399
.LBB70_1395:
	s_mov_b32 s20, -1
                                        ; implicit-def: $vgpr1
.LBB70_1396:
	s_delay_alu instid0(SALU_CYCLE_1)
	s_and_not1_b32 vcc_lo, exec_lo, s20
	s_cbranch_vccnz .LBB70_1398
; %bb.1397:
	s_wait_loadcnt 0x0
	global_load_b32 v1, v[2:3], off
.LBB70_1398:
	s_mov_b32 s20, 0
.LBB70_1399:
	s_delay_alu instid0(SALU_CYCLE_1)
	s_and_not1_b32 vcc_lo, exec_lo, s20
	s_cbranch_vccnz .LBB70_1401
; %bb.1400:
	s_wait_loadcnt 0x0
	global_load_b32 v1, v[2:3], off
	s_wait_loadcnt 0x0
	v_cvt_f32_f16_e32 v1, v1
.LBB70_1401:
	s_cbranch_execnz .LBB70_1412
.LBB70_1402:
	s_sext_i32_i16 s20, s0
	s_delay_alu instid0(SALU_CYCLE_1)
	s_cmp_lt_i32 s20, 6
	s_cbranch_scc1 .LBB70_1405
; %bb.1403:
	s_cmp_gt_i32 s20, 6
	s_cbranch_scc0 .LBB70_1406
; %bb.1404:
	global_load_b64 v[4:5], v[2:3], off
	s_mov_b32 s20, 0
	s_wait_loadcnt 0x0
	v_cvt_f32_f64_e32 v1, v[4:5]
	s_branch .LBB70_1407
.LBB70_1405:
	s_mov_b32 s20, -1
                                        ; implicit-def: $vgpr1
	s_branch .LBB70_1410
.LBB70_1406:
	s_mov_b32 s20, -1
                                        ; implicit-def: $vgpr1
.LBB70_1407:
	s_delay_alu instid0(SALU_CYCLE_1)
	s_and_not1_b32 vcc_lo, exec_lo, s20
	s_cbranch_vccnz .LBB70_1409
; %bb.1408:
	s_wait_loadcnt 0x0
	global_load_b32 v1, v[2:3], off
.LBB70_1409:
	s_mov_b32 s20, 0
.LBB70_1410:
	s_delay_alu instid0(SALU_CYCLE_1)
	s_and_not1_b32 vcc_lo, exec_lo, s20
	s_cbranch_vccnz .LBB70_1412
; %bb.1411:
	s_wait_loadcnt 0x0
	global_load_u16 v1, v[2:3], off
	s_wait_loadcnt 0x0
	v_cvt_f32_f16_e32 v1, v1
.LBB70_1412:
	s_cbranch_execnz .LBB70_1431
.LBB70_1413:
	s_sext_i32_i16 s20, s0
	s_delay_alu instid0(SALU_CYCLE_1)
	s_cmp_lt_i32 s20, 2
	s_cbranch_scc1 .LBB70_1417
; %bb.1414:
	s_cmp_lt_i32 s20, 3
	s_cbranch_scc1 .LBB70_1418
; %bb.1415:
	s_cmp_gt_i32 s20, 3
	s_cbranch_scc0 .LBB70_1419
; %bb.1416:
	global_load_b64 v[4:5], v[2:3], off
	s_mov_b32 s20, 0
	s_wait_loadcnt 0x0
	v_xor_b32_e32 v1, v4, v5
	v_cls_i32_e32 v6, v5
	s_delay_alu instid0(VALU_DEP_2) | instskip(NEXT) | instid1(VALU_DEP_1)
	v_ashrrev_i32_e32 v1, 31, v1
	v_add_nc_u32_e32 v1, 32, v1
	s_delay_alu instid0(VALU_DEP_1) | instskip(NEXT) | instid1(VALU_DEP_1)
	v_add_min_u32_e64 v1, v6, -1, v1
	v_lshlrev_b64_e32 v[4:5], v1, v[4:5]
	v_sub_nc_u32_e32 v1, 32, v1
	s_delay_alu instid0(VALU_DEP_2) | instskip(NEXT) | instid1(VALU_DEP_1)
	v_min_u32_e32 v4, 1, v4
	v_or_b32_e32 v4, v5, v4
	s_delay_alu instid0(VALU_DEP_1) | instskip(NEXT) | instid1(VALU_DEP_1)
	v_cvt_f32_i32_e32 v4, v4
	v_ldexp_f32 v1, v4, v1
	s_branch .LBB70_1420
.LBB70_1417:
                                        ; implicit-def: $vgpr1
	s_branch .LBB70_1426
.LBB70_1418:
	s_mov_b32 s20, -1
                                        ; implicit-def: $vgpr1
	s_branch .LBB70_1423
.LBB70_1419:
	s_mov_b32 s20, -1
                                        ; implicit-def: $vgpr1
.LBB70_1420:
	s_delay_alu instid0(SALU_CYCLE_1)
	s_and_not1_b32 vcc_lo, exec_lo, s20
	s_cbranch_vccnz .LBB70_1422
; %bb.1421:
	s_wait_loadcnt 0x0
	global_load_b32 v1, v[2:3], off
	s_wait_loadcnt 0x0
	v_cvt_f32_i32_e32 v1, v1
.LBB70_1422:
	s_mov_b32 s20, 0
.LBB70_1423:
	s_delay_alu instid0(SALU_CYCLE_1)
	s_and_not1_b32 vcc_lo, exec_lo, s20
	s_cbranch_vccnz .LBB70_1425
; %bb.1424:
	s_wait_loadcnt 0x0
	global_load_i16 v1, v[2:3], off
	s_wait_loadcnt 0x0
	v_cvt_f32_i32_e32 v1, v1
.LBB70_1425:
	s_cbranch_execnz .LBB70_1431
.LBB70_1426:
	s_sext_i32_i16 s0, s0
	s_delay_alu instid0(SALU_CYCLE_1)
	s_cmp_gt_i32 s0, 0
	s_mov_b32 s0, 0
	s_cbranch_scc0 .LBB70_1428
; %bb.1427:
	s_wait_loadcnt 0x0
	global_load_i8 v1, v[2:3], off
	s_wait_loadcnt 0x0
	v_cvt_f32_i32_e32 v1, v1
	s_branch .LBB70_1429
.LBB70_1428:
	s_mov_b32 s0, -1
                                        ; implicit-def: $vgpr1
.LBB70_1429:
	s_delay_alu instid0(SALU_CYCLE_1)
	s_and_not1_b32 vcc_lo, exec_lo, s0
	s_cbranch_vccnz .LBB70_1431
; %bb.1430:
	s_wait_loadcnt 0x0
	global_load_u8 v1, v[2:3], off
	s_wait_loadcnt 0x0
	v_cvt_f32_ubyte0_e32 v1, v1
.LBB70_1431:
	s_or_b32 s21, s21, exec_lo
.LBB70_1432:
	s_wait_xcnt 0x0
	s_or_b32 exec_lo, exec_lo, s19
	s_mov_b32 s0, 0
	s_mov_b32 s22, 0
                                        ; implicit-def: $sgpr19
                                        ; implicit-def: $vgpr2_vgpr3
	s_and_saveexec_b32 s20, s21
	s_cbranch_execz .LBB70_1442
; %bb.1433:
	s_wait_loadcnt 0x0
	s_delay_alu instid0(VALU_DEP_1) | instskip(SKIP_1) | instid1(VALU_DEP_1)
	v_mul_f32_e32 v1, s11, v1
	s_mov_b32 s0, exec_lo
	v_cmpx_nlt_f32_e32 s2, v1
	s_cbranch_execz .LBB70_1435
; %bb.1434:
	v_mul_f32_e32 v2, 0x3fb8aa3b, v1
	v_cmp_ngt_f32_e32 vcc_lo, 0xc2ce8ed0, v1
	s_delay_alu instid0(VALU_DEP_2) | instskip(SKIP_1) | instid1(VALU_DEP_2)
	v_rndne_f32_e32 v3, v2
	v_fma_f32 v4, 0x3fb8aa3b, v1, -v2
	v_sub_f32_e32 v2, v2, v3
	s_delay_alu instid0(VALU_DEP_2) | instskip(SKIP_1) | instid1(VALU_DEP_2)
	v_fmamk_f32 v4, v1, 0x32a5705f, v4
	v_cvt_i32_f32_e32 v3, v3
	v_add_f32_e32 v2, v2, v4
	s_delay_alu instid0(VALU_DEP_1) | instskip(SKIP_1) | instid1(TRANS32_DEP_1)
	v_exp_f32_e32 v2, v2
	v_nop
	v_ldexp_f32 v2, v2, v3
	s_delay_alu instid0(VALU_DEP_1) | instskip(SKIP_1) | instid1(VALU_DEP_2)
	v_cndmask_b32_e32 v2, 0, v2, vcc_lo
	v_cmp_nlt_f32_e32 vcc_lo, 0x42b17218, v1
	v_cndmask_b32_e32 v1, 0x7f800000, v2, vcc_lo
	s_delay_alu instid0(VALU_DEP_1) | instskip(NEXT) | instid1(VALU_DEP_1)
	v_dual_mul_f32 v0, v0, v1 :: v_dual_add_f32 v1, 1.0, v1
	v_div_scale_f32 v2, null, v1, v1, v0
	s_delay_alu instid0(VALU_DEP_1) | instskip(SKIP_1) | instid1(TRANS32_DEP_1)
	v_rcp_f32_e32 v3, v2
	v_nop
	v_fma_f32 v4, -v2, v3, 1.0
	s_delay_alu instid0(VALU_DEP_1) | instskip(SKIP_1) | instid1(VALU_DEP_1)
	v_fmac_f32_e32 v3, v4, v3
	v_div_scale_f32 v4, vcc_lo, v0, v1, v0
	v_mul_f32_e32 v5, v4, v3
	s_delay_alu instid0(VALU_DEP_1) | instskip(NEXT) | instid1(VALU_DEP_1)
	v_fma_f32 v6, -v2, v5, v4
	v_fmac_f32_e32 v5, v6, v3
	s_delay_alu instid0(VALU_DEP_1) | instskip(NEXT) | instid1(VALU_DEP_1)
	v_fma_f32 v2, -v2, v5, v4
	v_div_fmas_f32 v2, v2, v3, v5
	s_delay_alu instid0(VALU_DEP_1)
	v_div_fixup_f32 v0, v2, v1, v0
.LBB70_1435:
	s_or_b32 exec_lo, exec_lo, s0
	v_mul_lo_u32 v2, v12, s8
	s_and_b32 s19, s3, 0xff
	s_delay_alu instid0(SALU_CYCLE_1) | instskip(NEXT) | instid1(VALU_DEP_1)
	s_cmp_lt_i32 s19, 11
	v_ashrrev_i32_e32 v3, 31, v2
	s_delay_alu instid0(VALU_DEP_1)
	v_add_nc_u64_e32 v[2:3], s[4:5], v[2:3]
	s_cbranch_scc1 .LBB70_1445
; %bb.1436:
	s_and_b32 s21, 0xffff, s19
	s_mov_b32 s22, -1
	s_cmp_gt_i32 s21, 25
	s_mov_b32 s0, s17
	s_cbranch_scc0 .LBB70_1473
; %bb.1437:
	s_cmp_gt_i32 s21, 28
	s_mov_b32 s0, s17
	s_cbranch_scc0 .LBB70_1457
; %bb.1438:
	;; [unrolled: 4-line block ×4, first 2 shown]
	s_cmp_eq_u32 s21, 46
	s_mov_b32 s0, -1
	s_cbranch_scc0 .LBB70_1446
; %bb.1441:
	v_bfe_u32 v1, v0, 16, 1
	v_cmp_o_f32_e32 vcc_lo, v0, v0
	s_mov_b32 s0, 0
	s_mov_b32 s22, 0
	s_delay_alu instid0(VALU_DEP_2) | instskip(NEXT) | instid1(VALU_DEP_1)
	v_add3_u32 v1, v0, v1, 0x7fff
	v_lshrrev_b32_e32 v1, 16, v1
	s_delay_alu instid0(VALU_DEP_1)
	v_cndmask_b32_e32 v1, 0x7fc0, v1, vcc_lo
	global_store_b32 v[2:3], v1, off
	s_branch .LBB70_1447
.LBB70_1442:
	s_or_b32 exec_lo, exec_lo, s20
	s_and_saveexec_b32 s20, s17
	s_cbranch_execnz .LBB70_1515
.LBB70_1443:
	s_or_b32 exec_lo, exec_lo, s20
	s_and_saveexec_b32 s17, s0
	s_delay_alu instid0(SALU_CYCLE_1)
	s_xor_b32 s0, exec_lo, s17
	s_cbranch_execz .LBB70_1516
.LBB70_1444:
	s_wait_loadcnt 0x0
	v_cmp_neq_f32_e32 vcc_lo, 0, v0
	v_cndmask_b32_e64 v1, 0, 1, vcc_lo
	global_store_b8 v[2:3], v1, off
	s_wait_xcnt 0x0
	s_or_b32 exec_lo, exec_lo, s0
	s_and_saveexec_b32 s0, s22
	s_delay_alu instid0(SALU_CYCLE_1)
	s_xor_b32 s0, exec_lo, s0
	s_cbranch_execz .LBB70_1554
	s_branch .LBB70_1517
.LBB70_1445:
	s_mov_b32 s23, 0
	s_mov_b32 s22, -1
	s_mov_b32 s0, s17
	s_branch .LBB70_1514
.LBB70_1446:
	s_mov_b32 s22, 0
.LBB70_1447:
	s_delay_alu instid0(SALU_CYCLE_1)
	s_and_b32 vcc_lo, exec_lo, s22
	s_cbranch_vccz .LBB70_1452
; %bb.1448:
	s_cmp_eq_u32 s21, 44
	s_mov_b32 s0, -1
	s_cbranch_scc0 .LBB70_1452
; %bb.1449:
	v_bfe_u32 v4, v0, 23, 8
	s_wait_xcnt 0x0
	v_mov_b32_e32 v1, 0xff
	s_mov_b32 s22, exec_lo
	s_delay_alu instid0(VALU_DEP_2)
	v_cmpx_ne_u32_e32 0xff, v4
	s_cbranch_execz .LBB70_1451
; %bb.1450:
	v_and_b32_e32 v1, 0x400000, v0
	v_and_or_b32 v4, 0x3fffff, v0, v4
	s_delay_alu instid0(VALU_DEP_2) | instskip(NEXT) | instid1(VALU_DEP_2)
	v_cmp_ne_u32_e32 vcc_lo, 0, v1
	v_cmp_ne_u32_e64 s0, 0, v4
	v_lshrrev_b32_e32 v1, 23, v0
	s_and_b32 s0, vcc_lo, s0
	s_delay_alu instid0(SALU_CYCLE_1) | instskip(NEXT) | instid1(VALU_DEP_1)
	v_cndmask_b32_e64 v4, 0, 1, s0
	v_add_nc_u32_e32 v1, v1, v4
.LBB70_1451:
	s_or_b32 exec_lo, exec_lo, s22
	s_mov_b32 s0, 0
	global_store_b8 v[2:3], v1, off
.LBB70_1452:
	s_mov_b32 s22, 0
.LBB70_1453:
	s_delay_alu instid0(SALU_CYCLE_1)
	s_and_b32 vcc_lo, exec_lo, s22
	s_cbranch_vccz .LBB70_1456
; %bb.1454:
	s_cmp_eq_u32 s21, 29
	s_mov_b32 s0, -1
	s_cbranch_scc0 .LBB70_1456
; %bb.1455:
	s_wait_xcnt 0x0
	v_trunc_f32_e32 v1, v0
	s_mov_b32 s0, 0
	s_mov_b32 s22, 0
	s_delay_alu instid0(VALU_DEP_1) | instskip(NEXT) | instid1(VALU_DEP_1)
	v_mul_f32_e32 v4, 0x2f800000, v1
	v_floor_f32_e32 v4, v4
	s_delay_alu instid0(VALU_DEP_1) | instskip(SKIP_1) | instid1(VALU_DEP_2)
	v_fmamk_f32 v1, v4, 0xcf800000, v1
	v_cvt_u32_f32_e32 v5, v4
	v_cvt_u32_f32_e32 v4, v1
	global_store_b64 v[2:3], v[4:5], off
	s_branch .LBB70_1457
.LBB70_1456:
	s_mov_b32 s22, 0
.LBB70_1457:
	s_delay_alu instid0(SALU_CYCLE_1)
	s_and_b32 vcc_lo, exec_lo, s22
	s_cbranch_vccz .LBB70_1472
; %bb.1458:
	s_cmp_lt_i32 s21, 27
	s_mov_b32 s22, -1
	s_cbranch_scc1 .LBB70_1464
; %bb.1459:
	s_wait_xcnt 0x0
	v_cvt_u32_f32_e32 v1, v0
	s_cmp_gt_i32 s21, 27
	s_cbranch_scc0 .LBB70_1461
; %bb.1460:
	s_mov_b32 s22, 0
	global_store_b32 v[2:3], v1, off
.LBB70_1461:
	s_and_not1_b32 vcc_lo, exec_lo, s22
	s_cbranch_vccnz .LBB70_1463
; %bb.1462:
	global_store_b16 v[2:3], v1, off
.LBB70_1463:
	s_mov_b32 s22, 0
.LBB70_1464:
	s_delay_alu instid0(SALU_CYCLE_1)
	s_and_not1_b32 vcc_lo, exec_lo, s22
	s_cbranch_vccnz .LBB70_1472
; %bb.1465:
	s_wait_xcnt 0x0
	v_and_b32_e32 v1, 0x7fffffff, v0
	v_mov_b32_e32 v4, 0x80
	s_mov_b32 s22, exec_lo
	s_delay_alu instid0(VALU_DEP_2)
	v_cmpx_gt_u32_e32 0x43800000, v1
	s_cbranch_execz .LBB70_1471
; %bb.1466:
	v_cmp_lt_u32_e32 vcc_lo, 0x3bffffff, v1
	s_mov_b32 s23, 0
                                        ; implicit-def: $vgpr1
	s_and_saveexec_b32 s24, vcc_lo
	s_delay_alu instid0(SALU_CYCLE_1)
	s_xor_b32 s24, exec_lo, s24
	s_cbranch_execz .LBB70_1569
; %bb.1467:
	v_bfe_u32 v1, v0, 20, 1
	s_mov_b32 s23, exec_lo
	s_delay_alu instid0(VALU_DEP_1) | instskip(NEXT) | instid1(VALU_DEP_1)
	v_add3_u32 v1, v0, v1, 0x487ffff
	v_lshrrev_b32_e32 v1, 20, v1
	s_and_not1_saveexec_b32 s24, s24
	s_cbranch_execnz .LBB70_1570
.LBB70_1468:
	s_or_b32 exec_lo, exec_lo, s24
	v_mov_b32_e32 v4, 0
	s_and_saveexec_b32 s24, s23
.LBB70_1469:
	v_lshrrev_b32_e32 v4, 24, v0
	s_delay_alu instid0(VALU_DEP_1)
	v_and_or_b32 v4, 0x80, v4, v1
.LBB70_1470:
	s_or_b32 exec_lo, exec_lo, s24
.LBB70_1471:
	s_delay_alu instid0(SALU_CYCLE_1)
	s_or_b32 exec_lo, exec_lo, s22
	global_store_b8 v[2:3], v4, off
.LBB70_1472:
	s_mov_b32 s22, 0
.LBB70_1473:
	s_delay_alu instid0(SALU_CYCLE_1)
	s_and_b32 vcc_lo, exec_lo, s22
	s_mov_b32 s22, 0
	s_cbranch_vccz .LBB70_1513
; %bb.1474:
	s_cmp_gt_i32 s21, 22
	s_mov_b32 s23, -1
	s_cbranch_scc0 .LBB70_1506
; %bb.1475:
	s_cmp_lt_i32 s21, 24
	s_cbranch_scc1 .LBB70_1495
; %bb.1476:
	s_cmp_gt_i32 s21, 24
	s_cbranch_scc0 .LBB70_1484
; %bb.1477:
	s_wait_xcnt 0x0
	v_and_b32_e32 v1, 0x7fffffff, v0
	v_mov_b32_e32 v4, 0x80
	s_mov_b32 s23, exec_lo
	s_delay_alu instid0(VALU_DEP_2)
	v_cmpx_gt_u32_e32 0x47800000, v1
	s_cbranch_execz .LBB70_1483
; %bb.1478:
	v_cmp_lt_u32_e32 vcc_lo, 0x37ffffff, v1
	s_mov_b32 s24, 0
                                        ; implicit-def: $vgpr1
	s_and_saveexec_b32 s25, vcc_lo
	s_delay_alu instid0(SALU_CYCLE_1)
	s_xor_b32 s25, exec_lo, s25
	s_cbranch_execz .LBB70_1695
; %bb.1479:
	v_bfe_u32 v1, v0, 21, 1
	s_mov_b32 s24, exec_lo
	s_delay_alu instid0(VALU_DEP_1) | instskip(NEXT) | instid1(VALU_DEP_1)
	v_add3_u32 v1, v0, v1, 0x88fffff
	v_lshrrev_b32_e32 v1, 21, v1
	s_and_not1_saveexec_b32 s25, s25
	s_cbranch_execnz .LBB70_1696
.LBB70_1480:
	s_or_b32 exec_lo, exec_lo, s25
	v_mov_b32_e32 v4, 0
	s_and_saveexec_b32 s25, s24
.LBB70_1481:
	v_lshrrev_b32_e32 v4, 24, v0
	s_delay_alu instid0(VALU_DEP_1)
	v_and_or_b32 v4, 0x80, v4, v1
.LBB70_1482:
	s_or_b32 exec_lo, exec_lo, s25
.LBB70_1483:
	s_delay_alu instid0(SALU_CYCLE_1)
	s_or_b32 exec_lo, exec_lo, s23
	s_mov_b32 s23, 0
	global_store_b8 v[2:3], v4, off
.LBB70_1484:
	s_and_b32 vcc_lo, exec_lo, s23
	s_cbranch_vccz .LBB70_1494
; %bb.1485:
	s_wait_xcnt 0x0
	v_and_b32_e32 v4, 0x7fffffff, v0
	s_mov_b32 s23, exec_lo
                                        ; implicit-def: $vgpr1
	s_delay_alu instid0(VALU_DEP_1)
	v_cmpx_gt_u32_e32 0x43f00000, v4
	s_xor_b32 s23, exec_lo, s23
	s_cbranch_execz .LBB70_1491
; %bb.1486:
	s_mov_b32 s24, exec_lo
                                        ; implicit-def: $vgpr1
	v_cmpx_lt_u32_e32 0x3c7fffff, v4
	s_xor_b32 s24, exec_lo, s24
; %bb.1487:
	v_bfe_u32 v1, v0, 20, 1
	s_delay_alu instid0(VALU_DEP_1) | instskip(NEXT) | instid1(VALU_DEP_1)
	v_add3_u32 v1, v0, v1, 0x407ffff
	v_and_b32_e32 v4, 0xff00000, v1
	v_lshrrev_b32_e32 v1, 20, v1
	s_delay_alu instid0(VALU_DEP_2) | instskip(NEXT) | instid1(VALU_DEP_2)
	v_cmp_ne_u32_e32 vcc_lo, 0x7f00000, v4
	v_cndmask_b32_e32 v1, 0x7e, v1, vcc_lo
; %bb.1488:
	s_and_not1_saveexec_b32 s24, s24
; %bb.1489:
	v_add_f32_e64 v1, 0x46800000, |v0|
; %bb.1490:
	s_or_b32 exec_lo, exec_lo, s24
                                        ; implicit-def: $vgpr4
.LBB70_1491:
	s_and_not1_saveexec_b32 s23, s23
; %bb.1492:
	v_mov_b32_e32 v1, 0x7f
	v_cmp_lt_u32_e32 vcc_lo, 0x7f800000, v4
	s_delay_alu instid0(VALU_DEP_2)
	v_cndmask_b32_e32 v1, 0x7e, v1, vcc_lo
; %bb.1493:
	s_or_b32 exec_lo, exec_lo, s23
	v_lshrrev_b32_e32 v4, 24, v0
	s_delay_alu instid0(VALU_DEP_1)
	v_and_or_b32 v1, 0x80, v4, v1
	global_store_b8 v[2:3], v1, off
.LBB70_1494:
	s_mov_b32 s23, 0
.LBB70_1495:
	s_delay_alu instid0(SALU_CYCLE_1)
	s_and_not1_b32 vcc_lo, exec_lo, s23
	s_cbranch_vccnz .LBB70_1505
; %bb.1496:
	s_wait_xcnt 0x0
	v_and_b32_e32 v4, 0x7fffffff, v0
	s_mov_b32 s23, exec_lo
                                        ; implicit-def: $vgpr1
	s_delay_alu instid0(VALU_DEP_1)
	v_cmpx_gt_u32_e32 0x47800000, v4
	s_xor_b32 s23, exec_lo, s23
	s_cbranch_execz .LBB70_1502
; %bb.1497:
	s_mov_b32 s24, exec_lo
                                        ; implicit-def: $vgpr1
	v_cmpx_lt_u32_e32 0x387fffff, v4
	s_xor_b32 s24, exec_lo, s24
; %bb.1498:
	v_bfe_u32 v1, v0, 21, 1
	s_delay_alu instid0(VALU_DEP_1) | instskip(NEXT) | instid1(VALU_DEP_1)
	v_add3_u32 v1, v0, v1, 0x80fffff
	v_lshrrev_b32_e32 v1, 21, v1
; %bb.1499:
	s_and_not1_saveexec_b32 s24, s24
; %bb.1500:
	v_add_f32_e64 v1, 0x43000000, |v0|
; %bb.1501:
	s_or_b32 exec_lo, exec_lo, s24
                                        ; implicit-def: $vgpr4
.LBB70_1502:
	s_and_not1_saveexec_b32 s23, s23
; %bb.1503:
	v_mov_b32_e32 v1, 0x7f
	v_cmp_lt_u32_e32 vcc_lo, 0x7f800000, v4
	s_delay_alu instid0(VALU_DEP_2)
	v_cndmask_b32_e32 v1, 0x7c, v1, vcc_lo
; %bb.1504:
	s_or_b32 exec_lo, exec_lo, s23
	v_lshrrev_b32_e32 v4, 24, v0
	s_delay_alu instid0(VALU_DEP_1)
	v_and_or_b32 v1, 0x80, v4, v1
	global_store_b8 v[2:3], v1, off
.LBB70_1505:
	s_mov_b32 s23, 0
.LBB70_1506:
	s_delay_alu instid0(SALU_CYCLE_1)
	s_and_not1_b32 vcc_lo, exec_lo, s23
	s_mov_b32 s23, 0
	s_cbranch_vccnz .LBB70_1514
; %bb.1507:
	s_cmp_gt_i32 s21, 14
	s_mov_b32 s23, -1
	s_cbranch_scc0 .LBB70_1511
; %bb.1508:
	s_cmp_eq_u32 s21, 15
	s_mov_b32 s0, -1
	s_cbranch_scc0 .LBB70_1510
; %bb.1509:
	s_wait_xcnt 0x0
	v_bfe_u32 v1, v0, 16, 1
	v_cmp_o_f32_e32 vcc_lo, v0, v0
	s_mov_b32 s0, 0
	s_delay_alu instid0(VALU_DEP_2) | instskip(NEXT) | instid1(VALU_DEP_1)
	v_add3_u32 v1, v0, v1, 0x7fff
	v_lshrrev_b32_e32 v1, 16, v1
	s_delay_alu instid0(VALU_DEP_1)
	v_cndmask_b32_e32 v1, 0x7fc0, v1, vcc_lo
	global_store_b16 v[2:3], v1, off
.LBB70_1510:
	s_mov_b32 s23, 0
.LBB70_1511:
	s_delay_alu instid0(SALU_CYCLE_1)
	s_and_b32 vcc_lo, exec_lo, s23
	s_mov_b32 s23, 0
	s_cbranch_vccz .LBB70_1514
; %bb.1512:
	s_cmp_lg_u32 s21, 11
	s_mov_b32 s23, -1
	s_cselect_b32 s21, -1, 0
	s_and_not1_b32 s0, s0, exec_lo
	s_and_b32 s21, s21, exec_lo
	s_delay_alu instid0(SALU_CYCLE_1)
	s_or_b32 s0, s0, s21
	s_branch .LBB70_1514
.LBB70_1513:
	s_mov_b32 s23, 0
.LBB70_1514:
	s_and_not1_b32 s17, s17, exec_lo
	s_and_b32 s21, s0, exec_lo
	s_and_b32 s22, s22, exec_lo
	;; [unrolled: 1-line block ×3, first 2 shown]
	s_or_b32 s17, s17, s21
	s_wait_xcnt 0x0
	s_or_b32 exec_lo, exec_lo, s20
	s_and_saveexec_b32 s20, s17
	s_cbranch_execz .LBB70_1443
.LBB70_1515:
	s_or_b32 s18, s18, exec_lo
	s_and_not1_b32 s0, s0, exec_lo
	s_trap 2
	s_or_b32 exec_lo, exec_lo, s20
	s_and_saveexec_b32 s17, s0
	s_delay_alu instid0(SALU_CYCLE_1)
	s_xor_b32 s0, exec_lo, s17
	s_cbranch_execnz .LBB70_1444
.LBB70_1516:
	s_or_b32 exec_lo, exec_lo, s0
	s_and_saveexec_b32 s0, s22
	s_delay_alu instid0(SALU_CYCLE_1)
	s_xor_b32 s0, exec_lo, s0
	s_cbranch_execz .LBB70_1554
.LBB70_1517:
	s_sext_i32_i16 s20, s19
	s_mov_b32 s17, -1
	s_cmp_lt_i32 s20, 5
	s_cbranch_scc1 .LBB70_1538
; %bb.1518:
	s_cmp_lt_i32 s20, 8
	s_cbranch_scc1 .LBB70_1528
; %bb.1519:
	s_cmp_lt_i32 s20, 9
	s_cbranch_scc1 .LBB70_1525
; %bb.1520:
	s_cmp_gt_i32 s20, 9
	s_cbranch_scc0 .LBB70_1522
; %bb.1521:
	s_wait_loadcnt 0x0
	v_cvt_f64_f32_e32 v[4:5], v0
	v_mov_b32_e32 v6, 0
	s_mov_b32 s17, 0
	s_delay_alu instid0(VALU_DEP_1)
	v_mov_b32_e32 v7, v6
	global_store_b128 v[2:3], v[4:7], off
.LBB70_1522:
	s_and_not1_b32 vcc_lo, exec_lo, s17
	s_cbranch_vccnz .LBB70_1524
; %bb.1523:
	s_wait_loadcnt 0x0
	v_mov_b32_e32 v1, 0
	global_store_b64 v[2:3], v[0:1], off
.LBB70_1524:
	s_mov_b32 s17, 0
.LBB70_1525:
	s_delay_alu instid0(SALU_CYCLE_1)
	s_and_not1_b32 vcc_lo, exec_lo, s17
	s_cbranch_vccnz .LBB70_1527
; %bb.1526:
	s_wait_loadcnt 0x0
	v_cvt_f16_f32_e32 v1, v0
	s_delay_alu instid0(VALU_DEP_1)
	v_and_b32_e32 v1, 0xffff, v1
	global_store_b32 v[2:3], v1, off
.LBB70_1527:
	s_mov_b32 s17, 0
.LBB70_1528:
	s_delay_alu instid0(SALU_CYCLE_1)
	s_and_not1_b32 vcc_lo, exec_lo, s17
	s_cbranch_vccnz .LBB70_1537
; %bb.1529:
	s_sext_i32_i16 s20, s19
	s_mov_b32 s17, -1
	s_cmp_lt_i32 s20, 6
	s_cbranch_scc1 .LBB70_1535
; %bb.1530:
	s_cmp_gt_i32 s20, 6
	s_cbranch_scc0 .LBB70_1532
; %bb.1531:
	s_wait_loadcnt 0x0
	v_cvt_f64_f32_e32 v[4:5], v0
	s_mov_b32 s17, 0
	global_store_b64 v[2:3], v[4:5], off
.LBB70_1532:
	s_and_not1_b32 vcc_lo, exec_lo, s17
	s_cbranch_vccnz .LBB70_1534
; %bb.1533:
	s_wait_loadcnt 0x0
	global_store_b32 v[2:3], v0, off
.LBB70_1534:
	s_mov_b32 s17, 0
.LBB70_1535:
	s_delay_alu instid0(SALU_CYCLE_1)
	s_and_not1_b32 vcc_lo, exec_lo, s17
	s_cbranch_vccnz .LBB70_1537
; %bb.1536:
	s_wait_loadcnt 0x0
	v_cvt_f16_f32_e32 v1, v0
	global_store_b16 v[2:3], v1, off
.LBB70_1537:
	s_mov_b32 s17, 0
.LBB70_1538:
	s_delay_alu instid0(SALU_CYCLE_1)
	s_and_not1_b32 vcc_lo, exec_lo, s17
	s_cbranch_vccnz .LBB70_1554
; %bb.1539:
	s_sext_i32_i16 s20, s19
	s_mov_b32 s17, -1
	s_cmp_lt_i32 s20, 2
	s_cbranch_scc1 .LBB70_1549
; %bb.1540:
	s_cmp_lt_i32 s20, 3
	s_cbranch_scc1 .LBB70_1546
; %bb.1541:
	s_cmp_gt_i32 s20, 3
	s_cbranch_scc0 .LBB70_1543
; %bb.1542:
	s_wait_loadcnt 0x0
	v_trunc_f32_e32 v1, v0
	s_mov_b32 s17, 0
	s_delay_alu instid0(VALU_DEP_1) | instskip(NEXT) | instid1(VALU_DEP_1)
	v_mul_f32_e64 v4, 0x2f800000, |v1|
	v_floor_f32_e32 v5, v4
	v_ashrrev_i32_e32 v4, 31, v1
	s_delay_alu instid0(VALU_DEP_2) | instskip(SKIP_1) | instid1(VALU_DEP_3)
	v_fma_f32 v6, 0xcf800000, v5, |v1|
	v_cvt_u32_f32_e32 v1, v5
	v_mov_b32_e32 v5, v4
	s_delay_alu instid0(VALU_DEP_3) | instskip(NEXT) | instid1(VALU_DEP_3)
	v_cvt_u32_f32_e32 v6, v6
	v_xor_b32_e32 v7, v1, v4
	s_delay_alu instid0(VALU_DEP_2) | instskip(NEXT) | instid1(VALU_DEP_1)
	v_xor_b32_e32 v6, v6, v4
	v_sub_nc_u64_e32 v[4:5], v[6:7], v[4:5]
	global_store_b64 v[2:3], v[4:5], off
.LBB70_1543:
	s_and_not1_b32 vcc_lo, exec_lo, s17
	s_cbranch_vccnz .LBB70_1545
; %bb.1544:
	s_wait_loadcnt 0x0
	v_cvt_i32_f32_e32 v1, v0
	global_store_b32 v[2:3], v1, off
.LBB70_1545:
	s_mov_b32 s17, 0
.LBB70_1546:
	s_delay_alu instid0(SALU_CYCLE_1)
	s_and_not1_b32 vcc_lo, exec_lo, s17
	s_cbranch_vccnz .LBB70_1548
; %bb.1547:
	s_wait_loadcnt 0x0
	v_cvt_i32_f32_e32 v1, v0
	global_store_b16 v[2:3], v1, off
.LBB70_1548:
	s_mov_b32 s17, 0
.LBB70_1549:
	s_delay_alu instid0(SALU_CYCLE_1)
	s_and_not1_b32 vcc_lo, exec_lo, s17
	s_cbranch_vccnz .LBB70_1554
; %bb.1550:
	s_sext_i32_i16 s17, s19
	s_delay_alu instid0(SALU_CYCLE_1)
	s_cmp_gt_i32 s17, 0
	s_mov_b32 s17, -1
	s_cbranch_scc0 .LBB70_1552
; %bb.1551:
	s_wait_loadcnt 0x0
	v_cvt_i32_f32_e32 v1, v0
	s_mov_b32 s17, 0
	global_store_b8 v[2:3], v1, off
.LBB70_1552:
	s_and_not1_b32 vcc_lo, exec_lo, s17
	s_cbranch_vccnz .LBB70_1554
; %bb.1553:
	s_wait_loadcnt 0x0
	v_trunc_f32_e32 v0, v0
	s_delay_alu instid0(VALU_DEP_1) | instskip(NEXT) | instid1(VALU_DEP_1)
	v_mul_f32_e64 v1, 0x2f800000, |v0|
	v_floor_f32_e32 v1, v1
	s_delay_alu instid0(VALU_DEP_1) | instskip(SKIP_1) | instid1(VALU_DEP_2)
	v_fma_f32 v1, 0xcf800000, v1, |v0|
	v_ashrrev_i32_e32 v0, 31, v0
	v_cvt_u32_f32_e32 v1, v1
	s_delay_alu instid0(VALU_DEP_1) | instskip(NEXT) | instid1(VALU_DEP_1)
	v_xor_b32_e32 v1, v1, v0
	v_sub_nc_u32_e32 v0, v1, v0
	global_store_b8 v[2:3], v0, off
.LBB70_1554:
	s_wait_xcnt 0x0
	s_or_b32 exec_lo, exec_lo, s0
	s_delay_alu instid0(SALU_CYCLE_1)
	s_and_b32 s17, s18, exec_lo
                                        ; implicit-def: $vgpr12
.LBB70_1555:
	s_or_saveexec_b32 s16, s16
	s_mov_b32 s0, 0
                                        ; implicit-def: $sgpr18
                                        ; implicit-def: $vgpr0_vgpr1
                                        ; implicit-def: $vgpr6
	s_xor_b32 exec_lo, exec_lo, s16
	s_cbranch_execz .LBB70_2686
; %bb.1556:
	v_mul_lo_u32 v2, s9, v12
	s_and_b32 s0, s15, 0xff
	s_delay_alu instid0(SALU_CYCLE_1) | instskip(NEXT) | instid1(VALU_DEP_1)
	s_cmp_lt_i32 s0, 11
	v_ashrrev_i32_e32 v3, 31, v2
	s_delay_alu instid0(VALU_DEP_1)
	v_add_nc_u64_e32 v[4:5], s[6:7], v[2:3]
	s_cbranch_scc1 .LBB70_1563
; %bb.1557:
	s_and_b32 s14, 0xffff, s0
	s_mov_b32 s18, 0
	s_cmp_gt_i32 s14, 25
	s_cbranch_scc0 .LBB70_1565
; %bb.1558:
	s_cmp_gt_i32 s14, 28
	s_cbranch_scc0 .LBB70_1566
; %bb.1559:
	;; [unrolled: 3-line block ×4, first 2 shown]
	s_cmp_eq_u32 s14, 46
	s_mov_b32 s20, 0
	s_cbranch_scc0 .LBB70_1571
; %bb.1562:
	s_wait_loadcnt 0x0
	global_load_b32 v0, v[4:5], off
	s_mov_b32 s15, 0
	s_mov_b32 s19, -1
	s_wait_loadcnt 0x0
	v_lshlrev_b32_e32 v0, 16, v0
	s_branch .LBB70_1573
.LBB70_1563:
	s_mov_b32 s19, 0
	s_mov_b32 s14, s17
                                        ; implicit-def: $vgpr0
	s_cbranch_execnz .LBB70_1636
.LBB70_1564:
	s_and_not1_b32 vcc_lo, exec_lo, s19
	s_cbranch_vccz .LBB70_1681
	s_branch .LBB70_2684
.LBB70_1565:
	s_mov_b32 s19, 0
	s_mov_b32 s15, 0
                                        ; implicit-def: $vgpr0
	s_cbranch_execnz .LBB70_1601
	s_branch .LBB70_1632
.LBB70_1566:
	s_mov_b32 s20, -1
	s_mov_b32 s19, 0
	s_mov_b32 s15, 0
                                        ; implicit-def: $vgpr0
	s_branch .LBB70_1582
.LBB70_1567:
	s_mov_b32 s19, 0
	s_mov_b32 s15, 0
                                        ; implicit-def: $vgpr0
	s_cbranch_execnz .LBB70_1578
	s_branch .LBB70_1581
.LBB70_1568:
	s_mov_b32 s20, -1
	s_mov_b32 s19, 0
	s_mov_b32 s15, 0
	s_branch .LBB70_1572
.LBB70_1569:
	s_and_not1_saveexec_b32 s24, s24
	s_cbranch_execz .LBB70_1468
.LBB70_1570:
	v_add_f32_e64 v1, 0x46000000, |v0|
	s_and_not1_b32 s23, s23, exec_lo
	s_delay_alu instid0(VALU_DEP_1) | instskip(NEXT) | instid1(VALU_DEP_1)
	v_and_b32_e32 v1, 0xff, v1
	v_cmp_ne_u32_e32 vcc_lo, 0, v1
	s_and_b32 s25, vcc_lo, exec_lo
	s_delay_alu instid0(SALU_CYCLE_1)
	s_or_b32 s23, s23, s25
	s_or_b32 exec_lo, exec_lo, s24
	v_mov_b32_e32 v4, 0
	s_and_saveexec_b32 s24, s23
	s_cbranch_execnz .LBB70_1469
	s_branch .LBB70_1470
.LBB70_1571:
	s_mov_b32 s15, -1
	s_mov_b32 s19, 0
.LBB70_1572:
                                        ; implicit-def: $vgpr0
.LBB70_1573:
	s_and_b32 vcc_lo, exec_lo, s20
	s_cbranch_vccz .LBB70_1576
; %bb.1574:
	s_cmp_eq_u32 s14, 44
	s_cbranch_scc0 .LBB70_1577
; %bb.1575:
	s_wait_loadcnt 0x0
	global_load_u8 v0, v[4:5], off
	s_mov_b32 s15, 0
	s_mov_b32 s19, -1
	s_wait_loadcnt 0x0
	v_lshlrev_b32_e32 v1, 23, v0
	v_cmp_ne_u32_e32 vcc_lo, 0xff, v0
	s_delay_alu instid0(VALU_DEP_2) | instskip(SKIP_1) | instid1(VALU_DEP_2)
	v_cndmask_b32_e32 v1, 0x7f800001, v1, vcc_lo
	v_cmp_ne_u32_e32 vcc_lo, 0, v0
	v_cndmask_b32_e32 v0, 0x400000, v1, vcc_lo
.LBB70_1576:
	s_branch .LBB70_1581
.LBB70_1577:
	s_mov_b32 s15, -1
                                        ; implicit-def: $vgpr0
	s_branch .LBB70_1581
.LBB70_1578:
	s_cmp_eq_u32 s14, 29
	s_cbranch_scc0 .LBB70_1580
; %bb.1579:
	s_wait_loadcnt 0x0
	global_load_b64 v[0:1], v[4:5], off
	s_mov_b32 s15, 0
	s_mov_b32 s19, -1
	s_mov_b32 s20, 0
	s_wait_loadcnt 0x0
	v_clz_i32_u32_e32 v3, v1
	s_delay_alu instid0(VALU_DEP_1) | instskip(NEXT) | instid1(VALU_DEP_1)
	v_min_u32_e32 v3, 32, v3
	v_lshlrev_b64_e32 v[0:1], v3, v[0:1]
	s_delay_alu instid0(VALU_DEP_1) | instskip(NEXT) | instid1(VALU_DEP_1)
	v_min_u32_e32 v0, 1, v0
	v_dual_sub_nc_u32 v1, 32, v3 :: v_dual_bitop2_b32 v0, v1, v0 bitop3:0x54
	s_delay_alu instid0(VALU_DEP_1) | instskip(NEXT) | instid1(VALU_DEP_1)
	v_cvt_f32_u32_e32 v0, v0
	v_ldexp_f32 v0, v0, v1
	s_branch .LBB70_1582
.LBB70_1580:
	s_mov_b32 s15, -1
                                        ; implicit-def: $vgpr0
.LBB70_1581:
	s_mov_b32 s20, 0
.LBB70_1582:
	s_delay_alu instid0(SALU_CYCLE_1)
	s_and_b32 vcc_lo, exec_lo, s20
	s_cbranch_vccz .LBB70_1600
; %bb.1583:
	s_cmp_lt_i32 s14, 27
	s_cbranch_scc1 .LBB70_1586
; %bb.1584:
	s_cmp_gt_i32 s14, 27
	s_cbranch_scc0 .LBB70_1587
; %bb.1585:
	s_wait_loadcnt 0x0
	global_load_b32 v0, v[4:5], off
	s_mov_b32 s19, 0
	s_wait_loadcnt 0x0
	v_cvt_f32_u32_e32 v0, v0
	s_branch .LBB70_1588
.LBB70_1586:
	s_mov_b32 s19, -1
                                        ; implicit-def: $vgpr0
	s_branch .LBB70_1591
.LBB70_1587:
	s_mov_b32 s19, -1
                                        ; implicit-def: $vgpr0
.LBB70_1588:
	s_delay_alu instid0(SALU_CYCLE_1)
	s_and_not1_b32 vcc_lo, exec_lo, s19
	s_cbranch_vccnz .LBB70_1590
; %bb.1589:
	s_wait_loadcnt 0x0
	global_load_u16 v0, v[4:5], off
	s_wait_loadcnt 0x0
	v_cvt_f32_u32_e32 v0, v0
.LBB70_1590:
	s_mov_b32 s19, 0
.LBB70_1591:
	s_delay_alu instid0(SALU_CYCLE_1)
	s_and_not1_b32 vcc_lo, exec_lo, s19
	s_cbranch_vccnz .LBB70_1599
; %bb.1592:
	s_wait_loadcnt 0x0
	global_load_u8 v1, v[4:5], off
	s_mov_b32 s19, 0
	s_mov_b32 s20, exec_lo
	s_wait_loadcnt 0x0
	v_cmpx_lt_i16_e32 0x7f, v1
	s_xor_b32 s20, exec_lo, s20
	s_cbranch_execz .LBB70_1612
; %bb.1593:
	s_mov_b32 s19, -1
	s_mov_b32 s21, exec_lo
	v_cmpx_eq_u16_e32 0x80, v1
; %bb.1594:
	s_xor_b32 s19, exec_lo, -1
; %bb.1595:
	s_or_b32 exec_lo, exec_lo, s21
	s_delay_alu instid0(SALU_CYCLE_1)
	s_and_b32 s19, s19, exec_lo
	s_or_saveexec_b32 s20, s20
	v_mov_b32_e32 v0, 0x7f800001
	s_xor_b32 exec_lo, exec_lo, s20
	s_cbranch_execnz .LBB70_1613
.LBB70_1596:
	s_or_b32 exec_lo, exec_lo, s20
	s_and_saveexec_b32 s20, s19
	s_cbranch_execz .LBB70_1598
.LBB70_1597:
	v_and_b32_e32 v0, 0xffff, v1
	s_delay_alu instid0(VALU_DEP_1) | instskip(SKIP_1) | instid1(VALU_DEP_2)
	v_and_b32_e32 v3, 7, v0
	v_bfe_u32 v8, v0, 3, 4
	v_clz_i32_u32_e32 v6, v3
	s_delay_alu instid0(VALU_DEP_2) | instskip(NEXT) | instid1(VALU_DEP_2)
	v_cmp_eq_u32_e32 vcc_lo, 0, v8
	v_min_u32_e32 v6, 32, v6
	s_delay_alu instid0(VALU_DEP_1) | instskip(NEXT) | instid1(VALU_DEP_1)
	v_subrev_nc_u32_e32 v7, 28, v6
	v_dual_lshlrev_b32 v0, v7, v0 :: v_dual_sub_nc_u32 v6, 29, v6
	s_delay_alu instid0(VALU_DEP_1) | instskip(NEXT) | instid1(VALU_DEP_1)
	v_dual_lshlrev_b32 v1, 24, v1 :: v_dual_bitop2_b32 v0, 7, v0 bitop3:0x40
	v_dual_cndmask_b32 v6, v8, v6, vcc_lo :: v_dual_cndmask_b32 v0, v3, v0, vcc_lo
	s_delay_alu instid0(VALU_DEP_2) | instskip(NEXT) | instid1(VALU_DEP_2)
	v_and_b32_e32 v1, 0x80000000, v1
	v_lshl_add_u32 v3, v6, 23, 0x3b800000
	s_delay_alu instid0(VALU_DEP_3) | instskip(NEXT) | instid1(VALU_DEP_1)
	v_lshlrev_b32_e32 v0, 20, v0
	v_or3_b32 v0, v1, v3, v0
.LBB70_1598:
	s_or_b32 exec_lo, exec_lo, s20
.LBB70_1599:
	s_mov_b32 s19, -1
.LBB70_1600:
	s_branch .LBB70_1632
.LBB70_1601:
	s_cmp_gt_i32 s14, 22
	s_cbranch_scc0 .LBB70_1611
; %bb.1602:
	s_cmp_lt_i32 s14, 24
	s_cbranch_scc1 .LBB70_1614
; %bb.1603:
	s_cmp_gt_i32 s14, 24
	s_cbranch_scc0 .LBB70_1615
; %bb.1604:
	s_wait_loadcnt 0x0
	global_load_u8 v1, v[4:5], off
	s_mov_b32 s19, exec_lo
	s_wait_loadcnt 0x0
	v_cmpx_lt_i16_e32 0x7f, v1
	s_xor_b32 s19, exec_lo, s19
	s_cbranch_execz .LBB70_1626
; %bb.1605:
	s_mov_b32 s18, -1
	s_mov_b32 s20, exec_lo
	v_cmpx_eq_u16_e32 0x80, v1
; %bb.1606:
	s_xor_b32 s18, exec_lo, -1
; %bb.1607:
	s_or_b32 exec_lo, exec_lo, s20
	s_delay_alu instid0(SALU_CYCLE_1)
	s_and_b32 s18, s18, exec_lo
	s_or_saveexec_b32 s19, s19
	v_mov_b32_e32 v0, 0x7f800001
	s_xor_b32 exec_lo, exec_lo, s19
	s_cbranch_execnz .LBB70_1627
.LBB70_1608:
	s_or_b32 exec_lo, exec_lo, s19
	s_and_saveexec_b32 s19, s18
	s_cbranch_execz .LBB70_1610
.LBB70_1609:
	v_and_b32_e32 v0, 0xffff, v1
	s_delay_alu instid0(VALU_DEP_1) | instskip(SKIP_1) | instid1(VALU_DEP_2)
	v_and_b32_e32 v3, 3, v0
	v_bfe_u32 v8, v0, 2, 5
	v_clz_i32_u32_e32 v6, v3
	s_delay_alu instid0(VALU_DEP_2) | instskip(NEXT) | instid1(VALU_DEP_2)
	v_cmp_eq_u32_e32 vcc_lo, 0, v8
	v_min_u32_e32 v6, 32, v6
	s_delay_alu instid0(VALU_DEP_1) | instskip(NEXT) | instid1(VALU_DEP_1)
	v_subrev_nc_u32_e32 v7, 29, v6
	v_dual_lshlrev_b32 v0, v7, v0 :: v_dual_sub_nc_u32 v6, 30, v6
	s_delay_alu instid0(VALU_DEP_1) | instskip(NEXT) | instid1(VALU_DEP_1)
	v_dual_lshlrev_b32 v1, 24, v1 :: v_dual_bitop2_b32 v0, 3, v0 bitop3:0x40
	v_dual_cndmask_b32 v6, v8, v6, vcc_lo :: v_dual_cndmask_b32 v0, v3, v0, vcc_lo
	s_delay_alu instid0(VALU_DEP_2) | instskip(NEXT) | instid1(VALU_DEP_2)
	v_and_b32_e32 v1, 0x80000000, v1
	v_lshl_add_u32 v3, v6, 23, 0x37800000
	s_delay_alu instid0(VALU_DEP_3) | instskip(NEXT) | instid1(VALU_DEP_1)
	v_lshlrev_b32_e32 v0, 21, v0
	v_or3_b32 v0, v1, v3, v0
.LBB70_1610:
	s_or_b32 exec_lo, exec_lo, s19
	s_mov_b32 s18, 0
	s_branch .LBB70_1616
.LBB70_1611:
                                        ; implicit-def: $vgpr0
	s_mov_b32 s18, 0
	s_branch .LBB70_1622
.LBB70_1612:
	s_or_saveexec_b32 s20, s20
	v_mov_b32_e32 v0, 0x7f800001
	s_xor_b32 exec_lo, exec_lo, s20
	s_cbranch_execz .LBB70_1596
.LBB70_1613:
	v_cmp_ne_u16_e32 vcc_lo, 0, v1
	v_mov_b32_e32 v0, 0
	s_and_not1_b32 s19, s19, exec_lo
	s_and_b32 s21, vcc_lo, exec_lo
	s_delay_alu instid0(SALU_CYCLE_1)
	s_or_b32 s19, s19, s21
	s_or_b32 exec_lo, exec_lo, s20
	s_and_saveexec_b32 s20, s19
	s_cbranch_execnz .LBB70_1597
	s_branch .LBB70_1598
.LBB70_1614:
	s_mov_b32 s18, -1
                                        ; implicit-def: $vgpr0
	s_branch .LBB70_1619
.LBB70_1615:
	s_mov_b32 s18, -1
                                        ; implicit-def: $vgpr0
.LBB70_1616:
	s_delay_alu instid0(SALU_CYCLE_1)
	s_and_b32 vcc_lo, exec_lo, s18
	s_cbranch_vccz .LBB70_1618
; %bb.1617:
	s_wait_loadcnt 0x0
	global_load_u8 v0, v[4:5], off
	s_wait_loadcnt 0x0
	v_lshlrev_b32_e32 v0, 24, v0
	s_delay_alu instid0(VALU_DEP_1) | instskip(NEXT) | instid1(VALU_DEP_1)
	v_and_b32_e32 v1, 0x7f000000, v0
	v_clz_i32_u32_e32 v3, v1
	v_add_nc_u32_e32 v7, 0x1000000, v1
	v_cmp_ne_u32_e32 vcc_lo, 0, v1
	s_delay_alu instid0(VALU_DEP_3) | instskip(NEXT) | instid1(VALU_DEP_1)
	v_min_u32_e32 v3, 32, v3
	v_sub_nc_u32_e64 v3, v3, 4 clamp
	s_delay_alu instid0(VALU_DEP_1) | instskip(NEXT) | instid1(VALU_DEP_1)
	v_dual_lshlrev_b32 v6, v3, v1 :: v_dual_lshlrev_b32 v3, 23, v3
	v_lshrrev_b32_e32 v6, 4, v6
	s_delay_alu instid0(VALU_DEP_1) | instskip(SKIP_1) | instid1(VALU_DEP_2)
	v_sub_nc_u32_e32 v3, v6, v3
	v_ashrrev_i32_e32 v6, 8, v7
	v_add_nc_u32_e32 v3, 0x3c000000, v3
	s_delay_alu instid0(VALU_DEP_1) | instskip(NEXT) | instid1(VALU_DEP_1)
	v_and_or_b32 v3, 0x7f800000, v6, v3
	v_cndmask_b32_e32 v1, 0, v3, vcc_lo
	s_delay_alu instid0(VALU_DEP_1)
	v_and_or_b32 v0, 0x80000000, v0, v1
.LBB70_1618:
	s_mov_b32 s18, 0
.LBB70_1619:
	s_delay_alu instid0(SALU_CYCLE_1)
	s_and_not1_b32 vcc_lo, exec_lo, s18
	s_cbranch_vccnz .LBB70_1621
; %bb.1620:
	s_wait_loadcnt 0x0
	global_load_u8 v0, v[4:5], off
	s_wait_loadcnt 0x0
	v_lshlrev_b32_e32 v1, 25, v0
	v_lshlrev_b16 v0, 8, v0
	s_delay_alu instid0(VALU_DEP_1) | instskip(SKIP_1) | instid1(VALU_DEP_2)
	v_and_or_b32 v6, 0x7f00, v0, 0.5
	v_bfe_i32 v0, v0, 0, 16
	v_dual_add_f32 v6, -0.5, v6 :: v_dual_lshrrev_b32 v3, 4, v1
	v_cmp_gt_u32_e32 vcc_lo, 0x8000000, v1
	s_delay_alu instid0(VALU_DEP_2) | instskip(NEXT) | instid1(VALU_DEP_1)
	v_or_b32_e32 v3, 0x70000000, v3
	v_mul_f32_e32 v3, 0x7800000, v3
	s_delay_alu instid0(VALU_DEP_1) | instskip(NEXT) | instid1(VALU_DEP_1)
	v_cndmask_b32_e32 v1, v3, v6, vcc_lo
	v_and_or_b32 v0, 0x80000000, v0, v1
.LBB70_1621:
	s_mov_b32 s19, -1
	s_mov_b32 s18, 0
	s_cbranch_execnz .LBB70_1632
.LBB70_1622:
	s_cmp_gt_i32 s14, 14
	s_cbranch_scc0 .LBB70_1625
; %bb.1623:
	s_cmp_eq_u32 s14, 15
	s_cbranch_scc0 .LBB70_1628
; %bb.1624:
	s_wait_loadcnt 0x0
	global_load_u16 v0, v[4:5], off
	s_mov_b32 s15, 0
	s_mov_b32 s19, -1
	s_wait_loadcnt 0x0
	v_lshlrev_b32_e32 v0, 16, v0
	s_branch .LBB70_1630
.LBB70_1625:
	s_mov_b32 s18, -1
	s_branch .LBB70_1629
.LBB70_1626:
	s_or_saveexec_b32 s19, s19
	v_mov_b32_e32 v0, 0x7f800001
	s_xor_b32 exec_lo, exec_lo, s19
	s_cbranch_execz .LBB70_1608
.LBB70_1627:
	v_cmp_ne_u16_e32 vcc_lo, 0, v1
	v_mov_b32_e32 v0, 0
	s_and_not1_b32 s18, s18, exec_lo
	s_and_b32 s20, vcc_lo, exec_lo
	s_delay_alu instid0(SALU_CYCLE_1)
	s_or_b32 s18, s18, s20
	s_or_b32 exec_lo, exec_lo, s19
	s_and_saveexec_b32 s19, s18
	s_cbranch_execnz .LBB70_1609
	s_branch .LBB70_1610
.LBB70_1628:
	s_mov_b32 s15, -1
.LBB70_1629:
                                        ; implicit-def: $vgpr0
.LBB70_1630:
	s_and_b32 vcc_lo, exec_lo, s18
	s_mov_b32 s18, 0
	s_cbranch_vccz .LBB70_1632
; %bb.1631:
	s_cmp_lg_u32 s14, 11
	s_mov_b32 s18, -1
	s_cselect_b32 s15, -1, 0
.LBB70_1632:
	s_delay_alu instid0(SALU_CYCLE_1)
	s_and_b32 vcc_lo, exec_lo, s15
	s_mov_b32 s14, s17
	s_cbranch_vccnz .LBB70_1693
; %bb.1633:
	s_and_not1_b32 vcc_lo, exec_lo, s18
	s_cbranch_vccnz .LBB70_1635
.LBB70_1634:
	s_wait_loadcnt 0x0
	global_load_u8 v0, v[4:5], off
	s_mov_b32 s19, -1
	s_wait_loadcnt 0x0
	v_cmp_ne_u16_e32 vcc_lo, 0, v0
	v_cndmask_b32_e64 v0, 0, 1.0, vcc_lo
.LBB70_1635:
	s_branch .LBB70_1564
.LBB70_1636:
	s_and_b32 s15, 0xffff, s0
	s_delay_alu instid0(SALU_CYCLE_1)
	s_cmp_lt_i32 s15, 5
	s_cbranch_scc1 .LBB70_1641
; %bb.1637:
	s_cmp_lt_i32 s15, 8
	s_cbranch_scc1 .LBB70_1642
; %bb.1638:
	;; [unrolled: 3-line block ×3, first 2 shown]
	s_cmp_gt_i32 s15, 9
	s_cbranch_scc0 .LBB70_1644
; %bb.1640:
	s_wait_loadcnt 0x0
	global_load_b64 v[0:1], v[4:5], off
	s_mov_b32 s18, 0
	s_wait_loadcnt 0x0
	v_cvt_f32_f64_e32 v0, v[0:1]
	s_branch .LBB70_1645
.LBB70_1641:
                                        ; implicit-def: $vgpr0
	s_branch .LBB70_1662
.LBB70_1642:
                                        ; implicit-def: $vgpr0
	s_branch .LBB70_1651
.LBB70_1643:
	s_mov_b32 s18, -1
                                        ; implicit-def: $vgpr0
	s_branch .LBB70_1648
.LBB70_1644:
	s_mov_b32 s18, -1
                                        ; implicit-def: $vgpr0
.LBB70_1645:
	s_delay_alu instid0(SALU_CYCLE_1)
	s_and_not1_b32 vcc_lo, exec_lo, s18
	s_cbranch_vccnz .LBB70_1647
; %bb.1646:
	s_wait_loadcnt 0x0
	global_load_b32 v0, v[4:5], off
.LBB70_1647:
	s_mov_b32 s18, 0
.LBB70_1648:
	s_delay_alu instid0(SALU_CYCLE_1)
	s_and_not1_b32 vcc_lo, exec_lo, s18
	s_cbranch_vccnz .LBB70_1650
; %bb.1649:
	s_wait_loadcnt 0x0
	global_load_b32 v0, v[4:5], off
	s_wait_loadcnt 0x0
	v_cvt_f32_f16_e32 v0, v0
.LBB70_1650:
	s_cbranch_execnz .LBB70_1661
.LBB70_1651:
	s_cmp_lt_i32 s15, 6
	s_cbranch_scc1 .LBB70_1654
; %bb.1652:
	s_cmp_gt_i32 s15, 6
	s_cbranch_scc0 .LBB70_1655
; %bb.1653:
	s_wait_loadcnt 0x0
	global_load_b64 v[0:1], v[4:5], off
	s_mov_b32 s18, 0
	s_wait_loadcnt 0x0
	v_cvt_f32_f64_e32 v0, v[0:1]
	s_branch .LBB70_1656
.LBB70_1654:
	s_mov_b32 s18, -1
                                        ; implicit-def: $vgpr0
	s_branch .LBB70_1659
.LBB70_1655:
	s_mov_b32 s18, -1
                                        ; implicit-def: $vgpr0
.LBB70_1656:
	s_delay_alu instid0(SALU_CYCLE_1)
	s_and_not1_b32 vcc_lo, exec_lo, s18
	s_cbranch_vccnz .LBB70_1658
; %bb.1657:
	s_wait_loadcnt 0x0
	global_load_b32 v0, v[4:5], off
.LBB70_1658:
	s_mov_b32 s18, 0
.LBB70_1659:
	s_delay_alu instid0(SALU_CYCLE_1)
	s_and_not1_b32 vcc_lo, exec_lo, s18
	s_cbranch_vccnz .LBB70_1661
; %bb.1660:
	s_wait_loadcnt 0x0
	global_load_u16 v0, v[4:5], off
	s_wait_loadcnt 0x0
	v_cvt_f32_f16_e32 v0, v0
.LBB70_1661:
	s_cbranch_execnz .LBB70_1680
.LBB70_1662:
	s_cmp_lt_i32 s15, 2
	s_cbranch_scc1 .LBB70_1666
; %bb.1663:
	s_cmp_lt_i32 s15, 3
	s_cbranch_scc1 .LBB70_1667
; %bb.1664:
	s_cmp_gt_i32 s15, 3
	s_cbranch_scc0 .LBB70_1668
; %bb.1665:
	s_wait_loadcnt 0x0
	global_load_b64 v[0:1], v[4:5], off
	s_mov_b32 s18, 0
	s_wait_loadcnt 0x0
	v_xor_b32_e32 v3, v0, v1
	v_cls_i32_e32 v6, v1
	s_delay_alu instid0(VALU_DEP_2) | instskip(NEXT) | instid1(VALU_DEP_1)
	v_ashrrev_i32_e32 v3, 31, v3
	v_add_nc_u32_e32 v3, 32, v3
	s_delay_alu instid0(VALU_DEP_1) | instskip(NEXT) | instid1(VALU_DEP_1)
	v_add_min_u32_e64 v3, v6, -1, v3
	v_lshlrev_b64_e32 v[0:1], v3, v[0:1]
	s_delay_alu instid0(VALU_DEP_1) | instskip(NEXT) | instid1(VALU_DEP_1)
	v_min_u32_e32 v0, 1, v0
	v_dual_sub_nc_u32 v1, 32, v3 :: v_dual_bitop2_b32 v0, v1, v0 bitop3:0x54
	s_delay_alu instid0(VALU_DEP_1) | instskip(NEXT) | instid1(VALU_DEP_1)
	v_cvt_f32_i32_e32 v0, v0
	v_ldexp_f32 v0, v0, v1
	s_branch .LBB70_1669
.LBB70_1666:
                                        ; implicit-def: $vgpr0
	s_branch .LBB70_1675
.LBB70_1667:
	s_mov_b32 s18, -1
                                        ; implicit-def: $vgpr0
	s_branch .LBB70_1672
.LBB70_1668:
	s_mov_b32 s18, -1
                                        ; implicit-def: $vgpr0
.LBB70_1669:
	s_delay_alu instid0(SALU_CYCLE_1)
	s_and_not1_b32 vcc_lo, exec_lo, s18
	s_cbranch_vccnz .LBB70_1671
; %bb.1670:
	s_wait_loadcnt 0x0
	global_load_b32 v0, v[4:5], off
	s_wait_loadcnt 0x0
	v_cvt_f32_i32_e32 v0, v0
.LBB70_1671:
	s_mov_b32 s18, 0
.LBB70_1672:
	s_delay_alu instid0(SALU_CYCLE_1)
	s_and_not1_b32 vcc_lo, exec_lo, s18
	s_cbranch_vccnz .LBB70_1674
; %bb.1673:
	s_wait_loadcnt 0x0
	global_load_i16 v0, v[4:5], off
	s_wait_loadcnt 0x0
	v_cvt_f32_i32_e32 v0, v0
.LBB70_1674:
	s_cbranch_execnz .LBB70_1680
.LBB70_1675:
	s_cmp_gt_i32 s15, 0
	s_mov_b32 s15, 0
	s_cbranch_scc0 .LBB70_1677
; %bb.1676:
	s_wait_loadcnt 0x0
	global_load_i8 v0, v[4:5], off
	s_wait_loadcnt 0x0
	v_cvt_f32_i32_e32 v0, v0
	s_branch .LBB70_1678
.LBB70_1677:
	s_mov_b32 s15, -1
                                        ; implicit-def: $vgpr0
.LBB70_1678:
	s_delay_alu instid0(SALU_CYCLE_1)
	s_and_not1_b32 vcc_lo, exec_lo, s15
	s_cbranch_vccnz .LBB70_1680
; %bb.1679:
	s_wait_loadcnt 0x0
	global_load_u8 v0, v[4:5], off
	s_wait_loadcnt 0x0
	v_cvt_f32_ubyte0_e32 v0, v0
.LBB70_1680:
.LBB70_1681:
	s_wait_xcnt 0x0
	v_mul_lo_u32 v4, s10, v12
	s_and_b32 s1, s1, 0xff
	s_delay_alu instid0(SALU_CYCLE_1) | instskip(NEXT) | instid1(VALU_DEP_1)
	s_cmp_lt_i32 s1, 11
	v_ashrrev_i32_e32 v5, 31, v4
	s_delay_alu instid0(VALU_DEP_1)
	v_add_nc_u64_e32 v[6:7], s[12:13], v[4:5]
	s_cbranch_scc1 .LBB70_1688
; %bb.1682:
	s_and_b32 s15, 0xffff, s1
	s_mov_b32 s19, 0
	s_cmp_gt_i32 s15, 25
	s_cbranch_scc0 .LBB70_1690
; %bb.1683:
	s_cmp_gt_i32 s15, 28
	s_cbranch_scc0 .LBB70_1691
; %bb.1684:
	s_cmp_gt_i32 s15, 43
	s_cbranch_scc0 .LBB70_1692
; %bb.1685:
	s_cmp_gt_i32 s15, 45
	s_cbranch_scc0 .LBB70_1694
; %bb.1686:
	s_cmp_eq_u32 s15, 46
	s_mov_b32 s21, 0
	s_cbranch_scc0 .LBB70_1697
; %bb.1687:
	s_wait_loadcnt 0x0
	global_load_b32 v1, v[6:7], off
	s_mov_b32 s18, 0
	s_mov_b32 s20, -1
	s_wait_loadcnt 0x0
	v_lshlrev_b32_e32 v1, 16, v1
	s_branch .LBB70_1699
.LBB70_1688:
	s_mov_b32 s20, 0
                                        ; implicit-def: $vgpr1
	s_cbranch_execnz .LBB70_1764
.LBB70_1689:
	s_and_not1_b32 vcc_lo, exec_lo, s20
	s_cbranch_vccnz .LBB70_2684
	s_branch .LBB70_1811
.LBB70_1690:
	s_mov_b32 s20, 0
	s_mov_b32 s18, 0
                                        ; implicit-def: $vgpr1
	s_cbranch_execnz .LBB70_1728
	s_branch .LBB70_1760
.LBB70_1691:
	s_mov_b32 s21, -1
	s_mov_b32 s20, 0
	s_mov_b32 s18, 0
                                        ; implicit-def: $vgpr1
	s_branch .LBB70_1709
.LBB70_1692:
	s_mov_b32 s21, -1
	s_mov_b32 s20, 0
	s_mov_b32 s18, 0
                                        ; implicit-def: $vgpr1
	s_branch .LBB70_1704
.LBB70_1693:
	s_or_b32 s14, s17, exec_lo
	s_trap 2
	s_cbranch_execz .LBB70_1634
	s_branch .LBB70_1635
.LBB70_1694:
	s_mov_b32 s21, -1
	s_mov_b32 s20, 0
	s_mov_b32 s18, 0
	s_branch .LBB70_1698
.LBB70_1695:
	s_and_not1_saveexec_b32 s25, s25
	s_cbranch_execz .LBB70_1480
.LBB70_1696:
	v_add_f32_e64 v1, 0x42800000, |v0|
	s_and_not1_b32 s24, s24, exec_lo
	s_delay_alu instid0(VALU_DEP_1) | instskip(NEXT) | instid1(VALU_DEP_1)
	v_and_b32_e32 v1, 0xff, v1
	v_cmp_ne_u32_e32 vcc_lo, 0, v1
	s_and_b32 s26, vcc_lo, exec_lo
	s_delay_alu instid0(SALU_CYCLE_1)
	s_or_b32 s24, s24, s26
	s_or_b32 exec_lo, exec_lo, s25
	v_mov_b32_e32 v4, 0
	s_and_saveexec_b32 s25, s24
	s_cbranch_execnz .LBB70_1481
	s_branch .LBB70_1482
.LBB70_1697:
	s_mov_b32 s18, -1
	s_mov_b32 s20, 0
.LBB70_1698:
                                        ; implicit-def: $vgpr1
.LBB70_1699:
	s_and_b32 vcc_lo, exec_lo, s21
	s_cbranch_vccz .LBB70_1703
; %bb.1700:
	s_cmp_eq_u32 s15, 44
	s_cbranch_scc0 .LBB70_1702
; %bb.1701:
	s_wait_loadcnt 0x0
	global_load_u8 v1, v[6:7], off
	s_mov_b32 s18, 0
	s_mov_b32 s20, -1
	s_wait_loadcnt 0x0
	v_lshlrev_b32_e32 v3, 23, v1
	v_cmp_ne_u32_e32 vcc_lo, 0xff, v1
	s_delay_alu instid0(VALU_DEP_2) | instskip(SKIP_1) | instid1(VALU_DEP_2)
	v_cndmask_b32_e32 v3, 0x7f800001, v3, vcc_lo
	v_cmp_ne_u32_e32 vcc_lo, 0, v1
	v_cndmask_b32_e32 v1, 0x400000, v3, vcc_lo
	s_branch .LBB70_1703
.LBB70_1702:
	s_mov_b32 s18, -1
                                        ; implicit-def: $vgpr1
.LBB70_1703:
	s_mov_b32 s21, 0
.LBB70_1704:
	s_delay_alu instid0(SALU_CYCLE_1)
	s_and_b32 vcc_lo, exec_lo, s21
	s_cbranch_vccz .LBB70_1708
; %bb.1705:
	s_cmp_eq_u32 s15, 29
	s_cbranch_scc0 .LBB70_1707
; %bb.1706:
	global_load_b64 v[8:9], v[6:7], off
	s_mov_b32 s18, 0
	s_mov_b32 s20, -1
	s_mov_b32 s21, 0
	s_wait_loadcnt 0x0
	v_clz_i32_u32_e32 v1, v9
	s_delay_alu instid0(VALU_DEP_1) | instskip(NEXT) | instid1(VALU_DEP_1)
	v_min_u32_e32 v1, 32, v1
	v_lshlrev_b64_e32 v[8:9], v1, v[8:9]
	v_sub_nc_u32_e32 v1, 32, v1
	s_delay_alu instid0(VALU_DEP_2) | instskip(NEXT) | instid1(VALU_DEP_1)
	v_min_u32_e32 v3, 1, v8
	v_or_b32_e32 v3, v9, v3
	s_delay_alu instid0(VALU_DEP_1) | instskip(NEXT) | instid1(VALU_DEP_1)
	v_cvt_f32_u32_e32 v3, v3
	v_ldexp_f32 v1, v3, v1
	s_branch .LBB70_1709
.LBB70_1707:
	s_mov_b32 s18, -1
                                        ; implicit-def: $vgpr1
.LBB70_1708:
	s_mov_b32 s21, 0
.LBB70_1709:
	s_delay_alu instid0(SALU_CYCLE_1)
	s_and_b32 vcc_lo, exec_lo, s21
	s_cbranch_vccz .LBB70_1727
; %bb.1710:
	s_cmp_lt_i32 s15, 27
	s_cbranch_scc1 .LBB70_1713
; %bb.1711:
	s_cmp_gt_i32 s15, 27
	s_cbranch_scc0 .LBB70_1714
; %bb.1712:
	s_wait_loadcnt 0x0
	global_load_b32 v1, v[6:7], off
	s_mov_b32 s20, 0
	s_wait_loadcnt 0x0
	v_cvt_f32_u32_e32 v1, v1
	s_branch .LBB70_1715
.LBB70_1713:
	s_mov_b32 s20, -1
                                        ; implicit-def: $vgpr1
	s_branch .LBB70_1718
.LBB70_1714:
	s_mov_b32 s20, -1
                                        ; implicit-def: $vgpr1
.LBB70_1715:
	s_delay_alu instid0(SALU_CYCLE_1)
	s_and_not1_b32 vcc_lo, exec_lo, s20
	s_cbranch_vccnz .LBB70_1717
; %bb.1716:
	s_wait_loadcnt 0x0
	global_load_u16 v1, v[6:7], off
	s_wait_loadcnt 0x0
	v_cvt_f32_u32_e32 v1, v1
.LBB70_1717:
	s_mov_b32 s20, 0
.LBB70_1718:
	s_delay_alu instid0(SALU_CYCLE_1)
	s_and_not1_b32 vcc_lo, exec_lo, s20
	s_cbranch_vccnz .LBB70_1726
; %bb.1719:
	global_load_u8 v3, v[6:7], off
	s_mov_b32 s20, 0
	s_mov_b32 s21, exec_lo
	s_wait_loadcnt 0x0
	v_cmpx_lt_i16_e32 0x7f, v3
	s_xor_b32 s21, exec_lo, s21
	s_cbranch_execz .LBB70_1739
; %bb.1720:
	s_mov_b32 s20, -1
	s_mov_b32 s22, exec_lo
	v_cmpx_eq_u16_e32 0x80, v3
; %bb.1721:
	s_xor_b32 s20, exec_lo, -1
; %bb.1722:
	s_or_b32 exec_lo, exec_lo, s22
	s_delay_alu instid0(SALU_CYCLE_1)
	s_and_b32 s20, s20, exec_lo
	s_or_saveexec_b32 s21, s21
	v_mov_b32_e32 v1, 0x7f800001
	s_xor_b32 exec_lo, exec_lo, s21
	s_cbranch_execnz .LBB70_1740
.LBB70_1723:
	s_or_b32 exec_lo, exec_lo, s21
	s_and_saveexec_b32 s21, s20
	s_cbranch_execz .LBB70_1725
.LBB70_1724:
	v_and_b32_e32 v1, 0xffff, v3
	s_delay_alu instid0(VALU_DEP_1) | instskip(SKIP_1) | instid1(VALU_DEP_2)
	v_and_b32_e32 v5, 7, v1
	v_bfe_u32 v10, v1, 3, 4
	v_clz_i32_u32_e32 v8, v5
	s_delay_alu instid0(VALU_DEP_2) | instskip(NEXT) | instid1(VALU_DEP_2)
	v_cmp_eq_u32_e32 vcc_lo, 0, v10
	v_min_u32_e32 v8, 32, v8
	s_delay_alu instid0(VALU_DEP_1) | instskip(NEXT) | instid1(VALU_DEP_1)
	v_subrev_nc_u32_e32 v9, 28, v8
	v_dual_lshlrev_b32 v1, v9, v1 :: v_dual_sub_nc_u32 v8, 29, v8
	s_delay_alu instid0(VALU_DEP_1) | instskip(NEXT) | instid1(VALU_DEP_1)
	v_dual_lshlrev_b32 v3, 24, v3 :: v_dual_bitop2_b32 v1, 7, v1 bitop3:0x40
	v_dual_cndmask_b32 v8, v10, v8 :: v_dual_cndmask_b32 v1, v5, v1
	s_delay_alu instid0(VALU_DEP_2) | instskip(NEXT) | instid1(VALU_DEP_2)
	v_and_b32_e32 v3, 0x80000000, v3
	v_lshl_add_u32 v5, v8, 23, 0x3b800000
	s_delay_alu instid0(VALU_DEP_3) | instskip(NEXT) | instid1(VALU_DEP_1)
	v_lshlrev_b32_e32 v1, 20, v1
	v_or3_b32 v1, v3, v5, v1
.LBB70_1725:
	s_or_b32 exec_lo, exec_lo, s21
.LBB70_1726:
	s_mov_b32 s20, -1
.LBB70_1727:
	s_branch .LBB70_1760
.LBB70_1728:
	s_cmp_gt_i32 s15, 22
	s_cbranch_scc0 .LBB70_1738
; %bb.1729:
	s_cmp_lt_i32 s15, 24
	s_cbranch_scc1 .LBB70_1741
; %bb.1730:
	s_cmp_gt_i32 s15, 24
	s_cbranch_scc0 .LBB70_1742
; %bb.1731:
	global_load_u8 v3, v[6:7], off
	s_mov_b32 s20, exec_lo
	s_wait_loadcnt 0x0
	v_cmpx_lt_i16_e32 0x7f, v3
	s_xor_b32 s20, exec_lo, s20
	s_cbranch_execz .LBB70_1754
; %bb.1732:
	s_mov_b32 s19, -1
	s_mov_b32 s21, exec_lo
	v_cmpx_eq_u16_e32 0x80, v3
; %bb.1733:
	s_xor_b32 s19, exec_lo, -1
; %bb.1734:
	s_or_b32 exec_lo, exec_lo, s21
	s_delay_alu instid0(SALU_CYCLE_1)
	s_and_b32 s19, s19, exec_lo
	s_or_saveexec_b32 s20, s20
	v_mov_b32_e32 v1, 0x7f800001
	s_xor_b32 exec_lo, exec_lo, s20
	s_cbranch_execnz .LBB70_1755
.LBB70_1735:
	s_or_b32 exec_lo, exec_lo, s20
	s_and_saveexec_b32 s20, s19
	s_cbranch_execz .LBB70_1737
.LBB70_1736:
	v_and_b32_e32 v1, 0xffff, v3
	s_delay_alu instid0(VALU_DEP_1) | instskip(SKIP_1) | instid1(VALU_DEP_2)
	v_and_b32_e32 v5, 3, v1
	v_bfe_u32 v10, v1, 2, 5
	v_clz_i32_u32_e32 v8, v5
	s_delay_alu instid0(VALU_DEP_2) | instskip(NEXT) | instid1(VALU_DEP_2)
	v_cmp_eq_u32_e32 vcc_lo, 0, v10
	v_min_u32_e32 v8, 32, v8
	s_delay_alu instid0(VALU_DEP_1) | instskip(NEXT) | instid1(VALU_DEP_1)
	v_subrev_nc_u32_e32 v9, 29, v8
	v_dual_lshlrev_b32 v1, v9, v1 :: v_dual_sub_nc_u32 v8, 30, v8
	s_delay_alu instid0(VALU_DEP_1) | instskip(NEXT) | instid1(VALU_DEP_1)
	v_dual_lshlrev_b32 v3, 24, v3 :: v_dual_bitop2_b32 v1, 3, v1 bitop3:0x40
	v_dual_cndmask_b32 v8, v10, v8 :: v_dual_cndmask_b32 v1, v5, v1
	s_delay_alu instid0(VALU_DEP_2) | instskip(NEXT) | instid1(VALU_DEP_2)
	v_and_b32_e32 v3, 0x80000000, v3
	v_lshl_add_u32 v5, v8, 23, 0x37800000
	s_delay_alu instid0(VALU_DEP_3) | instskip(NEXT) | instid1(VALU_DEP_1)
	v_lshlrev_b32_e32 v1, 21, v1
	v_or3_b32 v1, v3, v5, v1
.LBB70_1737:
	s_or_b32 exec_lo, exec_lo, s20
	s_mov_b32 s19, 0
	s_branch .LBB70_1743
.LBB70_1738:
	s_mov_b32 s19, -1
                                        ; implicit-def: $vgpr1
	s_branch .LBB70_1749
.LBB70_1739:
	s_or_saveexec_b32 s21, s21
	v_mov_b32_e32 v1, 0x7f800001
	s_xor_b32 exec_lo, exec_lo, s21
	s_cbranch_execz .LBB70_1723
.LBB70_1740:
	v_cmp_ne_u16_e32 vcc_lo, 0, v3
	v_mov_b32_e32 v1, 0
	s_and_not1_b32 s20, s20, exec_lo
	s_and_b32 s22, vcc_lo, exec_lo
	s_delay_alu instid0(SALU_CYCLE_1)
	s_or_b32 s20, s20, s22
	s_or_b32 exec_lo, exec_lo, s21
	s_and_saveexec_b32 s21, s20
	s_cbranch_execnz .LBB70_1724
	s_branch .LBB70_1725
.LBB70_1741:
	s_mov_b32 s19, -1
                                        ; implicit-def: $vgpr1
	s_branch .LBB70_1746
.LBB70_1742:
	s_mov_b32 s19, -1
                                        ; implicit-def: $vgpr1
.LBB70_1743:
	s_delay_alu instid0(SALU_CYCLE_1)
	s_and_b32 vcc_lo, exec_lo, s19
	s_cbranch_vccz .LBB70_1745
; %bb.1744:
	s_wait_loadcnt 0x0
	global_load_u8 v1, v[6:7], off
	s_wait_loadcnt 0x0
	v_lshlrev_b32_e32 v1, 24, v1
	s_delay_alu instid0(VALU_DEP_1) | instskip(NEXT) | instid1(VALU_DEP_1)
	v_and_b32_e32 v3, 0x7f000000, v1
	v_clz_i32_u32_e32 v5, v3
	v_add_nc_u32_e32 v9, 0x1000000, v3
	v_cmp_ne_u32_e32 vcc_lo, 0, v3
	s_delay_alu instid0(VALU_DEP_3) | instskip(NEXT) | instid1(VALU_DEP_1)
	v_min_u32_e32 v5, 32, v5
	v_sub_nc_u32_e64 v5, v5, 4 clamp
	s_delay_alu instid0(VALU_DEP_1) | instskip(NEXT) | instid1(VALU_DEP_1)
	v_dual_lshlrev_b32 v8, v5, v3 :: v_dual_lshlrev_b32 v5, 23, v5
	v_lshrrev_b32_e32 v8, 4, v8
	s_delay_alu instid0(VALU_DEP_1) | instskip(SKIP_1) | instid1(VALU_DEP_2)
	v_sub_nc_u32_e32 v5, v8, v5
	v_ashrrev_i32_e32 v8, 8, v9
	v_add_nc_u32_e32 v5, 0x3c000000, v5
	s_delay_alu instid0(VALU_DEP_1) | instskip(NEXT) | instid1(VALU_DEP_1)
	v_and_or_b32 v5, 0x7f800000, v8, v5
	v_cndmask_b32_e32 v3, 0, v5, vcc_lo
	s_delay_alu instid0(VALU_DEP_1)
	v_and_or_b32 v1, 0x80000000, v1, v3
.LBB70_1745:
	s_mov_b32 s19, 0
.LBB70_1746:
	s_delay_alu instid0(SALU_CYCLE_1)
	s_and_not1_b32 vcc_lo, exec_lo, s19
	s_cbranch_vccnz .LBB70_1748
; %bb.1747:
	s_wait_loadcnt 0x0
	global_load_u8 v1, v[6:7], off
	s_wait_loadcnt 0x0
	v_lshlrev_b32_e32 v3, 25, v1
	v_lshlrev_b16 v1, 8, v1
	s_delay_alu instid0(VALU_DEP_1) | instskip(SKIP_1) | instid1(VALU_DEP_2)
	v_and_or_b32 v8, 0x7f00, v1, 0.5
	v_bfe_i32 v1, v1, 0, 16
	v_dual_add_f32 v8, -0.5, v8 :: v_dual_lshrrev_b32 v5, 4, v3
	v_cmp_gt_u32_e32 vcc_lo, 0x8000000, v3
	s_delay_alu instid0(VALU_DEP_2) | instskip(NEXT) | instid1(VALU_DEP_1)
	v_or_b32_e32 v5, 0x70000000, v5
	v_mul_f32_e32 v5, 0x7800000, v5
	s_delay_alu instid0(VALU_DEP_1) | instskip(NEXT) | instid1(VALU_DEP_1)
	v_cndmask_b32_e32 v3, v5, v8, vcc_lo
	v_and_or_b32 v1, 0x80000000, v1, v3
.LBB70_1748:
	s_mov_b32 s19, 0
	s_mov_b32 s20, -1
.LBB70_1749:
	s_and_not1_b32 vcc_lo, exec_lo, s19
	s_mov_b32 s19, 0
	s_cbranch_vccnz .LBB70_1760
; %bb.1750:
	s_cmp_gt_i32 s15, 14
	s_cbranch_scc0 .LBB70_1753
; %bb.1751:
	s_cmp_eq_u32 s15, 15
	s_cbranch_scc0 .LBB70_1756
; %bb.1752:
	s_wait_loadcnt 0x0
	global_load_u16 v1, v[6:7], off
	s_mov_b32 s18, 0
	s_mov_b32 s20, -1
	s_wait_loadcnt 0x0
	v_lshlrev_b32_e32 v1, 16, v1
	s_branch .LBB70_1758
.LBB70_1753:
	s_mov_b32 s19, -1
	s_branch .LBB70_1757
.LBB70_1754:
	s_or_saveexec_b32 s20, s20
	v_mov_b32_e32 v1, 0x7f800001
	s_xor_b32 exec_lo, exec_lo, s20
	s_cbranch_execz .LBB70_1735
.LBB70_1755:
	v_cmp_ne_u16_e32 vcc_lo, 0, v3
	v_mov_b32_e32 v1, 0
	s_and_not1_b32 s19, s19, exec_lo
	s_and_b32 s21, vcc_lo, exec_lo
	s_delay_alu instid0(SALU_CYCLE_1)
	s_or_b32 s19, s19, s21
	s_or_b32 exec_lo, exec_lo, s20
	s_and_saveexec_b32 s20, s19
	s_cbranch_execnz .LBB70_1736
	s_branch .LBB70_1737
.LBB70_1756:
	s_mov_b32 s18, -1
.LBB70_1757:
                                        ; implicit-def: $vgpr1
.LBB70_1758:
	s_and_b32 vcc_lo, exec_lo, s19
	s_mov_b32 s19, 0
	s_cbranch_vccz .LBB70_1760
; %bb.1759:
	s_cmp_lg_u32 s15, 11
	s_mov_b32 s19, -1
	s_cselect_b32 s18, -1, 0
.LBB70_1760:
	s_delay_alu instid0(SALU_CYCLE_1)
	s_and_b32 vcc_lo, exec_lo, s18
	s_cbranch_vccnz .LBB70_1825
; %bb.1761:
	s_and_not1_b32 vcc_lo, exec_lo, s19
	s_cbranch_vccnz .LBB70_1763
.LBB70_1762:
	s_wait_loadcnt 0x0
	global_load_u8 v1, v[6:7], off
	s_mov_b32 s20, -1
	s_wait_loadcnt 0x0
	v_cmp_ne_u16_e32 vcc_lo, 0, v1
	v_cndmask_b32_e64 v1, 0, 1.0, vcc_lo
.LBB70_1763:
	s_branch .LBB70_1689
.LBB70_1764:
	s_and_b32 s15, 0xffff, s1
	s_delay_alu instid0(SALU_CYCLE_1)
	s_cmp_lt_i32 s15, 5
	s_cbranch_scc1 .LBB70_1769
; %bb.1765:
	s_cmp_lt_i32 s15, 8
	s_cbranch_scc1 .LBB70_1770
; %bb.1766:
	;; [unrolled: 3-line block ×3, first 2 shown]
	s_cmp_gt_i32 s15, 9
	s_cbranch_scc0 .LBB70_1772
; %bb.1768:
	global_load_b64 v[8:9], v[6:7], off
	s_mov_b32 s18, 0
	s_wait_loadcnt 0x0
	v_cvt_f32_f64_e32 v1, v[8:9]
	s_branch .LBB70_1773
.LBB70_1769:
                                        ; implicit-def: $vgpr1
	s_branch .LBB70_1791
.LBB70_1770:
	s_mov_b32 s18, -1
                                        ; implicit-def: $vgpr1
	s_branch .LBB70_1779
.LBB70_1771:
	s_mov_b32 s18, -1
                                        ; implicit-def: $vgpr1
	s_branch .LBB70_1776
.LBB70_1772:
	s_mov_b32 s18, -1
                                        ; implicit-def: $vgpr1
.LBB70_1773:
	s_delay_alu instid0(SALU_CYCLE_1)
	s_and_not1_b32 vcc_lo, exec_lo, s18
	s_cbranch_vccnz .LBB70_1775
; %bb.1774:
	s_wait_loadcnt 0x0
	global_load_b32 v1, v[6:7], off
.LBB70_1775:
	s_mov_b32 s18, 0
.LBB70_1776:
	s_delay_alu instid0(SALU_CYCLE_1)
	s_and_not1_b32 vcc_lo, exec_lo, s18
	s_cbranch_vccnz .LBB70_1778
; %bb.1777:
	s_wait_loadcnt 0x0
	global_load_b32 v1, v[6:7], off
	s_wait_loadcnt 0x0
	v_cvt_f32_f16_e32 v1, v1
.LBB70_1778:
	s_mov_b32 s18, 0
.LBB70_1779:
	s_delay_alu instid0(SALU_CYCLE_1)
	s_and_not1_b32 vcc_lo, exec_lo, s18
	s_cbranch_vccnz .LBB70_1790
; %bb.1780:
	s_cmp_lt_i32 s15, 6
	s_cbranch_scc1 .LBB70_1783
; %bb.1781:
	s_cmp_gt_i32 s15, 6
	s_cbranch_scc0 .LBB70_1784
; %bb.1782:
	global_load_b64 v[8:9], v[6:7], off
	s_mov_b32 s18, 0
	s_wait_loadcnt 0x0
	v_cvt_f32_f64_e32 v1, v[8:9]
	s_branch .LBB70_1785
.LBB70_1783:
	s_mov_b32 s18, -1
                                        ; implicit-def: $vgpr1
	s_branch .LBB70_1788
.LBB70_1784:
	s_mov_b32 s18, -1
                                        ; implicit-def: $vgpr1
.LBB70_1785:
	s_delay_alu instid0(SALU_CYCLE_1)
	s_and_not1_b32 vcc_lo, exec_lo, s18
	s_cbranch_vccnz .LBB70_1787
; %bb.1786:
	s_wait_loadcnt 0x0
	global_load_b32 v1, v[6:7], off
.LBB70_1787:
	s_mov_b32 s18, 0
.LBB70_1788:
	s_delay_alu instid0(SALU_CYCLE_1)
	s_and_not1_b32 vcc_lo, exec_lo, s18
	s_cbranch_vccnz .LBB70_1790
; %bb.1789:
	s_wait_loadcnt 0x0
	global_load_u16 v1, v[6:7], off
	s_wait_loadcnt 0x0
	v_cvt_f32_f16_e32 v1, v1
.LBB70_1790:
	s_cbranch_execnz .LBB70_1810
.LBB70_1791:
	s_cmp_lt_i32 s15, 2
	s_cbranch_scc1 .LBB70_1795
; %bb.1792:
	s_cmp_lt_i32 s15, 3
	s_cbranch_scc1 .LBB70_1796
; %bb.1793:
	s_cmp_gt_i32 s15, 3
	s_cbranch_scc0 .LBB70_1797
; %bb.1794:
	global_load_b64 v[8:9], v[6:7], off
	s_mov_b32 s18, 0
	s_wait_loadcnt 0x0
	v_xor_b32_e32 v1, v8, v9
	v_cls_i32_e32 v3, v9
	s_delay_alu instid0(VALU_DEP_2) | instskip(NEXT) | instid1(VALU_DEP_1)
	v_ashrrev_i32_e32 v1, 31, v1
	v_add_nc_u32_e32 v1, 32, v1
	s_delay_alu instid0(VALU_DEP_1) | instskip(NEXT) | instid1(VALU_DEP_1)
	v_add_min_u32_e64 v1, v3, -1, v1
	v_lshlrev_b64_e32 v[8:9], v1, v[8:9]
	v_sub_nc_u32_e32 v1, 32, v1
	s_delay_alu instid0(VALU_DEP_2) | instskip(NEXT) | instid1(VALU_DEP_1)
	v_min_u32_e32 v3, 1, v8
	v_or_b32_e32 v3, v9, v3
	s_delay_alu instid0(VALU_DEP_1) | instskip(NEXT) | instid1(VALU_DEP_1)
	v_cvt_f32_i32_e32 v3, v3
	v_ldexp_f32 v1, v3, v1
	s_branch .LBB70_1798
.LBB70_1795:
	s_mov_b32 s18, -1
                                        ; implicit-def: $vgpr1
	s_branch .LBB70_1804
.LBB70_1796:
	s_mov_b32 s18, -1
                                        ; implicit-def: $vgpr1
	s_branch .LBB70_1801
.LBB70_1797:
	s_mov_b32 s18, -1
                                        ; implicit-def: $vgpr1
.LBB70_1798:
	s_delay_alu instid0(SALU_CYCLE_1)
	s_and_not1_b32 vcc_lo, exec_lo, s18
	s_cbranch_vccnz .LBB70_1800
; %bb.1799:
	s_wait_loadcnt 0x0
	global_load_b32 v1, v[6:7], off
	s_wait_loadcnt 0x0
	v_cvt_f32_i32_e32 v1, v1
.LBB70_1800:
	s_mov_b32 s18, 0
.LBB70_1801:
	s_delay_alu instid0(SALU_CYCLE_1)
	s_and_not1_b32 vcc_lo, exec_lo, s18
	s_cbranch_vccnz .LBB70_1803
; %bb.1802:
	s_wait_loadcnt 0x0
	global_load_i16 v1, v[6:7], off
	s_wait_loadcnt 0x0
	v_cvt_f32_i32_e32 v1, v1
.LBB70_1803:
	s_mov_b32 s18, 0
.LBB70_1804:
	s_delay_alu instid0(SALU_CYCLE_1)
	s_and_not1_b32 vcc_lo, exec_lo, s18
	s_cbranch_vccnz .LBB70_1810
; %bb.1805:
	s_cmp_gt_i32 s15, 0
	s_mov_b32 s15, 0
	s_cbranch_scc0 .LBB70_1807
; %bb.1806:
	s_wait_loadcnt 0x0
	global_load_i8 v1, v[6:7], off
	s_wait_loadcnt 0x0
	v_cvt_f32_i32_e32 v1, v1
	s_branch .LBB70_1808
.LBB70_1807:
	s_mov_b32 s15, -1
                                        ; implicit-def: $vgpr1
.LBB70_1808:
	s_delay_alu instid0(SALU_CYCLE_1)
	s_and_not1_b32 vcc_lo, exec_lo, s15
	s_cbranch_vccnz .LBB70_1810
; %bb.1809:
	s_wait_loadcnt 0x0
	global_load_u8 v1, v[6:7], off
	s_wait_loadcnt 0x0
	v_cvt_f32_ubyte0_e32 v1, v1
.LBB70_1810:
.LBB70_1811:
	s_wait_loadcnt 0x0
	s_delay_alu instid0(VALU_DEP_1) | instskip(SKIP_2) | instid1(VALU_DEP_1)
	v_mul_f32_e32 v1, s11, v1
	s_mov_b32 s15, exec_lo
	s_wait_xcnt 0x0
	v_cmpx_nlt_f32_e32 s2, v1
	s_cbranch_execz .LBB70_1813
; %bb.1812:
	v_mul_f32_e32 v3, 0x3fb8aa3b, v1
	v_cmp_ngt_f32_e32 vcc_lo, 0xc2ce8ed0, v1
	s_delay_alu instid0(VALU_DEP_2) | instskip(SKIP_1) | instid1(VALU_DEP_1)
	v_rndne_f32_e32 v5, v3
	v_fma_f32 v6, 0x3fb8aa3b, v1, -v3
	v_dual_sub_f32 v3, v3, v5 :: v_dual_fmamk_f32 v6, v1, 0x32a5705f, v6
	v_cvt_i32_f32_e32 v5, v5
	s_delay_alu instid0(VALU_DEP_2) | instskip(NEXT) | instid1(VALU_DEP_1)
	v_add_f32_e32 v3, v3, v6
	v_exp_f32_e32 v3, v3
	v_nop
	s_delay_alu instid0(TRANS32_DEP_1) | instskip(NEXT) | instid1(VALU_DEP_1)
	v_ldexp_f32 v3, v3, v5
	v_cndmask_b32_e32 v3, 0, v3, vcc_lo
	v_cmp_nlt_f32_e32 vcc_lo, 0x42b17218, v1
	s_delay_alu instid0(VALU_DEP_2) | instskip(NEXT) | instid1(VALU_DEP_1)
	v_cndmask_b32_e32 v1, 0x7f800000, v3, vcc_lo
	v_dual_mul_f32 v0, v0, v1 :: v_dual_add_f32 v1, 1.0, v1
	s_delay_alu instid0(VALU_DEP_1) | instskip(NEXT) | instid1(VALU_DEP_1)
	v_div_scale_f32 v3, null, v1, v1, v0
	v_rcp_f32_e32 v5, v3
	v_nop
	s_delay_alu instid0(TRANS32_DEP_1) | instskip(NEXT) | instid1(VALU_DEP_1)
	v_fma_f32 v6, -v3, v5, 1.0
	v_fmac_f32_e32 v5, v6, v5
	v_div_scale_f32 v6, vcc_lo, v0, v1, v0
	s_delay_alu instid0(VALU_DEP_1) | instskip(NEXT) | instid1(VALU_DEP_1)
	v_mul_f32_e32 v7, v6, v5
	v_fma_f32 v8, -v3, v7, v6
	s_delay_alu instid0(VALU_DEP_1) | instskip(NEXT) | instid1(VALU_DEP_1)
	v_fmac_f32_e32 v7, v8, v5
	v_fma_f32 v3, -v3, v7, v6
	s_delay_alu instid0(VALU_DEP_1) | instskip(NEXT) | instid1(VALU_DEP_1)
	v_div_fmas_f32 v3, v3, v5, v7
	v_div_fixup_f32 v0, v3, v1, v0
.LBB70_1813:
	s_or_b32 exec_lo, exec_lo, s15
	s_lshl_b32 s9, s9, 7
	s_cmp_lt_i32 s0, 11
	v_add_nc_u32_e32 v6, s9, v2
	s_delay_alu instid0(VALU_DEP_1) | instskip(NEXT) | instid1(VALU_DEP_1)
	v_ashrrev_i32_e32 v7, 31, v6
	v_add_nc_u64_e32 v[8:9], s[6:7], v[6:7]
	s_cbranch_scc1 .LBB70_1820
; %bb.1814:
	s_and_b32 s15, 0xffff, s0
	s_mov_b32 s19, 0
	s_cmp_gt_i32 s15, 25
	s_cbranch_scc0 .LBB70_1822
; %bb.1815:
	s_cmp_gt_i32 s15, 28
	s_cbranch_scc0 .LBB70_1823
; %bb.1816:
	;; [unrolled: 3-line block ×4, first 2 shown]
	s_cmp_eq_u32 s15, 46
	s_mov_b32 s21, 0
	s_cbranch_scc0 .LBB70_1827
; %bb.1819:
	global_load_b32 v1, v[8:9], off
	s_mov_b32 s18, 0
	s_mov_b32 s20, -1
	s_wait_loadcnt 0x0
	v_lshlrev_b32_e32 v2, 16, v1
	s_branch .LBB70_1829
.LBB70_1820:
	s_mov_b32 s20, 0
                                        ; implicit-def: $vgpr2
	s_cbranch_execnz .LBB70_1895
.LBB70_1821:
	s_and_not1_b32 vcc_lo, exec_lo, s20
	s_cbranch_vccnz .LBB70_2684
	s_branch .LBB70_1943
.LBB70_1822:
	s_mov_b32 s21, -1
	s_mov_b32 s20, 0
	s_mov_b32 s18, 0
                                        ; implicit-def: $vgpr2
	s_branch .LBB70_1858
.LBB70_1823:
	s_mov_b32 s21, -1
	s_mov_b32 s20, 0
	s_mov_b32 s18, 0
                                        ; implicit-def: $vgpr2
	s_branch .LBB70_1839
.LBB70_1824:
	s_mov_b32 s21, -1
	s_mov_b32 s20, 0
	s_mov_b32 s18, 0
                                        ; implicit-def: $vgpr2
	s_branch .LBB70_1834
.LBB70_1825:
	s_or_b32 s14, s14, exec_lo
	s_trap 2
	s_cbranch_execz .LBB70_1762
	s_branch .LBB70_1763
.LBB70_1826:
	s_mov_b32 s21, -1
	s_mov_b32 s20, 0
	s_mov_b32 s18, 0
	s_branch .LBB70_1828
.LBB70_1827:
	s_mov_b32 s18, -1
	s_mov_b32 s20, 0
.LBB70_1828:
                                        ; implicit-def: $vgpr2
.LBB70_1829:
	s_and_b32 vcc_lo, exec_lo, s21
	s_cbranch_vccz .LBB70_1833
; %bb.1830:
	s_cmp_eq_u32 s15, 44
	s_cbranch_scc0 .LBB70_1832
; %bb.1831:
	global_load_u8 v1, v[8:9], off
	s_mov_b32 s18, 0
	s_mov_b32 s20, -1
	s_wait_loadcnt 0x0
	v_lshlrev_b32_e32 v2, 23, v1
	v_cmp_ne_u32_e32 vcc_lo, 0xff, v1
	s_delay_alu instid0(VALU_DEP_2) | instskip(SKIP_1) | instid1(VALU_DEP_2)
	v_cndmask_b32_e32 v2, 0x7f800001, v2, vcc_lo
	v_cmp_ne_u32_e32 vcc_lo, 0, v1
	v_cndmask_b32_e32 v2, 0x400000, v2, vcc_lo
	s_branch .LBB70_1833
.LBB70_1832:
	s_mov_b32 s18, -1
                                        ; implicit-def: $vgpr2
.LBB70_1833:
	s_mov_b32 s21, 0
.LBB70_1834:
	s_delay_alu instid0(SALU_CYCLE_1)
	s_and_b32 vcc_lo, exec_lo, s21
	s_cbranch_vccz .LBB70_1838
; %bb.1835:
	s_cmp_eq_u32 s15, 29
	s_cbranch_scc0 .LBB70_1837
; %bb.1836:
	global_load_b64 v[2:3], v[8:9], off
	s_mov_b32 s18, 0
	s_mov_b32 s20, -1
	s_mov_b32 s21, 0
	s_wait_loadcnt 0x0
	v_clz_i32_u32_e32 v1, v3
	s_delay_alu instid0(VALU_DEP_1) | instskip(NEXT) | instid1(VALU_DEP_1)
	v_min_u32_e32 v1, 32, v1
	v_lshlrev_b64_e32 v[2:3], v1, v[2:3]
	v_sub_nc_u32_e32 v1, 32, v1
	s_delay_alu instid0(VALU_DEP_2) | instskip(NEXT) | instid1(VALU_DEP_1)
	v_min_u32_e32 v2, 1, v2
	v_or_b32_e32 v2, v3, v2
	s_delay_alu instid0(VALU_DEP_1) | instskip(NEXT) | instid1(VALU_DEP_1)
	v_cvt_f32_u32_e32 v2, v2
	v_ldexp_f32 v2, v2, v1
	s_branch .LBB70_1839
.LBB70_1837:
	s_mov_b32 s18, -1
                                        ; implicit-def: $vgpr2
.LBB70_1838:
	s_mov_b32 s21, 0
.LBB70_1839:
	s_delay_alu instid0(SALU_CYCLE_1)
	s_and_b32 vcc_lo, exec_lo, s21
	s_cbranch_vccz .LBB70_1857
; %bb.1840:
	s_cmp_lt_i32 s15, 27
	s_cbranch_scc1 .LBB70_1843
; %bb.1841:
	s_cmp_gt_i32 s15, 27
	s_cbranch_scc0 .LBB70_1844
; %bb.1842:
	global_load_b32 v1, v[8:9], off
	s_mov_b32 s20, 0
	s_wait_loadcnt 0x0
	v_cvt_f32_u32_e32 v2, v1
	s_branch .LBB70_1845
.LBB70_1843:
	s_mov_b32 s20, -1
                                        ; implicit-def: $vgpr2
	s_branch .LBB70_1848
.LBB70_1844:
	s_mov_b32 s20, -1
                                        ; implicit-def: $vgpr2
.LBB70_1845:
	s_delay_alu instid0(SALU_CYCLE_1)
	s_and_not1_b32 vcc_lo, exec_lo, s20
	s_cbranch_vccnz .LBB70_1847
; %bb.1846:
	global_load_u16 v1, v[8:9], off
	s_wait_loadcnt 0x0
	v_cvt_f32_u32_e32 v2, v1
.LBB70_1847:
	s_mov_b32 s20, 0
.LBB70_1848:
	s_delay_alu instid0(SALU_CYCLE_1)
	s_and_not1_b32 vcc_lo, exec_lo, s20
	s_cbranch_vccnz .LBB70_1856
; %bb.1849:
	global_load_u8 v1, v[8:9], off
	s_mov_b32 s20, 0
	s_mov_b32 s21, exec_lo
	s_wait_loadcnt 0x0
	v_cmpx_lt_i16_e32 0x7f, v1
	s_xor_b32 s21, exec_lo, s21
	s_cbranch_execz .LBB70_1870
; %bb.1850:
	s_mov_b32 s20, -1
	s_mov_b32 s22, exec_lo
	v_cmpx_eq_u16_e32 0x80, v1
; %bb.1851:
	s_xor_b32 s20, exec_lo, -1
; %bb.1852:
	s_or_b32 exec_lo, exec_lo, s22
	s_delay_alu instid0(SALU_CYCLE_1)
	s_and_b32 s20, s20, exec_lo
	s_or_saveexec_b32 s21, s21
	v_mov_b32_e32 v2, 0x7f800001
	s_xor_b32 exec_lo, exec_lo, s21
	s_cbranch_execnz .LBB70_1871
.LBB70_1853:
	s_or_b32 exec_lo, exec_lo, s21
	s_and_saveexec_b32 s21, s20
	s_cbranch_execz .LBB70_1855
.LBB70_1854:
	v_and_b32_e32 v2, 0xffff, v1
	s_delay_alu instid0(VALU_DEP_1) | instskip(SKIP_1) | instid1(VALU_DEP_2)
	v_and_b32_e32 v3, 7, v2
	v_bfe_u32 v10, v2, 3, 4
	v_clz_i32_u32_e32 v5, v3
	s_delay_alu instid0(VALU_DEP_2) | instskip(NEXT) | instid1(VALU_DEP_2)
	v_cmp_eq_u32_e32 vcc_lo, 0, v10
	v_min_u32_e32 v5, 32, v5
	s_delay_alu instid0(VALU_DEP_1) | instskip(NEXT) | instid1(VALU_DEP_1)
	v_subrev_nc_u32_e32 v7, 28, v5
	v_dual_lshlrev_b32 v2, v7, v2 :: v_dual_sub_nc_u32 v5, 29, v5
	s_delay_alu instid0(VALU_DEP_1) | instskip(NEXT) | instid1(VALU_DEP_1)
	v_dual_lshlrev_b32 v1, 24, v1 :: v_dual_bitop2_b32 v2, 7, v2 bitop3:0x40
	v_dual_cndmask_b32 v2, v3, v2 :: v_dual_cndmask_b32 v5, v10, v5
	s_delay_alu instid0(VALU_DEP_2) | instskip(NEXT) | instid1(VALU_DEP_2)
	v_and_b32_e32 v1, 0x80000000, v1
	v_lshlrev_b32_e32 v2, 20, v2
	s_delay_alu instid0(VALU_DEP_3) | instskip(NEXT) | instid1(VALU_DEP_1)
	v_lshl_add_u32 v3, v5, 23, 0x3b800000
	v_or3_b32 v2, v1, v3, v2
.LBB70_1855:
	s_or_b32 exec_lo, exec_lo, s21
.LBB70_1856:
	s_mov_b32 s20, -1
.LBB70_1857:
	s_mov_b32 s21, 0
.LBB70_1858:
	s_delay_alu instid0(SALU_CYCLE_1)
	s_and_b32 vcc_lo, exec_lo, s21
	s_cbranch_vccz .LBB70_1891
; %bb.1859:
	s_cmp_gt_i32 s15, 22
	s_cbranch_scc0 .LBB70_1869
; %bb.1860:
	s_cmp_lt_i32 s15, 24
	s_cbranch_scc1 .LBB70_1872
; %bb.1861:
	s_cmp_gt_i32 s15, 24
	s_cbranch_scc0 .LBB70_1873
; %bb.1862:
	global_load_u8 v1, v[8:9], off
	s_mov_b32 s20, exec_lo
	s_wait_loadcnt 0x0
	v_cmpx_lt_i16_e32 0x7f, v1
	s_xor_b32 s20, exec_lo, s20
	s_cbranch_execz .LBB70_1885
; %bb.1863:
	s_mov_b32 s19, -1
	s_mov_b32 s21, exec_lo
	v_cmpx_eq_u16_e32 0x80, v1
; %bb.1864:
	s_xor_b32 s19, exec_lo, -1
; %bb.1865:
	s_or_b32 exec_lo, exec_lo, s21
	s_delay_alu instid0(SALU_CYCLE_1)
	s_and_b32 s19, s19, exec_lo
	s_or_saveexec_b32 s20, s20
	v_mov_b32_e32 v2, 0x7f800001
	s_xor_b32 exec_lo, exec_lo, s20
	s_cbranch_execnz .LBB70_1886
.LBB70_1866:
	s_or_b32 exec_lo, exec_lo, s20
	s_and_saveexec_b32 s20, s19
	s_cbranch_execz .LBB70_1868
.LBB70_1867:
	v_and_b32_e32 v2, 0xffff, v1
	s_delay_alu instid0(VALU_DEP_1) | instskip(SKIP_1) | instid1(VALU_DEP_2)
	v_and_b32_e32 v3, 3, v2
	v_bfe_u32 v10, v2, 2, 5
	v_clz_i32_u32_e32 v5, v3
	s_delay_alu instid0(VALU_DEP_2) | instskip(NEXT) | instid1(VALU_DEP_2)
	v_cmp_eq_u32_e32 vcc_lo, 0, v10
	v_min_u32_e32 v5, 32, v5
	s_delay_alu instid0(VALU_DEP_1) | instskip(NEXT) | instid1(VALU_DEP_1)
	v_subrev_nc_u32_e32 v7, 29, v5
	v_dual_lshlrev_b32 v2, v7, v2 :: v_dual_sub_nc_u32 v5, 30, v5
	s_delay_alu instid0(VALU_DEP_1) | instskip(NEXT) | instid1(VALU_DEP_1)
	v_dual_lshlrev_b32 v1, 24, v1 :: v_dual_bitop2_b32 v2, 3, v2 bitop3:0x40
	v_dual_cndmask_b32 v2, v3, v2 :: v_dual_cndmask_b32 v5, v10, v5
	s_delay_alu instid0(VALU_DEP_2) | instskip(NEXT) | instid1(VALU_DEP_2)
	v_and_b32_e32 v1, 0x80000000, v1
	v_lshlrev_b32_e32 v2, 21, v2
	s_delay_alu instid0(VALU_DEP_3) | instskip(NEXT) | instid1(VALU_DEP_1)
	v_lshl_add_u32 v3, v5, 23, 0x37800000
	v_or3_b32 v2, v1, v3, v2
.LBB70_1868:
	s_or_b32 exec_lo, exec_lo, s20
	s_mov_b32 s19, 0
	s_branch .LBB70_1874
.LBB70_1869:
	s_mov_b32 s19, -1
                                        ; implicit-def: $vgpr2
	s_branch .LBB70_1880
.LBB70_1870:
	s_or_saveexec_b32 s21, s21
	v_mov_b32_e32 v2, 0x7f800001
	s_xor_b32 exec_lo, exec_lo, s21
	s_cbranch_execz .LBB70_1853
.LBB70_1871:
	v_cmp_ne_u16_e32 vcc_lo, 0, v1
	v_mov_b32_e32 v2, 0
	s_and_not1_b32 s20, s20, exec_lo
	s_and_b32 s22, vcc_lo, exec_lo
	s_delay_alu instid0(SALU_CYCLE_1)
	s_or_b32 s20, s20, s22
	s_or_b32 exec_lo, exec_lo, s21
	s_and_saveexec_b32 s21, s20
	s_cbranch_execnz .LBB70_1854
	s_branch .LBB70_1855
.LBB70_1872:
	s_mov_b32 s19, -1
                                        ; implicit-def: $vgpr2
	s_branch .LBB70_1877
.LBB70_1873:
	s_mov_b32 s19, -1
                                        ; implicit-def: $vgpr2
.LBB70_1874:
	s_delay_alu instid0(SALU_CYCLE_1)
	s_and_b32 vcc_lo, exec_lo, s19
	s_cbranch_vccz .LBB70_1876
; %bb.1875:
	global_load_u8 v1, v[8:9], off
	s_wait_loadcnt 0x0
	v_lshlrev_b32_e32 v1, 24, v1
	s_delay_alu instid0(VALU_DEP_1) | instskip(NEXT) | instid1(VALU_DEP_1)
	v_and_b32_e32 v2, 0x7f000000, v1
	v_clz_i32_u32_e32 v3, v2
	v_cmp_ne_u32_e32 vcc_lo, 0, v2
	v_add_nc_u32_e32 v7, 0x1000000, v2
	s_delay_alu instid0(VALU_DEP_3) | instskip(NEXT) | instid1(VALU_DEP_1)
	v_min_u32_e32 v3, 32, v3
	v_sub_nc_u32_e64 v3, v3, 4 clamp
	s_delay_alu instid0(VALU_DEP_1) | instskip(NEXT) | instid1(VALU_DEP_1)
	v_dual_lshlrev_b32 v5, v3, v2 :: v_dual_lshlrev_b32 v3, 23, v3
	v_lshrrev_b32_e32 v5, 4, v5
	s_delay_alu instid0(VALU_DEP_1) | instskip(SKIP_1) | instid1(VALU_DEP_2)
	v_sub_nc_u32_e32 v3, v5, v3
	v_ashrrev_i32_e32 v5, 8, v7
	v_add_nc_u32_e32 v3, 0x3c000000, v3
	s_delay_alu instid0(VALU_DEP_1) | instskip(NEXT) | instid1(VALU_DEP_1)
	v_and_or_b32 v3, 0x7f800000, v5, v3
	v_cndmask_b32_e32 v2, 0, v3, vcc_lo
	s_delay_alu instid0(VALU_DEP_1)
	v_and_or_b32 v2, 0x80000000, v1, v2
.LBB70_1876:
	s_mov_b32 s19, 0
.LBB70_1877:
	s_delay_alu instid0(SALU_CYCLE_1)
	s_and_not1_b32 vcc_lo, exec_lo, s19
	s_cbranch_vccnz .LBB70_1879
; %bb.1878:
	global_load_u8 v1, v[8:9], off
	s_wait_loadcnt 0x0
	v_lshlrev_b32_e32 v2, 25, v1
	v_lshlrev_b16 v1, 8, v1
	s_delay_alu instid0(VALU_DEP_1) | instskip(NEXT) | instid1(VALU_DEP_3)
	v_and_or_b32 v5, 0x7f00, v1, 0.5
	v_lshrrev_b32_e32 v3, 4, v2
	v_bfe_i32 v1, v1, 0, 16
	s_delay_alu instid0(VALU_DEP_3) | instskip(NEXT) | instid1(VALU_DEP_3)
	v_add_f32_e32 v5, -0.5, v5
	v_or_b32_e32 v3, 0x70000000, v3
	s_delay_alu instid0(VALU_DEP_1) | instskip(SKIP_1) | instid1(VALU_DEP_2)
	v_mul_f32_e32 v3, 0x7800000, v3
	v_cmp_gt_u32_e32 vcc_lo, 0x8000000, v2
	v_cndmask_b32_e32 v2, v3, v5, vcc_lo
	s_delay_alu instid0(VALU_DEP_1)
	v_and_or_b32 v2, 0x80000000, v1, v2
.LBB70_1879:
	s_mov_b32 s19, 0
	s_mov_b32 s20, -1
.LBB70_1880:
	s_and_not1_b32 vcc_lo, exec_lo, s19
	s_mov_b32 s19, 0
	s_cbranch_vccnz .LBB70_1891
; %bb.1881:
	s_cmp_gt_i32 s15, 14
	s_cbranch_scc0 .LBB70_1884
; %bb.1882:
	s_cmp_eq_u32 s15, 15
	s_cbranch_scc0 .LBB70_1887
; %bb.1883:
	global_load_u16 v1, v[8:9], off
	s_mov_b32 s18, 0
	s_mov_b32 s20, -1
	s_wait_loadcnt 0x0
	v_lshlrev_b32_e32 v2, 16, v1
	s_branch .LBB70_1889
.LBB70_1884:
	s_mov_b32 s19, -1
	s_branch .LBB70_1888
.LBB70_1885:
	s_or_saveexec_b32 s20, s20
	v_mov_b32_e32 v2, 0x7f800001
	s_xor_b32 exec_lo, exec_lo, s20
	s_cbranch_execz .LBB70_1866
.LBB70_1886:
	v_cmp_ne_u16_e32 vcc_lo, 0, v1
	v_mov_b32_e32 v2, 0
	s_and_not1_b32 s19, s19, exec_lo
	s_and_b32 s21, vcc_lo, exec_lo
	s_delay_alu instid0(SALU_CYCLE_1)
	s_or_b32 s19, s19, s21
	s_or_b32 exec_lo, exec_lo, s20
	s_and_saveexec_b32 s20, s19
	s_cbranch_execnz .LBB70_1867
	s_branch .LBB70_1868
.LBB70_1887:
	s_mov_b32 s18, -1
.LBB70_1888:
                                        ; implicit-def: $vgpr2
.LBB70_1889:
	s_and_b32 vcc_lo, exec_lo, s19
	s_mov_b32 s19, 0
	s_cbranch_vccz .LBB70_1891
; %bb.1890:
	s_cmp_lg_u32 s15, 11
	s_mov_b32 s19, -1
	s_cselect_b32 s18, -1, 0
.LBB70_1891:
	s_delay_alu instid0(SALU_CYCLE_1)
	s_and_b32 vcc_lo, exec_lo, s18
	s_cbranch_vccnz .LBB70_1954
; %bb.1892:
	s_and_not1_b32 vcc_lo, exec_lo, s19
	s_cbranch_vccnz .LBB70_1894
.LBB70_1893:
	global_load_u8 v1, v[8:9], off
	s_mov_b32 s20, -1
	s_wait_loadcnt 0x0
	v_cmp_ne_u16_e32 vcc_lo, 0, v1
	v_cndmask_b32_e64 v2, 0, 1.0, vcc_lo
.LBB70_1894:
	s_branch .LBB70_1821
.LBB70_1895:
	s_and_b32 s15, 0xffff, s0
	s_delay_alu instid0(SALU_CYCLE_1)
	s_cmp_lt_i32 s15, 5
	s_cbranch_scc1 .LBB70_1900
; %bb.1896:
	s_cmp_lt_i32 s15, 8
	s_cbranch_scc1 .LBB70_1901
; %bb.1897:
	;; [unrolled: 3-line block ×3, first 2 shown]
	s_cmp_gt_i32 s15, 9
	s_cbranch_scc0 .LBB70_1903
; %bb.1899:
	global_load_b64 v[2:3], v[8:9], off
	s_mov_b32 s18, 0
	s_wait_loadcnt 0x0
	v_cvt_f32_f64_e32 v2, v[2:3]
	s_branch .LBB70_1904
.LBB70_1900:
	s_mov_b32 s18, -1
                                        ; implicit-def: $vgpr2
	s_branch .LBB70_1922
.LBB70_1901:
	s_mov_b32 s18, -1
                                        ; implicit-def: $vgpr2
	s_branch .LBB70_1910
.LBB70_1902:
	s_mov_b32 s18, -1
                                        ; implicit-def: $vgpr2
	s_branch .LBB70_1907
.LBB70_1903:
	s_mov_b32 s18, -1
                                        ; implicit-def: $vgpr2
.LBB70_1904:
	s_delay_alu instid0(SALU_CYCLE_1)
	s_and_not1_b32 vcc_lo, exec_lo, s18
	s_cbranch_vccnz .LBB70_1906
; %bb.1905:
	global_load_b32 v2, v[8:9], off
.LBB70_1906:
	s_mov_b32 s18, 0
.LBB70_1907:
	s_delay_alu instid0(SALU_CYCLE_1)
	s_and_not1_b32 vcc_lo, exec_lo, s18
	s_cbranch_vccnz .LBB70_1909
; %bb.1908:
	global_load_b32 v1, v[8:9], off
	s_wait_loadcnt 0x0
	v_cvt_f32_f16_e32 v2, v1
.LBB70_1909:
	s_mov_b32 s18, 0
.LBB70_1910:
	s_delay_alu instid0(SALU_CYCLE_1)
	s_and_not1_b32 vcc_lo, exec_lo, s18
	s_cbranch_vccnz .LBB70_1921
; %bb.1911:
	s_cmp_lt_i32 s15, 6
	s_cbranch_scc1 .LBB70_1914
; %bb.1912:
	s_cmp_gt_i32 s15, 6
	s_cbranch_scc0 .LBB70_1915
; %bb.1913:
	s_wait_loadcnt 0x0
	global_load_b64 v[2:3], v[8:9], off
	s_mov_b32 s18, 0
	s_wait_loadcnt 0x0
	v_cvt_f32_f64_e32 v2, v[2:3]
	s_branch .LBB70_1916
.LBB70_1914:
	s_mov_b32 s18, -1
                                        ; implicit-def: $vgpr2
	s_branch .LBB70_1919
.LBB70_1915:
	s_mov_b32 s18, -1
                                        ; implicit-def: $vgpr2
.LBB70_1916:
	s_delay_alu instid0(SALU_CYCLE_1)
	s_and_not1_b32 vcc_lo, exec_lo, s18
	s_cbranch_vccnz .LBB70_1918
; %bb.1917:
	s_wait_loadcnt 0x0
	global_load_b32 v2, v[8:9], off
.LBB70_1918:
	s_mov_b32 s18, 0
.LBB70_1919:
	s_delay_alu instid0(SALU_CYCLE_1)
	s_and_not1_b32 vcc_lo, exec_lo, s18
	s_cbranch_vccnz .LBB70_1921
; %bb.1920:
	global_load_u16 v1, v[8:9], off
	s_wait_loadcnt 0x0
	v_cvt_f32_f16_e32 v2, v1
.LBB70_1921:
	s_mov_b32 s18, 0
.LBB70_1922:
	s_delay_alu instid0(SALU_CYCLE_1)
	s_and_not1_b32 vcc_lo, exec_lo, s18
	s_cbranch_vccnz .LBB70_1942
; %bb.1923:
	s_cmp_lt_i32 s15, 2
	s_cbranch_scc1 .LBB70_1927
; %bb.1924:
	s_cmp_lt_i32 s15, 3
	s_cbranch_scc1 .LBB70_1928
; %bb.1925:
	s_cmp_gt_i32 s15, 3
	s_cbranch_scc0 .LBB70_1929
; %bb.1926:
	s_wait_loadcnt 0x0
	global_load_b64 v[2:3], v[8:9], off
	s_mov_b32 s18, 0
	s_wait_loadcnt 0x0
	v_xor_b32_e32 v1, v2, v3
	v_cls_i32_e32 v5, v3
	s_delay_alu instid0(VALU_DEP_2) | instskip(NEXT) | instid1(VALU_DEP_1)
	v_ashrrev_i32_e32 v1, 31, v1
	v_add_nc_u32_e32 v1, 32, v1
	s_delay_alu instid0(VALU_DEP_1) | instskip(NEXT) | instid1(VALU_DEP_1)
	v_add_min_u32_e64 v1, v5, -1, v1
	v_lshlrev_b64_e32 v[2:3], v1, v[2:3]
	v_sub_nc_u32_e32 v1, 32, v1
	s_delay_alu instid0(VALU_DEP_2) | instskip(NEXT) | instid1(VALU_DEP_1)
	v_min_u32_e32 v2, 1, v2
	v_or_b32_e32 v2, v3, v2
	s_delay_alu instid0(VALU_DEP_1) | instskip(NEXT) | instid1(VALU_DEP_1)
	v_cvt_f32_i32_e32 v2, v2
	v_ldexp_f32 v2, v2, v1
	s_branch .LBB70_1930
.LBB70_1927:
	s_mov_b32 s18, -1
                                        ; implicit-def: $vgpr2
	s_branch .LBB70_1936
.LBB70_1928:
	s_mov_b32 s18, -1
                                        ; implicit-def: $vgpr2
	s_branch .LBB70_1933
.LBB70_1929:
	s_mov_b32 s18, -1
                                        ; implicit-def: $vgpr2
.LBB70_1930:
	s_delay_alu instid0(SALU_CYCLE_1)
	s_and_not1_b32 vcc_lo, exec_lo, s18
	s_cbranch_vccnz .LBB70_1932
; %bb.1931:
	global_load_b32 v1, v[8:9], off
	s_wait_loadcnt 0x0
	v_cvt_f32_i32_e32 v2, v1
.LBB70_1932:
	s_mov_b32 s18, 0
.LBB70_1933:
	s_delay_alu instid0(SALU_CYCLE_1)
	s_and_not1_b32 vcc_lo, exec_lo, s18
	s_cbranch_vccnz .LBB70_1935
; %bb.1934:
	global_load_i16 v1, v[8:9], off
	s_wait_loadcnt 0x0
	v_cvt_f32_i32_e32 v2, v1
.LBB70_1935:
	s_mov_b32 s18, 0
.LBB70_1936:
	s_delay_alu instid0(SALU_CYCLE_1)
	s_and_not1_b32 vcc_lo, exec_lo, s18
	s_cbranch_vccnz .LBB70_1942
; %bb.1937:
	s_cmp_gt_i32 s15, 0
	s_mov_b32 s15, 0
	s_cbranch_scc0 .LBB70_1939
; %bb.1938:
	global_load_i8 v1, v[8:9], off
	s_wait_loadcnt 0x0
	v_cvt_f32_i32_e32 v2, v1
	s_branch .LBB70_1940
.LBB70_1939:
	s_mov_b32 s15, -1
                                        ; implicit-def: $vgpr2
.LBB70_1940:
	s_delay_alu instid0(SALU_CYCLE_1)
	s_and_not1_b32 vcc_lo, exec_lo, s15
	s_cbranch_vccnz .LBB70_1942
; %bb.1941:
	global_load_u8 v1, v[8:9], off
	s_wait_loadcnt 0x0
	v_cvt_f32_ubyte0_e32 v2, v1
.LBB70_1942:
.LBB70_1943:
	s_lshl_b32 s10, s10, 7
	s_cmp_lt_i32 s1, 11
	s_wait_xcnt 0x0
	v_add_nc_u32_e32 v8, s10, v4
	s_delay_alu instid0(VALU_DEP_1) | instskip(NEXT) | instid1(VALU_DEP_1)
	v_ashrrev_i32_e32 v9, 31, v8
	v_add_nc_u64_e32 v[4:5], s[12:13], v[8:9]
	s_cbranch_scc1 .LBB70_1950
; %bb.1944:
	s_and_b32 s15, 0xffff, s1
	s_mov_b32 s19, 0
	s_cmp_gt_i32 s15, 25
	s_cbranch_scc0 .LBB70_1951
; %bb.1945:
	s_cmp_gt_i32 s15, 28
	s_cbranch_scc0 .LBB70_1952
; %bb.1946:
	;; [unrolled: 3-line block ×4, first 2 shown]
	s_cmp_eq_u32 s15, 46
	s_mov_b32 s21, 0
	s_cbranch_scc0 .LBB70_1956
; %bb.1949:
	global_load_b32 v1, v[4:5], off
	s_mov_b32 s18, 0
	s_mov_b32 s20, -1
	s_wait_loadcnt 0x0
	v_lshlrev_b32_e32 v1, 16, v1
	s_branch .LBB70_1958
.LBB70_1950:
	s_mov_b32 s15, -1
	s_mov_b32 s20, 0
                                        ; implicit-def: $vgpr1
	s_branch .LBB70_2024
.LBB70_1951:
	s_mov_b32 s21, -1
	s_mov_b32 s20, 0
	s_mov_b32 s18, 0
                                        ; implicit-def: $vgpr1
	s_branch .LBB70_1987
.LBB70_1952:
	s_mov_b32 s21, -1
	s_mov_b32 s20, 0
	s_mov_b32 s18, 0
                                        ; implicit-def: $vgpr1
	s_branch .LBB70_1968
.LBB70_1953:
	s_mov_b32 s21, -1
	s_mov_b32 s20, 0
	s_mov_b32 s18, 0
                                        ; implicit-def: $vgpr1
	s_branch .LBB70_1963
.LBB70_1954:
	s_or_b32 s14, s14, exec_lo
	s_trap 2
	s_cbranch_execz .LBB70_1893
	s_branch .LBB70_1894
.LBB70_1955:
	s_mov_b32 s21, -1
	s_mov_b32 s20, 0
	s_mov_b32 s18, 0
	s_branch .LBB70_1957
.LBB70_1956:
	s_mov_b32 s18, -1
	s_mov_b32 s20, 0
.LBB70_1957:
                                        ; implicit-def: $vgpr1
.LBB70_1958:
	s_and_b32 vcc_lo, exec_lo, s21
	s_cbranch_vccz .LBB70_1962
; %bb.1959:
	s_cmp_eq_u32 s15, 44
	s_cbranch_scc0 .LBB70_1961
; %bb.1960:
	global_load_u8 v1, v[4:5], off
	s_mov_b32 s18, 0
	s_mov_b32 s20, -1
	s_wait_loadcnt 0x0
	v_lshlrev_b32_e32 v3, 23, v1
	v_cmp_ne_u32_e32 vcc_lo, 0xff, v1
	s_delay_alu instid0(VALU_DEP_2) | instskip(SKIP_1) | instid1(VALU_DEP_2)
	v_cndmask_b32_e32 v3, 0x7f800001, v3, vcc_lo
	v_cmp_ne_u32_e32 vcc_lo, 0, v1
	v_cndmask_b32_e32 v1, 0x400000, v3, vcc_lo
	s_branch .LBB70_1962
.LBB70_1961:
	s_mov_b32 s18, -1
                                        ; implicit-def: $vgpr1
.LBB70_1962:
	s_mov_b32 s21, 0
.LBB70_1963:
	s_delay_alu instid0(SALU_CYCLE_1)
	s_and_b32 vcc_lo, exec_lo, s21
	s_cbranch_vccz .LBB70_1967
; %bb.1964:
	s_cmp_eq_u32 s15, 29
	s_cbranch_scc0 .LBB70_1966
; %bb.1965:
	global_load_b64 v[10:11], v[4:5], off
	s_mov_b32 s18, 0
	s_mov_b32 s20, -1
	s_mov_b32 s21, 0
	s_wait_loadcnt 0x0
	v_clz_i32_u32_e32 v1, v11
	s_delay_alu instid0(VALU_DEP_1) | instskip(NEXT) | instid1(VALU_DEP_1)
	v_min_u32_e32 v1, 32, v1
	v_lshlrev_b64_e32 v[10:11], v1, v[10:11]
	v_sub_nc_u32_e32 v1, 32, v1
	s_delay_alu instid0(VALU_DEP_2) | instskip(NEXT) | instid1(VALU_DEP_1)
	v_min_u32_e32 v3, 1, v10
	v_or_b32_e32 v3, v11, v3
	s_delay_alu instid0(VALU_DEP_1) | instskip(NEXT) | instid1(VALU_DEP_1)
	v_cvt_f32_u32_e32 v3, v3
	v_ldexp_f32 v1, v3, v1
	s_branch .LBB70_1968
.LBB70_1966:
	s_mov_b32 s18, -1
                                        ; implicit-def: $vgpr1
.LBB70_1967:
	s_mov_b32 s21, 0
.LBB70_1968:
	s_delay_alu instid0(SALU_CYCLE_1)
	s_and_b32 vcc_lo, exec_lo, s21
	s_cbranch_vccz .LBB70_1986
; %bb.1969:
	s_cmp_lt_i32 s15, 27
	s_cbranch_scc1 .LBB70_1972
; %bb.1970:
	s_cmp_gt_i32 s15, 27
	s_cbranch_scc0 .LBB70_1973
; %bb.1971:
	global_load_b32 v1, v[4:5], off
	s_mov_b32 s20, 0
	s_wait_loadcnt 0x0
	v_cvt_f32_u32_e32 v1, v1
	s_branch .LBB70_1974
.LBB70_1972:
	s_mov_b32 s20, -1
                                        ; implicit-def: $vgpr1
	s_branch .LBB70_1977
.LBB70_1973:
	s_mov_b32 s20, -1
                                        ; implicit-def: $vgpr1
.LBB70_1974:
	s_delay_alu instid0(SALU_CYCLE_1)
	s_and_not1_b32 vcc_lo, exec_lo, s20
	s_cbranch_vccnz .LBB70_1976
; %bb.1975:
	global_load_u16 v1, v[4:5], off
	s_wait_loadcnt 0x0
	v_cvt_f32_u32_e32 v1, v1
.LBB70_1976:
	s_mov_b32 s20, 0
.LBB70_1977:
	s_delay_alu instid0(SALU_CYCLE_1)
	s_and_not1_b32 vcc_lo, exec_lo, s20
	s_cbranch_vccnz .LBB70_1985
; %bb.1978:
	global_load_u8 v3, v[4:5], off
	s_mov_b32 s20, 0
	s_mov_b32 s21, exec_lo
	s_wait_loadcnt 0x0
	v_cmpx_lt_i16_e32 0x7f, v3
	s_xor_b32 s21, exec_lo, s21
	s_cbranch_execz .LBB70_1999
; %bb.1979:
	s_mov_b32 s20, -1
	s_mov_b32 s22, exec_lo
	v_cmpx_eq_u16_e32 0x80, v3
; %bb.1980:
	s_xor_b32 s20, exec_lo, -1
; %bb.1981:
	s_or_b32 exec_lo, exec_lo, s22
	s_delay_alu instid0(SALU_CYCLE_1)
	s_and_b32 s20, s20, exec_lo
	s_or_saveexec_b32 s21, s21
	v_mov_b32_e32 v1, 0x7f800001
	s_xor_b32 exec_lo, exec_lo, s21
	s_cbranch_execnz .LBB70_2000
.LBB70_1982:
	s_or_b32 exec_lo, exec_lo, s21
	s_and_saveexec_b32 s21, s20
	s_cbranch_execz .LBB70_1984
.LBB70_1983:
	v_and_b32_e32 v1, 0xffff, v3
	s_delay_alu instid0(VALU_DEP_1) | instskip(SKIP_1) | instid1(VALU_DEP_2)
	v_dual_lshlrev_b32 v3, 24, v3 :: v_dual_bitop2_b32 v7, 7, v1 bitop3:0x40
	v_bfe_u32 v11, v1, 3, 4
	v_and_b32_e32 v3, 0x80000000, v3
	s_delay_alu instid0(VALU_DEP_3) | instskip(NEXT) | instid1(VALU_DEP_3)
	v_clz_i32_u32_e32 v9, v7
	v_cmp_eq_u32_e32 vcc_lo, 0, v11
	s_delay_alu instid0(VALU_DEP_2) | instskip(NEXT) | instid1(VALU_DEP_1)
	v_min_u32_e32 v9, 32, v9
	v_subrev_nc_u32_e32 v10, 28, v9
	v_sub_nc_u32_e32 v9, 29, v9
	s_delay_alu instid0(VALU_DEP_2) | instskip(NEXT) | instid1(VALU_DEP_2)
	v_lshlrev_b32_e32 v1, v10, v1
	v_cndmask_b32_e32 v9, v11, v9, vcc_lo
	s_delay_alu instid0(VALU_DEP_2) | instskip(NEXT) | instid1(VALU_DEP_1)
	v_and_b32_e32 v1, 7, v1
	v_cndmask_b32_e32 v1, v7, v1, vcc_lo
	s_delay_alu instid0(VALU_DEP_3) | instskip(NEXT) | instid1(VALU_DEP_2)
	v_lshl_add_u32 v7, v9, 23, 0x3b800000
	v_lshlrev_b32_e32 v1, 20, v1
	s_delay_alu instid0(VALU_DEP_1)
	v_or3_b32 v1, v3, v7, v1
.LBB70_1984:
	s_or_b32 exec_lo, exec_lo, s21
.LBB70_1985:
	s_mov_b32 s20, -1
.LBB70_1986:
	s_mov_b32 s21, 0
.LBB70_1987:
	s_delay_alu instid0(SALU_CYCLE_1)
	s_and_b32 vcc_lo, exec_lo, s21
	s_cbranch_vccz .LBB70_2020
; %bb.1988:
	s_cmp_gt_i32 s15, 22
	s_cbranch_scc0 .LBB70_1998
; %bb.1989:
	s_cmp_lt_i32 s15, 24
	s_cbranch_scc1 .LBB70_2001
; %bb.1990:
	s_cmp_gt_i32 s15, 24
	s_cbranch_scc0 .LBB70_2002
; %bb.1991:
	global_load_u8 v3, v[4:5], off
	s_mov_b32 s20, exec_lo
	s_wait_loadcnt 0x0
	v_cmpx_lt_i16_e32 0x7f, v3
	s_xor_b32 s20, exec_lo, s20
	s_cbranch_execz .LBB70_2014
; %bb.1992:
	s_mov_b32 s19, -1
	s_mov_b32 s21, exec_lo
	v_cmpx_eq_u16_e32 0x80, v3
; %bb.1993:
	s_xor_b32 s19, exec_lo, -1
; %bb.1994:
	s_or_b32 exec_lo, exec_lo, s21
	s_delay_alu instid0(SALU_CYCLE_1)
	s_and_b32 s19, s19, exec_lo
	s_or_saveexec_b32 s20, s20
	v_mov_b32_e32 v1, 0x7f800001
	s_xor_b32 exec_lo, exec_lo, s20
	s_cbranch_execnz .LBB70_2015
.LBB70_1995:
	s_or_b32 exec_lo, exec_lo, s20
	s_and_saveexec_b32 s20, s19
	s_cbranch_execz .LBB70_1997
.LBB70_1996:
	v_and_b32_e32 v1, 0xffff, v3
	s_delay_alu instid0(VALU_DEP_1) | instskip(SKIP_1) | instid1(VALU_DEP_2)
	v_dual_lshlrev_b32 v3, 24, v3 :: v_dual_bitop2_b32 v7, 3, v1 bitop3:0x40
	v_bfe_u32 v11, v1, 2, 5
	v_and_b32_e32 v3, 0x80000000, v3
	s_delay_alu instid0(VALU_DEP_3) | instskip(NEXT) | instid1(VALU_DEP_3)
	v_clz_i32_u32_e32 v9, v7
	v_cmp_eq_u32_e32 vcc_lo, 0, v11
	s_delay_alu instid0(VALU_DEP_2) | instskip(NEXT) | instid1(VALU_DEP_1)
	v_min_u32_e32 v9, 32, v9
	v_subrev_nc_u32_e32 v10, 29, v9
	v_sub_nc_u32_e32 v9, 30, v9
	s_delay_alu instid0(VALU_DEP_2) | instskip(NEXT) | instid1(VALU_DEP_2)
	v_lshlrev_b32_e32 v1, v10, v1
	v_cndmask_b32_e32 v9, v11, v9, vcc_lo
	s_delay_alu instid0(VALU_DEP_2) | instskip(NEXT) | instid1(VALU_DEP_1)
	v_and_b32_e32 v1, 3, v1
	v_cndmask_b32_e32 v1, v7, v1, vcc_lo
	s_delay_alu instid0(VALU_DEP_3) | instskip(NEXT) | instid1(VALU_DEP_2)
	v_lshl_add_u32 v7, v9, 23, 0x37800000
	v_lshlrev_b32_e32 v1, 21, v1
	s_delay_alu instid0(VALU_DEP_1)
	v_or3_b32 v1, v3, v7, v1
.LBB70_1997:
	s_or_b32 exec_lo, exec_lo, s20
	s_mov_b32 s19, 0
	s_branch .LBB70_2003
.LBB70_1998:
	s_mov_b32 s19, -1
                                        ; implicit-def: $vgpr1
	s_branch .LBB70_2009
.LBB70_1999:
	s_or_saveexec_b32 s21, s21
	v_mov_b32_e32 v1, 0x7f800001
	s_xor_b32 exec_lo, exec_lo, s21
	s_cbranch_execz .LBB70_1982
.LBB70_2000:
	v_cmp_ne_u16_e32 vcc_lo, 0, v3
	v_mov_b32_e32 v1, 0
	s_and_not1_b32 s20, s20, exec_lo
	s_and_b32 s22, vcc_lo, exec_lo
	s_delay_alu instid0(SALU_CYCLE_1)
	s_or_b32 s20, s20, s22
	s_or_b32 exec_lo, exec_lo, s21
	s_and_saveexec_b32 s21, s20
	s_cbranch_execnz .LBB70_1983
	s_branch .LBB70_1984
.LBB70_2001:
	s_mov_b32 s19, -1
                                        ; implicit-def: $vgpr1
	s_branch .LBB70_2006
.LBB70_2002:
	s_mov_b32 s19, -1
                                        ; implicit-def: $vgpr1
.LBB70_2003:
	s_delay_alu instid0(SALU_CYCLE_1)
	s_and_b32 vcc_lo, exec_lo, s19
	s_cbranch_vccz .LBB70_2005
; %bb.2004:
	global_load_u8 v1, v[4:5], off
	s_wait_loadcnt 0x0
	v_lshlrev_b32_e32 v1, 24, v1
	s_delay_alu instid0(VALU_DEP_1) | instskip(NEXT) | instid1(VALU_DEP_1)
	v_and_b32_e32 v3, 0x7f000000, v1
	v_clz_i32_u32_e32 v7, v3
	v_add_nc_u32_e32 v10, 0x1000000, v3
	v_cmp_ne_u32_e32 vcc_lo, 0, v3
	s_delay_alu instid0(VALU_DEP_3) | instskip(NEXT) | instid1(VALU_DEP_1)
	v_min_u32_e32 v7, 32, v7
	v_sub_nc_u32_e64 v7, v7, 4 clamp
	s_delay_alu instid0(VALU_DEP_1) | instskip(NEXT) | instid1(VALU_DEP_1)
	v_lshlrev_b32_e32 v9, v7, v3
	v_dual_lshlrev_b32 v7, 23, v7 :: v_dual_lshrrev_b32 v9, 4, v9
	s_delay_alu instid0(VALU_DEP_1) | instskip(NEXT) | instid1(VALU_DEP_1)
	v_dual_sub_nc_u32 v7, v9, v7 :: v_dual_ashrrev_i32 v9, 8, v10
	v_add_nc_u32_e32 v7, 0x3c000000, v7
	s_delay_alu instid0(VALU_DEP_1) | instskip(NEXT) | instid1(VALU_DEP_1)
	v_and_or_b32 v7, 0x7f800000, v9, v7
	v_cndmask_b32_e32 v3, 0, v7, vcc_lo
	s_delay_alu instid0(VALU_DEP_1)
	v_and_or_b32 v1, 0x80000000, v1, v3
.LBB70_2005:
	s_mov_b32 s19, 0
.LBB70_2006:
	s_delay_alu instid0(SALU_CYCLE_1)
	s_and_not1_b32 vcc_lo, exec_lo, s19
	s_cbranch_vccnz .LBB70_2008
; %bb.2007:
	global_load_u8 v1, v[4:5], off
	s_wait_loadcnt 0x0
	v_lshlrev_b32_e32 v3, 25, v1
	v_lshlrev_b16 v1, 8, v1
	s_delay_alu instid0(VALU_DEP_2) | instskip(NEXT) | instid1(VALU_DEP_2)
	v_cmp_gt_u32_e32 vcc_lo, 0x8000000, v3
	v_and_or_b32 v9, 0x7f00, v1, 0.5
	v_lshrrev_b32_e32 v7, 4, v3
	v_bfe_i32 v1, v1, 0, 16
	s_delay_alu instid0(VALU_DEP_3) | instskip(NEXT) | instid1(VALU_DEP_3)
	v_add_f32_e32 v9, -0.5, v9
	v_or_b32_e32 v7, 0x70000000, v7
	s_delay_alu instid0(VALU_DEP_1) | instskip(NEXT) | instid1(VALU_DEP_1)
	v_mul_f32_e32 v7, 0x7800000, v7
	v_cndmask_b32_e32 v3, v7, v9, vcc_lo
	s_delay_alu instid0(VALU_DEP_1)
	v_and_or_b32 v1, 0x80000000, v1, v3
.LBB70_2008:
	s_mov_b32 s19, 0
	s_mov_b32 s20, -1
.LBB70_2009:
	s_and_not1_b32 vcc_lo, exec_lo, s19
	s_mov_b32 s19, 0
	s_cbranch_vccnz .LBB70_2020
; %bb.2010:
	s_cmp_gt_i32 s15, 14
	s_cbranch_scc0 .LBB70_2013
; %bb.2011:
	s_cmp_eq_u32 s15, 15
	s_cbranch_scc0 .LBB70_2016
; %bb.2012:
	global_load_u16 v1, v[4:5], off
	s_mov_b32 s18, 0
	s_mov_b32 s20, -1
	s_wait_loadcnt 0x0
	v_lshlrev_b32_e32 v1, 16, v1
	s_branch .LBB70_2018
.LBB70_2013:
	s_mov_b32 s19, -1
	s_branch .LBB70_2017
.LBB70_2014:
	s_or_saveexec_b32 s20, s20
	v_mov_b32_e32 v1, 0x7f800001
	s_xor_b32 exec_lo, exec_lo, s20
	s_cbranch_execz .LBB70_1995
.LBB70_2015:
	v_cmp_ne_u16_e32 vcc_lo, 0, v3
	v_mov_b32_e32 v1, 0
	s_and_not1_b32 s19, s19, exec_lo
	s_and_b32 s21, vcc_lo, exec_lo
	s_delay_alu instid0(SALU_CYCLE_1)
	s_or_b32 s19, s19, s21
	s_or_b32 exec_lo, exec_lo, s20
	s_and_saveexec_b32 s20, s19
	s_cbranch_execnz .LBB70_1996
	s_branch .LBB70_1997
.LBB70_2016:
	s_mov_b32 s18, -1
.LBB70_2017:
                                        ; implicit-def: $vgpr1
.LBB70_2018:
	s_and_b32 vcc_lo, exec_lo, s19
	s_mov_b32 s19, 0
	s_cbranch_vccz .LBB70_2020
; %bb.2019:
	s_cmp_lg_u32 s15, 11
	s_mov_b32 s19, -1
	s_cselect_b32 s18, -1, 0
.LBB70_2020:
	s_delay_alu instid0(SALU_CYCLE_1)
	s_and_b32 vcc_lo, exec_lo, s18
	s_cbranch_vccnz .LBB70_2087
; %bb.2021:
	s_and_not1_b32 vcc_lo, exec_lo, s19
	s_cbranch_vccnz .LBB70_2023
.LBB70_2022:
	global_load_u8 v1, v[4:5], off
	s_mov_b32 s20, -1
	s_wait_loadcnt 0x0
	v_cmp_ne_u16_e32 vcc_lo, 0, v1
	v_cndmask_b32_e64 v1, 0, 1.0, vcc_lo
.LBB70_2023:
	s_mov_b32 s15, 0
.LBB70_2024:
	s_delay_alu instid0(SALU_CYCLE_1)
	s_and_b32 vcc_lo, exec_lo, s15
	s_cbranch_vccz .LBB70_2073
; %bb.2025:
	s_and_b32 s15, 0xffff, s1
	s_delay_alu instid0(SALU_CYCLE_1)
	s_cmp_lt_i32 s15, 5
	s_cbranch_scc1 .LBB70_2030
; %bb.2026:
	s_cmp_lt_i32 s15, 8
	s_cbranch_scc1 .LBB70_2031
; %bb.2027:
	;; [unrolled: 3-line block ×3, first 2 shown]
	s_cmp_gt_i32 s15, 9
	s_cbranch_scc0 .LBB70_2033
; %bb.2029:
	global_load_b64 v[10:11], v[4:5], off
	s_mov_b32 s18, 0
	s_wait_loadcnt 0x0
	v_cvt_f32_f64_e32 v1, v[10:11]
	s_branch .LBB70_2034
.LBB70_2030:
	s_mov_b32 s18, -1
                                        ; implicit-def: $vgpr1
	s_branch .LBB70_2052
.LBB70_2031:
	s_mov_b32 s18, -1
                                        ; implicit-def: $vgpr1
	s_branch .LBB70_2040
.LBB70_2032:
	s_mov_b32 s18, -1
                                        ; implicit-def: $vgpr1
	s_branch .LBB70_2037
.LBB70_2033:
	s_mov_b32 s18, -1
                                        ; implicit-def: $vgpr1
.LBB70_2034:
	s_delay_alu instid0(SALU_CYCLE_1)
	s_and_not1_b32 vcc_lo, exec_lo, s18
	s_cbranch_vccnz .LBB70_2036
; %bb.2035:
	global_load_b32 v1, v[4:5], off
.LBB70_2036:
	s_mov_b32 s18, 0
.LBB70_2037:
	s_delay_alu instid0(SALU_CYCLE_1)
	s_and_not1_b32 vcc_lo, exec_lo, s18
	s_cbranch_vccnz .LBB70_2039
; %bb.2038:
	s_wait_loadcnt 0x0
	global_load_b32 v1, v[4:5], off
	s_wait_loadcnt 0x0
	v_cvt_f32_f16_e32 v1, v1
.LBB70_2039:
	s_mov_b32 s18, 0
.LBB70_2040:
	s_delay_alu instid0(SALU_CYCLE_1)
	s_and_not1_b32 vcc_lo, exec_lo, s18
	s_cbranch_vccnz .LBB70_2051
; %bb.2041:
	s_cmp_lt_i32 s15, 6
	s_cbranch_scc1 .LBB70_2044
; %bb.2042:
	s_cmp_gt_i32 s15, 6
	s_cbranch_scc0 .LBB70_2045
; %bb.2043:
	global_load_b64 v[10:11], v[4:5], off
	s_mov_b32 s18, 0
	s_wait_loadcnt 0x0
	v_cvt_f32_f64_e32 v1, v[10:11]
	s_branch .LBB70_2046
.LBB70_2044:
	s_mov_b32 s18, -1
                                        ; implicit-def: $vgpr1
	s_branch .LBB70_2049
.LBB70_2045:
	s_mov_b32 s18, -1
                                        ; implicit-def: $vgpr1
.LBB70_2046:
	s_delay_alu instid0(SALU_CYCLE_1)
	s_and_not1_b32 vcc_lo, exec_lo, s18
	s_cbranch_vccnz .LBB70_2048
; %bb.2047:
	s_wait_loadcnt 0x0
	global_load_b32 v1, v[4:5], off
.LBB70_2048:
	s_mov_b32 s18, 0
.LBB70_2049:
	s_delay_alu instid0(SALU_CYCLE_1)
	s_and_not1_b32 vcc_lo, exec_lo, s18
	s_cbranch_vccnz .LBB70_2051
; %bb.2050:
	s_wait_loadcnt 0x0
	global_load_u16 v1, v[4:5], off
	s_wait_loadcnt 0x0
	v_cvt_f32_f16_e32 v1, v1
.LBB70_2051:
	s_mov_b32 s18, 0
.LBB70_2052:
	s_delay_alu instid0(SALU_CYCLE_1)
	s_and_not1_b32 vcc_lo, exec_lo, s18
	s_cbranch_vccnz .LBB70_2072
; %bb.2053:
	s_cmp_lt_i32 s15, 2
	s_cbranch_scc1 .LBB70_2057
; %bb.2054:
	s_cmp_lt_i32 s15, 3
	s_cbranch_scc1 .LBB70_2058
; %bb.2055:
	s_cmp_gt_i32 s15, 3
	s_cbranch_scc0 .LBB70_2059
; %bb.2056:
	global_load_b64 v[10:11], v[4:5], off
	s_mov_b32 s18, 0
	s_wait_loadcnt 0x0
	v_xor_b32_e32 v1, v10, v11
	v_cls_i32_e32 v3, v11
	s_delay_alu instid0(VALU_DEP_2) | instskip(NEXT) | instid1(VALU_DEP_1)
	v_ashrrev_i32_e32 v1, 31, v1
	v_add_nc_u32_e32 v1, 32, v1
	s_delay_alu instid0(VALU_DEP_1) | instskip(NEXT) | instid1(VALU_DEP_1)
	v_add_min_u32_e64 v1, v3, -1, v1
	v_lshlrev_b64_e32 v[10:11], v1, v[10:11]
	v_sub_nc_u32_e32 v1, 32, v1
	s_delay_alu instid0(VALU_DEP_2) | instskip(NEXT) | instid1(VALU_DEP_1)
	v_min_u32_e32 v3, 1, v10
	v_or_b32_e32 v3, v11, v3
	s_delay_alu instid0(VALU_DEP_1) | instskip(NEXT) | instid1(VALU_DEP_1)
	v_cvt_f32_i32_e32 v3, v3
	v_ldexp_f32 v1, v3, v1
	s_branch .LBB70_2060
.LBB70_2057:
	s_mov_b32 s18, -1
                                        ; implicit-def: $vgpr1
	s_branch .LBB70_2066
.LBB70_2058:
	s_mov_b32 s18, -1
                                        ; implicit-def: $vgpr1
	s_branch .LBB70_2063
.LBB70_2059:
	s_mov_b32 s18, -1
                                        ; implicit-def: $vgpr1
.LBB70_2060:
	s_delay_alu instid0(SALU_CYCLE_1)
	s_and_not1_b32 vcc_lo, exec_lo, s18
	s_cbranch_vccnz .LBB70_2062
; %bb.2061:
	s_wait_loadcnt 0x0
	global_load_b32 v1, v[4:5], off
	s_wait_loadcnt 0x0
	v_cvt_f32_i32_e32 v1, v1
.LBB70_2062:
	s_mov_b32 s18, 0
.LBB70_2063:
	s_delay_alu instid0(SALU_CYCLE_1)
	s_and_not1_b32 vcc_lo, exec_lo, s18
	s_cbranch_vccnz .LBB70_2065
; %bb.2064:
	s_wait_loadcnt 0x0
	global_load_i16 v1, v[4:5], off
	s_wait_loadcnt 0x0
	v_cvt_f32_i32_e32 v1, v1
.LBB70_2065:
	s_mov_b32 s18, 0
.LBB70_2066:
	s_delay_alu instid0(SALU_CYCLE_1)
	s_and_not1_b32 vcc_lo, exec_lo, s18
	s_cbranch_vccnz .LBB70_2072
; %bb.2067:
	s_cmp_gt_i32 s15, 0
	s_mov_b32 s15, 0
	s_cbranch_scc0 .LBB70_2069
; %bb.2068:
	s_wait_loadcnt 0x0
	global_load_i8 v1, v[4:5], off
	s_wait_loadcnt 0x0
	v_cvt_f32_i32_e32 v1, v1
	s_branch .LBB70_2070
.LBB70_2069:
	s_mov_b32 s15, -1
                                        ; implicit-def: $vgpr1
.LBB70_2070:
	s_delay_alu instid0(SALU_CYCLE_1)
	s_and_not1_b32 vcc_lo, exec_lo, s15
	s_cbranch_vccnz .LBB70_2072
; %bb.2071:
	s_wait_loadcnt 0x0
	global_load_u8 v1, v[4:5], off
	s_wait_loadcnt 0x0
	v_cvt_f32_ubyte0_e32 v1, v1
.LBB70_2072:
	s_mov_b32 s20, -1
.LBB70_2073:
	s_delay_alu instid0(SALU_CYCLE_1)
	s_and_not1_b32 vcc_lo, exec_lo, s20
	s_cbranch_vccnz .LBB70_2684
; %bb.2074:
	s_wait_loadcnt 0x0
	s_delay_alu instid0(VALU_DEP_1) | instskip(SKIP_2) | instid1(VALU_DEP_1)
	v_mul_f32_e32 v1, s11, v1
	s_mov_b32 s15, exec_lo
	s_wait_xcnt 0x0
	v_cmpx_nlt_f32_e32 s2, v1
	s_cbranch_execz .LBB70_2076
; %bb.2075:
	v_mul_f32_e32 v3, 0x3fb8aa3b, v1
	v_cmp_ngt_f32_e32 vcc_lo, 0xc2ce8ed0, v1
	s_delay_alu instid0(VALU_DEP_2) | instskip(SKIP_1) | instid1(VALU_DEP_2)
	v_rndne_f32_e32 v4, v3
	v_fma_f32 v5, 0x3fb8aa3b, v1, -v3
	v_sub_f32_e32 v3, v3, v4
	s_delay_alu instid0(VALU_DEP_2) | instskip(SKIP_1) | instid1(VALU_DEP_2)
	v_fmamk_f32 v5, v1, 0x32a5705f, v5
	v_cvt_i32_f32_e32 v4, v4
	v_add_f32_e32 v3, v3, v5
	s_delay_alu instid0(VALU_DEP_1) | instskip(SKIP_1) | instid1(TRANS32_DEP_1)
	v_exp_f32_e32 v3, v3
	v_nop
	v_ldexp_f32 v3, v3, v4
	s_delay_alu instid0(VALU_DEP_1) | instskip(SKIP_1) | instid1(VALU_DEP_2)
	v_cndmask_b32_e32 v3, 0, v3, vcc_lo
	v_cmp_nlt_f32_e32 vcc_lo, 0x42b17218, v1
	v_cndmask_b32_e32 v1, 0x7f800000, v3, vcc_lo
	s_delay_alu instid0(VALU_DEP_1) | instskip(NEXT) | instid1(VALU_DEP_1)
	v_dual_mul_f32 v2, v2, v1 :: v_dual_add_f32 v1, 1.0, v1
	v_div_scale_f32 v3, null, v1, v1, v2
	s_delay_alu instid0(VALU_DEP_1) | instskip(SKIP_1) | instid1(TRANS32_DEP_1)
	v_rcp_f32_e32 v4, v3
	v_nop
	v_fma_f32 v5, -v3, v4, 1.0
	s_delay_alu instid0(VALU_DEP_1) | instskip(SKIP_1) | instid1(VALU_DEP_1)
	v_fmac_f32_e32 v4, v5, v4
	v_div_scale_f32 v5, vcc_lo, v2, v1, v2
	v_mul_f32_e32 v7, v5, v4
	s_delay_alu instid0(VALU_DEP_1) | instskip(NEXT) | instid1(VALU_DEP_1)
	v_fma_f32 v9, -v3, v7, v5
	v_fmac_f32_e32 v7, v9, v4
	s_delay_alu instid0(VALU_DEP_1) | instskip(NEXT) | instid1(VALU_DEP_1)
	v_fma_f32 v3, -v3, v7, v5
	v_div_fmas_f32 v3, v3, v4, v7
	s_delay_alu instid0(VALU_DEP_1)
	v_div_fixup_f32 v2, v3, v1, v2
.LBB70_2076:
	s_or_b32 exec_lo, exec_lo, s15
	v_add_nc_u32_e32 v6, s9, v6
	s_cmp_lt_i32 s0, 11
	s_delay_alu instid0(VALU_DEP_1) | instskip(NEXT) | instid1(VALU_DEP_1)
	v_ashrrev_i32_e32 v7, 31, v6
	v_add_nc_u64_e32 v[10:11], s[6:7], v[6:7]
	s_cbranch_scc1 .LBB70_2083
; %bb.2077:
	s_and_b32 s15, 0xffff, s0
	s_mov_b32 s19, 0
	s_cmp_gt_i32 s15, 25
	s_cbranch_scc0 .LBB70_2084
; %bb.2078:
	s_cmp_gt_i32 s15, 28
	s_cbranch_scc0 .LBB70_2085
; %bb.2079:
	;; [unrolled: 3-line block ×4, first 2 shown]
	s_cmp_eq_u32 s15, 46
	s_mov_b32 s21, 0
	s_cbranch_scc0 .LBB70_2089
; %bb.2082:
	global_load_b32 v1, v[10:11], off
	s_mov_b32 s18, 0
	s_mov_b32 s20, -1
	s_wait_loadcnt 0x0
	v_lshlrev_b32_e32 v4, 16, v1
	s_branch .LBB70_2091
.LBB70_2083:
	s_mov_b32 s15, -1
	s_mov_b32 s20, 0
                                        ; implicit-def: $vgpr4
	s_branch .LBB70_2157
.LBB70_2084:
	s_mov_b32 s21, -1
	s_mov_b32 s20, 0
	s_mov_b32 s18, 0
                                        ; implicit-def: $vgpr4
	s_branch .LBB70_2120
.LBB70_2085:
	s_mov_b32 s21, -1
	s_mov_b32 s20, 0
	s_mov_b32 s18, 0
                                        ; implicit-def: $vgpr4
	s_branch .LBB70_2101
.LBB70_2086:
	s_mov_b32 s21, -1
	s_mov_b32 s20, 0
	s_mov_b32 s18, 0
                                        ; implicit-def: $vgpr4
	s_branch .LBB70_2096
.LBB70_2087:
	s_or_b32 s14, s14, exec_lo
	s_trap 2
	s_cbranch_execz .LBB70_2022
	s_branch .LBB70_2023
.LBB70_2088:
	s_mov_b32 s21, -1
	s_mov_b32 s20, 0
	s_mov_b32 s18, 0
	s_branch .LBB70_2090
.LBB70_2089:
	s_mov_b32 s18, -1
	s_mov_b32 s20, 0
.LBB70_2090:
                                        ; implicit-def: $vgpr4
.LBB70_2091:
	s_and_b32 vcc_lo, exec_lo, s21
	s_cbranch_vccz .LBB70_2095
; %bb.2092:
	s_cmp_eq_u32 s15, 44
	s_cbranch_scc0 .LBB70_2094
; %bb.2093:
	global_load_u8 v1, v[10:11], off
	s_mov_b32 s18, 0
	s_mov_b32 s20, -1
	s_wait_loadcnt 0x0
	v_lshlrev_b32_e32 v3, 23, v1
	v_cmp_ne_u32_e32 vcc_lo, 0xff, v1
	s_delay_alu instid0(VALU_DEP_2) | instskip(SKIP_1) | instid1(VALU_DEP_2)
	v_cndmask_b32_e32 v3, 0x7f800001, v3, vcc_lo
	v_cmp_ne_u32_e32 vcc_lo, 0, v1
	v_cndmask_b32_e32 v4, 0x400000, v3, vcc_lo
	s_branch .LBB70_2095
.LBB70_2094:
	s_mov_b32 s18, -1
                                        ; implicit-def: $vgpr4
.LBB70_2095:
	s_mov_b32 s21, 0
.LBB70_2096:
	s_delay_alu instid0(SALU_CYCLE_1)
	s_and_b32 vcc_lo, exec_lo, s21
	s_cbranch_vccz .LBB70_2100
; %bb.2097:
	s_cmp_eq_u32 s15, 29
	s_cbranch_scc0 .LBB70_2099
; %bb.2098:
	global_load_b64 v[4:5], v[10:11], off
	s_mov_b32 s18, 0
	s_mov_b32 s20, -1
	s_mov_b32 s21, 0
	s_wait_loadcnt 0x0
	v_clz_i32_u32_e32 v1, v5
	s_delay_alu instid0(VALU_DEP_1) | instskip(NEXT) | instid1(VALU_DEP_1)
	v_min_u32_e32 v1, 32, v1
	v_lshlrev_b64_e32 v[4:5], v1, v[4:5]
	v_sub_nc_u32_e32 v1, 32, v1
	s_delay_alu instid0(VALU_DEP_2) | instskip(NEXT) | instid1(VALU_DEP_1)
	v_min_u32_e32 v3, 1, v4
	v_or_b32_e32 v3, v5, v3
	s_delay_alu instid0(VALU_DEP_1) | instskip(NEXT) | instid1(VALU_DEP_1)
	v_cvt_f32_u32_e32 v3, v3
	v_ldexp_f32 v4, v3, v1
	s_branch .LBB70_2101
.LBB70_2099:
	s_mov_b32 s18, -1
                                        ; implicit-def: $vgpr4
.LBB70_2100:
	s_mov_b32 s21, 0
.LBB70_2101:
	s_delay_alu instid0(SALU_CYCLE_1)
	s_and_b32 vcc_lo, exec_lo, s21
	s_cbranch_vccz .LBB70_2119
; %bb.2102:
	s_cmp_lt_i32 s15, 27
	s_cbranch_scc1 .LBB70_2105
; %bb.2103:
	s_cmp_gt_i32 s15, 27
	s_cbranch_scc0 .LBB70_2106
; %bb.2104:
	global_load_b32 v1, v[10:11], off
	s_mov_b32 s20, 0
	s_wait_loadcnt 0x0
	v_cvt_f32_u32_e32 v4, v1
	s_branch .LBB70_2107
.LBB70_2105:
	s_mov_b32 s20, -1
                                        ; implicit-def: $vgpr4
	s_branch .LBB70_2110
.LBB70_2106:
	s_mov_b32 s20, -1
                                        ; implicit-def: $vgpr4
.LBB70_2107:
	s_delay_alu instid0(SALU_CYCLE_1)
	s_and_not1_b32 vcc_lo, exec_lo, s20
	s_cbranch_vccnz .LBB70_2109
; %bb.2108:
	global_load_u16 v1, v[10:11], off
	s_wait_loadcnt 0x0
	v_cvt_f32_u32_e32 v4, v1
.LBB70_2109:
	s_mov_b32 s20, 0
.LBB70_2110:
	s_delay_alu instid0(SALU_CYCLE_1)
	s_and_not1_b32 vcc_lo, exec_lo, s20
	s_cbranch_vccnz .LBB70_2118
; %bb.2111:
	global_load_u8 v1, v[10:11], off
	s_mov_b32 s20, 0
	s_mov_b32 s21, exec_lo
	s_wait_loadcnt 0x0
	v_cmpx_lt_i16_e32 0x7f, v1
	s_xor_b32 s21, exec_lo, s21
	s_cbranch_execz .LBB70_2132
; %bb.2112:
	s_mov_b32 s20, -1
	s_mov_b32 s22, exec_lo
	v_cmpx_eq_u16_e32 0x80, v1
; %bb.2113:
	s_xor_b32 s20, exec_lo, -1
; %bb.2114:
	s_or_b32 exec_lo, exec_lo, s22
	s_delay_alu instid0(SALU_CYCLE_1)
	s_and_b32 s20, s20, exec_lo
	s_or_saveexec_b32 s21, s21
	v_mov_b32_e32 v4, 0x7f800001
	s_xor_b32 exec_lo, exec_lo, s21
	s_cbranch_execnz .LBB70_2133
.LBB70_2115:
	s_or_b32 exec_lo, exec_lo, s21
	s_and_saveexec_b32 s21, s20
	s_cbranch_execz .LBB70_2117
.LBB70_2116:
	v_and_b32_e32 v3, 0xffff, v1
	s_delay_alu instid0(VALU_DEP_1) | instskip(SKIP_1) | instid1(VALU_DEP_2)
	v_and_b32_e32 v4, 7, v3
	v_bfe_u32 v9, v3, 3, 4
	v_clz_i32_u32_e32 v5, v4
	s_delay_alu instid0(VALU_DEP_2) | instskip(NEXT) | instid1(VALU_DEP_2)
	v_cmp_eq_u32_e32 vcc_lo, 0, v9
	v_min_u32_e32 v5, 32, v5
	s_delay_alu instid0(VALU_DEP_1) | instskip(NEXT) | instid1(VALU_DEP_1)
	v_subrev_nc_u32_e32 v7, 28, v5
	v_dual_lshlrev_b32 v3, v7, v3 :: v_dual_sub_nc_u32 v5, 29, v5
	s_delay_alu instid0(VALU_DEP_1) | instskip(NEXT) | instid1(VALU_DEP_1)
	v_dual_lshlrev_b32 v1, 24, v1 :: v_dual_bitop2_b32 v3, 7, v3 bitop3:0x40
	v_dual_cndmask_b32 v3, v4, v3, vcc_lo :: v_dual_cndmask_b32 v5, v9, v5, vcc_lo
	s_delay_alu instid0(VALU_DEP_2) | instskip(NEXT) | instid1(VALU_DEP_2)
	v_and_b32_e32 v1, 0x80000000, v1
	v_lshlrev_b32_e32 v3, 20, v3
	s_delay_alu instid0(VALU_DEP_3) | instskip(NEXT) | instid1(VALU_DEP_1)
	v_lshl_add_u32 v4, v5, 23, 0x3b800000
	v_or3_b32 v4, v1, v4, v3
.LBB70_2117:
	s_or_b32 exec_lo, exec_lo, s21
.LBB70_2118:
	s_mov_b32 s20, -1
.LBB70_2119:
	s_mov_b32 s21, 0
.LBB70_2120:
	s_delay_alu instid0(SALU_CYCLE_1)
	s_and_b32 vcc_lo, exec_lo, s21
	s_cbranch_vccz .LBB70_2153
; %bb.2121:
	s_cmp_gt_i32 s15, 22
	s_cbranch_scc0 .LBB70_2131
; %bb.2122:
	s_cmp_lt_i32 s15, 24
	s_cbranch_scc1 .LBB70_2134
; %bb.2123:
	s_cmp_gt_i32 s15, 24
	s_cbranch_scc0 .LBB70_2135
; %bb.2124:
	global_load_u8 v1, v[10:11], off
	s_mov_b32 s20, exec_lo
	s_wait_loadcnt 0x0
	v_cmpx_lt_i16_e32 0x7f, v1
	s_xor_b32 s20, exec_lo, s20
	s_cbranch_execz .LBB70_2147
; %bb.2125:
	s_mov_b32 s19, -1
	s_mov_b32 s21, exec_lo
	v_cmpx_eq_u16_e32 0x80, v1
; %bb.2126:
	s_xor_b32 s19, exec_lo, -1
; %bb.2127:
	s_or_b32 exec_lo, exec_lo, s21
	s_delay_alu instid0(SALU_CYCLE_1)
	s_and_b32 s19, s19, exec_lo
	s_or_saveexec_b32 s20, s20
	v_mov_b32_e32 v4, 0x7f800001
	s_xor_b32 exec_lo, exec_lo, s20
	s_cbranch_execnz .LBB70_2148
.LBB70_2128:
	s_or_b32 exec_lo, exec_lo, s20
	s_and_saveexec_b32 s20, s19
	s_cbranch_execz .LBB70_2130
.LBB70_2129:
	v_and_b32_e32 v3, 0xffff, v1
	s_delay_alu instid0(VALU_DEP_1) | instskip(SKIP_1) | instid1(VALU_DEP_2)
	v_and_b32_e32 v4, 3, v3
	v_bfe_u32 v9, v3, 2, 5
	v_clz_i32_u32_e32 v5, v4
	s_delay_alu instid0(VALU_DEP_2) | instskip(NEXT) | instid1(VALU_DEP_2)
	v_cmp_eq_u32_e32 vcc_lo, 0, v9
	v_min_u32_e32 v5, 32, v5
	s_delay_alu instid0(VALU_DEP_1) | instskip(NEXT) | instid1(VALU_DEP_1)
	v_subrev_nc_u32_e32 v7, 29, v5
	v_dual_lshlrev_b32 v3, v7, v3 :: v_dual_sub_nc_u32 v5, 30, v5
	s_delay_alu instid0(VALU_DEP_1) | instskip(NEXT) | instid1(VALU_DEP_1)
	v_dual_lshlrev_b32 v1, 24, v1 :: v_dual_bitop2_b32 v3, 3, v3 bitop3:0x40
	v_dual_cndmask_b32 v3, v4, v3, vcc_lo :: v_dual_cndmask_b32 v5, v9, v5, vcc_lo
	s_delay_alu instid0(VALU_DEP_2) | instskip(NEXT) | instid1(VALU_DEP_2)
	v_and_b32_e32 v1, 0x80000000, v1
	v_lshlrev_b32_e32 v3, 21, v3
	s_delay_alu instid0(VALU_DEP_3) | instskip(NEXT) | instid1(VALU_DEP_1)
	v_lshl_add_u32 v4, v5, 23, 0x37800000
	v_or3_b32 v4, v1, v4, v3
.LBB70_2130:
	s_or_b32 exec_lo, exec_lo, s20
	s_mov_b32 s19, 0
	s_branch .LBB70_2136
.LBB70_2131:
	s_mov_b32 s19, -1
                                        ; implicit-def: $vgpr4
	s_branch .LBB70_2142
.LBB70_2132:
	s_or_saveexec_b32 s21, s21
	v_mov_b32_e32 v4, 0x7f800001
	s_xor_b32 exec_lo, exec_lo, s21
	s_cbranch_execz .LBB70_2115
.LBB70_2133:
	v_cmp_ne_u16_e32 vcc_lo, 0, v1
	v_mov_b32_e32 v4, 0
	s_and_not1_b32 s20, s20, exec_lo
	s_and_b32 s22, vcc_lo, exec_lo
	s_delay_alu instid0(SALU_CYCLE_1)
	s_or_b32 s20, s20, s22
	s_or_b32 exec_lo, exec_lo, s21
	s_and_saveexec_b32 s21, s20
	s_cbranch_execnz .LBB70_2116
	s_branch .LBB70_2117
.LBB70_2134:
	s_mov_b32 s19, -1
                                        ; implicit-def: $vgpr4
	s_branch .LBB70_2139
.LBB70_2135:
	s_mov_b32 s19, -1
                                        ; implicit-def: $vgpr4
.LBB70_2136:
	s_delay_alu instid0(SALU_CYCLE_1)
	s_and_b32 vcc_lo, exec_lo, s19
	s_cbranch_vccz .LBB70_2138
; %bb.2137:
	global_load_u8 v1, v[10:11], off
	s_wait_loadcnt 0x0
	v_lshlrev_b32_e32 v1, 24, v1
	s_delay_alu instid0(VALU_DEP_1) | instskip(NEXT) | instid1(VALU_DEP_1)
	v_and_b32_e32 v3, 0x7f000000, v1
	v_clz_i32_u32_e32 v4, v3
	v_add_nc_u32_e32 v7, 0x1000000, v3
	v_cmp_ne_u32_e32 vcc_lo, 0, v3
	s_delay_alu instid0(VALU_DEP_3) | instskip(NEXT) | instid1(VALU_DEP_1)
	v_min_u32_e32 v4, 32, v4
	v_sub_nc_u32_e64 v4, v4, 4 clamp
	s_delay_alu instid0(VALU_DEP_1) | instskip(NEXT) | instid1(VALU_DEP_1)
	v_dual_lshlrev_b32 v5, v4, v3 :: v_dual_lshlrev_b32 v4, 23, v4
	v_lshrrev_b32_e32 v5, 4, v5
	s_delay_alu instid0(VALU_DEP_1) | instskip(NEXT) | instid1(VALU_DEP_1)
	v_dual_sub_nc_u32 v4, v5, v4 :: v_dual_ashrrev_i32 v5, 8, v7
	v_add_nc_u32_e32 v4, 0x3c000000, v4
	s_delay_alu instid0(VALU_DEP_1) | instskip(NEXT) | instid1(VALU_DEP_1)
	v_and_or_b32 v4, 0x7f800000, v5, v4
	v_cndmask_b32_e32 v3, 0, v4, vcc_lo
	s_delay_alu instid0(VALU_DEP_1)
	v_and_or_b32 v4, 0x80000000, v1, v3
.LBB70_2138:
	s_mov_b32 s19, 0
.LBB70_2139:
	s_delay_alu instid0(SALU_CYCLE_1)
	s_and_not1_b32 vcc_lo, exec_lo, s19
	s_cbranch_vccnz .LBB70_2141
; %bb.2140:
	global_load_u8 v1, v[10:11], off
	s_wait_loadcnt 0x0
	v_lshlrev_b32_e32 v3, 25, v1
	v_lshlrev_b16 v1, 8, v1
	s_delay_alu instid0(VALU_DEP_1) | instskip(NEXT) | instid1(VALU_DEP_3)
	v_and_or_b32 v5, 0x7f00, v1, 0.5
	v_lshrrev_b32_e32 v4, 4, v3
	v_bfe_i32 v1, v1, 0, 16
	s_delay_alu instid0(VALU_DEP_3) | instskip(NEXT) | instid1(VALU_DEP_3)
	v_add_f32_e32 v5, -0.5, v5
	v_or_b32_e32 v4, 0x70000000, v4
	s_delay_alu instid0(VALU_DEP_1) | instskip(SKIP_1) | instid1(VALU_DEP_2)
	v_mul_f32_e32 v4, 0x7800000, v4
	v_cmp_gt_u32_e32 vcc_lo, 0x8000000, v3
	v_cndmask_b32_e32 v3, v4, v5, vcc_lo
	s_delay_alu instid0(VALU_DEP_1)
	v_and_or_b32 v4, 0x80000000, v1, v3
.LBB70_2141:
	s_mov_b32 s19, 0
	s_mov_b32 s20, -1
.LBB70_2142:
	s_and_not1_b32 vcc_lo, exec_lo, s19
	s_mov_b32 s19, 0
	s_cbranch_vccnz .LBB70_2153
; %bb.2143:
	s_cmp_gt_i32 s15, 14
	s_cbranch_scc0 .LBB70_2146
; %bb.2144:
	s_cmp_eq_u32 s15, 15
	s_cbranch_scc0 .LBB70_2149
; %bb.2145:
	global_load_u16 v1, v[10:11], off
	s_mov_b32 s18, 0
	s_mov_b32 s20, -1
	s_wait_loadcnt 0x0
	v_lshlrev_b32_e32 v4, 16, v1
	s_branch .LBB70_2151
.LBB70_2146:
	s_mov_b32 s19, -1
	s_branch .LBB70_2150
.LBB70_2147:
	s_or_saveexec_b32 s20, s20
	v_mov_b32_e32 v4, 0x7f800001
	s_xor_b32 exec_lo, exec_lo, s20
	s_cbranch_execz .LBB70_2128
.LBB70_2148:
	v_cmp_ne_u16_e32 vcc_lo, 0, v1
	v_mov_b32_e32 v4, 0
	s_and_not1_b32 s19, s19, exec_lo
	s_and_b32 s21, vcc_lo, exec_lo
	s_delay_alu instid0(SALU_CYCLE_1)
	s_or_b32 s19, s19, s21
	s_or_b32 exec_lo, exec_lo, s20
	s_and_saveexec_b32 s20, s19
	s_cbranch_execnz .LBB70_2129
	s_branch .LBB70_2130
.LBB70_2149:
	s_mov_b32 s18, -1
.LBB70_2150:
                                        ; implicit-def: $vgpr4
.LBB70_2151:
	s_and_b32 vcc_lo, exec_lo, s19
	s_mov_b32 s19, 0
	s_cbranch_vccz .LBB70_2153
; %bb.2152:
	s_cmp_lg_u32 s15, 11
	s_mov_b32 s19, -1
	s_cselect_b32 s18, -1, 0
.LBB70_2153:
	s_delay_alu instid0(SALU_CYCLE_1)
	s_and_b32 vcc_lo, exec_lo, s18
	s_cbranch_vccnz .LBB70_2218
; %bb.2154:
	s_and_not1_b32 vcc_lo, exec_lo, s19
	s_cbranch_vccnz .LBB70_2156
.LBB70_2155:
	global_load_u8 v1, v[10:11], off
	s_mov_b32 s20, -1
	s_wait_loadcnt 0x0
	v_cmp_ne_u16_e32 vcc_lo, 0, v1
	v_cndmask_b32_e64 v4, 0, 1.0, vcc_lo
.LBB70_2156:
	s_mov_b32 s15, 0
.LBB70_2157:
	s_delay_alu instid0(SALU_CYCLE_1)
	s_and_b32 vcc_lo, exec_lo, s15
	s_cbranch_vccz .LBB70_2206
; %bb.2158:
	s_and_b32 s15, 0xffff, s0
	s_delay_alu instid0(SALU_CYCLE_1)
	s_cmp_lt_i32 s15, 5
	s_cbranch_scc1 .LBB70_2163
; %bb.2159:
	s_cmp_lt_i32 s15, 8
	s_cbranch_scc1 .LBB70_2164
; %bb.2160:
	;; [unrolled: 3-line block ×3, first 2 shown]
	s_cmp_gt_i32 s15, 9
	s_cbranch_scc0 .LBB70_2166
; %bb.2162:
	global_load_b64 v[4:5], v[10:11], off
	s_mov_b32 s18, 0
	s_wait_loadcnt 0x0
	v_cvt_f32_f64_e32 v4, v[4:5]
	s_branch .LBB70_2167
.LBB70_2163:
	s_mov_b32 s18, -1
                                        ; implicit-def: $vgpr4
	s_branch .LBB70_2185
.LBB70_2164:
	s_mov_b32 s18, -1
                                        ; implicit-def: $vgpr4
	s_branch .LBB70_2173
.LBB70_2165:
	s_mov_b32 s18, -1
                                        ; implicit-def: $vgpr4
	s_branch .LBB70_2170
.LBB70_2166:
	s_mov_b32 s18, -1
                                        ; implicit-def: $vgpr4
.LBB70_2167:
	s_delay_alu instid0(SALU_CYCLE_1)
	s_and_not1_b32 vcc_lo, exec_lo, s18
	s_cbranch_vccnz .LBB70_2169
; %bb.2168:
	global_load_b32 v4, v[10:11], off
.LBB70_2169:
	s_mov_b32 s18, 0
.LBB70_2170:
	s_delay_alu instid0(SALU_CYCLE_1)
	s_and_not1_b32 vcc_lo, exec_lo, s18
	s_cbranch_vccnz .LBB70_2172
; %bb.2171:
	global_load_b32 v1, v[10:11], off
	s_wait_loadcnt 0x0
	v_cvt_f32_f16_e32 v4, v1
.LBB70_2172:
	s_mov_b32 s18, 0
.LBB70_2173:
	s_delay_alu instid0(SALU_CYCLE_1)
	s_and_not1_b32 vcc_lo, exec_lo, s18
	s_cbranch_vccnz .LBB70_2184
; %bb.2174:
	s_cmp_lt_i32 s15, 6
	s_cbranch_scc1 .LBB70_2177
; %bb.2175:
	s_cmp_gt_i32 s15, 6
	s_cbranch_scc0 .LBB70_2178
; %bb.2176:
	s_wait_loadcnt 0x0
	global_load_b64 v[4:5], v[10:11], off
	s_mov_b32 s18, 0
	s_wait_loadcnt 0x0
	v_cvt_f32_f64_e32 v4, v[4:5]
	s_branch .LBB70_2179
.LBB70_2177:
	s_mov_b32 s18, -1
                                        ; implicit-def: $vgpr4
	s_branch .LBB70_2182
.LBB70_2178:
	s_mov_b32 s18, -1
                                        ; implicit-def: $vgpr4
.LBB70_2179:
	s_delay_alu instid0(SALU_CYCLE_1)
	s_and_not1_b32 vcc_lo, exec_lo, s18
	s_cbranch_vccnz .LBB70_2181
; %bb.2180:
	s_wait_loadcnt 0x0
	global_load_b32 v4, v[10:11], off
.LBB70_2181:
	s_mov_b32 s18, 0
.LBB70_2182:
	s_delay_alu instid0(SALU_CYCLE_1)
	s_and_not1_b32 vcc_lo, exec_lo, s18
	s_cbranch_vccnz .LBB70_2184
; %bb.2183:
	global_load_u16 v1, v[10:11], off
	s_wait_loadcnt 0x0
	v_cvt_f32_f16_e32 v4, v1
.LBB70_2184:
	s_mov_b32 s18, 0
.LBB70_2185:
	s_delay_alu instid0(SALU_CYCLE_1)
	s_and_not1_b32 vcc_lo, exec_lo, s18
	s_cbranch_vccnz .LBB70_2205
; %bb.2186:
	s_cmp_lt_i32 s15, 2
	s_cbranch_scc1 .LBB70_2190
; %bb.2187:
	s_cmp_lt_i32 s15, 3
	s_cbranch_scc1 .LBB70_2191
; %bb.2188:
	s_cmp_gt_i32 s15, 3
	s_cbranch_scc0 .LBB70_2192
; %bb.2189:
	s_wait_loadcnt 0x0
	global_load_b64 v[4:5], v[10:11], off
	s_mov_b32 s18, 0
	s_wait_loadcnt 0x0
	v_xor_b32_e32 v1, v4, v5
	v_cls_i32_e32 v3, v5
	s_delay_alu instid0(VALU_DEP_2) | instskip(NEXT) | instid1(VALU_DEP_1)
	v_ashrrev_i32_e32 v1, 31, v1
	v_add_nc_u32_e32 v1, 32, v1
	s_delay_alu instid0(VALU_DEP_1) | instskip(NEXT) | instid1(VALU_DEP_1)
	v_add_min_u32_e64 v1, v3, -1, v1
	v_lshlrev_b64_e32 v[4:5], v1, v[4:5]
	v_sub_nc_u32_e32 v1, 32, v1
	s_delay_alu instid0(VALU_DEP_2) | instskip(NEXT) | instid1(VALU_DEP_1)
	v_min_u32_e32 v3, 1, v4
	v_or_b32_e32 v3, v5, v3
	s_delay_alu instid0(VALU_DEP_1) | instskip(NEXT) | instid1(VALU_DEP_1)
	v_cvt_f32_i32_e32 v3, v3
	v_ldexp_f32 v4, v3, v1
	s_branch .LBB70_2193
.LBB70_2190:
	s_mov_b32 s18, -1
                                        ; implicit-def: $vgpr4
	s_branch .LBB70_2199
.LBB70_2191:
	s_mov_b32 s18, -1
                                        ; implicit-def: $vgpr4
	s_branch .LBB70_2196
.LBB70_2192:
	s_mov_b32 s18, -1
                                        ; implicit-def: $vgpr4
.LBB70_2193:
	s_delay_alu instid0(SALU_CYCLE_1)
	s_and_not1_b32 vcc_lo, exec_lo, s18
	s_cbranch_vccnz .LBB70_2195
; %bb.2194:
	global_load_b32 v1, v[10:11], off
	s_wait_loadcnt 0x0
	v_cvt_f32_i32_e32 v4, v1
.LBB70_2195:
	s_mov_b32 s18, 0
.LBB70_2196:
	s_delay_alu instid0(SALU_CYCLE_1)
	s_and_not1_b32 vcc_lo, exec_lo, s18
	s_cbranch_vccnz .LBB70_2198
; %bb.2197:
	global_load_i16 v1, v[10:11], off
	s_wait_loadcnt 0x0
	v_cvt_f32_i32_e32 v4, v1
.LBB70_2198:
	s_mov_b32 s18, 0
.LBB70_2199:
	s_delay_alu instid0(SALU_CYCLE_1)
	s_and_not1_b32 vcc_lo, exec_lo, s18
	s_cbranch_vccnz .LBB70_2205
; %bb.2200:
	s_cmp_gt_i32 s15, 0
	s_mov_b32 s15, 0
	s_cbranch_scc0 .LBB70_2202
; %bb.2201:
	global_load_i8 v1, v[10:11], off
	s_wait_loadcnt 0x0
	v_cvt_f32_i32_e32 v4, v1
	s_branch .LBB70_2203
.LBB70_2202:
	s_mov_b32 s15, -1
                                        ; implicit-def: $vgpr4
.LBB70_2203:
	s_delay_alu instid0(SALU_CYCLE_1)
	s_and_not1_b32 vcc_lo, exec_lo, s15
	s_cbranch_vccnz .LBB70_2205
; %bb.2204:
	global_load_u8 v1, v[10:11], off
	s_wait_loadcnt 0x0
	v_cvt_f32_ubyte0_e32 v4, v1
.LBB70_2205:
	s_mov_b32 s20, -1
.LBB70_2206:
	s_delay_alu instid0(SALU_CYCLE_1)
	s_and_not1_b32 vcc_lo, exec_lo, s20
	s_cbranch_vccnz .LBB70_2684
; %bb.2207:
	v_add_nc_u32_e32 v8, s10, v8
	s_cmp_lt_i32 s1, 11
	s_delay_alu instid0(VALU_DEP_1) | instskip(SKIP_1) | instid1(VALU_DEP_1)
	v_ashrrev_i32_e32 v9, 31, v8
	s_wait_xcnt 0x0
	v_add_nc_u64_e32 v[10:11], s[12:13], v[8:9]
	s_cbranch_scc1 .LBB70_2214
; %bb.2208:
	s_and_b32 s15, 0xffff, s1
	s_mov_b32 s19, 0
	s_cmp_gt_i32 s15, 25
	s_cbranch_scc0 .LBB70_2215
; %bb.2209:
	s_cmp_gt_i32 s15, 28
	s_cbranch_scc0 .LBB70_2216
; %bb.2210:
	;; [unrolled: 3-line block ×4, first 2 shown]
	s_cmp_eq_u32 s15, 46
	s_mov_b32 s21, 0
	s_cbranch_scc0 .LBB70_2222
; %bb.2213:
	global_load_b32 v1, v[10:11], off
	s_mov_b32 s18, 0
	s_mov_b32 s20, -1
	s_wait_loadcnt 0x0
	v_lshlrev_b32_e32 v1, 16, v1
	s_branch .LBB70_2224
.LBB70_2214:
	s_mov_b32 s15, -1
	s_mov_b32 s20, 0
                                        ; implicit-def: $vgpr1
	s_branch .LBB70_2290
.LBB70_2215:
	s_mov_b32 s21, -1
	s_mov_b32 s20, 0
	s_mov_b32 s18, 0
                                        ; implicit-def: $vgpr1
	s_branch .LBB70_2253
.LBB70_2216:
	s_mov_b32 s21, -1
	s_mov_b32 s20, 0
	s_mov_b32 s18, 0
                                        ; implicit-def: $vgpr1
	s_branch .LBB70_2234
.LBB70_2217:
	s_mov_b32 s21, -1
	s_mov_b32 s20, 0
	s_mov_b32 s18, 0
                                        ; implicit-def: $vgpr1
	s_branch .LBB70_2229
.LBB70_2218:
	s_or_b32 s14, s14, exec_lo
	s_trap 2
	s_cbranch_execz .LBB70_2155
	s_branch .LBB70_2156
.LBB70_2219:
	s_mov_b32 s21, -1
	s_mov_b32 s20, 0
	s_mov_b32 s18, 0
	s_branch .LBB70_2223
.LBB70_2220:
	s_and_not1_saveexec_b32 s34, s34
	s_cbranch_execz .LBB70_1093
.LBB70_2221:
	v_add_f32_e64 v1, 0x42800000, |v0|
	s_and_not1_b32 s33, s33, exec_lo
	s_delay_alu instid0(VALU_DEP_1) | instskip(NEXT) | instid1(VALU_DEP_1)
	v_and_b32_e32 v1, 0xff, v1
	v_cmp_ne_u32_e32 vcc_lo, 0, v1
	s_and_b32 s35, vcc_lo, exec_lo
	s_delay_alu instid0(SALU_CYCLE_1)
	s_or_b32 s33, s33, s35
	s_or_b32 exec_lo, exec_lo, s34
	v_mov_b32_e32 v4, 0
	s_and_saveexec_b32 s34, s33
	s_cbranch_execnz .LBB70_1094
	s_branch .LBB70_1095
.LBB70_2222:
	s_mov_b32 s18, -1
	s_mov_b32 s20, 0
.LBB70_2223:
                                        ; implicit-def: $vgpr1
.LBB70_2224:
	s_and_b32 vcc_lo, exec_lo, s21
	s_cbranch_vccz .LBB70_2228
; %bb.2225:
	s_cmp_eq_u32 s15, 44
	s_cbranch_scc0 .LBB70_2227
; %bb.2226:
	global_load_u8 v1, v[10:11], off
	s_mov_b32 s18, 0
	s_mov_b32 s20, -1
	s_wait_loadcnt 0x0
	v_lshlrev_b32_e32 v3, 23, v1
	v_cmp_ne_u32_e32 vcc_lo, 0xff, v1
	s_delay_alu instid0(VALU_DEP_2) | instskip(SKIP_1) | instid1(VALU_DEP_2)
	v_cndmask_b32_e32 v3, 0x7f800001, v3, vcc_lo
	v_cmp_ne_u32_e32 vcc_lo, 0, v1
	v_cndmask_b32_e32 v1, 0x400000, v3, vcc_lo
	s_branch .LBB70_2228
.LBB70_2227:
	s_mov_b32 s18, -1
                                        ; implicit-def: $vgpr1
.LBB70_2228:
	s_mov_b32 s21, 0
.LBB70_2229:
	s_delay_alu instid0(SALU_CYCLE_1)
	s_and_b32 vcc_lo, exec_lo, s21
	s_cbranch_vccz .LBB70_2233
; %bb.2230:
	s_cmp_eq_u32 s15, 29
	s_cbranch_scc0 .LBB70_2232
; %bb.2231:
	global_load_b64 v[14:15], v[10:11], off
	s_mov_b32 s18, 0
	s_mov_b32 s20, -1
	s_mov_b32 s21, 0
	s_wait_loadcnt 0x0
	v_clz_i32_u32_e32 v1, v15
	s_delay_alu instid0(VALU_DEP_1) | instskip(NEXT) | instid1(VALU_DEP_1)
	v_min_u32_e32 v1, 32, v1
	v_lshlrev_b64_e32 v[14:15], v1, v[14:15]
	v_sub_nc_u32_e32 v1, 32, v1
	s_delay_alu instid0(VALU_DEP_2) | instskip(NEXT) | instid1(VALU_DEP_1)
	v_min_u32_e32 v3, 1, v14
	v_or_b32_e32 v3, v15, v3
	s_delay_alu instid0(VALU_DEP_1) | instskip(NEXT) | instid1(VALU_DEP_1)
	v_cvt_f32_u32_e32 v3, v3
	v_ldexp_f32 v1, v3, v1
	s_branch .LBB70_2234
.LBB70_2232:
	s_mov_b32 s18, -1
                                        ; implicit-def: $vgpr1
.LBB70_2233:
	s_mov_b32 s21, 0
.LBB70_2234:
	s_delay_alu instid0(SALU_CYCLE_1)
	s_and_b32 vcc_lo, exec_lo, s21
	s_cbranch_vccz .LBB70_2252
; %bb.2235:
	s_cmp_lt_i32 s15, 27
	s_cbranch_scc1 .LBB70_2238
; %bb.2236:
	s_cmp_gt_i32 s15, 27
	s_cbranch_scc0 .LBB70_2239
; %bb.2237:
	global_load_b32 v1, v[10:11], off
	s_mov_b32 s20, 0
	s_wait_loadcnt 0x0
	v_cvt_f32_u32_e32 v1, v1
	s_branch .LBB70_2240
.LBB70_2238:
	s_mov_b32 s20, -1
                                        ; implicit-def: $vgpr1
	s_branch .LBB70_2243
.LBB70_2239:
	s_mov_b32 s20, -1
                                        ; implicit-def: $vgpr1
.LBB70_2240:
	s_delay_alu instid0(SALU_CYCLE_1)
	s_and_not1_b32 vcc_lo, exec_lo, s20
	s_cbranch_vccnz .LBB70_2242
; %bb.2241:
	global_load_u16 v1, v[10:11], off
	s_wait_loadcnt 0x0
	v_cvt_f32_u32_e32 v1, v1
.LBB70_2242:
	s_mov_b32 s20, 0
.LBB70_2243:
	s_delay_alu instid0(SALU_CYCLE_1)
	s_and_not1_b32 vcc_lo, exec_lo, s20
	s_cbranch_vccnz .LBB70_2251
; %bb.2244:
	global_load_u8 v3, v[10:11], off
	s_mov_b32 s20, 0
	s_mov_b32 s21, exec_lo
	s_wait_loadcnt 0x0
	v_cmpx_lt_i16_e32 0x7f, v3
	s_xor_b32 s21, exec_lo, s21
	s_cbranch_execz .LBB70_2265
; %bb.2245:
	s_mov_b32 s20, -1
	s_mov_b32 s22, exec_lo
	v_cmpx_eq_u16_e32 0x80, v3
; %bb.2246:
	s_xor_b32 s20, exec_lo, -1
; %bb.2247:
	s_or_b32 exec_lo, exec_lo, s22
	s_delay_alu instid0(SALU_CYCLE_1)
	s_and_b32 s20, s20, exec_lo
	s_or_saveexec_b32 s21, s21
	v_mov_b32_e32 v1, 0x7f800001
	s_xor_b32 exec_lo, exec_lo, s21
	s_cbranch_execnz .LBB70_2266
.LBB70_2248:
	s_or_b32 exec_lo, exec_lo, s21
	s_and_saveexec_b32 s21, s20
	s_cbranch_execz .LBB70_2250
.LBB70_2249:
	v_and_b32_e32 v1, 0xffff, v3
	s_delay_alu instid0(VALU_DEP_1) | instskip(SKIP_1) | instid1(VALU_DEP_2)
	v_and_b32_e32 v5, 7, v1
	v_bfe_u32 v13, v1, 3, 4
	v_clz_i32_u32_e32 v7, v5
	s_delay_alu instid0(VALU_DEP_2) | instskip(NEXT) | instid1(VALU_DEP_2)
	v_cmp_eq_u32_e32 vcc_lo, 0, v13
	v_min_u32_e32 v7, 32, v7
	s_delay_alu instid0(VALU_DEP_1) | instskip(NEXT) | instid1(VALU_DEP_1)
	v_subrev_nc_u32_e32 v9, 28, v7
	v_dual_lshlrev_b32 v1, v9, v1 :: v_dual_sub_nc_u32 v7, 29, v7
	s_delay_alu instid0(VALU_DEP_1) | instskip(NEXT) | instid1(VALU_DEP_1)
	v_dual_lshlrev_b32 v3, 24, v3 :: v_dual_bitop2_b32 v1, 7, v1 bitop3:0x40
	v_cndmask_b32_e32 v1, v5, v1, vcc_lo
	s_delay_alu instid0(VALU_DEP_3) | instskip(NEXT) | instid1(VALU_DEP_3)
	v_cndmask_b32_e32 v7, v13, v7, vcc_lo
	v_and_b32_e32 v3, 0x80000000, v3
	s_delay_alu instid0(VALU_DEP_3) | instskip(NEXT) | instid1(VALU_DEP_3)
	v_lshlrev_b32_e32 v1, 20, v1
	v_lshl_add_u32 v5, v7, 23, 0x3b800000
	s_delay_alu instid0(VALU_DEP_1)
	v_or3_b32 v1, v3, v5, v1
.LBB70_2250:
	s_or_b32 exec_lo, exec_lo, s21
.LBB70_2251:
	s_mov_b32 s20, -1
.LBB70_2252:
	s_mov_b32 s21, 0
.LBB70_2253:
	s_delay_alu instid0(SALU_CYCLE_1)
	s_and_b32 vcc_lo, exec_lo, s21
	s_cbranch_vccz .LBB70_2286
; %bb.2254:
	s_cmp_gt_i32 s15, 22
	s_cbranch_scc0 .LBB70_2264
; %bb.2255:
	s_cmp_lt_i32 s15, 24
	s_cbranch_scc1 .LBB70_2267
; %bb.2256:
	s_cmp_gt_i32 s15, 24
	s_cbranch_scc0 .LBB70_2268
; %bb.2257:
	global_load_u8 v3, v[10:11], off
	s_mov_b32 s20, exec_lo
	s_wait_loadcnt 0x0
	v_cmpx_lt_i16_e32 0x7f, v3
	s_xor_b32 s20, exec_lo, s20
	s_cbranch_execz .LBB70_2280
; %bb.2258:
	s_mov_b32 s19, -1
	s_mov_b32 s21, exec_lo
	v_cmpx_eq_u16_e32 0x80, v3
; %bb.2259:
	s_xor_b32 s19, exec_lo, -1
; %bb.2260:
	s_or_b32 exec_lo, exec_lo, s21
	s_delay_alu instid0(SALU_CYCLE_1)
	s_and_b32 s19, s19, exec_lo
	s_or_saveexec_b32 s20, s20
	v_mov_b32_e32 v1, 0x7f800001
	s_xor_b32 exec_lo, exec_lo, s20
	s_cbranch_execnz .LBB70_2281
.LBB70_2261:
	s_or_b32 exec_lo, exec_lo, s20
	s_and_saveexec_b32 s20, s19
	s_cbranch_execz .LBB70_2263
.LBB70_2262:
	v_and_b32_e32 v1, 0xffff, v3
	s_delay_alu instid0(VALU_DEP_1) | instskip(SKIP_1) | instid1(VALU_DEP_2)
	v_and_b32_e32 v5, 3, v1
	v_bfe_u32 v13, v1, 2, 5
	v_clz_i32_u32_e32 v7, v5
	s_delay_alu instid0(VALU_DEP_2) | instskip(NEXT) | instid1(VALU_DEP_2)
	v_cmp_eq_u32_e32 vcc_lo, 0, v13
	v_min_u32_e32 v7, 32, v7
	s_delay_alu instid0(VALU_DEP_1) | instskip(NEXT) | instid1(VALU_DEP_1)
	v_subrev_nc_u32_e32 v9, 29, v7
	v_dual_lshlrev_b32 v1, v9, v1 :: v_dual_sub_nc_u32 v7, 30, v7
	s_delay_alu instid0(VALU_DEP_1) | instskip(NEXT) | instid1(VALU_DEP_1)
	v_dual_lshlrev_b32 v3, 24, v3 :: v_dual_bitop2_b32 v1, 3, v1 bitop3:0x40
	v_cndmask_b32_e32 v1, v5, v1, vcc_lo
	s_delay_alu instid0(VALU_DEP_3) | instskip(NEXT) | instid1(VALU_DEP_3)
	v_cndmask_b32_e32 v7, v13, v7, vcc_lo
	v_and_b32_e32 v3, 0x80000000, v3
	s_delay_alu instid0(VALU_DEP_3) | instskip(NEXT) | instid1(VALU_DEP_3)
	v_lshlrev_b32_e32 v1, 21, v1
	v_lshl_add_u32 v5, v7, 23, 0x37800000
	s_delay_alu instid0(VALU_DEP_1)
	v_or3_b32 v1, v3, v5, v1
.LBB70_2263:
	s_or_b32 exec_lo, exec_lo, s20
	s_mov_b32 s19, 0
	s_branch .LBB70_2269
.LBB70_2264:
	s_mov_b32 s19, -1
                                        ; implicit-def: $vgpr1
	s_branch .LBB70_2275
.LBB70_2265:
	s_or_saveexec_b32 s21, s21
	v_mov_b32_e32 v1, 0x7f800001
	s_xor_b32 exec_lo, exec_lo, s21
	s_cbranch_execz .LBB70_2248
.LBB70_2266:
	v_cmp_ne_u16_e32 vcc_lo, 0, v3
	v_mov_b32_e32 v1, 0
	s_and_not1_b32 s20, s20, exec_lo
	s_and_b32 s22, vcc_lo, exec_lo
	s_delay_alu instid0(SALU_CYCLE_1)
	s_or_b32 s20, s20, s22
	s_or_b32 exec_lo, exec_lo, s21
	s_and_saveexec_b32 s21, s20
	s_cbranch_execnz .LBB70_2249
	s_branch .LBB70_2250
.LBB70_2267:
	s_mov_b32 s19, -1
                                        ; implicit-def: $vgpr1
	s_branch .LBB70_2272
.LBB70_2268:
	s_mov_b32 s19, -1
                                        ; implicit-def: $vgpr1
.LBB70_2269:
	s_delay_alu instid0(SALU_CYCLE_1)
	s_and_b32 vcc_lo, exec_lo, s19
	s_cbranch_vccz .LBB70_2271
; %bb.2270:
	global_load_u8 v1, v[10:11], off
	s_wait_loadcnt 0x0
	v_lshlrev_b32_e32 v1, 24, v1
	s_delay_alu instid0(VALU_DEP_1) | instskip(NEXT) | instid1(VALU_DEP_1)
	v_and_b32_e32 v3, 0x7f000000, v1
	v_clz_i32_u32_e32 v5, v3
	v_add_nc_u32_e32 v9, 0x1000000, v3
	v_cmp_ne_u32_e32 vcc_lo, 0, v3
	s_delay_alu instid0(VALU_DEP_3) | instskip(NEXT) | instid1(VALU_DEP_1)
	v_min_u32_e32 v5, 32, v5
	v_sub_nc_u32_e64 v5, v5, 4 clamp
	s_delay_alu instid0(VALU_DEP_1) | instskip(NEXT) | instid1(VALU_DEP_1)
	v_dual_lshlrev_b32 v7, v5, v3 :: v_dual_lshlrev_b32 v5, 23, v5
	v_lshrrev_b32_e32 v7, 4, v7
	s_delay_alu instid0(VALU_DEP_1) | instskip(SKIP_1) | instid1(VALU_DEP_2)
	v_sub_nc_u32_e32 v5, v7, v5
	v_ashrrev_i32_e32 v7, 8, v9
	v_add_nc_u32_e32 v5, 0x3c000000, v5
	s_delay_alu instid0(VALU_DEP_1) | instskip(NEXT) | instid1(VALU_DEP_1)
	v_and_or_b32 v5, 0x7f800000, v7, v5
	v_cndmask_b32_e32 v3, 0, v5, vcc_lo
	s_delay_alu instid0(VALU_DEP_1)
	v_and_or_b32 v1, 0x80000000, v1, v3
.LBB70_2271:
	s_mov_b32 s19, 0
.LBB70_2272:
	s_delay_alu instid0(SALU_CYCLE_1)
	s_and_not1_b32 vcc_lo, exec_lo, s19
	s_cbranch_vccnz .LBB70_2274
; %bb.2273:
	global_load_u8 v1, v[10:11], off
	s_wait_loadcnt 0x0
	v_lshlrev_b32_e32 v3, 25, v1
	v_lshlrev_b16 v1, 8, v1
	s_delay_alu instid0(VALU_DEP_1) | instskip(SKIP_1) | instid1(VALU_DEP_2)
	v_and_or_b32 v7, 0x7f00, v1, 0.5
	v_bfe_i32 v1, v1, 0, 16
	v_add_f32_e32 v7, -0.5, v7
	v_lshrrev_b32_e32 v5, 4, v3
	v_cmp_gt_u32_e32 vcc_lo, 0x8000000, v3
	s_delay_alu instid0(VALU_DEP_2) | instskip(NEXT) | instid1(VALU_DEP_1)
	v_or_b32_e32 v5, 0x70000000, v5
	v_mul_f32_e32 v5, 0x7800000, v5
	s_delay_alu instid0(VALU_DEP_1) | instskip(NEXT) | instid1(VALU_DEP_1)
	v_cndmask_b32_e32 v3, v5, v7, vcc_lo
	v_and_or_b32 v1, 0x80000000, v1, v3
.LBB70_2274:
	s_mov_b32 s19, 0
	s_mov_b32 s20, -1
.LBB70_2275:
	s_and_not1_b32 vcc_lo, exec_lo, s19
	s_mov_b32 s19, 0
	s_cbranch_vccnz .LBB70_2286
; %bb.2276:
	s_cmp_gt_i32 s15, 14
	s_cbranch_scc0 .LBB70_2279
; %bb.2277:
	s_cmp_eq_u32 s15, 15
	s_cbranch_scc0 .LBB70_2282
; %bb.2278:
	global_load_u16 v1, v[10:11], off
	s_mov_b32 s18, 0
	s_mov_b32 s20, -1
	s_wait_loadcnt 0x0
	v_lshlrev_b32_e32 v1, 16, v1
	s_branch .LBB70_2284
.LBB70_2279:
	s_mov_b32 s19, -1
	s_branch .LBB70_2283
.LBB70_2280:
	s_or_saveexec_b32 s20, s20
	v_mov_b32_e32 v1, 0x7f800001
	s_xor_b32 exec_lo, exec_lo, s20
	s_cbranch_execz .LBB70_2261
.LBB70_2281:
	v_cmp_ne_u16_e32 vcc_lo, 0, v3
	v_mov_b32_e32 v1, 0
	s_and_not1_b32 s19, s19, exec_lo
	s_and_b32 s21, vcc_lo, exec_lo
	s_delay_alu instid0(SALU_CYCLE_1)
	s_or_b32 s19, s19, s21
	s_or_b32 exec_lo, exec_lo, s20
	s_and_saveexec_b32 s20, s19
	s_cbranch_execnz .LBB70_2262
	s_branch .LBB70_2263
.LBB70_2282:
	s_mov_b32 s18, -1
.LBB70_2283:
                                        ; implicit-def: $vgpr1
.LBB70_2284:
	s_and_b32 vcc_lo, exec_lo, s19
	s_mov_b32 s19, 0
	s_cbranch_vccz .LBB70_2286
; %bb.2285:
	s_cmp_lg_u32 s15, 11
	s_mov_b32 s19, -1
	s_cselect_b32 s18, -1, 0
.LBB70_2286:
	s_delay_alu instid0(SALU_CYCLE_1)
	s_and_b32 vcc_lo, exec_lo, s18
	s_cbranch_vccnz .LBB70_2353
; %bb.2287:
	s_and_not1_b32 vcc_lo, exec_lo, s19
	s_cbranch_vccnz .LBB70_2289
.LBB70_2288:
	global_load_u8 v1, v[10:11], off
	s_mov_b32 s20, -1
	s_wait_loadcnt 0x0
	v_cmp_ne_u16_e32 vcc_lo, 0, v1
	v_cndmask_b32_e64 v1, 0, 1.0, vcc_lo
.LBB70_2289:
	s_mov_b32 s15, 0
.LBB70_2290:
	s_delay_alu instid0(SALU_CYCLE_1)
	s_and_b32 vcc_lo, exec_lo, s15
	s_cbranch_vccz .LBB70_2339
; %bb.2291:
	s_and_b32 s15, 0xffff, s1
	s_delay_alu instid0(SALU_CYCLE_1)
	s_cmp_lt_i32 s15, 5
	s_cbranch_scc1 .LBB70_2296
; %bb.2292:
	s_cmp_lt_i32 s15, 8
	s_cbranch_scc1 .LBB70_2297
; %bb.2293:
	;; [unrolled: 3-line block ×3, first 2 shown]
	s_cmp_gt_i32 s15, 9
	s_cbranch_scc0 .LBB70_2299
; %bb.2295:
	global_load_b64 v[14:15], v[10:11], off
	s_mov_b32 s18, 0
	s_wait_loadcnt 0x0
	v_cvt_f32_f64_e32 v1, v[14:15]
	s_branch .LBB70_2300
.LBB70_2296:
	s_mov_b32 s18, -1
                                        ; implicit-def: $vgpr1
	s_branch .LBB70_2318
.LBB70_2297:
	s_mov_b32 s18, -1
                                        ; implicit-def: $vgpr1
	s_branch .LBB70_2306
.LBB70_2298:
	s_mov_b32 s18, -1
                                        ; implicit-def: $vgpr1
	s_branch .LBB70_2303
.LBB70_2299:
	s_mov_b32 s18, -1
                                        ; implicit-def: $vgpr1
.LBB70_2300:
	s_delay_alu instid0(SALU_CYCLE_1)
	s_and_not1_b32 vcc_lo, exec_lo, s18
	s_cbranch_vccnz .LBB70_2302
; %bb.2301:
	global_load_b32 v1, v[10:11], off
.LBB70_2302:
	s_mov_b32 s18, 0
.LBB70_2303:
	s_delay_alu instid0(SALU_CYCLE_1)
	s_and_not1_b32 vcc_lo, exec_lo, s18
	s_cbranch_vccnz .LBB70_2305
; %bb.2304:
	s_wait_loadcnt 0x0
	global_load_b32 v1, v[10:11], off
	s_wait_loadcnt 0x0
	v_cvt_f32_f16_e32 v1, v1
.LBB70_2305:
	s_mov_b32 s18, 0
.LBB70_2306:
	s_delay_alu instid0(SALU_CYCLE_1)
	s_and_not1_b32 vcc_lo, exec_lo, s18
	s_cbranch_vccnz .LBB70_2317
; %bb.2307:
	s_cmp_lt_i32 s15, 6
	s_cbranch_scc1 .LBB70_2310
; %bb.2308:
	s_cmp_gt_i32 s15, 6
	s_cbranch_scc0 .LBB70_2311
; %bb.2309:
	global_load_b64 v[14:15], v[10:11], off
	s_mov_b32 s18, 0
	s_wait_loadcnt 0x0
	v_cvt_f32_f64_e32 v1, v[14:15]
	s_branch .LBB70_2312
.LBB70_2310:
	s_mov_b32 s18, -1
                                        ; implicit-def: $vgpr1
	s_branch .LBB70_2315
.LBB70_2311:
	s_mov_b32 s18, -1
                                        ; implicit-def: $vgpr1
.LBB70_2312:
	s_delay_alu instid0(SALU_CYCLE_1)
	s_and_not1_b32 vcc_lo, exec_lo, s18
	s_cbranch_vccnz .LBB70_2314
; %bb.2313:
	s_wait_loadcnt 0x0
	global_load_b32 v1, v[10:11], off
.LBB70_2314:
	s_mov_b32 s18, 0
.LBB70_2315:
	s_delay_alu instid0(SALU_CYCLE_1)
	s_and_not1_b32 vcc_lo, exec_lo, s18
	s_cbranch_vccnz .LBB70_2317
; %bb.2316:
	s_wait_loadcnt 0x0
	global_load_u16 v1, v[10:11], off
	s_wait_loadcnt 0x0
	v_cvt_f32_f16_e32 v1, v1
.LBB70_2317:
	s_mov_b32 s18, 0
.LBB70_2318:
	s_delay_alu instid0(SALU_CYCLE_1)
	s_and_not1_b32 vcc_lo, exec_lo, s18
	s_cbranch_vccnz .LBB70_2338
; %bb.2319:
	s_cmp_lt_i32 s15, 2
	s_cbranch_scc1 .LBB70_2323
; %bb.2320:
	s_cmp_lt_i32 s15, 3
	s_cbranch_scc1 .LBB70_2324
; %bb.2321:
	s_cmp_gt_i32 s15, 3
	s_cbranch_scc0 .LBB70_2325
; %bb.2322:
	global_load_b64 v[14:15], v[10:11], off
	s_mov_b32 s18, 0
	s_wait_loadcnt 0x0
	v_xor_b32_e32 v1, v14, v15
	v_cls_i32_e32 v3, v15
	s_delay_alu instid0(VALU_DEP_2) | instskip(NEXT) | instid1(VALU_DEP_1)
	v_ashrrev_i32_e32 v1, 31, v1
	v_add_nc_u32_e32 v1, 32, v1
	s_delay_alu instid0(VALU_DEP_1) | instskip(NEXT) | instid1(VALU_DEP_1)
	v_add_min_u32_e64 v1, v3, -1, v1
	v_lshlrev_b64_e32 v[14:15], v1, v[14:15]
	v_sub_nc_u32_e32 v1, 32, v1
	s_delay_alu instid0(VALU_DEP_2) | instskip(NEXT) | instid1(VALU_DEP_1)
	v_min_u32_e32 v3, 1, v14
	v_or_b32_e32 v3, v15, v3
	s_delay_alu instid0(VALU_DEP_1) | instskip(NEXT) | instid1(VALU_DEP_1)
	v_cvt_f32_i32_e32 v3, v3
	v_ldexp_f32 v1, v3, v1
	s_branch .LBB70_2326
.LBB70_2323:
	s_mov_b32 s18, -1
                                        ; implicit-def: $vgpr1
	s_branch .LBB70_2332
.LBB70_2324:
	s_mov_b32 s18, -1
                                        ; implicit-def: $vgpr1
	s_branch .LBB70_2329
.LBB70_2325:
	s_mov_b32 s18, -1
                                        ; implicit-def: $vgpr1
.LBB70_2326:
	s_delay_alu instid0(SALU_CYCLE_1)
	s_and_not1_b32 vcc_lo, exec_lo, s18
	s_cbranch_vccnz .LBB70_2328
; %bb.2327:
	s_wait_loadcnt 0x0
	global_load_b32 v1, v[10:11], off
	s_wait_loadcnt 0x0
	v_cvt_f32_i32_e32 v1, v1
.LBB70_2328:
	s_mov_b32 s18, 0
.LBB70_2329:
	s_delay_alu instid0(SALU_CYCLE_1)
	s_and_not1_b32 vcc_lo, exec_lo, s18
	s_cbranch_vccnz .LBB70_2331
; %bb.2330:
	s_wait_loadcnt 0x0
	global_load_i16 v1, v[10:11], off
	s_wait_loadcnt 0x0
	v_cvt_f32_i32_e32 v1, v1
.LBB70_2331:
	s_mov_b32 s18, 0
.LBB70_2332:
	s_delay_alu instid0(SALU_CYCLE_1)
	s_and_not1_b32 vcc_lo, exec_lo, s18
	s_cbranch_vccnz .LBB70_2338
; %bb.2333:
	s_cmp_gt_i32 s15, 0
	s_mov_b32 s15, 0
	s_cbranch_scc0 .LBB70_2335
; %bb.2334:
	s_wait_loadcnt 0x0
	global_load_i8 v1, v[10:11], off
	s_wait_loadcnt 0x0
	v_cvt_f32_i32_e32 v1, v1
	s_branch .LBB70_2336
.LBB70_2335:
	s_mov_b32 s15, -1
                                        ; implicit-def: $vgpr1
.LBB70_2336:
	s_delay_alu instid0(SALU_CYCLE_1)
	s_and_not1_b32 vcc_lo, exec_lo, s15
	s_cbranch_vccnz .LBB70_2338
; %bb.2337:
	s_wait_loadcnt 0x0
	global_load_u8 v1, v[10:11], off
	s_wait_loadcnt 0x0
	v_cvt_f32_ubyte0_e32 v1, v1
.LBB70_2338:
	s_mov_b32 s20, -1
.LBB70_2339:
	s_delay_alu instid0(SALU_CYCLE_1)
	s_and_not1_b32 vcc_lo, exec_lo, s20
	s_cbranch_vccnz .LBB70_2684
; %bb.2340:
	s_wait_loadcnt 0x0
	s_delay_alu instid0(VALU_DEP_1) | instskip(SKIP_2) | instid1(VALU_DEP_1)
	v_mul_f32_e32 v1, s11, v1
	s_mov_b32 s15, exec_lo
	s_wait_xcnt 0x0
	v_cmpx_nlt_f32_e32 s2, v1
	s_cbranch_execz .LBB70_2342
; %bb.2341:
	v_mul_f32_e32 v3, 0x3fb8aa3b, v1
	v_cmp_ngt_f32_e32 vcc_lo, 0xc2ce8ed0, v1
	s_delay_alu instid0(VALU_DEP_2) | instskip(SKIP_1) | instid1(VALU_DEP_2)
	v_rndne_f32_e32 v5, v3
	v_fma_f32 v7, 0x3fb8aa3b, v1, -v3
	v_sub_f32_e32 v3, v3, v5
	s_delay_alu instid0(VALU_DEP_2) | instskip(SKIP_1) | instid1(VALU_DEP_2)
	v_fmamk_f32 v7, v1, 0x32a5705f, v7
	v_cvt_i32_f32_e32 v5, v5
	v_add_f32_e32 v3, v3, v7
	s_delay_alu instid0(VALU_DEP_1) | instskip(SKIP_1) | instid1(TRANS32_DEP_1)
	v_exp_f32_e32 v3, v3
	v_nop
	v_ldexp_f32 v3, v3, v5
	s_delay_alu instid0(VALU_DEP_1) | instskip(SKIP_1) | instid1(VALU_DEP_2)
	v_cndmask_b32_e32 v3, 0, v3, vcc_lo
	v_cmp_nlt_f32_e32 vcc_lo, 0x42b17218, v1
	v_cndmask_b32_e32 v1, 0x7f800000, v3, vcc_lo
	s_delay_alu instid0(VALU_DEP_1) | instskip(NEXT) | instid1(VALU_DEP_1)
	v_dual_mul_f32 v3, v4, v1 :: v_dual_add_f32 v1, 1.0, v1
	v_div_scale_f32 v4, null, v1, v1, v3
	s_delay_alu instid0(VALU_DEP_1) | instskip(SKIP_1) | instid1(TRANS32_DEP_1)
	v_rcp_f32_e32 v5, v4
	v_nop
	v_fma_f32 v7, -v4, v5, 1.0
	s_delay_alu instid0(VALU_DEP_1) | instskip(SKIP_1) | instid1(VALU_DEP_1)
	v_fmac_f32_e32 v5, v7, v5
	v_div_scale_f32 v7, vcc_lo, v3, v1, v3
	v_mul_f32_e32 v9, v7, v5
	s_delay_alu instid0(VALU_DEP_1) | instskip(NEXT) | instid1(VALU_DEP_1)
	v_fma_f32 v10, -v4, v9, v7
	v_fmac_f32_e32 v9, v10, v5
	s_delay_alu instid0(VALU_DEP_1) | instskip(NEXT) | instid1(VALU_DEP_1)
	v_fma_f32 v4, -v4, v9, v7
	v_div_fmas_f32 v4, v4, v5, v9
	s_delay_alu instid0(VALU_DEP_1)
	v_div_fixup_f32 v4, v4, v1, v3
.LBB70_2342:
	s_or_b32 exec_lo, exec_lo, s15
	v_add_nc_u32_e32 v6, s9, v6
	s_cmp_lt_i32 s0, 11
	s_delay_alu instid0(VALU_DEP_1) | instskip(NEXT) | instid1(VALU_DEP_1)
	v_ashrrev_i32_e32 v7, 31, v6
	v_add_nc_u64_e32 v[10:11], s[6:7], v[6:7]
	s_cbranch_scc1 .LBB70_2349
; %bb.2343:
	s_and_b32 s6, 0xffff, s0
	s_mov_b32 s9, 0
	s_cmp_gt_i32 s6, 25
	s_cbranch_scc0 .LBB70_2350
; %bb.2344:
	s_cmp_gt_i32 s6, 28
	s_cbranch_scc0 .LBB70_2351
; %bb.2345:
	;; [unrolled: 3-line block ×4, first 2 shown]
	s_cmp_eq_u32 s6, 46
	s_mov_b32 s18, 0
	s_cbranch_scc0 .LBB70_2355
; %bb.2348:
	global_load_b32 v1, v[10:11], off
	s_mov_b32 s7, 0
	s_mov_b32 s15, -1
	s_wait_loadcnt 0x0
	v_lshlrev_b32_e32 v6, 16, v1
	s_branch .LBB70_2357
.LBB70_2349:
	s_mov_b32 s6, -1
	s_mov_b32 s15, 0
                                        ; implicit-def: $vgpr6
	s_branch .LBB70_2423
.LBB70_2350:
	s_mov_b32 s18, -1
	s_mov_b32 s15, 0
	s_mov_b32 s7, 0
                                        ; implicit-def: $vgpr6
	s_branch .LBB70_2386
.LBB70_2351:
	s_mov_b32 s18, -1
	s_mov_b32 s15, 0
	s_mov_b32 s7, 0
                                        ; implicit-def: $vgpr6
	s_branch .LBB70_2367
.LBB70_2352:
	s_mov_b32 s18, -1
	s_mov_b32 s15, 0
	s_mov_b32 s7, 0
                                        ; implicit-def: $vgpr6
	s_branch .LBB70_2362
.LBB70_2353:
	s_or_b32 s14, s14, exec_lo
	s_trap 2
	s_cbranch_execz .LBB70_2288
	s_branch .LBB70_2289
.LBB70_2354:
	s_mov_b32 s18, -1
	s_mov_b32 s15, 0
	s_mov_b32 s7, 0
	s_branch .LBB70_2356
.LBB70_2355:
	s_mov_b32 s7, -1
	s_mov_b32 s15, 0
.LBB70_2356:
                                        ; implicit-def: $vgpr6
.LBB70_2357:
	s_and_b32 vcc_lo, exec_lo, s18
	s_cbranch_vccz .LBB70_2361
; %bb.2358:
	s_cmp_eq_u32 s6, 44
	s_cbranch_scc0 .LBB70_2360
; %bb.2359:
	global_load_u8 v1, v[10:11], off
	s_mov_b32 s7, 0
	s_mov_b32 s15, -1
	s_wait_loadcnt 0x0
	v_lshlrev_b32_e32 v3, 23, v1
	v_cmp_ne_u32_e32 vcc_lo, 0xff, v1
	s_delay_alu instid0(VALU_DEP_2) | instskip(SKIP_1) | instid1(VALU_DEP_2)
	v_cndmask_b32_e32 v3, 0x7f800001, v3, vcc_lo
	v_cmp_ne_u32_e32 vcc_lo, 0, v1
	v_cndmask_b32_e32 v6, 0x400000, v3, vcc_lo
	s_branch .LBB70_2361
.LBB70_2360:
	s_mov_b32 s7, -1
                                        ; implicit-def: $vgpr6
.LBB70_2361:
	s_mov_b32 s18, 0
.LBB70_2362:
	s_delay_alu instid0(SALU_CYCLE_1)
	s_and_b32 vcc_lo, exec_lo, s18
	s_cbranch_vccz .LBB70_2366
; %bb.2363:
	s_cmp_eq_u32 s6, 29
	s_cbranch_scc0 .LBB70_2365
; %bb.2364:
	global_load_b64 v[6:7], v[10:11], off
	s_mov_b32 s7, 0
	s_mov_b32 s15, -1
	s_mov_b32 s18, 0
	s_wait_loadcnt 0x0
	v_clz_i32_u32_e32 v1, v7
	s_delay_alu instid0(VALU_DEP_1) | instskip(NEXT) | instid1(VALU_DEP_1)
	v_min_u32_e32 v1, 32, v1
	v_lshlrev_b64_e32 v[6:7], v1, v[6:7]
	v_sub_nc_u32_e32 v1, 32, v1
	s_delay_alu instid0(VALU_DEP_2) | instskip(NEXT) | instid1(VALU_DEP_1)
	v_min_u32_e32 v3, 1, v6
	v_or_b32_e32 v3, v7, v3
	s_delay_alu instid0(VALU_DEP_1) | instskip(NEXT) | instid1(VALU_DEP_1)
	v_cvt_f32_u32_e32 v3, v3
	v_ldexp_f32 v6, v3, v1
	s_branch .LBB70_2367
.LBB70_2365:
	s_mov_b32 s7, -1
                                        ; implicit-def: $vgpr6
.LBB70_2366:
	s_mov_b32 s18, 0
.LBB70_2367:
	s_delay_alu instid0(SALU_CYCLE_1)
	s_and_b32 vcc_lo, exec_lo, s18
	s_cbranch_vccz .LBB70_2385
; %bb.2368:
	s_cmp_lt_i32 s6, 27
	s_cbranch_scc1 .LBB70_2371
; %bb.2369:
	s_cmp_gt_i32 s6, 27
	s_cbranch_scc0 .LBB70_2372
; %bb.2370:
	global_load_b32 v1, v[10:11], off
	s_mov_b32 s15, 0
	s_wait_loadcnt 0x0
	v_cvt_f32_u32_e32 v6, v1
	s_branch .LBB70_2373
.LBB70_2371:
	s_mov_b32 s15, -1
                                        ; implicit-def: $vgpr6
	s_branch .LBB70_2376
.LBB70_2372:
	s_mov_b32 s15, -1
                                        ; implicit-def: $vgpr6
.LBB70_2373:
	s_delay_alu instid0(SALU_CYCLE_1)
	s_and_not1_b32 vcc_lo, exec_lo, s15
	s_cbranch_vccnz .LBB70_2375
; %bb.2374:
	global_load_u16 v1, v[10:11], off
	s_wait_loadcnt 0x0
	v_cvt_f32_u32_e32 v6, v1
.LBB70_2375:
	s_mov_b32 s15, 0
.LBB70_2376:
	s_delay_alu instid0(SALU_CYCLE_1)
	s_and_not1_b32 vcc_lo, exec_lo, s15
	s_cbranch_vccnz .LBB70_2384
; %bb.2377:
	global_load_u8 v1, v[10:11], off
	s_mov_b32 s15, 0
	s_mov_b32 s18, exec_lo
	s_wait_loadcnt 0x0
	v_cmpx_lt_i16_e32 0x7f, v1
	s_xor_b32 s18, exec_lo, s18
	s_cbranch_execz .LBB70_2398
; %bb.2378:
	s_mov_b32 s15, -1
	s_mov_b32 s19, exec_lo
	v_cmpx_eq_u16_e32 0x80, v1
; %bb.2379:
	s_xor_b32 s15, exec_lo, -1
; %bb.2380:
	s_or_b32 exec_lo, exec_lo, s19
	s_delay_alu instid0(SALU_CYCLE_1)
	s_and_b32 s15, s15, exec_lo
	s_or_saveexec_b32 s18, s18
	v_mov_b32_e32 v6, 0x7f800001
	s_xor_b32 exec_lo, exec_lo, s18
	s_cbranch_execnz .LBB70_2399
.LBB70_2381:
	s_or_b32 exec_lo, exec_lo, s18
	s_and_saveexec_b32 s18, s15
	s_cbranch_execz .LBB70_2383
.LBB70_2382:
	v_and_b32_e32 v3, 0xffff, v1
	s_delay_alu instid0(VALU_DEP_1) | instskip(SKIP_1) | instid1(VALU_DEP_2)
	v_and_b32_e32 v5, 7, v3
	v_bfe_u32 v9, v3, 3, 4
	v_clz_i32_u32_e32 v6, v5
	s_delay_alu instid0(VALU_DEP_2) | instskip(NEXT) | instid1(VALU_DEP_2)
	v_cmp_eq_u32_e32 vcc_lo, 0, v9
	v_min_u32_e32 v6, 32, v6
	s_delay_alu instid0(VALU_DEP_1) | instskip(NEXT) | instid1(VALU_DEP_1)
	v_subrev_nc_u32_e32 v7, 28, v6
	v_dual_lshlrev_b32 v3, v7, v3 :: v_dual_sub_nc_u32 v6, 29, v6
	s_delay_alu instid0(VALU_DEP_1) | instskip(NEXT) | instid1(VALU_DEP_2)
	v_dual_lshlrev_b32 v1, 24, v1 :: v_dual_bitop2_b32 v3, 7, v3 bitop3:0x40
	v_cndmask_b32_e32 v6, v9, v6, vcc_lo
	s_delay_alu instid0(VALU_DEP_2) | instskip(NEXT) | instid1(VALU_DEP_3)
	v_cndmask_b32_e32 v3, v5, v3, vcc_lo
	v_and_b32_e32 v1, 0x80000000, v1
	s_delay_alu instid0(VALU_DEP_3) | instskip(NEXT) | instid1(VALU_DEP_3)
	v_lshl_add_u32 v5, v6, 23, 0x3b800000
	v_lshlrev_b32_e32 v3, 20, v3
	s_delay_alu instid0(VALU_DEP_1)
	v_or3_b32 v6, v1, v5, v3
.LBB70_2383:
	s_or_b32 exec_lo, exec_lo, s18
.LBB70_2384:
	s_mov_b32 s15, -1
.LBB70_2385:
	s_mov_b32 s18, 0
.LBB70_2386:
	s_delay_alu instid0(SALU_CYCLE_1)
	s_and_b32 vcc_lo, exec_lo, s18
	s_cbranch_vccz .LBB70_2419
; %bb.2387:
	s_cmp_gt_i32 s6, 22
	s_cbranch_scc0 .LBB70_2397
; %bb.2388:
	s_cmp_lt_i32 s6, 24
	s_cbranch_scc1 .LBB70_2400
; %bb.2389:
	s_cmp_gt_i32 s6, 24
	s_cbranch_scc0 .LBB70_2401
; %bb.2390:
	global_load_u8 v1, v[10:11], off
	s_mov_b32 s15, exec_lo
	s_wait_loadcnt 0x0
	v_cmpx_lt_i16_e32 0x7f, v1
	s_xor_b32 s15, exec_lo, s15
	s_cbranch_execz .LBB70_2413
; %bb.2391:
	s_mov_b32 s9, -1
	s_mov_b32 s18, exec_lo
	v_cmpx_eq_u16_e32 0x80, v1
; %bb.2392:
	s_xor_b32 s9, exec_lo, -1
; %bb.2393:
	s_or_b32 exec_lo, exec_lo, s18
	s_delay_alu instid0(SALU_CYCLE_1)
	s_and_b32 s9, s9, exec_lo
	s_or_saveexec_b32 s15, s15
	v_mov_b32_e32 v6, 0x7f800001
	s_xor_b32 exec_lo, exec_lo, s15
	s_cbranch_execnz .LBB70_2414
.LBB70_2394:
	s_or_b32 exec_lo, exec_lo, s15
	s_and_saveexec_b32 s15, s9
	s_cbranch_execz .LBB70_2396
.LBB70_2395:
	v_and_b32_e32 v3, 0xffff, v1
	s_delay_alu instid0(VALU_DEP_1) | instskip(SKIP_1) | instid1(VALU_DEP_2)
	v_and_b32_e32 v5, 3, v3
	v_bfe_u32 v9, v3, 2, 5
	v_clz_i32_u32_e32 v6, v5
	s_delay_alu instid0(VALU_DEP_2) | instskip(NEXT) | instid1(VALU_DEP_2)
	v_cmp_eq_u32_e32 vcc_lo, 0, v9
	v_min_u32_e32 v6, 32, v6
	s_delay_alu instid0(VALU_DEP_1) | instskip(NEXT) | instid1(VALU_DEP_1)
	v_subrev_nc_u32_e32 v7, 29, v6
	v_dual_lshlrev_b32 v3, v7, v3 :: v_dual_sub_nc_u32 v6, 30, v6
	s_delay_alu instid0(VALU_DEP_1) | instskip(NEXT) | instid1(VALU_DEP_2)
	v_dual_lshlrev_b32 v1, 24, v1 :: v_dual_bitop2_b32 v3, 3, v3 bitop3:0x40
	v_cndmask_b32_e32 v6, v9, v6, vcc_lo
	s_delay_alu instid0(VALU_DEP_2) | instskip(NEXT) | instid1(VALU_DEP_3)
	v_cndmask_b32_e32 v3, v5, v3, vcc_lo
	v_and_b32_e32 v1, 0x80000000, v1
	s_delay_alu instid0(VALU_DEP_3) | instskip(NEXT) | instid1(VALU_DEP_3)
	v_lshl_add_u32 v5, v6, 23, 0x37800000
	v_lshlrev_b32_e32 v3, 21, v3
	s_delay_alu instid0(VALU_DEP_1)
	v_or3_b32 v6, v1, v5, v3
.LBB70_2396:
	s_or_b32 exec_lo, exec_lo, s15
	s_mov_b32 s9, 0
	s_branch .LBB70_2402
.LBB70_2397:
	s_mov_b32 s9, -1
                                        ; implicit-def: $vgpr6
	s_branch .LBB70_2408
.LBB70_2398:
	s_or_saveexec_b32 s18, s18
	v_mov_b32_e32 v6, 0x7f800001
	s_xor_b32 exec_lo, exec_lo, s18
	s_cbranch_execz .LBB70_2381
.LBB70_2399:
	v_cmp_ne_u16_e32 vcc_lo, 0, v1
	v_mov_b32_e32 v6, 0
	s_and_not1_b32 s15, s15, exec_lo
	s_and_b32 s19, vcc_lo, exec_lo
	s_delay_alu instid0(SALU_CYCLE_1)
	s_or_b32 s15, s15, s19
	s_or_b32 exec_lo, exec_lo, s18
	s_and_saveexec_b32 s18, s15
	s_cbranch_execnz .LBB70_2382
	s_branch .LBB70_2383
.LBB70_2400:
	s_mov_b32 s9, -1
                                        ; implicit-def: $vgpr6
	s_branch .LBB70_2405
.LBB70_2401:
	s_mov_b32 s9, -1
                                        ; implicit-def: $vgpr6
.LBB70_2402:
	s_delay_alu instid0(SALU_CYCLE_1)
	s_and_b32 vcc_lo, exec_lo, s9
	s_cbranch_vccz .LBB70_2404
; %bb.2403:
	global_load_u8 v1, v[10:11], off
	s_wait_loadcnt 0x0
	v_lshlrev_b32_e32 v1, 24, v1
	s_delay_alu instid0(VALU_DEP_1) | instskip(NEXT) | instid1(VALU_DEP_1)
	v_and_b32_e32 v3, 0x7f000000, v1
	v_clz_i32_u32_e32 v5, v3
	v_add_nc_u32_e32 v7, 0x1000000, v3
	v_cmp_ne_u32_e32 vcc_lo, 0, v3
	s_delay_alu instid0(VALU_DEP_3) | instskip(NEXT) | instid1(VALU_DEP_1)
	v_min_u32_e32 v5, 32, v5
	v_sub_nc_u32_e64 v5, v5, 4 clamp
	s_delay_alu instid0(VALU_DEP_1) | instskip(NEXT) | instid1(VALU_DEP_1)
	v_dual_lshlrev_b32 v6, v5, v3 :: v_dual_lshlrev_b32 v5, 23, v5
	v_lshrrev_b32_e32 v6, 4, v6
	s_delay_alu instid0(VALU_DEP_1) | instskip(NEXT) | instid1(VALU_DEP_1)
	v_dual_sub_nc_u32 v5, v6, v5 :: v_dual_ashrrev_i32 v6, 8, v7
	v_add_nc_u32_e32 v5, 0x3c000000, v5
	s_delay_alu instid0(VALU_DEP_1) | instskip(NEXT) | instid1(VALU_DEP_1)
	v_and_or_b32 v5, 0x7f800000, v6, v5
	v_cndmask_b32_e32 v3, 0, v5, vcc_lo
	s_delay_alu instid0(VALU_DEP_1)
	v_and_or_b32 v6, 0x80000000, v1, v3
.LBB70_2404:
	s_mov_b32 s9, 0
.LBB70_2405:
	s_delay_alu instid0(SALU_CYCLE_1)
	s_and_not1_b32 vcc_lo, exec_lo, s9
	s_cbranch_vccnz .LBB70_2407
; %bb.2406:
	global_load_u8 v1, v[10:11], off
	s_wait_loadcnt 0x0
	v_lshlrev_b32_e32 v3, 25, v1
	v_lshlrev_b16 v1, 8, v1
	s_delay_alu instid0(VALU_DEP_1) | instskip(SKIP_1) | instid1(VALU_DEP_2)
	v_and_or_b32 v6, 0x7f00, v1, 0.5
	v_bfe_i32 v1, v1, 0, 16
	v_dual_add_f32 v6, -0.5, v6 :: v_dual_lshrrev_b32 v5, 4, v3
	v_cmp_gt_u32_e32 vcc_lo, 0x8000000, v3
	s_delay_alu instid0(VALU_DEP_2) | instskip(NEXT) | instid1(VALU_DEP_1)
	v_or_b32_e32 v5, 0x70000000, v5
	v_mul_f32_e32 v5, 0x7800000, v5
	s_delay_alu instid0(VALU_DEP_1) | instskip(NEXT) | instid1(VALU_DEP_1)
	v_cndmask_b32_e32 v3, v5, v6, vcc_lo
	v_and_or_b32 v6, 0x80000000, v1, v3
.LBB70_2407:
	s_mov_b32 s9, 0
	s_mov_b32 s15, -1
.LBB70_2408:
	s_and_not1_b32 vcc_lo, exec_lo, s9
	s_mov_b32 s9, 0
	s_cbranch_vccnz .LBB70_2419
; %bb.2409:
	s_cmp_gt_i32 s6, 14
	s_cbranch_scc0 .LBB70_2412
; %bb.2410:
	s_cmp_eq_u32 s6, 15
	s_cbranch_scc0 .LBB70_2415
; %bb.2411:
	global_load_u16 v1, v[10:11], off
	s_mov_b32 s7, 0
	s_mov_b32 s15, -1
	s_wait_loadcnt 0x0
	v_lshlrev_b32_e32 v6, 16, v1
	s_branch .LBB70_2417
.LBB70_2412:
	s_mov_b32 s9, -1
	s_branch .LBB70_2416
.LBB70_2413:
	s_or_saveexec_b32 s15, s15
	v_mov_b32_e32 v6, 0x7f800001
	s_xor_b32 exec_lo, exec_lo, s15
	s_cbranch_execz .LBB70_2394
.LBB70_2414:
	v_cmp_ne_u16_e32 vcc_lo, 0, v1
	v_mov_b32_e32 v6, 0
	s_and_not1_b32 s9, s9, exec_lo
	s_and_b32 s18, vcc_lo, exec_lo
	s_delay_alu instid0(SALU_CYCLE_1)
	s_or_b32 s9, s9, s18
	s_or_b32 exec_lo, exec_lo, s15
	s_and_saveexec_b32 s15, s9
	s_cbranch_execnz .LBB70_2395
	s_branch .LBB70_2396
.LBB70_2415:
	s_mov_b32 s7, -1
.LBB70_2416:
                                        ; implicit-def: $vgpr6
.LBB70_2417:
	s_and_b32 vcc_lo, exec_lo, s9
	s_mov_b32 s9, 0
	s_cbranch_vccz .LBB70_2419
; %bb.2418:
	s_cmp_lg_u32 s6, 11
	s_mov_b32 s9, -1
	s_cselect_b32 s7, -1, 0
.LBB70_2419:
	s_delay_alu instid0(SALU_CYCLE_1)
	s_and_b32 vcc_lo, exec_lo, s7
	s_cbranch_vccnz .LBB70_2484
; %bb.2420:
	s_and_not1_b32 vcc_lo, exec_lo, s9
	s_cbranch_vccnz .LBB70_2422
.LBB70_2421:
	global_load_u8 v1, v[10:11], off
	s_mov_b32 s15, -1
	s_wait_loadcnt 0x0
	v_cmp_ne_u16_e32 vcc_lo, 0, v1
	v_cndmask_b32_e64 v6, 0, 1.0, vcc_lo
.LBB70_2422:
	s_mov_b32 s6, 0
.LBB70_2423:
	s_delay_alu instid0(SALU_CYCLE_1)
	s_and_b32 vcc_lo, exec_lo, s6
	s_cbranch_vccz .LBB70_2472
; %bb.2424:
	s_and_b32 s0, 0xffff, s0
	s_delay_alu instid0(SALU_CYCLE_1)
	s_cmp_lt_i32 s0, 5
	s_cbranch_scc1 .LBB70_2429
; %bb.2425:
	s_cmp_lt_i32 s0, 8
	s_cbranch_scc1 .LBB70_2430
; %bb.2426:
	;; [unrolled: 3-line block ×3, first 2 shown]
	s_cmp_gt_i32 s0, 9
	s_cbranch_scc0 .LBB70_2432
; %bb.2428:
	global_load_b64 v[6:7], v[10:11], off
	s_mov_b32 s6, 0
	s_wait_loadcnt 0x0
	v_cvt_f32_f64_e32 v6, v[6:7]
	s_branch .LBB70_2433
.LBB70_2429:
	s_mov_b32 s6, -1
                                        ; implicit-def: $vgpr6
	s_branch .LBB70_2451
.LBB70_2430:
	s_mov_b32 s6, -1
                                        ; implicit-def: $vgpr6
	s_branch .LBB70_2439
.LBB70_2431:
	s_mov_b32 s6, -1
                                        ; implicit-def: $vgpr6
	s_branch .LBB70_2436
.LBB70_2432:
	s_mov_b32 s6, -1
                                        ; implicit-def: $vgpr6
.LBB70_2433:
	s_delay_alu instid0(SALU_CYCLE_1)
	s_and_not1_b32 vcc_lo, exec_lo, s6
	s_cbranch_vccnz .LBB70_2435
; %bb.2434:
	global_load_b32 v6, v[10:11], off
.LBB70_2435:
	s_mov_b32 s6, 0
.LBB70_2436:
	s_delay_alu instid0(SALU_CYCLE_1)
	s_and_not1_b32 vcc_lo, exec_lo, s6
	s_cbranch_vccnz .LBB70_2438
; %bb.2437:
	global_load_b32 v1, v[10:11], off
	s_wait_loadcnt 0x0
	v_cvt_f32_f16_e32 v6, v1
.LBB70_2438:
	s_mov_b32 s6, 0
.LBB70_2439:
	s_delay_alu instid0(SALU_CYCLE_1)
	s_and_not1_b32 vcc_lo, exec_lo, s6
	s_cbranch_vccnz .LBB70_2450
; %bb.2440:
	s_cmp_lt_i32 s0, 6
	s_cbranch_scc1 .LBB70_2443
; %bb.2441:
	s_cmp_gt_i32 s0, 6
	s_cbranch_scc0 .LBB70_2444
; %bb.2442:
	s_wait_loadcnt 0x0
	global_load_b64 v[6:7], v[10:11], off
	s_mov_b32 s6, 0
	s_wait_loadcnt 0x0
	v_cvt_f32_f64_e32 v6, v[6:7]
	s_branch .LBB70_2445
.LBB70_2443:
	s_mov_b32 s6, -1
                                        ; implicit-def: $vgpr6
	s_branch .LBB70_2448
.LBB70_2444:
	s_mov_b32 s6, -1
                                        ; implicit-def: $vgpr6
.LBB70_2445:
	s_delay_alu instid0(SALU_CYCLE_1)
	s_and_not1_b32 vcc_lo, exec_lo, s6
	s_cbranch_vccnz .LBB70_2447
; %bb.2446:
	s_wait_loadcnt 0x0
	global_load_b32 v6, v[10:11], off
.LBB70_2447:
	s_mov_b32 s6, 0
.LBB70_2448:
	s_delay_alu instid0(SALU_CYCLE_1)
	s_and_not1_b32 vcc_lo, exec_lo, s6
	s_cbranch_vccnz .LBB70_2450
; %bb.2449:
	global_load_u16 v1, v[10:11], off
	s_wait_loadcnt 0x0
	v_cvt_f32_f16_e32 v6, v1
.LBB70_2450:
	s_mov_b32 s6, 0
.LBB70_2451:
	s_delay_alu instid0(SALU_CYCLE_1)
	s_and_not1_b32 vcc_lo, exec_lo, s6
	s_cbranch_vccnz .LBB70_2471
; %bb.2452:
	s_cmp_lt_i32 s0, 2
	s_cbranch_scc1 .LBB70_2456
; %bb.2453:
	s_cmp_lt_i32 s0, 3
	s_cbranch_scc1 .LBB70_2457
; %bb.2454:
	s_cmp_gt_i32 s0, 3
	s_cbranch_scc0 .LBB70_2458
; %bb.2455:
	s_wait_loadcnt 0x0
	global_load_b64 v[6:7], v[10:11], off
	s_mov_b32 s6, 0
	s_wait_loadcnt 0x0
	v_xor_b32_e32 v1, v6, v7
	v_cls_i32_e32 v3, v7
	s_delay_alu instid0(VALU_DEP_2) | instskip(NEXT) | instid1(VALU_DEP_1)
	v_ashrrev_i32_e32 v1, 31, v1
	v_add_nc_u32_e32 v1, 32, v1
	s_delay_alu instid0(VALU_DEP_1) | instskip(NEXT) | instid1(VALU_DEP_1)
	v_add_min_u32_e64 v1, v3, -1, v1
	v_lshlrev_b64_e32 v[6:7], v1, v[6:7]
	v_sub_nc_u32_e32 v1, 32, v1
	s_delay_alu instid0(VALU_DEP_2) | instskip(NEXT) | instid1(VALU_DEP_1)
	v_min_u32_e32 v3, 1, v6
	v_or_b32_e32 v3, v7, v3
	s_delay_alu instid0(VALU_DEP_1) | instskip(NEXT) | instid1(VALU_DEP_1)
	v_cvt_f32_i32_e32 v3, v3
	v_ldexp_f32 v6, v3, v1
	s_branch .LBB70_2459
.LBB70_2456:
	s_mov_b32 s6, -1
                                        ; implicit-def: $vgpr6
	s_branch .LBB70_2465
.LBB70_2457:
	s_mov_b32 s6, -1
                                        ; implicit-def: $vgpr6
	s_branch .LBB70_2462
.LBB70_2458:
	s_mov_b32 s6, -1
                                        ; implicit-def: $vgpr6
.LBB70_2459:
	s_delay_alu instid0(SALU_CYCLE_1)
	s_and_not1_b32 vcc_lo, exec_lo, s6
	s_cbranch_vccnz .LBB70_2461
; %bb.2460:
	global_load_b32 v1, v[10:11], off
	s_wait_loadcnt 0x0
	v_cvt_f32_i32_e32 v6, v1
.LBB70_2461:
	s_mov_b32 s6, 0
.LBB70_2462:
	s_delay_alu instid0(SALU_CYCLE_1)
	s_and_not1_b32 vcc_lo, exec_lo, s6
	s_cbranch_vccnz .LBB70_2464
; %bb.2463:
	global_load_i16 v1, v[10:11], off
	s_wait_loadcnt 0x0
	v_cvt_f32_i32_e32 v6, v1
.LBB70_2464:
	s_mov_b32 s6, 0
.LBB70_2465:
	s_delay_alu instid0(SALU_CYCLE_1)
	s_and_not1_b32 vcc_lo, exec_lo, s6
	s_cbranch_vccnz .LBB70_2471
; %bb.2466:
	s_cmp_gt_i32 s0, 0
	s_mov_b32 s0, 0
	s_cbranch_scc0 .LBB70_2468
; %bb.2467:
	global_load_i8 v1, v[10:11], off
	s_wait_loadcnt 0x0
	v_cvt_f32_i32_e32 v6, v1
	s_branch .LBB70_2469
.LBB70_2468:
	s_mov_b32 s0, -1
                                        ; implicit-def: $vgpr6
.LBB70_2469:
	s_delay_alu instid0(SALU_CYCLE_1)
	s_and_not1_b32 vcc_lo, exec_lo, s0
	s_cbranch_vccnz .LBB70_2471
; %bb.2470:
	global_load_u8 v1, v[10:11], off
	s_wait_loadcnt 0x0
	v_cvt_f32_ubyte0_e32 v6, v1
.LBB70_2471:
	s_mov_b32 s15, -1
.LBB70_2472:
	s_delay_alu instid0(SALU_CYCLE_1)
	s_and_not1_b32 vcc_lo, exec_lo, s15
	s_cbranch_vccnz .LBB70_2684
; %bb.2473:
	v_add_nc_u32_e32 v8, s10, v8
	s_cmp_lt_i32 s1, 11
	s_delay_alu instid0(VALU_DEP_1) | instskip(NEXT) | instid1(VALU_DEP_1)
	v_ashrrev_i32_e32 v9, 31, v8
	v_add_nc_u64_e32 v[8:9], s[12:13], v[8:9]
	s_cbranch_scc1 .LBB70_2480
; %bb.2474:
	s_and_b32 s0, 0xffff, s1
	s_mov_b32 s7, 0
	s_cmp_gt_i32 s0, 25
	s_cbranch_scc0 .LBB70_2481
; %bb.2475:
	s_cmp_gt_i32 s0, 28
	s_cbranch_scc0 .LBB70_2482
; %bb.2476:
	;; [unrolled: 3-line block ×4, first 2 shown]
	s_cmp_eq_u32 s0, 46
	s_mov_b32 s10, 0
	s_cbranch_scc0 .LBB70_2486
; %bb.2479:
	global_load_b32 v1, v[8:9], off
	s_mov_b32 s6, 0
	s_mov_b32 s9, -1
	s_wait_loadcnt 0x0
	v_lshlrev_b32_e32 v1, 16, v1
	s_branch .LBB70_2488
.LBB70_2480:
	s_mov_b32 s0, -1
	s_mov_b32 s9, 0
                                        ; implicit-def: $vgpr1
	s_branch .LBB70_2554
.LBB70_2481:
	s_mov_b32 s10, -1
	s_mov_b32 s9, 0
	s_mov_b32 s6, 0
                                        ; implicit-def: $vgpr1
	s_branch .LBB70_2517
.LBB70_2482:
	s_mov_b32 s10, -1
	s_mov_b32 s9, 0
	s_mov_b32 s6, 0
                                        ; implicit-def: $vgpr1
	s_branch .LBB70_2498
.LBB70_2483:
	s_mov_b32 s10, -1
	s_mov_b32 s9, 0
	s_mov_b32 s6, 0
                                        ; implicit-def: $vgpr1
	s_branch .LBB70_2493
.LBB70_2484:
	s_or_b32 s14, s14, exec_lo
	s_trap 2
	s_cbranch_execz .LBB70_2421
	s_branch .LBB70_2422
.LBB70_2485:
	s_mov_b32 s10, -1
	s_mov_b32 s9, 0
	s_mov_b32 s6, 0
	s_branch .LBB70_2487
.LBB70_2486:
	s_mov_b32 s6, -1
	s_mov_b32 s9, 0
.LBB70_2487:
                                        ; implicit-def: $vgpr1
.LBB70_2488:
	s_and_b32 vcc_lo, exec_lo, s10
	s_cbranch_vccz .LBB70_2492
; %bb.2489:
	s_cmp_eq_u32 s0, 44
	s_cbranch_scc0 .LBB70_2491
; %bb.2490:
	global_load_u8 v1, v[8:9], off
	s_mov_b32 s6, 0
	s_mov_b32 s9, -1
	s_wait_loadcnt 0x0
	v_lshlrev_b32_e32 v3, 23, v1
	v_cmp_ne_u32_e32 vcc_lo, 0xff, v1
	s_delay_alu instid0(VALU_DEP_2) | instskip(SKIP_1) | instid1(VALU_DEP_2)
	v_cndmask_b32_e32 v3, 0x7f800001, v3, vcc_lo
	v_cmp_ne_u32_e32 vcc_lo, 0, v1
	v_cndmask_b32_e32 v1, 0x400000, v3, vcc_lo
	s_branch .LBB70_2492
.LBB70_2491:
	s_mov_b32 s6, -1
                                        ; implicit-def: $vgpr1
.LBB70_2492:
	s_mov_b32 s10, 0
.LBB70_2493:
	s_delay_alu instid0(SALU_CYCLE_1)
	s_and_b32 vcc_lo, exec_lo, s10
	s_cbranch_vccz .LBB70_2497
; %bb.2494:
	s_cmp_eq_u32 s0, 29
	s_cbranch_scc0 .LBB70_2496
; %bb.2495:
	global_load_b64 v[10:11], v[8:9], off
	s_mov_b32 s6, 0
	s_mov_b32 s9, -1
	s_mov_b32 s10, 0
	s_wait_loadcnt 0x0
	v_clz_i32_u32_e32 v1, v11
	s_delay_alu instid0(VALU_DEP_1) | instskip(NEXT) | instid1(VALU_DEP_1)
	v_min_u32_e32 v1, 32, v1
	v_lshlrev_b64_e32 v[10:11], v1, v[10:11]
	v_sub_nc_u32_e32 v1, 32, v1
	s_delay_alu instid0(VALU_DEP_2) | instskip(NEXT) | instid1(VALU_DEP_1)
	v_min_u32_e32 v3, 1, v10
	v_or_b32_e32 v3, v11, v3
	s_delay_alu instid0(VALU_DEP_1) | instskip(NEXT) | instid1(VALU_DEP_1)
	v_cvt_f32_u32_e32 v3, v3
	v_ldexp_f32 v1, v3, v1
	s_branch .LBB70_2498
.LBB70_2496:
	s_mov_b32 s6, -1
                                        ; implicit-def: $vgpr1
.LBB70_2497:
	s_mov_b32 s10, 0
.LBB70_2498:
	s_delay_alu instid0(SALU_CYCLE_1)
	s_and_b32 vcc_lo, exec_lo, s10
	s_cbranch_vccz .LBB70_2516
; %bb.2499:
	s_cmp_lt_i32 s0, 27
	s_cbranch_scc1 .LBB70_2502
; %bb.2500:
	s_cmp_gt_i32 s0, 27
	s_cbranch_scc0 .LBB70_2503
; %bb.2501:
	global_load_b32 v1, v[8:9], off
	s_mov_b32 s9, 0
	s_wait_loadcnt 0x0
	v_cvt_f32_u32_e32 v1, v1
	s_branch .LBB70_2504
.LBB70_2502:
	s_mov_b32 s9, -1
                                        ; implicit-def: $vgpr1
	s_branch .LBB70_2507
.LBB70_2503:
	s_mov_b32 s9, -1
                                        ; implicit-def: $vgpr1
.LBB70_2504:
	s_delay_alu instid0(SALU_CYCLE_1)
	s_and_not1_b32 vcc_lo, exec_lo, s9
	s_cbranch_vccnz .LBB70_2506
; %bb.2505:
	global_load_u16 v1, v[8:9], off
	s_wait_loadcnt 0x0
	v_cvt_f32_u32_e32 v1, v1
.LBB70_2506:
	s_mov_b32 s9, 0
.LBB70_2507:
	s_delay_alu instid0(SALU_CYCLE_1)
	s_and_not1_b32 vcc_lo, exec_lo, s9
	s_cbranch_vccnz .LBB70_2515
; %bb.2508:
	global_load_u8 v3, v[8:9], off
	s_mov_b32 s9, 0
	s_mov_b32 s10, exec_lo
	s_wait_loadcnt 0x0
	v_cmpx_lt_i16_e32 0x7f, v3
	s_xor_b32 s10, exec_lo, s10
	s_cbranch_execz .LBB70_2529
; %bb.2509:
	s_mov_b32 s9, -1
	s_mov_b32 s12, exec_lo
	v_cmpx_eq_u16_e32 0x80, v3
; %bb.2510:
	s_xor_b32 s9, exec_lo, -1
; %bb.2511:
	s_or_b32 exec_lo, exec_lo, s12
	s_delay_alu instid0(SALU_CYCLE_1)
	s_and_b32 s9, s9, exec_lo
	s_or_saveexec_b32 s10, s10
	v_mov_b32_e32 v1, 0x7f800001
	s_xor_b32 exec_lo, exec_lo, s10
	s_cbranch_execnz .LBB70_2530
.LBB70_2512:
	s_or_b32 exec_lo, exec_lo, s10
	s_and_saveexec_b32 s10, s9
	s_cbranch_execz .LBB70_2514
.LBB70_2513:
	v_and_b32_e32 v1, 0xffff, v3
	s_delay_alu instid0(VALU_DEP_1) | instskip(SKIP_1) | instid1(VALU_DEP_2)
	v_and_b32_e32 v5, 7, v1
	v_bfe_u32 v11, v1, 3, 4
	v_clz_i32_u32_e32 v7, v5
	s_delay_alu instid0(VALU_DEP_2) | instskip(NEXT) | instid1(VALU_DEP_2)
	v_cmp_eq_u32_e32 vcc_lo, 0, v11
	v_min_u32_e32 v7, 32, v7
	s_delay_alu instid0(VALU_DEP_1) | instskip(NEXT) | instid1(VALU_DEP_1)
	v_subrev_nc_u32_e32 v10, 28, v7
	v_dual_lshlrev_b32 v1, v10, v1 :: v_dual_sub_nc_u32 v7, 29, v7
	s_delay_alu instid0(VALU_DEP_1) | instskip(NEXT) | instid1(VALU_DEP_1)
	v_dual_lshlrev_b32 v3, 24, v3 :: v_dual_bitop2_b32 v1, 7, v1 bitop3:0x40
	v_dual_cndmask_b32 v1, v5, v1, vcc_lo :: v_dual_cndmask_b32 v7, v11, v7, vcc_lo
	s_delay_alu instid0(VALU_DEP_2) | instskip(NEXT) | instid1(VALU_DEP_2)
	v_and_b32_e32 v3, 0x80000000, v3
	v_lshlrev_b32_e32 v1, 20, v1
	s_delay_alu instid0(VALU_DEP_3) | instskip(NEXT) | instid1(VALU_DEP_1)
	v_lshl_add_u32 v5, v7, 23, 0x3b800000
	v_or3_b32 v1, v3, v5, v1
.LBB70_2514:
	s_or_b32 exec_lo, exec_lo, s10
.LBB70_2515:
	s_mov_b32 s9, -1
.LBB70_2516:
	s_mov_b32 s10, 0
.LBB70_2517:
	s_delay_alu instid0(SALU_CYCLE_1)
	s_and_b32 vcc_lo, exec_lo, s10
	s_cbranch_vccz .LBB70_2550
; %bb.2518:
	s_cmp_gt_i32 s0, 22
	s_cbranch_scc0 .LBB70_2528
; %bb.2519:
	s_cmp_lt_i32 s0, 24
	s_cbranch_scc1 .LBB70_2531
; %bb.2520:
	s_cmp_gt_i32 s0, 24
	s_cbranch_scc0 .LBB70_2532
; %bb.2521:
	global_load_u8 v3, v[8:9], off
	s_mov_b32 s9, exec_lo
	s_wait_loadcnt 0x0
	v_cmpx_lt_i16_e32 0x7f, v3
	s_xor_b32 s9, exec_lo, s9
	s_cbranch_execz .LBB70_2544
; %bb.2522:
	s_mov_b32 s7, -1
	s_mov_b32 s10, exec_lo
	v_cmpx_eq_u16_e32 0x80, v3
; %bb.2523:
	s_xor_b32 s7, exec_lo, -1
; %bb.2524:
	s_or_b32 exec_lo, exec_lo, s10
	s_delay_alu instid0(SALU_CYCLE_1)
	s_and_b32 s7, s7, exec_lo
	s_or_saveexec_b32 s9, s9
	v_mov_b32_e32 v1, 0x7f800001
	s_xor_b32 exec_lo, exec_lo, s9
	s_cbranch_execnz .LBB70_2545
.LBB70_2525:
	s_or_b32 exec_lo, exec_lo, s9
	s_and_saveexec_b32 s9, s7
	s_cbranch_execz .LBB70_2527
.LBB70_2526:
	v_and_b32_e32 v1, 0xffff, v3
	s_delay_alu instid0(VALU_DEP_1) | instskip(SKIP_1) | instid1(VALU_DEP_2)
	v_and_b32_e32 v5, 3, v1
	v_bfe_u32 v11, v1, 2, 5
	v_clz_i32_u32_e32 v7, v5
	s_delay_alu instid0(VALU_DEP_2) | instskip(NEXT) | instid1(VALU_DEP_2)
	v_cmp_eq_u32_e32 vcc_lo, 0, v11
	v_min_u32_e32 v7, 32, v7
	s_delay_alu instid0(VALU_DEP_1) | instskip(NEXT) | instid1(VALU_DEP_1)
	v_subrev_nc_u32_e32 v10, 29, v7
	v_dual_lshlrev_b32 v1, v10, v1 :: v_dual_sub_nc_u32 v7, 30, v7
	s_delay_alu instid0(VALU_DEP_1) | instskip(NEXT) | instid1(VALU_DEP_1)
	v_dual_lshlrev_b32 v3, 24, v3 :: v_dual_bitop2_b32 v1, 3, v1 bitop3:0x40
	v_dual_cndmask_b32 v1, v5, v1, vcc_lo :: v_dual_cndmask_b32 v7, v11, v7, vcc_lo
	s_delay_alu instid0(VALU_DEP_2) | instskip(NEXT) | instid1(VALU_DEP_2)
	v_and_b32_e32 v3, 0x80000000, v3
	v_lshlrev_b32_e32 v1, 21, v1
	s_delay_alu instid0(VALU_DEP_3) | instskip(NEXT) | instid1(VALU_DEP_1)
	v_lshl_add_u32 v5, v7, 23, 0x37800000
	v_or3_b32 v1, v3, v5, v1
.LBB70_2527:
	s_or_b32 exec_lo, exec_lo, s9
	s_mov_b32 s7, 0
	s_branch .LBB70_2533
.LBB70_2528:
	s_mov_b32 s7, -1
                                        ; implicit-def: $vgpr1
	s_branch .LBB70_2539
.LBB70_2529:
	s_or_saveexec_b32 s10, s10
	v_mov_b32_e32 v1, 0x7f800001
	s_xor_b32 exec_lo, exec_lo, s10
	s_cbranch_execz .LBB70_2512
.LBB70_2530:
	v_cmp_ne_u16_e32 vcc_lo, 0, v3
	v_mov_b32_e32 v1, 0
	s_and_not1_b32 s9, s9, exec_lo
	s_and_b32 s12, vcc_lo, exec_lo
	s_delay_alu instid0(SALU_CYCLE_1)
	s_or_b32 s9, s9, s12
	s_or_b32 exec_lo, exec_lo, s10
	s_and_saveexec_b32 s10, s9
	s_cbranch_execnz .LBB70_2513
	s_branch .LBB70_2514
.LBB70_2531:
	s_mov_b32 s7, -1
                                        ; implicit-def: $vgpr1
	s_branch .LBB70_2536
.LBB70_2532:
	s_mov_b32 s7, -1
                                        ; implicit-def: $vgpr1
.LBB70_2533:
	s_delay_alu instid0(SALU_CYCLE_1)
	s_and_b32 vcc_lo, exec_lo, s7
	s_cbranch_vccz .LBB70_2535
; %bb.2534:
	global_load_u8 v1, v[8:9], off
	s_wait_loadcnt 0x0
	v_lshlrev_b32_e32 v1, 24, v1
	s_delay_alu instid0(VALU_DEP_1) | instskip(NEXT) | instid1(VALU_DEP_1)
	v_and_b32_e32 v3, 0x7f000000, v1
	v_clz_i32_u32_e32 v5, v3
	v_cmp_ne_u32_e32 vcc_lo, 0, v3
	s_wait_xcnt 0x1
	v_add_nc_u32_e32 v10, 0x1000000, v3
	s_delay_alu instid0(VALU_DEP_3) | instskip(NEXT) | instid1(VALU_DEP_1)
	v_min_u32_e32 v5, 32, v5
	v_sub_nc_u32_e64 v5, v5, 4 clamp
	s_delay_alu instid0(VALU_DEP_1) | instskip(NEXT) | instid1(VALU_DEP_1)
	v_dual_lshlrev_b32 v7, v5, v3 :: v_dual_lshlrev_b32 v5, 23, v5
	v_lshrrev_b32_e32 v7, 4, v7
	s_delay_alu instid0(VALU_DEP_1) | instskip(NEXT) | instid1(VALU_DEP_1)
	v_dual_sub_nc_u32 v5, v7, v5 :: v_dual_ashrrev_i32 v7, 8, v10
	v_add_nc_u32_e32 v5, 0x3c000000, v5
	s_delay_alu instid0(VALU_DEP_1) | instskip(NEXT) | instid1(VALU_DEP_1)
	v_and_or_b32 v5, 0x7f800000, v7, v5
	v_cndmask_b32_e32 v3, 0, v5, vcc_lo
	s_delay_alu instid0(VALU_DEP_1)
	v_and_or_b32 v1, 0x80000000, v1, v3
.LBB70_2535:
	s_mov_b32 s7, 0
.LBB70_2536:
	s_delay_alu instid0(SALU_CYCLE_1)
	s_and_not1_b32 vcc_lo, exec_lo, s7
	s_cbranch_vccnz .LBB70_2538
; %bb.2537:
	global_load_u8 v1, v[8:9], off
	s_wait_loadcnt 0x0
	v_lshlrev_b32_e32 v3, 25, v1
	v_lshlrev_b16 v1, 8, v1
	s_delay_alu instid0(VALU_DEP_1) | instskip(SKIP_1) | instid1(VALU_DEP_2)
	v_and_or_b32 v7, 0x7f00, v1, 0.5
	v_bfe_i32 v1, v1, 0, 16
	v_add_f32_e32 v7, -0.5, v7
	v_lshrrev_b32_e32 v5, 4, v3
	v_cmp_gt_u32_e32 vcc_lo, 0x8000000, v3
	s_delay_alu instid0(VALU_DEP_2) | instskip(NEXT) | instid1(VALU_DEP_1)
	v_or_b32_e32 v5, 0x70000000, v5
	v_mul_f32_e32 v5, 0x7800000, v5
	s_delay_alu instid0(VALU_DEP_1) | instskip(NEXT) | instid1(VALU_DEP_1)
	v_cndmask_b32_e32 v3, v5, v7, vcc_lo
	v_and_or_b32 v1, 0x80000000, v1, v3
.LBB70_2538:
	s_mov_b32 s7, 0
	s_mov_b32 s9, -1
.LBB70_2539:
	s_and_not1_b32 vcc_lo, exec_lo, s7
	s_mov_b32 s7, 0
	s_cbranch_vccnz .LBB70_2550
; %bb.2540:
	s_cmp_gt_i32 s0, 14
	s_cbranch_scc0 .LBB70_2543
; %bb.2541:
	s_cmp_eq_u32 s0, 15
	s_cbranch_scc0 .LBB70_2546
; %bb.2542:
	global_load_u16 v1, v[8:9], off
	s_mov_b32 s6, 0
	s_mov_b32 s9, -1
	s_wait_loadcnt 0x0
	v_lshlrev_b32_e32 v1, 16, v1
	s_branch .LBB70_2548
.LBB70_2543:
	s_mov_b32 s7, -1
	s_branch .LBB70_2547
.LBB70_2544:
	s_or_saveexec_b32 s9, s9
	v_mov_b32_e32 v1, 0x7f800001
	s_xor_b32 exec_lo, exec_lo, s9
	s_cbranch_execz .LBB70_2525
.LBB70_2545:
	v_cmp_ne_u16_e32 vcc_lo, 0, v3
	v_mov_b32_e32 v1, 0
	s_and_not1_b32 s7, s7, exec_lo
	s_and_b32 s10, vcc_lo, exec_lo
	s_delay_alu instid0(SALU_CYCLE_1)
	s_or_b32 s7, s7, s10
	s_or_b32 exec_lo, exec_lo, s9
	s_and_saveexec_b32 s9, s7
	s_cbranch_execnz .LBB70_2526
	s_branch .LBB70_2527
.LBB70_2546:
	s_mov_b32 s6, -1
.LBB70_2547:
                                        ; implicit-def: $vgpr1
.LBB70_2548:
	s_and_b32 vcc_lo, exec_lo, s7
	s_mov_b32 s7, 0
	s_cbranch_vccz .LBB70_2550
; %bb.2549:
	s_cmp_lg_u32 s0, 11
	s_mov_b32 s7, -1
	s_cselect_b32 s6, -1, 0
.LBB70_2550:
	s_delay_alu instid0(SALU_CYCLE_1)
	s_and_b32 vcc_lo, exec_lo, s6
	s_cbranch_vccnz .LBB70_3086
; %bb.2551:
	s_and_not1_b32 vcc_lo, exec_lo, s7
	s_cbranch_vccnz .LBB70_2553
.LBB70_2552:
	global_load_u8 v1, v[8:9], off
	s_mov_b32 s9, -1
	s_wait_loadcnt 0x0
	v_cmp_ne_u16_e32 vcc_lo, 0, v1
	v_cndmask_b32_e64 v1, 0, 1.0, vcc_lo
.LBB70_2553:
	s_mov_b32 s0, 0
.LBB70_2554:
	s_delay_alu instid0(SALU_CYCLE_1)
	s_and_b32 vcc_lo, exec_lo, s0
	s_cbranch_vccz .LBB70_2603
; %bb.2555:
	s_and_b32 s0, 0xffff, s1
	s_delay_alu instid0(SALU_CYCLE_1)
	s_cmp_lt_i32 s0, 5
	s_cbranch_scc1 .LBB70_2560
; %bb.2556:
	s_cmp_lt_i32 s0, 8
	s_cbranch_scc1 .LBB70_2561
; %bb.2557:
	;; [unrolled: 3-line block ×3, first 2 shown]
	s_cmp_gt_i32 s0, 9
	s_cbranch_scc0 .LBB70_2563
; %bb.2559:
	global_load_b64 v[10:11], v[8:9], off
	s_mov_b32 s1, 0
	s_wait_loadcnt 0x0
	v_cvt_f32_f64_e32 v1, v[10:11]
	s_branch .LBB70_2564
.LBB70_2560:
	s_mov_b32 s1, -1
                                        ; implicit-def: $vgpr1
	s_branch .LBB70_2582
.LBB70_2561:
	s_mov_b32 s1, -1
                                        ; implicit-def: $vgpr1
	s_branch .LBB70_2570
.LBB70_2562:
	s_mov_b32 s1, -1
                                        ; implicit-def: $vgpr1
	s_branch .LBB70_2567
.LBB70_2563:
	s_mov_b32 s1, -1
                                        ; implicit-def: $vgpr1
.LBB70_2564:
	s_delay_alu instid0(SALU_CYCLE_1)
	s_and_not1_b32 vcc_lo, exec_lo, s1
	s_cbranch_vccnz .LBB70_2566
; %bb.2565:
	global_load_b32 v1, v[8:9], off
.LBB70_2566:
	s_mov_b32 s1, 0
.LBB70_2567:
	s_delay_alu instid0(SALU_CYCLE_1)
	s_and_not1_b32 vcc_lo, exec_lo, s1
	s_cbranch_vccnz .LBB70_2569
; %bb.2568:
	s_wait_loadcnt 0x0
	global_load_b32 v1, v[8:9], off
	s_wait_loadcnt 0x0
	v_cvt_f32_f16_e32 v1, v1
.LBB70_2569:
	s_mov_b32 s1, 0
.LBB70_2570:
	s_delay_alu instid0(SALU_CYCLE_1)
	s_and_not1_b32 vcc_lo, exec_lo, s1
	s_cbranch_vccnz .LBB70_2581
; %bb.2571:
	s_cmp_lt_i32 s0, 6
	s_cbranch_scc1 .LBB70_2574
; %bb.2572:
	s_cmp_gt_i32 s0, 6
	s_cbranch_scc0 .LBB70_2575
; %bb.2573:
	global_load_b64 v[10:11], v[8:9], off
	s_mov_b32 s1, 0
	s_wait_loadcnt 0x0
	v_cvt_f32_f64_e32 v1, v[10:11]
	s_branch .LBB70_2576
.LBB70_2574:
	s_mov_b32 s1, -1
                                        ; implicit-def: $vgpr1
	s_branch .LBB70_2579
.LBB70_2575:
	s_mov_b32 s1, -1
                                        ; implicit-def: $vgpr1
.LBB70_2576:
	s_delay_alu instid0(SALU_CYCLE_1)
	s_and_not1_b32 vcc_lo, exec_lo, s1
	s_cbranch_vccnz .LBB70_2578
; %bb.2577:
	s_wait_loadcnt 0x0
	global_load_b32 v1, v[8:9], off
.LBB70_2578:
	s_mov_b32 s1, 0
.LBB70_2579:
	s_delay_alu instid0(SALU_CYCLE_1)
	s_and_not1_b32 vcc_lo, exec_lo, s1
	s_cbranch_vccnz .LBB70_2581
; %bb.2580:
	s_wait_loadcnt 0x0
	global_load_u16 v1, v[8:9], off
	s_wait_loadcnt 0x0
	v_cvt_f32_f16_e32 v1, v1
.LBB70_2581:
	s_mov_b32 s1, 0
.LBB70_2582:
	s_delay_alu instid0(SALU_CYCLE_1)
	s_and_not1_b32 vcc_lo, exec_lo, s1
	s_cbranch_vccnz .LBB70_2602
; %bb.2583:
	s_cmp_lt_i32 s0, 2
	s_cbranch_scc1 .LBB70_2587
; %bb.2584:
	s_cmp_lt_i32 s0, 3
	s_cbranch_scc1 .LBB70_2588
; %bb.2585:
	s_cmp_gt_i32 s0, 3
	s_cbranch_scc0 .LBB70_2589
; %bb.2586:
	global_load_b64 v[10:11], v[8:9], off
	s_mov_b32 s1, 0
	s_wait_loadcnt 0x0
	v_xor_b32_e32 v1, v10, v11
	v_cls_i32_e32 v3, v11
	s_delay_alu instid0(VALU_DEP_2) | instskip(NEXT) | instid1(VALU_DEP_1)
	v_ashrrev_i32_e32 v1, 31, v1
	v_add_nc_u32_e32 v1, 32, v1
	s_delay_alu instid0(VALU_DEP_1) | instskip(NEXT) | instid1(VALU_DEP_1)
	v_add_min_u32_e64 v1, v3, -1, v1
	v_lshlrev_b64_e32 v[10:11], v1, v[10:11]
	v_sub_nc_u32_e32 v1, 32, v1
	s_delay_alu instid0(VALU_DEP_2) | instskip(NEXT) | instid1(VALU_DEP_1)
	v_min_u32_e32 v3, 1, v10
	v_or_b32_e32 v3, v11, v3
	s_delay_alu instid0(VALU_DEP_1) | instskip(NEXT) | instid1(VALU_DEP_1)
	v_cvt_f32_i32_e32 v3, v3
	v_ldexp_f32 v1, v3, v1
	s_branch .LBB70_2590
.LBB70_2587:
	s_mov_b32 s1, -1
                                        ; implicit-def: $vgpr1
	s_branch .LBB70_2596
.LBB70_2588:
	s_mov_b32 s1, -1
                                        ; implicit-def: $vgpr1
	s_branch .LBB70_2593
.LBB70_2589:
	s_mov_b32 s1, -1
                                        ; implicit-def: $vgpr1
.LBB70_2590:
	s_delay_alu instid0(SALU_CYCLE_1)
	s_and_not1_b32 vcc_lo, exec_lo, s1
	s_cbranch_vccnz .LBB70_2592
; %bb.2591:
	s_wait_loadcnt 0x0
	global_load_b32 v1, v[8:9], off
	s_wait_loadcnt 0x0
	v_cvt_f32_i32_e32 v1, v1
.LBB70_2592:
	s_mov_b32 s1, 0
.LBB70_2593:
	s_delay_alu instid0(SALU_CYCLE_1)
	s_and_not1_b32 vcc_lo, exec_lo, s1
	s_cbranch_vccnz .LBB70_2595
; %bb.2594:
	s_wait_loadcnt 0x0
	global_load_i16 v1, v[8:9], off
	s_wait_loadcnt 0x0
	v_cvt_f32_i32_e32 v1, v1
.LBB70_2595:
	s_mov_b32 s1, 0
.LBB70_2596:
	s_delay_alu instid0(SALU_CYCLE_1)
	s_and_not1_b32 vcc_lo, exec_lo, s1
	s_cbranch_vccnz .LBB70_2602
; %bb.2597:
	s_cmp_gt_i32 s0, 0
	s_mov_b32 s0, 0
	s_cbranch_scc0 .LBB70_2599
; %bb.2598:
	s_wait_loadcnt 0x0
	global_load_i8 v1, v[8:9], off
	s_wait_loadcnt 0x0
	v_cvt_f32_i32_e32 v1, v1
	s_branch .LBB70_2600
.LBB70_2599:
	s_mov_b32 s0, -1
                                        ; implicit-def: $vgpr1
.LBB70_2600:
	s_delay_alu instid0(SALU_CYCLE_1)
	s_and_not1_b32 vcc_lo, exec_lo, s0
	s_cbranch_vccnz .LBB70_2602
; %bb.2601:
	s_wait_loadcnt 0x0
	global_load_u8 v1, v[8:9], off
	s_wait_loadcnt 0x0
	v_cvt_f32_ubyte0_e32 v1, v1
.LBB70_2602:
	s_mov_b32 s9, -1
.LBB70_2603:
	s_delay_alu instid0(SALU_CYCLE_1)
	s_and_not1_b32 vcc_lo, exec_lo, s9
	s_cbranch_vccnz .LBB70_2684
; %bb.2604:
	s_wait_loadcnt 0x0
	s_delay_alu instid0(VALU_DEP_1) | instskip(SKIP_2) | instid1(VALU_DEP_1)
	v_mul_f32_e32 v1, s11, v1
	s_mov_b32 s0, exec_lo
	s_wait_xcnt 0x0
	v_cmpx_nlt_f32_e32 s2, v1
	s_cbranch_execz .LBB70_2606
; %bb.2605:
	v_mul_f32_e32 v3, 0x3fb8aa3b, v1
	v_cmp_ngt_f32_e32 vcc_lo, 0xc2ce8ed0, v1
	s_delay_alu instid0(VALU_DEP_2) | instskip(SKIP_1) | instid1(VALU_DEP_2)
	v_rndne_f32_e32 v5, v3
	v_fma_f32 v7, 0x3fb8aa3b, v1, -v3
	v_sub_f32_e32 v3, v3, v5
	s_delay_alu instid0(VALU_DEP_2) | instskip(SKIP_1) | instid1(VALU_DEP_2)
	v_fmamk_f32 v7, v1, 0x32a5705f, v7
	v_cvt_i32_f32_e32 v5, v5
	v_add_f32_e32 v3, v3, v7
	s_delay_alu instid0(VALU_DEP_1) | instskip(SKIP_1) | instid1(TRANS32_DEP_1)
	v_exp_f32_e32 v3, v3
	v_nop
	v_ldexp_f32 v3, v3, v5
	s_delay_alu instid0(VALU_DEP_1) | instskip(SKIP_1) | instid1(VALU_DEP_2)
	v_cndmask_b32_e32 v3, 0, v3, vcc_lo
	v_cmp_nlt_f32_e32 vcc_lo, 0x42b17218, v1
	v_cndmask_b32_e32 v1, 0x7f800000, v3, vcc_lo
	s_delay_alu instid0(VALU_DEP_1) | instskip(NEXT) | instid1(VALU_DEP_1)
	v_dual_mul_f32 v3, v6, v1 :: v_dual_add_f32 v1, 1.0, v1
	v_div_scale_f32 v5, null, v1, v1, v3
	s_delay_alu instid0(VALU_DEP_1) | instskip(SKIP_1) | instid1(TRANS32_DEP_1)
	v_rcp_f32_e32 v6, v5
	v_nop
	v_fma_f32 v7, -v5, v6, 1.0
	s_delay_alu instid0(VALU_DEP_1) | instskip(SKIP_1) | instid1(VALU_DEP_1)
	v_fmac_f32_e32 v6, v7, v6
	v_div_scale_f32 v7, vcc_lo, v3, v1, v3
	v_mul_f32_e32 v8, v7, v6
	s_delay_alu instid0(VALU_DEP_1) | instskip(NEXT) | instid1(VALU_DEP_1)
	v_fma_f32 v9, -v5, v8, v7
	v_fmac_f32_e32 v8, v9, v6
	s_delay_alu instid0(VALU_DEP_1) | instskip(NEXT) | instid1(VALU_DEP_1)
	v_fma_f32 v5, -v5, v8, v7
	v_div_fmas_f32 v5, v5, v6, v8
	s_delay_alu instid0(VALU_DEP_1)
	v_div_fixup_f32 v6, v5, v1, v3
.LBB70_2606:
	s_or_b32 exec_lo, exec_lo, s0
	v_mul_lo_u32 v8, s8, v12
	s_and_b32 s18, s3, 0xff
	s_delay_alu instid0(SALU_CYCLE_1) | instskip(NEXT) | instid1(VALU_DEP_1)
	s_cmp_lt_i32 s18, 11
	v_ashrrev_i32_e32 v9, 31, v8
	s_delay_alu instid0(VALU_DEP_1)
	v_add_nc_u64_e32 v[10:11], s[4:5], v[8:9]
	s_cbranch_scc1 .LBB70_2729
; %bb.2607:
	s_and_b32 s1, 0xffff, s18
	s_mov_b32 s6, -1
	s_mov_b32 s2, 0
	s_cmp_gt_i32 s1, 25
	s_mov_b32 s3, 0
	s_mov_b32 s0, 0
	s_cbranch_scc0 .LBB70_2640
; %bb.2608:
	s_cmp_gt_i32 s1, 28
	s_cbranch_scc0 .LBB70_2623
; %bb.2609:
	s_cmp_gt_i32 s1, 43
	;; [unrolled: 3-line block ×3, first 2 shown]
	s_cbranch_scc0 .LBB70_2613
; %bb.2611:
	s_mov_b32 s0, -1
	s_mov_b32 s6, 0
	s_cmp_eq_u32 s1, 46
	s_cbranch_scc0 .LBB70_2613
; %bb.2612:
	v_bfe_u32 v1, v0, 16, 1
	v_cmp_o_f32_e32 vcc_lo, v0, v0
	s_mov_b32 s0, 0
	s_mov_b32 s3, -1
	s_delay_alu instid0(VALU_DEP_2) | instskip(NEXT) | instid1(VALU_DEP_1)
	v_add3_u32 v1, v0, v1, 0x7fff
	v_lshrrev_b32_e32 v1, 16, v1
	s_delay_alu instid0(VALU_DEP_1)
	v_cndmask_b32_e32 v1, 0x7fc0, v1, vcc_lo
	global_store_b32 v[10:11], v1, off
.LBB70_2613:
	s_and_b32 vcc_lo, exec_lo, s6
	s_cbranch_vccz .LBB70_2618
; %bb.2614:
	s_cmp_eq_u32 s1, 44
	s_mov_b32 s0, -1
	s_cbranch_scc0 .LBB70_2618
; %bb.2615:
	v_bfe_u32 v3, v0, 23, 8
	s_wait_xcnt 0x0
	v_mov_b32_e32 v1, 0xff
	s_mov_b32 s3, exec_lo
	s_delay_alu instid0(VALU_DEP_2)
	v_cmpx_ne_u32_e32 0xff, v3
	s_cbranch_execz .LBB70_2617
; %bb.2616:
	v_and_b32_e32 v1, 0x400000, v0
	v_and_or_b32 v3, 0x3fffff, v0, v3
	s_delay_alu instid0(VALU_DEP_2) | instskip(NEXT) | instid1(VALU_DEP_2)
	v_cmp_ne_u32_e32 vcc_lo, 0, v1
	v_cmp_ne_u32_e64 s0, 0, v3
	v_lshrrev_b32_e32 v1, 23, v0
	s_and_b32 s0, vcc_lo, s0
	s_delay_alu instid0(SALU_CYCLE_1) | instskip(NEXT) | instid1(VALU_DEP_1)
	v_cndmask_b32_e64 v3, 0, 1, s0
	v_add_nc_u32_e32 v1, v1, v3
.LBB70_2617:
	s_or_b32 exec_lo, exec_lo, s3
	s_mov_b32 s0, 0
	s_mov_b32 s3, -1
	global_store_b8 v[10:11], v1, off
.LBB70_2618:
	s_mov_b32 s6, 0
.LBB70_2619:
	s_delay_alu instid0(SALU_CYCLE_1)
	s_and_b32 vcc_lo, exec_lo, s6
	s_cbranch_vccz .LBB70_2622
; %bb.2620:
	s_cmp_eq_u32 s1, 29
	s_mov_b32 s0, -1
	s_cbranch_scc0 .LBB70_2622
; %bb.2621:
	s_wait_xcnt 0x0
	v_trunc_f32_e32 v1, v0
	s_mov_b32 s0, 0
	s_mov_b32 s3, -1
	s_delay_alu instid0(VALU_DEP_1) | instskip(NEXT) | instid1(VALU_DEP_1)
	v_mul_f32_e32 v3, 0x2f800000, v1
	v_floor_f32_e32 v3, v3
	s_delay_alu instid0(VALU_DEP_1) | instskip(SKIP_1) | instid1(VALU_DEP_2)
	v_fmamk_f32 v1, v3, 0xcf800000, v1
	v_cvt_u32_f32_e32 v13, v3
	v_cvt_u32_f32_e32 v12, v1
	global_store_b64 v[10:11], v[12:13], off
.LBB70_2622:
	s_mov_b32 s6, 0
.LBB70_2623:
	s_delay_alu instid0(SALU_CYCLE_1)
	s_and_b32 vcc_lo, exec_lo, s6
	s_cbranch_vccz .LBB70_2639
; %bb.2624:
	s_cmp_lt_i32 s1, 27
	s_mov_b32 s3, -1
	s_cbranch_scc1 .LBB70_2630
; %bb.2625:
	s_wait_xcnt 0x0
	v_cvt_u32_f32_e32 v1, v0
	s_cmp_gt_i32 s1, 27
	s_cbranch_scc0 .LBB70_2627
; %bb.2626:
	s_mov_b32 s3, 0
	global_store_b32 v[10:11], v1, off
.LBB70_2627:
	s_and_not1_b32 vcc_lo, exec_lo, s3
	s_cbranch_vccnz .LBB70_2629
; %bb.2628:
	global_store_b16 v[10:11], v1, off
.LBB70_2629:
	s_mov_b32 s3, 0
.LBB70_2630:
	s_delay_alu instid0(SALU_CYCLE_1)
	s_and_not1_b32 vcc_lo, exec_lo, s3
	s_cbranch_vccnz .LBB70_2638
; %bb.2631:
	s_wait_xcnt 0x0
	v_and_b32_e32 v1, 0x7fffffff, v0
	v_mov_b32_e32 v3, 0x80
	s_mov_b32 s3, exec_lo
	s_delay_alu instid0(VALU_DEP_2)
	v_cmpx_gt_u32_e32 0x43800000, v1
	s_cbranch_execz .LBB70_2637
; %bb.2632:
	v_cmp_lt_u32_e32 vcc_lo, 0x3bffffff, v1
	s_mov_b32 s6, 0
                                        ; implicit-def: $vgpr1
	s_and_saveexec_b32 s7, vcc_lo
	s_delay_alu instid0(SALU_CYCLE_1)
	s_xor_b32 s7, exec_lo, s7
	s_cbranch_execz .LBB70_3087
; %bb.2633:
	v_bfe_u32 v1, v0, 20, 1
	s_mov_b32 s6, exec_lo
	s_delay_alu instid0(VALU_DEP_1) | instskip(NEXT) | instid1(VALU_DEP_1)
	v_add3_u32 v1, v0, v1, 0x487ffff
	v_lshrrev_b32_e32 v1, 20, v1
	s_and_not1_saveexec_b32 s7, s7
	s_cbranch_execnz .LBB70_3088
.LBB70_2634:
	s_or_b32 exec_lo, exec_lo, s7
	v_mov_b32_e32 v3, 0
	s_and_saveexec_b32 s7, s6
.LBB70_2635:
	v_lshrrev_b32_e32 v3, 24, v0
	s_delay_alu instid0(VALU_DEP_1)
	v_and_or_b32 v3, 0x80, v3, v1
.LBB70_2636:
	s_or_b32 exec_lo, exec_lo, s7
.LBB70_2637:
	s_delay_alu instid0(SALU_CYCLE_1)
	s_or_b32 exec_lo, exec_lo, s3
	global_store_b8 v[10:11], v3, off
.LBB70_2638:
	s_mov_b32 s3, -1
.LBB70_2639:
	s_mov_b32 s6, 0
.LBB70_2640:
	s_delay_alu instid0(SALU_CYCLE_1)
	s_and_b32 vcc_lo, exec_lo, s6
	s_cbranch_vccz .LBB70_2680
; %bb.2641:
	s_cmp_gt_i32 s1, 22
	s_mov_b32 s2, -1
	s_cbranch_scc0 .LBB70_2673
; %bb.2642:
	s_cmp_lt_i32 s1, 24
	s_cbranch_scc1 .LBB70_2662
; %bb.2643:
	s_cmp_gt_i32 s1, 24
	s_cbranch_scc0 .LBB70_2651
; %bb.2644:
	s_wait_xcnt 0x0
	v_and_b32_e32 v1, 0x7fffffff, v0
	v_mov_b32_e32 v3, 0x80
	s_mov_b32 s2, exec_lo
	s_delay_alu instid0(VALU_DEP_2)
	v_cmpx_gt_u32_e32 0x47800000, v1
	s_cbranch_execz .LBB70_2650
; %bb.2645:
	v_cmp_lt_u32_e32 vcc_lo, 0x37ffffff, v1
	s_mov_b32 s3, 0
                                        ; implicit-def: $vgpr1
	s_and_saveexec_b32 s6, vcc_lo
	s_delay_alu instid0(SALU_CYCLE_1)
	s_xor_b32 s6, exec_lo, s6
	s_cbranch_execz .LBB70_3090
; %bb.2646:
	v_bfe_u32 v1, v0, 21, 1
	s_mov_b32 s3, exec_lo
	s_delay_alu instid0(VALU_DEP_1) | instskip(NEXT) | instid1(VALU_DEP_1)
	v_add3_u32 v1, v0, v1, 0x88fffff
	v_lshrrev_b32_e32 v1, 21, v1
	s_and_not1_saveexec_b32 s6, s6
	s_cbranch_execnz .LBB70_3091
.LBB70_2647:
	s_or_b32 exec_lo, exec_lo, s6
	v_mov_b32_e32 v3, 0
	s_and_saveexec_b32 s6, s3
.LBB70_2648:
	v_lshrrev_b32_e32 v3, 24, v0
	s_delay_alu instid0(VALU_DEP_1)
	v_and_or_b32 v3, 0x80, v3, v1
.LBB70_2649:
	s_or_b32 exec_lo, exec_lo, s6
.LBB70_2650:
	s_delay_alu instid0(SALU_CYCLE_1)
	s_or_b32 exec_lo, exec_lo, s2
	s_mov_b32 s2, 0
	global_store_b8 v[10:11], v3, off
.LBB70_2651:
	s_and_b32 vcc_lo, exec_lo, s2
	s_cbranch_vccz .LBB70_2661
; %bb.2652:
	s_wait_xcnt 0x0
	v_and_b32_e32 v3, 0x7fffffff, v0
	s_mov_b32 s2, exec_lo
                                        ; implicit-def: $vgpr1
	s_delay_alu instid0(VALU_DEP_1)
	v_cmpx_gt_u32_e32 0x43f00000, v3
	s_xor_b32 s2, exec_lo, s2
	s_cbranch_execz .LBB70_2658
; %bb.2653:
	s_mov_b32 s3, exec_lo
                                        ; implicit-def: $vgpr1
	v_cmpx_lt_u32_e32 0x3c7fffff, v3
	s_xor_b32 s3, exec_lo, s3
; %bb.2654:
	v_bfe_u32 v1, v0, 20, 1
	s_delay_alu instid0(VALU_DEP_1) | instskip(NEXT) | instid1(VALU_DEP_1)
	v_add3_u32 v1, v0, v1, 0x407ffff
	v_and_b32_e32 v3, 0xff00000, v1
	v_lshrrev_b32_e32 v1, 20, v1
	s_delay_alu instid0(VALU_DEP_2) | instskip(NEXT) | instid1(VALU_DEP_2)
	v_cmp_ne_u32_e32 vcc_lo, 0x7f00000, v3
	v_cndmask_b32_e32 v1, 0x7e, v1, vcc_lo
; %bb.2655:
	s_and_not1_saveexec_b32 s3, s3
; %bb.2656:
	v_add_f32_e64 v1, 0x46800000, |v0|
; %bb.2657:
	s_or_b32 exec_lo, exec_lo, s3
                                        ; implicit-def: $vgpr3
.LBB70_2658:
	s_and_not1_saveexec_b32 s2, s2
; %bb.2659:
	v_mov_b32_e32 v1, 0x7f
	v_cmp_lt_u32_e32 vcc_lo, 0x7f800000, v3
	s_delay_alu instid0(VALU_DEP_2)
	v_cndmask_b32_e32 v1, 0x7e, v1, vcc_lo
; %bb.2660:
	s_or_b32 exec_lo, exec_lo, s2
	v_lshrrev_b32_e32 v3, 24, v0
	s_delay_alu instid0(VALU_DEP_1)
	v_and_or_b32 v1, 0x80, v3, v1
	global_store_b8 v[10:11], v1, off
.LBB70_2661:
	s_mov_b32 s2, 0
.LBB70_2662:
	s_delay_alu instid0(SALU_CYCLE_1)
	s_and_not1_b32 vcc_lo, exec_lo, s2
	s_cbranch_vccnz .LBB70_2672
; %bb.2663:
	s_wait_xcnt 0x0
	v_and_b32_e32 v3, 0x7fffffff, v0
	s_mov_b32 s2, exec_lo
                                        ; implicit-def: $vgpr1
	s_delay_alu instid0(VALU_DEP_1)
	v_cmpx_gt_u32_e32 0x47800000, v3
	s_xor_b32 s2, exec_lo, s2
	s_cbranch_execz .LBB70_2669
; %bb.2664:
	s_mov_b32 s3, exec_lo
                                        ; implicit-def: $vgpr1
	v_cmpx_lt_u32_e32 0x387fffff, v3
	s_xor_b32 s3, exec_lo, s3
; %bb.2665:
	v_bfe_u32 v1, v0, 21, 1
	s_delay_alu instid0(VALU_DEP_1) | instskip(NEXT) | instid1(VALU_DEP_1)
	v_add3_u32 v1, v0, v1, 0x80fffff
	v_lshrrev_b32_e32 v1, 21, v1
; %bb.2666:
	s_and_not1_saveexec_b32 s3, s3
; %bb.2667:
	v_add_f32_e64 v1, 0x43000000, |v0|
; %bb.2668:
	s_or_b32 exec_lo, exec_lo, s3
                                        ; implicit-def: $vgpr3
.LBB70_2669:
	s_and_not1_saveexec_b32 s2, s2
; %bb.2670:
	v_mov_b32_e32 v1, 0x7f
	v_cmp_lt_u32_e32 vcc_lo, 0x7f800000, v3
	s_delay_alu instid0(VALU_DEP_2)
	v_cndmask_b32_e32 v1, 0x7c, v1, vcc_lo
; %bb.2671:
	s_or_b32 exec_lo, exec_lo, s2
	v_lshrrev_b32_e32 v3, 24, v0
	s_delay_alu instid0(VALU_DEP_1)
	v_and_or_b32 v1, 0x80, v3, v1
	global_store_b8 v[10:11], v1, off
.LBB70_2672:
	s_mov_b32 s2, 0
	s_mov_b32 s3, -1
.LBB70_2673:
	s_and_not1_b32 vcc_lo, exec_lo, s2
	s_mov_b32 s2, 0
	s_cbranch_vccnz .LBB70_2680
; %bb.2674:
	s_cmp_gt_i32 s1, 14
	s_mov_b32 s2, -1
	s_cbranch_scc0 .LBB70_2678
; %bb.2675:
	s_cmp_eq_u32 s1, 15
	s_mov_b32 s0, -1
	s_cbranch_scc0 .LBB70_2677
; %bb.2676:
	s_wait_xcnt 0x0
	v_bfe_u32 v1, v0, 16, 1
	v_cmp_o_f32_e32 vcc_lo, v0, v0
	s_mov_b32 s0, 0
	s_mov_b32 s3, -1
	s_delay_alu instid0(VALU_DEP_2) | instskip(NEXT) | instid1(VALU_DEP_1)
	v_add3_u32 v1, v0, v1, 0x7fff
	v_lshrrev_b32_e32 v1, 16, v1
	s_delay_alu instid0(VALU_DEP_1)
	v_cndmask_b32_e32 v1, 0x7fc0, v1, vcc_lo
	global_store_b16 v[10:11], v1, off
.LBB70_2677:
	s_mov_b32 s2, 0
.LBB70_2678:
	s_delay_alu instid0(SALU_CYCLE_1)
	s_and_b32 vcc_lo, exec_lo, s2
	s_mov_b32 s2, 0
	s_cbranch_vccz .LBB70_2680
; %bb.2679:
	s_cmp_lg_u32 s1, 11
	s_mov_b32 s2, -1
	s_cselect_b32 s0, -1, 0
.LBB70_2680:
	s_delay_alu instid0(SALU_CYCLE_1)
	s_and_b32 vcc_lo, exec_lo, s0
	s_cbranch_vccnz .LBB70_3089
; %bb.2681:
	s_and_not1_b32 vcc_lo, exec_lo, s2
	s_cbranch_vccnz .LBB70_2683
.LBB70_2682:
	v_cmp_neq_f32_e32 vcc_lo, 0, v0
	s_mov_b32 s3, -1
	s_wait_xcnt 0x0
	v_cndmask_b32_e64 v1, 0, 1, vcc_lo
	global_store_b8 v[10:11], v1, off
.LBB70_2683:
	s_mov_b32 s0, 0
	s_branch .LBB70_2730
.LBB70_2684:
	s_mov_b32 s0, 0
	s_mov_b32 s2, 0
                                        ; implicit-def: $sgpr18
                                        ; implicit-def: $vgpr0_vgpr1
                                        ; implicit-def: $vgpr6
.LBB70_2685:
	s_and_not1_b32 s1, s17, exec_lo
	s_and_b32 s3, s14, exec_lo
	s_and_b32 s0, s0, exec_lo
	;; [unrolled: 1-line block ×3, first 2 shown]
	s_or_b32 s17, s1, s3
.LBB70_2686:
	s_wait_xcnt 0x0
	s_or_b32 exec_lo, exec_lo, s16
	s_and_saveexec_b32 s1, s17
	s_cbranch_execz .LBB70_2689
; %bb.2687:
	; divergent unreachable
	s_or_b32 exec_lo, exec_lo, s1
	s_and_saveexec_b32 s1, s14
	s_delay_alu instid0(SALU_CYCLE_1)
	s_xor_b32 s1, exec_lo, s1
	s_cbranch_execnz .LBB70_2690
.LBB70_2688:
	s_or_b32 exec_lo, exec_lo, s1
	s_and_saveexec_b32 s1, s0
	s_cbranch_execnz .LBB70_2691
	s_branch .LBB70_2728
.LBB70_2689:
	s_or_b32 exec_lo, exec_lo, s1
	s_and_saveexec_b32 s1, s14
	s_delay_alu instid0(SALU_CYCLE_1)
	s_xor_b32 s1, exec_lo, s1
	s_cbranch_execz .LBB70_2688
.LBB70_2690:
	s_wait_loadcnt 0x0
	s_delay_alu instid0(VALU_DEP_1)
	v_cmp_neq_f32_e32 vcc_lo, 0, v6
	v_cndmask_b32_e64 v2, 0, 1, vcc_lo
	global_store_b8 v[0:1], v2, off
	s_wait_xcnt 0x0
	s_or_b32 exec_lo, exec_lo, s1
	s_and_saveexec_b32 s1, s0
	s_cbranch_execz .LBB70_2728
.LBB70_2691:
	s_sext_i32_i16 s1, s18
	s_mov_b32 s0, -1
	s_cmp_lt_i32 s1, 5
	s_cbranch_scc1 .LBB70_2712
; %bb.2692:
	s_cmp_lt_i32 s1, 8
	s_cbranch_scc1 .LBB70_2702
; %bb.2693:
	s_cmp_lt_i32 s1, 9
	s_cbranch_scc1 .LBB70_2699
; %bb.2694:
	s_cmp_gt_i32 s1, 9
	s_cbranch_scc0 .LBB70_2696
; %bb.2695:
	s_wait_loadcnt 0x0
	v_cvt_f64_f32_e32 v[2:3], v6
	v_mov_b32_e32 v4, 0
	s_mov_b32 s0, 0
	s_delay_alu instid0(VALU_DEP_1)
	v_mov_b32_e32 v5, v4
	global_store_b128 v[0:1], v[2:5], off
.LBB70_2696:
	s_and_not1_b32 vcc_lo, exec_lo, s0
	s_cbranch_vccnz .LBB70_2698
; %bb.2697:
	v_mov_b32_e32 v7, 0
	s_wait_loadcnt 0x0
	global_store_b64 v[0:1], v[6:7], off
.LBB70_2698:
	s_mov_b32 s0, 0
.LBB70_2699:
	s_delay_alu instid0(SALU_CYCLE_1)
	s_and_not1_b32 vcc_lo, exec_lo, s0
	s_cbranch_vccnz .LBB70_2701
; %bb.2700:
	s_wait_loadcnt 0x0
	v_cvt_f16_f32_e32 v2, v6
	s_delay_alu instid0(VALU_DEP_1)
	v_and_b32_e32 v2, 0xffff, v2
	global_store_b32 v[0:1], v2, off
.LBB70_2701:
	s_mov_b32 s0, 0
.LBB70_2702:
	s_delay_alu instid0(SALU_CYCLE_1)
	s_and_not1_b32 vcc_lo, exec_lo, s0
	s_cbranch_vccnz .LBB70_2711
; %bb.2703:
	s_sext_i32_i16 s1, s18
	s_mov_b32 s0, -1
	s_cmp_lt_i32 s1, 6
	s_cbranch_scc1 .LBB70_2709
; %bb.2704:
	s_cmp_gt_i32 s1, 6
	s_cbranch_scc0 .LBB70_2706
; %bb.2705:
	s_wait_loadcnt 0x0
	v_cvt_f64_f32_e32 v[2:3], v6
	s_mov_b32 s0, 0
	global_store_b64 v[0:1], v[2:3], off
.LBB70_2706:
	s_and_not1_b32 vcc_lo, exec_lo, s0
	s_cbranch_vccnz .LBB70_2708
; %bb.2707:
	s_wait_loadcnt 0x0
	global_store_b32 v[0:1], v6, off
.LBB70_2708:
	s_mov_b32 s0, 0
.LBB70_2709:
	s_delay_alu instid0(SALU_CYCLE_1)
	s_and_not1_b32 vcc_lo, exec_lo, s0
	s_cbranch_vccnz .LBB70_2711
; %bb.2710:
	s_wait_loadcnt 0x0
	v_cvt_f16_f32_e32 v2, v6
	global_store_b16 v[0:1], v2, off
.LBB70_2711:
	s_mov_b32 s0, 0
.LBB70_2712:
	s_delay_alu instid0(SALU_CYCLE_1)
	s_and_not1_b32 vcc_lo, exec_lo, s0
	s_cbranch_vccnz .LBB70_2728
; %bb.2713:
	s_sext_i32_i16 s1, s18
	s_mov_b32 s0, -1
	s_cmp_lt_i32 s1, 2
	s_cbranch_scc1 .LBB70_2723
; %bb.2714:
	s_cmp_lt_i32 s1, 3
	s_cbranch_scc1 .LBB70_2720
; %bb.2715:
	s_cmp_gt_i32 s1, 3
	s_cbranch_scc0 .LBB70_2717
; %bb.2716:
	s_wait_loadcnt 0x0
	v_trunc_f32_e32 v2, v6
	s_mov_b32 s0, 0
	s_delay_alu instid0(VALU_DEP_1) | instskip(NEXT) | instid1(VALU_DEP_1)
	v_mul_f32_e64 v3, 0x2f800000, |v2|
	v_floor_f32_e32 v3, v3
	s_delay_alu instid0(VALU_DEP_1) | instskip(SKIP_2) | instid1(VALU_DEP_3)
	v_fma_f32 v4, 0xcf800000, v3, |v2|
	v_ashrrev_i32_e32 v2, 31, v2
	v_cvt_u32_f32_e32 v5, v3
	v_cvt_u32_f32_e32 v4, v4
	s_delay_alu instid0(VALU_DEP_2) | instskip(NEXT) | instid1(VALU_DEP_2)
	v_dual_mov_b32 v3, v2 :: v_dual_bitop2_b32 v5, v5, v2 bitop3:0x14
	v_xor_b32_e32 v4, v4, v2
	s_delay_alu instid0(VALU_DEP_1)
	v_sub_nc_u64_e32 v[2:3], v[4:5], v[2:3]
	global_store_b64 v[0:1], v[2:3], off
.LBB70_2717:
	s_and_not1_b32 vcc_lo, exec_lo, s0
	s_cbranch_vccnz .LBB70_2719
; %bb.2718:
	s_wait_loadcnt 0x0
	v_cvt_i32_f32_e32 v2, v6
	global_store_b32 v[0:1], v2, off
.LBB70_2719:
	s_mov_b32 s0, 0
.LBB70_2720:
	s_delay_alu instid0(SALU_CYCLE_1)
	s_and_not1_b32 vcc_lo, exec_lo, s0
	s_cbranch_vccnz .LBB70_2722
; %bb.2721:
	s_wait_loadcnt 0x0
	v_cvt_i32_f32_e32 v2, v6
	global_store_b16 v[0:1], v2, off
.LBB70_2722:
	s_mov_b32 s0, 0
.LBB70_2723:
	s_delay_alu instid0(SALU_CYCLE_1)
	s_and_not1_b32 vcc_lo, exec_lo, s0
	s_cbranch_vccnz .LBB70_2728
; %bb.2724:
	s_sext_i32_i16 s0, s18
	s_delay_alu instid0(SALU_CYCLE_1)
	s_cmp_gt_i32 s0, 0
	s_mov_b32 s0, -1
	s_cbranch_scc0 .LBB70_2726
; %bb.2725:
	s_wait_loadcnt 0x0
	v_cvt_i32_f32_e32 v2, v6
	s_mov_b32 s0, 0
	global_store_b8 v[0:1], v2, off
.LBB70_2726:
	s_and_not1_b32 vcc_lo, exec_lo, s0
	s_cbranch_vccnz .LBB70_2728
; %bb.2727:
	s_wait_loadcnt 0x0
	v_trunc_f32_e32 v2, v6
	s_delay_alu instid0(VALU_DEP_1) | instskip(NEXT) | instid1(VALU_DEP_1)
	v_mul_f32_e64 v3, 0x2f800000, |v2|
	v_floor_f32_e32 v3, v3
	s_delay_alu instid0(VALU_DEP_1) | instskip(SKIP_1) | instid1(VALU_DEP_2)
	v_fma_f32 v3, 0xcf800000, v3, |v2|
	v_ashrrev_i32_e32 v2, 31, v2
	v_cvt_u32_f32_e32 v3, v3
	s_delay_alu instid0(VALU_DEP_1) | instskip(NEXT) | instid1(VALU_DEP_1)
	v_xor_b32_e32 v3, v3, v2
	v_sub_nc_u32_e32 v2, v3, v2
	global_store_b8 v[0:1], v2, off
	s_endpgm
.LBB70_2728:
	s_endpgm
.LBB70_2729:
	s_mov_b32 s0, -1
	s_mov_b32 s3, 0
.LBB70_2730:
	s_and_b32 vcc_lo, exec_lo, s0
	s_cbranch_vccz .LBB70_2769
; %bb.2731:
	s_and_b32 s0, 0xffff, s18
	s_mov_b32 s1, -1
	s_cmp_lt_i32 s0, 5
	s_cbranch_scc1 .LBB70_2752
; %bb.2732:
	s_cmp_lt_i32 s0, 8
	s_cbranch_scc1 .LBB70_2742
; %bb.2733:
	s_cmp_lt_i32 s0, 9
	s_cbranch_scc1 .LBB70_2739
; %bb.2734:
	s_cmp_gt_i32 s0, 9
	s_cbranch_scc0 .LBB70_2736
; %bb.2735:
	s_wait_xcnt 0x0
	v_cvt_f64_f32_e32 v[12:13], v0
	v_mov_b32_e32 v14, 0
	s_mov_b32 s1, 0
	s_delay_alu instid0(VALU_DEP_1)
	v_mov_b32_e32 v15, v14
	global_store_b128 v[10:11], v[12:15], off
.LBB70_2736:
	s_and_not1_b32 vcc_lo, exec_lo, s1
	s_cbranch_vccnz .LBB70_2738
; %bb.2737:
	s_wait_xcnt 0x0
	v_mov_b32_e32 v1, 0
	global_store_b64 v[10:11], v[0:1], off
.LBB70_2738:
	s_mov_b32 s1, 0
.LBB70_2739:
	s_delay_alu instid0(SALU_CYCLE_1)
	s_and_not1_b32 vcc_lo, exec_lo, s1
	s_cbranch_vccnz .LBB70_2741
; %bb.2740:
	s_wait_xcnt 0x0
	v_cvt_f16_f32_e32 v1, v0
	s_delay_alu instid0(VALU_DEP_1)
	v_and_b32_e32 v1, 0xffff, v1
	global_store_b32 v[10:11], v1, off
.LBB70_2741:
	s_mov_b32 s1, 0
.LBB70_2742:
	s_delay_alu instid0(SALU_CYCLE_1)
	s_and_not1_b32 vcc_lo, exec_lo, s1
	s_cbranch_vccnz .LBB70_2751
; %bb.2743:
	s_cmp_lt_i32 s0, 6
	s_mov_b32 s1, -1
	s_cbranch_scc1 .LBB70_2749
; %bb.2744:
	s_cmp_gt_i32 s0, 6
	s_cbranch_scc0 .LBB70_2746
; %bb.2745:
	s_wait_xcnt 0x0
	v_cvt_f64_f32_e32 v[12:13], v0
	s_mov_b32 s1, 0
	global_store_b64 v[10:11], v[12:13], off
.LBB70_2746:
	s_and_not1_b32 vcc_lo, exec_lo, s1
	s_cbranch_vccnz .LBB70_2748
; %bb.2747:
	global_store_b32 v[10:11], v0, off
.LBB70_2748:
	s_mov_b32 s1, 0
.LBB70_2749:
	s_delay_alu instid0(SALU_CYCLE_1)
	s_and_not1_b32 vcc_lo, exec_lo, s1
	s_cbranch_vccnz .LBB70_2751
; %bb.2750:
	s_wait_xcnt 0x0
	v_cvt_f16_f32_e32 v1, v0
	global_store_b16 v[10:11], v1, off
.LBB70_2751:
	s_mov_b32 s1, 0
.LBB70_2752:
	s_delay_alu instid0(SALU_CYCLE_1)
	s_and_not1_b32 vcc_lo, exec_lo, s1
	s_cbranch_vccnz .LBB70_2768
; %bb.2753:
	s_cmp_lt_i32 s0, 2
	s_mov_b32 s1, -1
	s_cbranch_scc1 .LBB70_2763
; %bb.2754:
	s_cmp_lt_i32 s0, 3
	s_cbranch_scc1 .LBB70_2760
; %bb.2755:
	s_cmp_gt_i32 s0, 3
	s_cbranch_scc0 .LBB70_2757
; %bb.2756:
	s_wait_xcnt 0x0
	v_trunc_f32_e32 v1, v0
	s_mov_b32 s1, 0
	s_delay_alu instid0(VALU_DEP_1) | instskip(SKIP_1) | instid1(VALU_DEP_2)
	v_mul_f32_e64 v3, 0x2f800000, |v1|
	v_ashrrev_i32_e32 v12, 31, v1
	v_floor_f32_e32 v3, v3
	s_delay_alu instid0(VALU_DEP_1) | instskip(SKIP_1) | instid1(VALU_DEP_4)
	v_fma_f32 v5, 0xcf800000, v3, |v1|
	v_cvt_u32_f32_e32 v1, v3
	v_mov_b32_e32 v13, v12
	s_delay_alu instid0(VALU_DEP_3) | instskip(NEXT) | instid1(VALU_DEP_3)
	v_cvt_u32_f32_e32 v3, v5
	v_xor_b32_e32 v15, v1, v12
	s_delay_alu instid0(VALU_DEP_2) | instskip(NEXT) | instid1(VALU_DEP_1)
	v_xor_b32_e32 v14, v3, v12
	v_sub_nc_u64_e32 v[12:13], v[14:15], v[12:13]
	global_store_b64 v[10:11], v[12:13], off
.LBB70_2757:
	s_and_not1_b32 vcc_lo, exec_lo, s1
	s_cbranch_vccnz .LBB70_2759
; %bb.2758:
	s_wait_xcnt 0x0
	v_cvt_i32_f32_e32 v1, v0
	global_store_b32 v[10:11], v1, off
.LBB70_2759:
	s_mov_b32 s1, 0
.LBB70_2760:
	s_delay_alu instid0(SALU_CYCLE_1)
	s_and_not1_b32 vcc_lo, exec_lo, s1
	s_cbranch_vccnz .LBB70_2762
; %bb.2761:
	s_wait_xcnt 0x0
	v_cvt_i32_f32_e32 v1, v0
	global_store_b16 v[10:11], v1, off
.LBB70_2762:
	s_mov_b32 s1, 0
.LBB70_2763:
	s_delay_alu instid0(SALU_CYCLE_1)
	s_and_not1_b32 vcc_lo, exec_lo, s1
	s_cbranch_vccnz .LBB70_2768
; %bb.2764:
	s_cmp_gt_i32 s0, 0
	s_mov_b32 s0, -1
	s_cbranch_scc0 .LBB70_2766
; %bb.2765:
	s_wait_xcnt 0x0
	v_cvt_i32_f32_e32 v1, v0
	s_mov_b32 s0, 0
	global_store_b8 v[10:11], v1, off
.LBB70_2766:
	s_and_not1_b32 vcc_lo, exec_lo, s0
	s_cbranch_vccnz .LBB70_2768
; %bb.2767:
	s_wait_xcnt 0x0
	v_trunc_f32_e32 v0, v0
	s_delay_alu instid0(VALU_DEP_1) | instskip(NEXT) | instid1(VALU_DEP_1)
	v_mul_f32_e64 v1, 0x2f800000, |v0|
	v_floor_f32_e32 v1, v1
	s_delay_alu instid0(VALU_DEP_1) | instskip(SKIP_1) | instid1(VALU_DEP_2)
	v_fma_f32 v1, 0xcf800000, v1, |v0|
	v_ashrrev_i32_e32 v0, 31, v0
	v_cvt_u32_f32_e32 v1, v1
	s_delay_alu instid0(VALU_DEP_1) | instskip(NEXT) | instid1(VALU_DEP_1)
	v_xor_b32_e32 v1, v1, v0
	v_sub_nc_u32_e32 v0, v1, v0
	global_store_b8 v[10:11], v0, off
.LBB70_2768:
	s_mov_b32 s3, -1
.LBB70_2769:
	s_delay_alu instid0(SALU_CYCLE_1)
	s_and_not1_b32 vcc_lo, exec_lo, s3
	s_cbranch_vccnz .LBB70_3084
; %bb.2770:
	s_lshl_b32 s1, s8, 7
	s_cmp_lt_i32 s18, 11
	s_wait_xcnt 0x0
	v_add_nc_u32_e32 v0, s1, v8
	s_delay_alu instid0(VALU_DEP_1) | instskip(NEXT) | instid1(VALU_DEP_1)
	v_ashrrev_i32_e32 v1, 31, v0
	v_add_nc_u64_e32 v[8:9], s[4:5], v[0:1]
	s_cbranch_scc1 .LBB70_2848
; %bb.2771:
	s_and_b32 s2, 0xffff, s18
	s_mov_b32 s7, -1
	s_mov_b32 s3, 0
	s_cmp_gt_i32 s2, 25
	s_mov_b32 s6, 0
	s_mov_b32 s0, 0
	s_cbranch_scc0 .LBB70_2804
; %bb.2772:
	s_cmp_gt_i32 s2, 28
	s_cbranch_scc0 .LBB70_2787
; %bb.2773:
	s_cmp_gt_i32 s2, 43
	;; [unrolled: 3-line block ×3, first 2 shown]
	s_cbranch_scc0 .LBB70_2777
; %bb.2775:
	s_mov_b32 s0, -1
	s_mov_b32 s7, 0
	s_cmp_eq_u32 s2, 46
	s_cbranch_scc0 .LBB70_2777
; %bb.2776:
	v_bfe_u32 v1, v2, 16, 1
	v_cmp_o_f32_e32 vcc_lo, v2, v2
	s_mov_b32 s0, 0
	s_mov_b32 s6, -1
	s_delay_alu instid0(VALU_DEP_2) | instskip(NEXT) | instid1(VALU_DEP_1)
	v_add3_u32 v1, v2, v1, 0x7fff
	v_lshrrev_b32_e32 v1, 16, v1
	s_delay_alu instid0(VALU_DEP_1)
	v_cndmask_b32_e32 v1, 0x7fc0, v1, vcc_lo
	global_store_b32 v[8:9], v1, off
.LBB70_2777:
	s_and_b32 vcc_lo, exec_lo, s7
	s_cbranch_vccz .LBB70_2782
; %bb.2778:
	s_cmp_eq_u32 s2, 44
	s_mov_b32 s0, -1
	s_cbranch_scc0 .LBB70_2782
; %bb.2779:
	v_bfe_u32 v3, v2, 23, 8
	s_wait_xcnt 0x0
	v_mov_b32_e32 v1, 0xff
	s_mov_b32 s6, exec_lo
	s_delay_alu instid0(VALU_DEP_2)
	v_cmpx_ne_u32_e32 0xff, v3
	s_cbranch_execz .LBB70_2781
; %bb.2780:
	v_and_b32_e32 v1, 0x400000, v2
	v_and_or_b32 v3, 0x3fffff, v2, v3
	s_delay_alu instid0(VALU_DEP_2) | instskip(NEXT) | instid1(VALU_DEP_2)
	v_cmp_ne_u32_e32 vcc_lo, 0, v1
	v_cmp_ne_u32_e64 s0, 0, v3
	v_lshrrev_b32_e32 v1, 23, v2
	s_and_b32 s0, vcc_lo, s0
	s_delay_alu instid0(SALU_CYCLE_1) | instskip(NEXT) | instid1(VALU_DEP_1)
	v_cndmask_b32_e64 v3, 0, 1, s0
	v_add_nc_u32_e32 v1, v1, v3
.LBB70_2781:
	s_or_b32 exec_lo, exec_lo, s6
	s_mov_b32 s0, 0
	s_mov_b32 s6, -1
	global_store_b8 v[8:9], v1, off
.LBB70_2782:
	s_mov_b32 s7, 0
.LBB70_2783:
	s_delay_alu instid0(SALU_CYCLE_1)
	s_and_b32 vcc_lo, exec_lo, s7
	s_cbranch_vccz .LBB70_2786
; %bb.2784:
	s_cmp_eq_u32 s2, 29
	s_mov_b32 s0, -1
	s_cbranch_scc0 .LBB70_2786
; %bb.2785:
	s_wait_xcnt 0x0
	v_trunc_f32_e32 v1, v2
	s_mov_b32 s0, 0
	s_mov_b32 s6, -1
	s_delay_alu instid0(VALU_DEP_1) | instskip(NEXT) | instid1(VALU_DEP_1)
	v_mul_f32_e32 v3, 0x2f800000, v1
	v_floor_f32_e32 v3, v3
	s_delay_alu instid0(VALU_DEP_1) | instskip(SKIP_1) | instid1(VALU_DEP_2)
	v_fmamk_f32 v1, v3, 0xcf800000, v1
	v_cvt_u32_f32_e32 v11, v3
	v_cvt_u32_f32_e32 v10, v1
	global_store_b64 v[8:9], v[10:11], off
.LBB70_2786:
	s_mov_b32 s7, 0
.LBB70_2787:
	s_delay_alu instid0(SALU_CYCLE_1)
	s_and_b32 vcc_lo, exec_lo, s7
	s_cbranch_vccz .LBB70_2803
; %bb.2788:
	s_cmp_lt_i32 s2, 27
	s_mov_b32 s6, -1
	s_cbranch_scc1 .LBB70_2794
; %bb.2789:
	s_wait_xcnt 0x0
	v_cvt_u32_f32_e32 v1, v2
	s_cmp_gt_i32 s2, 27
	s_cbranch_scc0 .LBB70_2791
; %bb.2790:
	s_mov_b32 s6, 0
	global_store_b32 v[8:9], v1, off
.LBB70_2791:
	s_and_not1_b32 vcc_lo, exec_lo, s6
	s_cbranch_vccnz .LBB70_2793
; %bb.2792:
	global_store_b16 v[8:9], v1, off
.LBB70_2793:
	s_mov_b32 s6, 0
.LBB70_2794:
	s_delay_alu instid0(SALU_CYCLE_1)
	s_and_not1_b32 vcc_lo, exec_lo, s6
	s_cbranch_vccnz .LBB70_2802
; %bb.2795:
	s_wait_xcnt 0x0
	v_and_b32_e32 v1, 0x7fffffff, v2
	v_mov_b32_e32 v3, 0x80
	s_mov_b32 s6, exec_lo
	s_delay_alu instid0(VALU_DEP_2)
	v_cmpx_gt_u32_e32 0x43800000, v1
	s_cbranch_execz .LBB70_2801
; %bb.2796:
	v_cmp_lt_u32_e32 vcc_lo, 0x3bffffff, v1
	s_mov_b32 s7, 0
                                        ; implicit-def: $vgpr1
	s_and_saveexec_b32 s8, vcc_lo
	s_delay_alu instid0(SALU_CYCLE_1)
	s_xor_b32 s8, exec_lo, s8
	s_cbranch_execz .LBB70_3092
; %bb.2797:
	v_bfe_u32 v1, v2, 20, 1
	s_mov_b32 s7, exec_lo
	s_delay_alu instid0(VALU_DEP_1) | instskip(NEXT) | instid1(VALU_DEP_1)
	v_add3_u32 v1, v2, v1, 0x487ffff
	v_lshrrev_b32_e32 v1, 20, v1
	s_and_not1_saveexec_b32 s8, s8
	s_cbranch_execnz .LBB70_3093
.LBB70_2798:
	s_or_b32 exec_lo, exec_lo, s8
	v_mov_b32_e32 v3, 0
	s_and_saveexec_b32 s8, s7
.LBB70_2799:
	v_lshrrev_b32_e32 v3, 24, v2
	s_delay_alu instid0(VALU_DEP_1)
	v_and_or_b32 v3, 0x80, v3, v1
.LBB70_2800:
	s_or_b32 exec_lo, exec_lo, s8
.LBB70_2801:
	s_delay_alu instid0(SALU_CYCLE_1)
	s_or_b32 exec_lo, exec_lo, s6
	global_store_b8 v[8:9], v3, off
.LBB70_2802:
	s_mov_b32 s6, -1
.LBB70_2803:
	s_mov_b32 s7, 0
.LBB70_2804:
	s_delay_alu instid0(SALU_CYCLE_1)
	s_and_b32 vcc_lo, exec_lo, s7
	s_cbranch_vccz .LBB70_2844
; %bb.2805:
	s_cmp_gt_i32 s2, 22
	s_mov_b32 s3, -1
	s_cbranch_scc0 .LBB70_2837
; %bb.2806:
	s_cmp_lt_i32 s2, 24
	s_cbranch_scc1 .LBB70_2826
; %bb.2807:
	s_cmp_gt_i32 s2, 24
	s_cbranch_scc0 .LBB70_2815
; %bb.2808:
	s_wait_xcnt 0x0
	v_and_b32_e32 v1, 0x7fffffff, v2
	v_mov_b32_e32 v3, 0x80
	s_mov_b32 s3, exec_lo
	s_delay_alu instid0(VALU_DEP_2)
	v_cmpx_gt_u32_e32 0x47800000, v1
	s_cbranch_execz .LBB70_2814
; %bb.2809:
	v_cmp_lt_u32_e32 vcc_lo, 0x37ffffff, v1
	s_mov_b32 s6, 0
                                        ; implicit-def: $vgpr1
	s_and_saveexec_b32 s7, vcc_lo
	s_delay_alu instid0(SALU_CYCLE_1)
	s_xor_b32 s7, exec_lo, s7
	s_cbranch_execz .LBB70_3095
; %bb.2810:
	v_bfe_u32 v1, v2, 21, 1
	s_mov_b32 s6, exec_lo
	s_delay_alu instid0(VALU_DEP_1) | instskip(NEXT) | instid1(VALU_DEP_1)
	v_add3_u32 v1, v2, v1, 0x88fffff
	v_lshrrev_b32_e32 v1, 21, v1
	s_and_not1_saveexec_b32 s7, s7
	s_cbranch_execnz .LBB70_3096
.LBB70_2811:
	s_or_b32 exec_lo, exec_lo, s7
	v_mov_b32_e32 v3, 0
	s_and_saveexec_b32 s7, s6
.LBB70_2812:
	v_lshrrev_b32_e32 v3, 24, v2
	s_delay_alu instid0(VALU_DEP_1)
	v_and_or_b32 v3, 0x80, v3, v1
.LBB70_2813:
	s_or_b32 exec_lo, exec_lo, s7
.LBB70_2814:
	s_delay_alu instid0(SALU_CYCLE_1)
	s_or_b32 exec_lo, exec_lo, s3
	s_mov_b32 s3, 0
	global_store_b8 v[8:9], v3, off
.LBB70_2815:
	s_and_b32 vcc_lo, exec_lo, s3
	s_cbranch_vccz .LBB70_2825
; %bb.2816:
	s_wait_xcnt 0x0
	v_and_b32_e32 v3, 0x7fffffff, v2
	s_mov_b32 s3, exec_lo
                                        ; implicit-def: $vgpr1
	s_delay_alu instid0(VALU_DEP_1)
	v_cmpx_gt_u32_e32 0x43f00000, v3
	s_xor_b32 s3, exec_lo, s3
	s_cbranch_execz .LBB70_2822
; %bb.2817:
	s_mov_b32 s6, exec_lo
                                        ; implicit-def: $vgpr1
	v_cmpx_lt_u32_e32 0x3c7fffff, v3
	s_xor_b32 s6, exec_lo, s6
; %bb.2818:
	v_bfe_u32 v1, v2, 20, 1
	s_delay_alu instid0(VALU_DEP_1) | instskip(NEXT) | instid1(VALU_DEP_1)
	v_add3_u32 v1, v2, v1, 0x407ffff
	v_and_b32_e32 v3, 0xff00000, v1
	v_lshrrev_b32_e32 v1, 20, v1
	s_delay_alu instid0(VALU_DEP_2) | instskip(NEXT) | instid1(VALU_DEP_2)
	v_cmp_ne_u32_e32 vcc_lo, 0x7f00000, v3
	v_cndmask_b32_e32 v1, 0x7e, v1, vcc_lo
; %bb.2819:
	s_and_not1_saveexec_b32 s6, s6
; %bb.2820:
	v_add_f32_e64 v1, 0x46800000, |v2|
; %bb.2821:
	s_or_b32 exec_lo, exec_lo, s6
                                        ; implicit-def: $vgpr3
.LBB70_2822:
	s_and_not1_saveexec_b32 s3, s3
; %bb.2823:
	v_mov_b32_e32 v1, 0x7f
	v_cmp_lt_u32_e32 vcc_lo, 0x7f800000, v3
	s_delay_alu instid0(VALU_DEP_2)
	v_cndmask_b32_e32 v1, 0x7e, v1, vcc_lo
; %bb.2824:
	s_or_b32 exec_lo, exec_lo, s3
	v_lshrrev_b32_e32 v3, 24, v2
	s_delay_alu instid0(VALU_DEP_1)
	v_and_or_b32 v1, 0x80, v3, v1
	global_store_b8 v[8:9], v1, off
.LBB70_2825:
	s_mov_b32 s3, 0
.LBB70_2826:
	s_delay_alu instid0(SALU_CYCLE_1)
	s_and_not1_b32 vcc_lo, exec_lo, s3
	s_cbranch_vccnz .LBB70_2836
; %bb.2827:
	s_wait_xcnt 0x0
	v_and_b32_e32 v3, 0x7fffffff, v2
	s_mov_b32 s3, exec_lo
                                        ; implicit-def: $vgpr1
	s_delay_alu instid0(VALU_DEP_1)
	v_cmpx_gt_u32_e32 0x47800000, v3
	s_xor_b32 s3, exec_lo, s3
	s_cbranch_execz .LBB70_2833
; %bb.2828:
	s_mov_b32 s6, exec_lo
                                        ; implicit-def: $vgpr1
	v_cmpx_lt_u32_e32 0x387fffff, v3
	s_xor_b32 s6, exec_lo, s6
; %bb.2829:
	v_bfe_u32 v1, v2, 21, 1
	s_delay_alu instid0(VALU_DEP_1) | instskip(NEXT) | instid1(VALU_DEP_1)
	v_add3_u32 v1, v2, v1, 0x80fffff
	v_lshrrev_b32_e32 v1, 21, v1
; %bb.2830:
	s_and_not1_saveexec_b32 s6, s6
; %bb.2831:
	v_add_f32_e64 v1, 0x43000000, |v2|
; %bb.2832:
	s_or_b32 exec_lo, exec_lo, s6
                                        ; implicit-def: $vgpr3
.LBB70_2833:
	s_and_not1_saveexec_b32 s3, s3
; %bb.2834:
	v_mov_b32_e32 v1, 0x7f
	v_cmp_lt_u32_e32 vcc_lo, 0x7f800000, v3
	s_delay_alu instid0(VALU_DEP_2)
	v_cndmask_b32_e32 v1, 0x7c, v1, vcc_lo
; %bb.2835:
	s_or_b32 exec_lo, exec_lo, s3
	v_lshrrev_b32_e32 v3, 24, v2
	s_delay_alu instid0(VALU_DEP_1)
	v_and_or_b32 v1, 0x80, v3, v1
	global_store_b8 v[8:9], v1, off
.LBB70_2836:
	s_mov_b32 s3, 0
	s_mov_b32 s6, -1
.LBB70_2837:
	s_and_not1_b32 vcc_lo, exec_lo, s3
	s_mov_b32 s3, 0
	s_cbranch_vccnz .LBB70_2844
; %bb.2838:
	s_cmp_gt_i32 s2, 14
	s_mov_b32 s3, -1
	s_cbranch_scc0 .LBB70_2842
; %bb.2839:
	s_cmp_eq_u32 s2, 15
	s_mov_b32 s0, -1
	s_cbranch_scc0 .LBB70_2841
; %bb.2840:
	s_wait_xcnt 0x0
	v_bfe_u32 v1, v2, 16, 1
	v_cmp_o_f32_e32 vcc_lo, v2, v2
	s_mov_b32 s0, 0
	s_mov_b32 s6, -1
	s_delay_alu instid0(VALU_DEP_2) | instskip(NEXT) | instid1(VALU_DEP_1)
	v_add3_u32 v1, v2, v1, 0x7fff
	v_lshrrev_b32_e32 v1, 16, v1
	s_delay_alu instid0(VALU_DEP_1)
	v_cndmask_b32_e32 v1, 0x7fc0, v1, vcc_lo
	global_store_b16 v[8:9], v1, off
.LBB70_2841:
	s_mov_b32 s3, 0
.LBB70_2842:
	s_delay_alu instid0(SALU_CYCLE_1)
	s_and_b32 vcc_lo, exec_lo, s3
	s_mov_b32 s3, 0
	s_cbranch_vccz .LBB70_2844
; %bb.2843:
	s_cmp_lg_u32 s2, 11
	s_mov_b32 s3, -1
	s_cselect_b32 s0, -1, 0
.LBB70_2844:
	s_delay_alu instid0(SALU_CYCLE_1)
	s_and_b32 vcc_lo, exec_lo, s0
	s_cbranch_vccnz .LBB70_3094
; %bb.2845:
	s_and_not1_b32 vcc_lo, exec_lo, s3
	s_cbranch_vccnz .LBB70_2847
.LBB70_2846:
	v_cmp_neq_f32_e32 vcc_lo, 0, v2
	s_mov_b32 s6, -1
	s_wait_xcnt 0x0
	v_cndmask_b32_e64 v1, 0, 1, vcc_lo
	global_store_b8 v[8:9], v1, off
.LBB70_2847:
	s_mov_b32 s0, 0
	s_branch .LBB70_2849
.LBB70_2848:
	s_mov_b32 s0, -1
	s_mov_b32 s6, 0
.LBB70_2849:
	s_and_b32 vcc_lo, exec_lo, s0
	s_cbranch_vccz .LBB70_2888
; %bb.2850:
	s_and_b32 s0, 0xffff, s18
	s_mov_b32 s2, -1
	s_cmp_lt_i32 s0, 5
	s_cbranch_scc1 .LBB70_2871
; %bb.2851:
	s_cmp_lt_i32 s0, 8
	s_cbranch_scc1 .LBB70_2861
; %bb.2852:
	;; [unrolled: 3-line block ×3, first 2 shown]
	s_cmp_gt_i32 s0, 9
	s_cbranch_scc0 .LBB70_2855
; %bb.2854:
	s_wait_xcnt 0x0
	v_cvt_f64_f32_e32 v[10:11], v2
	v_mov_b32_e32 v12, 0
	s_mov_b32 s2, 0
	s_delay_alu instid0(VALU_DEP_1)
	v_mov_b32_e32 v13, v12
	global_store_b128 v[8:9], v[10:13], off
.LBB70_2855:
	s_and_not1_b32 vcc_lo, exec_lo, s2
	s_cbranch_vccnz .LBB70_2857
; %bb.2856:
	s_wait_xcnt 0x0
	v_mov_b32_e32 v3, 0
	global_store_b64 v[8:9], v[2:3], off
.LBB70_2857:
	s_mov_b32 s2, 0
.LBB70_2858:
	s_delay_alu instid0(SALU_CYCLE_1)
	s_and_not1_b32 vcc_lo, exec_lo, s2
	s_cbranch_vccnz .LBB70_2860
; %bb.2859:
	s_wait_xcnt 0x0
	v_cvt_f16_f32_e32 v1, v2
	s_delay_alu instid0(VALU_DEP_1)
	v_and_b32_e32 v1, 0xffff, v1
	global_store_b32 v[8:9], v1, off
.LBB70_2860:
	s_mov_b32 s2, 0
.LBB70_2861:
	s_delay_alu instid0(SALU_CYCLE_1)
	s_and_not1_b32 vcc_lo, exec_lo, s2
	s_cbranch_vccnz .LBB70_2870
; %bb.2862:
	s_cmp_lt_i32 s0, 6
	s_mov_b32 s2, -1
	s_cbranch_scc1 .LBB70_2868
; %bb.2863:
	s_cmp_gt_i32 s0, 6
	s_cbranch_scc0 .LBB70_2865
; %bb.2864:
	s_wait_xcnt 0x0
	v_cvt_f64_f32_e32 v[10:11], v2
	s_mov_b32 s2, 0
	global_store_b64 v[8:9], v[10:11], off
.LBB70_2865:
	s_and_not1_b32 vcc_lo, exec_lo, s2
	s_cbranch_vccnz .LBB70_2867
; %bb.2866:
	global_store_b32 v[8:9], v2, off
.LBB70_2867:
	s_mov_b32 s2, 0
.LBB70_2868:
	s_delay_alu instid0(SALU_CYCLE_1)
	s_and_not1_b32 vcc_lo, exec_lo, s2
	s_cbranch_vccnz .LBB70_2870
; %bb.2869:
	s_wait_xcnt 0x0
	v_cvt_f16_f32_e32 v1, v2
	global_store_b16 v[8:9], v1, off
.LBB70_2870:
	s_mov_b32 s2, 0
.LBB70_2871:
	s_delay_alu instid0(SALU_CYCLE_1)
	s_and_not1_b32 vcc_lo, exec_lo, s2
	s_cbranch_vccnz .LBB70_2887
; %bb.2872:
	s_cmp_lt_i32 s0, 2
	s_mov_b32 s2, -1
	s_cbranch_scc1 .LBB70_2882
; %bb.2873:
	s_cmp_lt_i32 s0, 3
	s_cbranch_scc1 .LBB70_2879
; %bb.2874:
	s_cmp_gt_i32 s0, 3
	s_cbranch_scc0 .LBB70_2876
; %bb.2875:
	s_wait_xcnt 0x0
	v_trunc_f32_e32 v1, v2
	s_mov_b32 s2, 0
	s_delay_alu instid0(VALU_DEP_1) | instskip(SKIP_1) | instid1(VALU_DEP_2)
	v_mul_f32_e64 v3, 0x2f800000, |v1|
	v_ashrrev_i32_e32 v10, 31, v1
	v_floor_f32_e32 v3, v3
	s_delay_alu instid0(VALU_DEP_1) | instskip(SKIP_1) | instid1(VALU_DEP_4)
	v_fma_f32 v5, 0xcf800000, v3, |v1|
	v_cvt_u32_f32_e32 v1, v3
	v_mov_b32_e32 v11, v10
	s_delay_alu instid0(VALU_DEP_3) | instskip(NEXT) | instid1(VALU_DEP_3)
	v_cvt_u32_f32_e32 v3, v5
	v_xor_b32_e32 v13, v1, v10
	s_delay_alu instid0(VALU_DEP_2) | instskip(NEXT) | instid1(VALU_DEP_1)
	v_xor_b32_e32 v12, v3, v10
	v_sub_nc_u64_e32 v[10:11], v[12:13], v[10:11]
	global_store_b64 v[8:9], v[10:11], off
.LBB70_2876:
	s_and_not1_b32 vcc_lo, exec_lo, s2
	s_cbranch_vccnz .LBB70_2878
; %bb.2877:
	s_wait_xcnt 0x0
	v_cvt_i32_f32_e32 v1, v2
	global_store_b32 v[8:9], v1, off
.LBB70_2878:
	s_mov_b32 s2, 0
.LBB70_2879:
	s_delay_alu instid0(SALU_CYCLE_1)
	s_and_not1_b32 vcc_lo, exec_lo, s2
	s_cbranch_vccnz .LBB70_2881
; %bb.2880:
	s_wait_xcnt 0x0
	v_cvt_i32_f32_e32 v1, v2
	global_store_b16 v[8:9], v1, off
.LBB70_2881:
	s_mov_b32 s2, 0
.LBB70_2882:
	s_delay_alu instid0(SALU_CYCLE_1)
	s_and_not1_b32 vcc_lo, exec_lo, s2
	s_cbranch_vccnz .LBB70_2887
; %bb.2883:
	s_cmp_gt_i32 s0, 0
	s_mov_b32 s0, -1
	s_cbranch_scc0 .LBB70_2885
; %bb.2884:
	s_wait_xcnt 0x0
	v_cvt_i32_f32_e32 v1, v2
	s_mov_b32 s0, 0
	global_store_b8 v[8:9], v1, off
.LBB70_2885:
	s_and_not1_b32 vcc_lo, exec_lo, s0
	s_cbranch_vccnz .LBB70_2887
; %bb.2886:
	s_wait_xcnt 0x0
	v_trunc_f32_e32 v1, v2
	s_delay_alu instid0(VALU_DEP_1) | instskip(NEXT) | instid1(VALU_DEP_1)
	v_mul_f32_e64 v2, 0x2f800000, |v1|
	v_floor_f32_e32 v2, v2
	s_delay_alu instid0(VALU_DEP_1) | instskip(SKIP_1) | instid1(VALU_DEP_2)
	v_fma_f32 v2, 0xcf800000, v2, |v1|
	v_ashrrev_i32_e32 v1, 31, v1
	v_cvt_u32_f32_e32 v2, v2
	s_delay_alu instid0(VALU_DEP_1) | instskip(NEXT) | instid1(VALU_DEP_1)
	v_xor_b32_e32 v2, v2, v1
	v_sub_nc_u32_e32 v1, v2, v1
	global_store_b8 v[8:9], v1, off
.LBB70_2887:
	s_mov_b32 s6, -1
.LBB70_2888:
	s_delay_alu instid0(SALU_CYCLE_1)
	s_and_not1_b32 vcc_lo, exec_lo, s6
	s_cbranch_vccnz .LBB70_3084
; %bb.2889:
	v_add_nc_u32_e32 v0, s1, v0
	s_cmp_lt_i32 s18, 11
	s_wait_xcnt 0x0
	s_delay_alu instid0(VALU_DEP_1) | instskip(NEXT) | instid1(VALU_DEP_1)
	v_ashrrev_i32_e32 v1, 31, v0
	v_add_nc_u64_e32 v[2:3], s[4:5], v[0:1]
	s_cbranch_scc1 .LBB70_2967
; %bb.2890:
	s_and_b32 s2, 0xffff, s18
	s_mov_b32 s7, -1
	s_mov_b32 s3, 0
	s_cmp_gt_i32 s2, 25
	s_mov_b32 s6, 0
	s_mov_b32 s0, 0
	s_cbranch_scc0 .LBB70_2923
; %bb.2891:
	s_cmp_gt_i32 s2, 28
	s_cbranch_scc0 .LBB70_2906
; %bb.2892:
	s_cmp_gt_i32 s2, 43
	;; [unrolled: 3-line block ×3, first 2 shown]
	s_cbranch_scc0 .LBB70_2896
; %bb.2894:
	s_mov_b32 s0, -1
	s_mov_b32 s7, 0
	s_cmp_eq_u32 s2, 46
	s_cbranch_scc0 .LBB70_2896
; %bb.2895:
	v_bfe_u32 v1, v4, 16, 1
	v_cmp_o_f32_e32 vcc_lo, v4, v4
	s_mov_b32 s0, 0
	s_mov_b32 s6, -1
	s_delay_alu instid0(VALU_DEP_2) | instskip(NEXT) | instid1(VALU_DEP_1)
	v_add3_u32 v1, v4, v1, 0x7fff
	v_lshrrev_b32_e32 v1, 16, v1
	s_delay_alu instid0(VALU_DEP_1)
	v_cndmask_b32_e32 v1, 0x7fc0, v1, vcc_lo
	global_store_b32 v[2:3], v1, off
.LBB70_2896:
	s_and_b32 vcc_lo, exec_lo, s7
	s_cbranch_vccz .LBB70_2901
; %bb.2897:
	s_cmp_eq_u32 s2, 44
	s_mov_b32 s0, -1
	s_cbranch_scc0 .LBB70_2901
; %bb.2898:
	v_bfe_u32 v5, v4, 23, 8
	s_wait_xcnt 0x0
	v_mov_b32_e32 v1, 0xff
	s_mov_b32 s6, exec_lo
	s_delay_alu instid0(VALU_DEP_2)
	v_cmpx_ne_u32_e32 0xff, v5
	s_cbranch_execz .LBB70_2900
; %bb.2899:
	v_and_b32_e32 v1, 0x400000, v4
	v_and_or_b32 v5, 0x3fffff, v4, v5
	s_delay_alu instid0(VALU_DEP_2) | instskip(NEXT) | instid1(VALU_DEP_2)
	v_cmp_ne_u32_e32 vcc_lo, 0, v1
	v_cmp_ne_u32_e64 s0, 0, v5
	v_lshrrev_b32_e32 v1, 23, v4
	s_and_b32 s0, vcc_lo, s0
	s_delay_alu instid0(SALU_CYCLE_1) | instskip(NEXT) | instid1(VALU_DEP_1)
	v_cndmask_b32_e64 v5, 0, 1, s0
	v_add_nc_u32_e32 v1, v1, v5
.LBB70_2900:
	s_or_b32 exec_lo, exec_lo, s6
	s_mov_b32 s0, 0
	s_mov_b32 s6, -1
	global_store_b8 v[2:3], v1, off
.LBB70_2901:
	s_mov_b32 s7, 0
.LBB70_2902:
	s_delay_alu instid0(SALU_CYCLE_1)
	s_and_b32 vcc_lo, exec_lo, s7
	s_cbranch_vccz .LBB70_2905
; %bb.2903:
	s_cmp_eq_u32 s2, 29
	s_mov_b32 s0, -1
	s_cbranch_scc0 .LBB70_2905
; %bb.2904:
	s_wait_xcnt 0x0
	v_trunc_f32_e32 v1, v4
	s_mov_b32 s0, 0
	s_mov_b32 s6, -1
	s_delay_alu instid0(VALU_DEP_1) | instskip(NEXT) | instid1(VALU_DEP_1)
	v_mul_f32_e32 v5, 0x2f800000, v1
	v_floor_f32_e32 v5, v5
	s_delay_alu instid0(VALU_DEP_1) | instskip(SKIP_1) | instid1(VALU_DEP_2)
	v_fmamk_f32 v1, v5, 0xcf800000, v1
	v_cvt_u32_f32_e32 v9, v5
	v_cvt_u32_f32_e32 v8, v1
	global_store_b64 v[2:3], v[8:9], off
.LBB70_2905:
	s_mov_b32 s7, 0
.LBB70_2906:
	s_delay_alu instid0(SALU_CYCLE_1)
	s_and_b32 vcc_lo, exec_lo, s7
	s_cbranch_vccz .LBB70_2922
; %bb.2907:
	s_cmp_lt_i32 s2, 27
	s_mov_b32 s6, -1
	s_cbranch_scc1 .LBB70_2913
; %bb.2908:
	s_wait_xcnt 0x0
	v_cvt_u32_f32_e32 v1, v4
	s_cmp_gt_i32 s2, 27
	s_cbranch_scc0 .LBB70_2910
; %bb.2909:
	s_mov_b32 s6, 0
	global_store_b32 v[2:3], v1, off
.LBB70_2910:
	s_and_not1_b32 vcc_lo, exec_lo, s6
	s_cbranch_vccnz .LBB70_2912
; %bb.2911:
	global_store_b16 v[2:3], v1, off
.LBB70_2912:
	s_mov_b32 s6, 0
.LBB70_2913:
	s_delay_alu instid0(SALU_CYCLE_1)
	s_and_not1_b32 vcc_lo, exec_lo, s6
	s_cbranch_vccnz .LBB70_2921
; %bb.2914:
	s_wait_xcnt 0x0
	v_and_b32_e32 v1, 0x7fffffff, v4
	v_mov_b32_e32 v5, 0x80
	s_mov_b32 s6, exec_lo
	s_delay_alu instid0(VALU_DEP_2)
	v_cmpx_gt_u32_e32 0x43800000, v1
	s_cbranch_execz .LBB70_2920
; %bb.2915:
	v_cmp_lt_u32_e32 vcc_lo, 0x3bffffff, v1
	s_mov_b32 s7, 0
                                        ; implicit-def: $vgpr1
	s_and_saveexec_b32 s8, vcc_lo
	s_delay_alu instid0(SALU_CYCLE_1)
	s_xor_b32 s8, exec_lo, s8
	s_cbranch_execz .LBB70_3097
; %bb.2916:
	v_bfe_u32 v1, v4, 20, 1
	s_mov_b32 s7, exec_lo
	s_delay_alu instid0(VALU_DEP_1) | instskip(NEXT) | instid1(VALU_DEP_1)
	v_add3_u32 v1, v4, v1, 0x487ffff
	v_lshrrev_b32_e32 v1, 20, v1
	s_and_not1_saveexec_b32 s8, s8
	s_cbranch_execnz .LBB70_3098
.LBB70_2917:
	s_or_b32 exec_lo, exec_lo, s8
	v_mov_b32_e32 v5, 0
	s_and_saveexec_b32 s8, s7
.LBB70_2918:
	v_lshrrev_b32_e32 v5, 24, v4
	s_delay_alu instid0(VALU_DEP_1)
	v_and_or_b32 v5, 0x80, v5, v1
.LBB70_2919:
	s_or_b32 exec_lo, exec_lo, s8
.LBB70_2920:
	s_delay_alu instid0(SALU_CYCLE_1)
	s_or_b32 exec_lo, exec_lo, s6
	global_store_b8 v[2:3], v5, off
.LBB70_2921:
	s_mov_b32 s6, -1
.LBB70_2922:
	s_mov_b32 s7, 0
.LBB70_2923:
	s_delay_alu instid0(SALU_CYCLE_1)
	s_and_b32 vcc_lo, exec_lo, s7
	s_cbranch_vccz .LBB70_2963
; %bb.2924:
	s_cmp_gt_i32 s2, 22
	s_mov_b32 s3, -1
	s_cbranch_scc0 .LBB70_2956
; %bb.2925:
	s_cmp_lt_i32 s2, 24
	s_cbranch_scc1 .LBB70_2945
; %bb.2926:
	s_cmp_gt_i32 s2, 24
	s_cbranch_scc0 .LBB70_2934
; %bb.2927:
	s_wait_xcnt 0x0
	v_and_b32_e32 v1, 0x7fffffff, v4
	v_mov_b32_e32 v5, 0x80
	s_mov_b32 s3, exec_lo
	s_delay_alu instid0(VALU_DEP_2)
	v_cmpx_gt_u32_e32 0x47800000, v1
	s_cbranch_execz .LBB70_2933
; %bb.2928:
	v_cmp_lt_u32_e32 vcc_lo, 0x37ffffff, v1
	s_mov_b32 s6, 0
                                        ; implicit-def: $vgpr1
	s_and_saveexec_b32 s7, vcc_lo
	s_delay_alu instid0(SALU_CYCLE_1)
	s_xor_b32 s7, exec_lo, s7
	s_cbranch_execz .LBB70_3100
; %bb.2929:
	v_bfe_u32 v1, v4, 21, 1
	s_mov_b32 s6, exec_lo
	s_delay_alu instid0(VALU_DEP_1) | instskip(NEXT) | instid1(VALU_DEP_1)
	v_add3_u32 v1, v4, v1, 0x88fffff
	v_lshrrev_b32_e32 v1, 21, v1
	s_and_not1_saveexec_b32 s7, s7
	s_cbranch_execnz .LBB70_3101
.LBB70_2930:
	s_or_b32 exec_lo, exec_lo, s7
	v_mov_b32_e32 v5, 0
	s_and_saveexec_b32 s7, s6
.LBB70_2931:
	v_lshrrev_b32_e32 v5, 24, v4
	s_delay_alu instid0(VALU_DEP_1)
	v_and_or_b32 v5, 0x80, v5, v1
.LBB70_2932:
	s_or_b32 exec_lo, exec_lo, s7
.LBB70_2933:
	s_delay_alu instid0(SALU_CYCLE_1)
	s_or_b32 exec_lo, exec_lo, s3
	s_mov_b32 s3, 0
	global_store_b8 v[2:3], v5, off
.LBB70_2934:
	s_and_b32 vcc_lo, exec_lo, s3
	s_cbranch_vccz .LBB70_2944
; %bb.2935:
	s_wait_xcnt 0x0
	v_and_b32_e32 v5, 0x7fffffff, v4
	s_mov_b32 s3, exec_lo
                                        ; implicit-def: $vgpr1
	s_delay_alu instid0(VALU_DEP_1)
	v_cmpx_gt_u32_e32 0x43f00000, v5
	s_xor_b32 s3, exec_lo, s3
	s_cbranch_execz .LBB70_2941
; %bb.2936:
	s_mov_b32 s6, exec_lo
                                        ; implicit-def: $vgpr1
	v_cmpx_lt_u32_e32 0x3c7fffff, v5
	s_xor_b32 s6, exec_lo, s6
; %bb.2937:
	v_bfe_u32 v1, v4, 20, 1
	s_delay_alu instid0(VALU_DEP_1) | instskip(NEXT) | instid1(VALU_DEP_1)
	v_add3_u32 v1, v4, v1, 0x407ffff
	v_and_b32_e32 v5, 0xff00000, v1
	v_lshrrev_b32_e32 v1, 20, v1
	s_delay_alu instid0(VALU_DEP_2) | instskip(NEXT) | instid1(VALU_DEP_2)
	v_cmp_ne_u32_e32 vcc_lo, 0x7f00000, v5
	v_cndmask_b32_e32 v1, 0x7e, v1, vcc_lo
; %bb.2938:
	s_and_not1_saveexec_b32 s6, s6
; %bb.2939:
	v_add_f32_e64 v1, 0x46800000, |v4|
; %bb.2940:
	s_or_b32 exec_lo, exec_lo, s6
                                        ; implicit-def: $vgpr5
.LBB70_2941:
	s_and_not1_saveexec_b32 s3, s3
; %bb.2942:
	v_mov_b32_e32 v1, 0x7f
	v_cmp_lt_u32_e32 vcc_lo, 0x7f800000, v5
	s_delay_alu instid0(VALU_DEP_2)
	v_cndmask_b32_e32 v1, 0x7e, v1, vcc_lo
; %bb.2943:
	s_or_b32 exec_lo, exec_lo, s3
	v_lshrrev_b32_e32 v5, 24, v4
	s_delay_alu instid0(VALU_DEP_1)
	v_and_or_b32 v1, 0x80, v5, v1
	global_store_b8 v[2:3], v1, off
.LBB70_2944:
	s_mov_b32 s3, 0
.LBB70_2945:
	s_delay_alu instid0(SALU_CYCLE_1)
	s_and_not1_b32 vcc_lo, exec_lo, s3
	s_cbranch_vccnz .LBB70_2955
; %bb.2946:
	s_wait_xcnt 0x0
	v_and_b32_e32 v5, 0x7fffffff, v4
	s_mov_b32 s3, exec_lo
                                        ; implicit-def: $vgpr1
	s_delay_alu instid0(VALU_DEP_1)
	v_cmpx_gt_u32_e32 0x47800000, v5
	s_xor_b32 s3, exec_lo, s3
	s_cbranch_execz .LBB70_2952
; %bb.2947:
	s_mov_b32 s6, exec_lo
                                        ; implicit-def: $vgpr1
	v_cmpx_lt_u32_e32 0x387fffff, v5
	s_xor_b32 s6, exec_lo, s6
; %bb.2948:
	v_bfe_u32 v1, v4, 21, 1
	s_delay_alu instid0(VALU_DEP_1) | instskip(NEXT) | instid1(VALU_DEP_1)
	v_add3_u32 v1, v4, v1, 0x80fffff
	v_lshrrev_b32_e32 v1, 21, v1
; %bb.2949:
	s_and_not1_saveexec_b32 s6, s6
; %bb.2950:
	v_add_f32_e64 v1, 0x43000000, |v4|
; %bb.2951:
	s_or_b32 exec_lo, exec_lo, s6
                                        ; implicit-def: $vgpr5
.LBB70_2952:
	s_and_not1_saveexec_b32 s3, s3
; %bb.2953:
	v_mov_b32_e32 v1, 0x7f
	v_cmp_lt_u32_e32 vcc_lo, 0x7f800000, v5
	s_delay_alu instid0(VALU_DEP_2)
	v_cndmask_b32_e32 v1, 0x7c, v1, vcc_lo
; %bb.2954:
	s_or_b32 exec_lo, exec_lo, s3
	v_lshrrev_b32_e32 v5, 24, v4
	s_delay_alu instid0(VALU_DEP_1)
	v_and_or_b32 v1, 0x80, v5, v1
	global_store_b8 v[2:3], v1, off
.LBB70_2955:
	s_mov_b32 s3, 0
	s_mov_b32 s6, -1
.LBB70_2956:
	s_and_not1_b32 vcc_lo, exec_lo, s3
	s_mov_b32 s3, 0
	s_cbranch_vccnz .LBB70_2963
; %bb.2957:
	s_cmp_gt_i32 s2, 14
	s_mov_b32 s3, -1
	s_cbranch_scc0 .LBB70_2961
; %bb.2958:
	s_cmp_eq_u32 s2, 15
	s_mov_b32 s0, -1
	s_cbranch_scc0 .LBB70_2960
; %bb.2959:
	s_wait_xcnt 0x0
	v_bfe_u32 v1, v4, 16, 1
	v_cmp_o_f32_e32 vcc_lo, v4, v4
	s_mov_b32 s0, 0
	s_mov_b32 s6, -1
	s_delay_alu instid0(VALU_DEP_2) | instskip(NEXT) | instid1(VALU_DEP_1)
	v_add3_u32 v1, v4, v1, 0x7fff
	v_lshrrev_b32_e32 v1, 16, v1
	s_delay_alu instid0(VALU_DEP_1)
	v_cndmask_b32_e32 v1, 0x7fc0, v1, vcc_lo
	global_store_b16 v[2:3], v1, off
.LBB70_2960:
	s_mov_b32 s3, 0
.LBB70_2961:
	s_delay_alu instid0(SALU_CYCLE_1)
	s_and_b32 vcc_lo, exec_lo, s3
	s_mov_b32 s3, 0
	s_cbranch_vccz .LBB70_2963
; %bb.2962:
	s_cmp_lg_u32 s2, 11
	s_mov_b32 s3, -1
	s_cselect_b32 s0, -1, 0
.LBB70_2963:
	s_delay_alu instid0(SALU_CYCLE_1)
	s_and_b32 vcc_lo, exec_lo, s0
	s_cbranch_vccnz .LBB70_3099
; %bb.2964:
	s_and_not1_b32 vcc_lo, exec_lo, s3
	s_cbranch_vccnz .LBB70_2966
.LBB70_2965:
	v_cmp_neq_f32_e32 vcc_lo, 0, v4
	s_mov_b32 s6, -1
	s_wait_xcnt 0x0
	v_cndmask_b32_e64 v1, 0, 1, vcc_lo
	global_store_b8 v[2:3], v1, off
.LBB70_2966:
	s_mov_b32 s0, 0
	s_branch .LBB70_2968
.LBB70_2967:
	s_mov_b32 s0, -1
	s_mov_b32 s6, 0
.LBB70_2968:
	s_and_b32 vcc_lo, exec_lo, s0
	s_cbranch_vccz .LBB70_3007
; %bb.2969:
	s_and_b32 s0, 0xffff, s18
	s_mov_b32 s2, -1
	s_cmp_lt_i32 s0, 5
	s_cbranch_scc1 .LBB70_2990
; %bb.2970:
	s_cmp_lt_i32 s0, 8
	s_cbranch_scc1 .LBB70_2980
; %bb.2971:
	;; [unrolled: 3-line block ×3, first 2 shown]
	s_cmp_gt_i32 s0, 9
	s_cbranch_scc0 .LBB70_2974
; %bb.2973:
	s_wait_xcnt 0x0
	v_cvt_f64_f32_e32 v[8:9], v4
	v_mov_b32_e32 v10, 0
	s_mov_b32 s2, 0
	s_delay_alu instid0(VALU_DEP_1)
	v_mov_b32_e32 v11, v10
	global_store_b128 v[2:3], v[8:11], off
.LBB70_2974:
	s_and_not1_b32 vcc_lo, exec_lo, s2
	s_cbranch_vccnz .LBB70_2976
; %bb.2975:
	s_wait_xcnt 0x0
	v_mov_b32_e32 v5, 0
	global_store_b64 v[2:3], v[4:5], off
.LBB70_2976:
	s_mov_b32 s2, 0
.LBB70_2977:
	s_delay_alu instid0(SALU_CYCLE_1)
	s_and_not1_b32 vcc_lo, exec_lo, s2
	s_cbranch_vccnz .LBB70_2979
; %bb.2978:
	s_wait_xcnt 0x0
	v_cvt_f16_f32_e32 v1, v4
	s_delay_alu instid0(VALU_DEP_1)
	v_and_b32_e32 v1, 0xffff, v1
	global_store_b32 v[2:3], v1, off
.LBB70_2979:
	s_mov_b32 s2, 0
.LBB70_2980:
	s_delay_alu instid0(SALU_CYCLE_1)
	s_and_not1_b32 vcc_lo, exec_lo, s2
	s_cbranch_vccnz .LBB70_2989
; %bb.2981:
	s_cmp_lt_i32 s0, 6
	s_mov_b32 s2, -1
	s_cbranch_scc1 .LBB70_2987
; %bb.2982:
	s_cmp_gt_i32 s0, 6
	s_cbranch_scc0 .LBB70_2984
; %bb.2983:
	s_wait_xcnt 0x0
	v_cvt_f64_f32_e32 v[8:9], v4
	s_mov_b32 s2, 0
	global_store_b64 v[2:3], v[8:9], off
.LBB70_2984:
	s_and_not1_b32 vcc_lo, exec_lo, s2
	s_cbranch_vccnz .LBB70_2986
; %bb.2985:
	global_store_b32 v[2:3], v4, off
.LBB70_2986:
	s_mov_b32 s2, 0
.LBB70_2987:
	s_delay_alu instid0(SALU_CYCLE_1)
	s_and_not1_b32 vcc_lo, exec_lo, s2
	s_cbranch_vccnz .LBB70_2989
; %bb.2988:
	s_wait_xcnt 0x0
	v_cvt_f16_f32_e32 v1, v4
	global_store_b16 v[2:3], v1, off
.LBB70_2989:
	s_mov_b32 s2, 0
.LBB70_2990:
	s_delay_alu instid0(SALU_CYCLE_1)
	s_and_not1_b32 vcc_lo, exec_lo, s2
	s_cbranch_vccnz .LBB70_3006
; %bb.2991:
	s_cmp_lt_i32 s0, 2
	s_mov_b32 s2, -1
	s_cbranch_scc1 .LBB70_3001
; %bb.2992:
	s_cmp_lt_i32 s0, 3
	s_cbranch_scc1 .LBB70_2998
; %bb.2993:
	s_cmp_gt_i32 s0, 3
	s_cbranch_scc0 .LBB70_2995
; %bb.2994:
	s_wait_xcnt 0x0
	v_trunc_f32_e32 v1, v4
	s_mov_b32 s2, 0
	s_delay_alu instid0(VALU_DEP_1) | instskip(SKIP_1) | instid1(VALU_DEP_2)
	v_mul_f32_e64 v5, 0x2f800000, |v1|
	v_ashrrev_i32_e32 v8, 31, v1
	v_floor_f32_e32 v5, v5
	s_delay_alu instid0(VALU_DEP_1) | instskip(SKIP_1) | instid1(VALU_DEP_4)
	v_fma_f32 v7, 0xcf800000, v5, |v1|
	v_cvt_u32_f32_e32 v1, v5
	v_mov_b32_e32 v9, v8
	s_delay_alu instid0(VALU_DEP_3) | instskip(NEXT) | instid1(VALU_DEP_3)
	v_cvt_u32_f32_e32 v5, v7
	v_xor_b32_e32 v11, v1, v8
	s_delay_alu instid0(VALU_DEP_2) | instskip(NEXT) | instid1(VALU_DEP_1)
	v_xor_b32_e32 v10, v5, v8
	v_sub_nc_u64_e32 v[8:9], v[10:11], v[8:9]
	global_store_b64 v[2:3], v[8:9], off
.LBB70_2995:
	s_and_not1_b32 vcc_lo, exec_lo, s2
	s_cbranch_vccnz .LBB70_2997
; %bb.2996:
	s_wait_xcnt 0x0
	v_cvt_i32_f32_e32 v1, v4
	global_store_b32 v[2:3], v1, off
.LBB70_2997:
	s_mov_b32 s2, 0
.LBB70_2998:
	s_delay_alu instid0(SALU_CYCLE_1)
	s_and_not1_b32 vcc_lo, exec_lo, s2
	s_cbranch_vccnz .LBB70_3000
; %bb.2999:
	s_wait_xcnt 0x0
	v_cvt_i32_f32_e32 v1, v4
	global_store_b16 v[2:3], v1, off
.LBB70_3000:
	s_mov_b32 s2, 0
.LBB70_3001:
	s_delay_alu instid0(SALU_CYCLE_1)
	s_and_not1_b32 vcc_lo, exec_lo, s2
	s_cbranch_vccnz .LBB70_3006
; %bb.3002:
	s_cmp_gt_i32 s0, 0
	s_mov_b32 s0, -1
	s_cbranch_scc0 .LBB70_3004
; %bb.3003:
	s_wait_xcnt 0x0
	v_cvt_i32_f32_e32 v1, v4
	s_mov_b32 s0, 0
	global_store_b8 v[2:3], v1, off
.LBB70_3004:
	s_and_not1_b32 vcc_lo, exec_lo, s0
	s_cbranch_vccnz .LBB70_3006
; %bb.3005:
	s_wait_xcnt 0x0
	v_trunc_f32_e32 v1, v4
	s_delay_alu instid0(VALU_DEP_1) | instskip(NEXT) | instid1(VALU_DEP_1)
	v_mul_f32_e64 v4, 0x2f800000, |v1|
	v_floor_f32_e32 v4, v4
	s_delay_alu instid0(VALU_DEP_1) | instskip(SKIP_1) | instid1(VALU_DEP_2)
	v_fma_f32 v4, 0xcf800000, v4, |v1|
	v_ashrrev_i32_e32 v1, 31, v1
	v_cvt_u32_f32_e32 v4, v4
	s_delay_alu instid0(VALU_DEP_1) | instskip(NEXT) | instid1(VALU_DEP_1)
	v_xor_b32_e32 v4, v4, v1
	v_sub_nc_u32_e32 v1, v4, v1
	global_store_b8 v[2:3], v1, off
.LBB70_3006:
	s_mov_b32 s6, -1
.LBB70_3007:
	s_delay_alu instid0(SALU_CYCLE_1)
	s_and_not1_b32 vcc_lo, exec_lo, s6
	s_cbranch_vccnz .LBB70_3084
; %bb.3008:
	v_add_nc_u32_e32 v0, s1, v0
	s_cmp_lt_i32 s18, 11
	s_wait_xcnt 0x0
	s_delay_alu instid0(VALU_DEP_1) | instskip(NEXT) | instid1(VALU_DEP_1)
	v_ashrrev_i32_e32 v1, 31, v0
	v_add_nc_u64_e32 v[0:1], s[4:5], v[0:1]
	s_cbranch_scc1 .LBB70_3085
; %bb.3009:
	s_and_b32 s1, 0xffff, s18
	s_mov_b32 s3, -1
	s_mov_b32 s2, 0
	s_cmp_gt_i32 s1, 25
	s_mov_b32 s0, 0
	s_cbranch_scc0 .LBB70_3042
; %bb.3010:
	s_cmp_gt_i32 s1, 28
	s_cbranch_scc0 .LBB70_3026
; %bb.3011:
	s_cmp_gt_i32 s1, 43
	;; [unrolled: 3-line block ×3, first 2 shown]
	s_cbranch_scc0 .LBB70_3016
; %bb.3013:
	s_cmp_eq_u32 s1, 46
	s_mov_b32 s0, -1
	s_cbranch_scc0 .LBB70_3015
; %bb.3014:
	v_bfe_u32 v2, v6, 16, 1
	v_cmp_o_f32_e32 vcc_lo, v6, v6
	s_mov_b32 s0, 0
	s_delay_alu instid0(VALU_DEP_2) | instskip(NEXT) | instid1(VALU_DEP_1)
	v_add3_u32 v2, v6, v2, 0x7fff
	v_lshrrev_b32_e32 v2, 16, v2
	s_delay_alu instid0(VALU_DEP_1)
	v_cndmask_b32_e32 v2, 0x7fc0, v2, vcc_lo
	global_store_b32 v[0:1], v2, off
.LBB70_3015:
	s_mov_b32 s3, 0
.LBB70_3016:
	s_delay_alu instid0(SALU_CYCLE_1)
	s_and_b32 vcc_lo, exec_lo, s3
	s_cbranch_vccz .LBB70_3021
; %bb.3017:
	s_cmp_eq_u32 s1, 44
	s_mov_b32 s0, -1
	s_cbranch_scc0 .LBB70_3021
; %bb.3018:
	v_bfe_u32 v3, v6, 23, 8
	s_wait_xcnt 0x0
	v_mov_b32_e32 v2, 0xff
	s_mov_b32 s3, exec_lo
	s_delay_alu instid0(VALU_DEP_2)
	v_cmpx_ne_u32_e32 0xff, v3
	s_cbranch_execz .LBB70_3020
; %bb.3019:
	v_and_b32_e32 v2, 0x400000, v6
	v_and_or_b32 v3, 0x3fffff, v6, v3
	s_delay_alu instid0(VALU_DEP_2) | instskip(NEXT) | instid1(VALU_DEP_2)
	v_cmp_ne_u32_e32 vcc_lo, 0, v2
	v_cmp_ne_u32_e64 s0, 0, v3
	v_lshrrev_b32_e32 v2, 23, v6
	s_and_b32 s0, vcc_lo, s0
	s_delay_alu instid0(SALU_CYCLE_1) | instskip(NEXT) | instid1(VALU_DEP_1)
	v_cndmask_b32_e64 v3, 0, 1, s0
	v_add_nc_u32_e32 v2, v2, v3
.LBB70_3020:
	s_or_b32 exec_lo, exec_lo, s3
	s_mov_b32 s0, 0
	global_store_b8 v[0:1], v2, off
.LBB70_3021:
	s_mov_b32 s3, 0
.LBB70_3022:
	s_delay_alu instid0(SALU_CYCLE_1)
	s_and_b32 vcc_lo, exec_lo, s3
	s_cbranch_vccz .LBB70_3025
; %bb.3023:
	s_cmp_eq_u32 s1, 29
	s_mov_b32 s0, -1
	s_cbranch_scc0 .LBB70_3025
; %bb.3024:
	s_wait_xcnt 0x0
	v_trunc_f32_e32 v2, v6
	s_mov_b32 s0, 0
	s_delay_alu instid0(VALU_DEP_1) | instskip(NEXT) | instid1(VALU_DEP_1)
	v_mul_f32_e32 v3, 0x2f800000, v2
	v_floor_f32_e32 v3, v3
	s_delay_alu instid0(VALU_DEP_1) | instskip(SKIP_1) | instid1(VALU_DEP_2)
	v_fmamk_f32 v2, v3, 0xcf800000, v2
	v_cvt_u32_f32_e32 v3, v3
	v_cvt_u32_f32_e32 v2, v2
	global_store_b64 v[0:1], v[2:3], off
.LBB70_3025:
	s_mov_b32 s3, 0
.LBB70_3026:
	s_delay_alu instid0(SALU_CYCLE_1)
	s_and_b32 vcc_lo, exec_lo, s3
	s_cbranch_vccz .LBB70_3041
; %bb.3027:
	s_cmp_lt_i32 s1, 27
	s_mov_b32 s3, -1
	s_cbranch_scc1 .LBB70_3033
; %bb.3028:
	s_wait_xcnt 0x0
	v_cvt_u32_f32_e32 v2, v6
	s_cmp_gt_i32 s1, 27
	s_cbranch_scc0 .LBB70_3030
; %bb.3029:
	s_mov_b32 s3, 0
	global_store_b32 v[0:1], v2, off
.LBB70_3030:
	s_and_not1_b32 vcc_lo, exec_lo, s3
	s_cbranch_vccnz .LBB70_3032
; %bb.3031:
	global_store_b16 v[0:1], v2, off
.LBB70_3032:
	s_mov_b32 s3, 0
.LBB70_3033:
	s_delay_alu instid0(SALU_CYCLE_1)
	s_and_not1_b32 vcc_lo, exec_lo, s3
	s_cbranch_vccnz .LBB70_3041
; %bb.3034:
	s_wait_xcnt 0x0
	v_and_b32_e32 v2, 0x7fffffff, v6
	v_mov_b32_e32 v3, 0x80
	s_mov_b32 s3, exec_lo
	s_delay_alu instid0(VALU_DEP_2)
	v_cmpx_gt_u32_e32 0x43800000, v2
	s_cbranch_execz .LBB70_3040
; %bb.3035:
	v_cmp_lt_u32_e32 vcc_lo, 0x3bffffff, v2
	s_mov_b32 s4, 0
                                        ; implicit-def: $vgpr2
	s_and_saveexec_b32 s5, vcc_lo
	s_delay_alu instid0(SALU_CYCLE_1)
	s_xor_b32 s5, exec_lo, s5
	s_cbranch_execz .LBB70_3102
; %bb.3036:
	v_bfe_u32 v2, v6, 20, 1
	s_mov_b32 s4, exec_lo
	s_delay_alu instid0(VALU_DEP_1) | instskip(NEXT) | instid1(VALU_DEP_1)
	v_add3_u32 v2, v6, v2, 0x487ffff
	v_lshrrev_b32_e32 v2, 20, v2
	s_and_not1_saveexec_b32 s5, s5
	s_cbranch_execnz .LBB70_3103
.LBB70_3037:
	s_or_b32 exec_lo, exec_lo, s5
	v_mov_b32_e32 v3, 0
	s_and_saveexec_b32 s5, s4
.LBB70_3038:
	v_lshrrev_b32_e32 v3, 24, v6
	s_delay_alu instid0(VALU_DEP_1)
	v_and_or_b32 v3, 0x80, v3, v2
.LBB70_3039:
	s_or_b32 exec_lo, exec_lo, s5
.LBB70_3040:
	s_delay_alu instid0(SALU_CYCLE_1)
	s_or_b32 exec_lo, exec_lo, s3
	global_store_b8 v[0:1], v3, off
.LBB70_3041:
	s_mov_b32 s3, 0
.LBB70_3042:
	s_delay_alu instid0(SALU_CYCLE_1)
	s_and_b32 vcc_lo, exec_lo, s3
	s_cbranch_vccz .LBB70_3082
; %bb.3043:
	s_cmp_gt_i32 s1, 22
	s_mov_b32 s2, -1
	s_cbranch_scc0 .LBB70_3075
; %bb.3044:
	s_cmp_lt_i32 s1, 24
	s_cbranch_scc1 .LBB70_3064
; %bb.3045:
	s_cmp_gt_i32 s1, 24
	s_cbranch_scc0 .LBB70_3053
; %bb.3046:
	s_wait_xcnt 0x0
	v_and_b32_e32 v2, 0x7fffffff, v6
	v_mov_b32_e32 v3, 0x80
	s_mov_b32 s2, exec_lo
	s_delay_alu instid0(VALU_DEP_2)
	v_cmpx_gt_u32_e32 0x47800000, v2
	s_cbranch_execz .LBB70_3052
; %bb.3047:
	v_cmp_lt_u32_e32 vcc_lo, 0x37ffffff, v2
	s_mov_b32 s3, 0
                                        ; implicit-def: $vgpr2
	s_and_saveexec_b32 s4, vcc_lo
	s_delay_alu instid0(SALU_CYCLE_1)
	s_xor_b32 s4, exec_lo, s4
	s_cbranch_execz .LBB70_3105
; %bb.3048:
	v_bfe_u32 v2, v6, 21, 1
	s_mov_b32 s3, exec_lo
	s_delay_alu instid0(VALU_DEP_1) | instskip(NEXT) | instid1(VALU_DEP_1)
	v_add3_u32 v2, v6, v2, 0x88fffff
	v_lshrrev_b32_e32 v2, 21, v2
	s_and_not1_saveexec_b32 s4, s4
	s_cbranch_execnz .LBB70_3106
.LBB70_3049:
	s_or_b32 exec_lo, exec_lo, s4
	v_mov_b32_e32 v3, 0
	s_and_saveexec_b32 s4, s3
.LBB70_3050:
	v_lshrrev_b32_e32 v3, 24, v6
	s_delay_alu instid0(VALU_DEP_1)
	v_and_or_b32 v3, 0x80, v3, v2
.LBB70_3051:
	s_or_b32 exec_lo, exec_lo, s4
.LBB70_3052:
	s_delay_alu instid0(SALU_CYCLE_1)
	s_or_b32 exec_lo, exec_lo, s2
	s_mov_b32 s2, 0
	global_store_b8 v[0:1], v3, off
.LBB70_3053:
	s_and_b32 vcc_lo, exec_lo, s2
	s_cbranch_vccz .LBB70_3063
; %bb.3054:
	s_wait_xcnt 0x0
	v_and_b32_e32 v3, 0x7fffffff, v6
	s_mov_b32 s2, exec_lo
                                        ; implicit-def: $vgpr2
	s_delay_alu instid0(VALU_DEP_1)
	v_cmpx_gt_u32_e32 0x43f00000, v3
	s_xor_b32 s2, exec_lo, s2
	s_cbranch_execz .LBB70_3060
; %bb.3055:
	s_mov_b32 s3, exec_lo
                                        ; implicit-def: $vgpr2
	v_cmpx_lt_u32_e32 0x3c7fffff, v3
	s_xor_b32 s3, exec_lo, s3
; %bb.3056:
	v_bfe_u32 v2, v6, 20, 1
	s_delay_alu instid0(VALU_DEP_1) | instskip(NEXT) | instid1(VALU_DEP_1)
	v_add3_u32 v2, v6, v2, 0x407ffff
	v_and_b32_e32 v3, 0xff00000, v2
	v_lshrrev_b32_e32 v2, 20, v2
	s_delay_alu instid0(VALU_DEP_2) | instskip(NEXT) | instid1(VALU_DEP_2)
	v_cmp_ne_u32_e32 vcc_lo, 0x7f00000, v3
	v_cndmask_b32_e32 v2, 0x7e, v2, vcc_lo
; %bb.3057:
	s_and_not1_saveexec_b32 s3, s3
; %bb.3058:
	v_add_f32_e64 v2, 0x46800000, |v6|
; %bb.3059:
	s_or_b32 exec_lo, exec_lo, s3
                                        ; implicit-def: $vgpr3
.LBB70_3060:
	s_and_not1_saveexec_b32 s2, s2
; %bb.3061:
	v_mov_b32_e32 v2, 0x7f
	v_cmp_lt_u32_e32 vcc_lo, 0x7f800000, v3
	s_delay_alu instid0(VALU_DEP_2)
	v_cndmask_b32_e32 v2, 0x7e, v2, vcc_lo
; %bb.3062:
	s_or_b32 exec_lo, exec_lo, s2
	v_lshrrev_b32_e32 v3, 24, v6
	s_delay_alu instid0(VALU_DEP_1)
	v_and_or_b32 v2, 0x80, v3, v2
	global_store_b8 v[0:1], v2, off
.LBB70_3063:
	s_mov_b32 s2, 0
.LBB70_3064:
	s_delay_alu instid0(SALU_CYCLE_1)
	s_and_not1_b32 vcc_lo, exec_lo, s2
	s_cbranch_vccnz .LBB70_3074
; %bb.3065:
	s_wait_xcnt 0x0
	v_and_b32_e32 v3, 0x7fffffff, v6
	s_mov_b32 s2, exec_lo
                                        ; implicit-def: $vgpr2
	s_delay_alu instid0(VALU_DEP_1)
	v_cmpx_gt_u32_e32 0x47800000, v3
	s_xor_b32 s2, exec_lo, s2
	s_cbranch_execz .LBB70_3071
; %bb.3066:
	s_mov_b32 s3, exec_lo
                                        ; implicit-def: $vgpr2
	v_cmpx_lt_u32_e32 0x387fffff, v3
	s_xor_b32 s3, exec_lo, s3
; %bb.3067:
	v_bfe_u32 v2, v6, 21, 1
	s_delay_alu instid0(VALU_DEP_1) | instskip(NEXT) | instid1(VALU_DEP_1)
	v_add3_u32 v2, v6, v2, 0x80fffff
	v_lshrrev_b32_e32 v2, 21, v2
; %bb.3068:
	s_and_not1_saveexec_b32 s3, s3
; %bb.3069:
	v_add_f32_e64 v2, 0x43000000, |v6|
; %bb.3070:
	s_or_b32 exec_lo, exec_lo, s3
                                        ; implicit-def: $vgpr3
.LBB70_3071:
	s_and_not1_saveexec_b32 s2, s2
; %bb.3072:
	v_mov_b32_e32 v2, 0x7f
	v_cmp_lt_u32_e32 vcc_lo, 0x7f800000, v3
	s_delay_alu instid0(VALU_DEP_2)
	v_cndmask_b32_e32 v2, 0x7c, v2, vcc_lo
; %bb.3073:
	s_or_b32 exec_lo, exec_lo, s2
	v_lshrrev_b32_e32 v3, 24, v6
	s_delay_alu instid0(VALU_DEP_1)
	v_and_or_b32 v2, 0x80, v3, v2
	global_store_b8 v[0:1], v2, off
.LBB70_3074:
	s_mov_b32 s2, 0
.LBB70_3075:
	s_delay_alu instid0(SALU_CYCLE_1)
	s_and_not1_b32 vcc_lo, exec_lo, s2
	s_mov_b32 s2, 0
	s_cbranch_vccnz .LBB70_3082
; %bb.3076:
	s_cmp_gt_i32 s1, 14
	s_mov_b32 s2, -1
	s_cbranch_scc0 .LBB70_3080
; %bb.3077:
	s_cmp_eq_u32 s1, 15
	s_mov_b32 s0, -1
	s_cbranch_scc0 .LBB70_3079
; %bb.3078:
	s_wait_xcnt 0x0
	v_bfe_u32 v2, v6, 16, 1
	v_cmp_o_f32_e32 vcc_lo, v6, v6
	s_mov_b32 s0, 0
	s_delay_alu instid0(VALU_DEP_2) | instskip(NEXT) | instid1(VALU_DEP_1)
	v_add3_u32 v2, v6, v2, 0x7fff
	v_lshrrev_b32_e32 v2, 16, v2
	s_delay_alu instid0(VALU_DEP_1)
	v_cndmask_b32_e32 v2, 0x7fc0, v2, vcc_lo
	global_store_b16 v[0:1], v2, off
.LBB70_3079:
	s_mov_b32 s2, 0
.LBB70_3080:
	s_delay_alu instid0(SALU_CYCLE_1)
	s_and_b32 vcc_lo, exec_lo, s2
	s_mov_b32 s2, 0
	s_cbranch_vccz .LBB70_3082
; %bb.3081:
	s_cmp_lg_u32 s1, 11
	s_mov_b32 s2, -1
	s_cselect_b32 s0, -1, 0
.LBB70_3082:
	s_delay_alu instid0(SALU_CYCLE_1)
	s_and_b32 vcc_lo, exec_lo, s0
	s_cbranch_vccnz .LBB70_3104
.LBB70_3083:
	s_mov_b32 s0, 0
	s_branch .LBB70_2685
.LBB70_3084:
	s_mov_b32 s0, 0
	s_mov_b32 s2, 0
                                        ; implicit-def: $sgpr18
                                        ; implicit-def: $vgpr0_vgpr1
	s_branch .LBB70_2685
.LBB70_3085:
	s_mov_b32 s2, 0
	s_mov_b32 s0, -1
	s_branch .LBB70_2685
.LBB70_3086:
	s_or_b32 s14, s14, exec_lo
	s_trap 2
	s_cbranch_execz .LBB70_2552
	s_branch .LBB70_2553
.LBB70_3087:
	s_and_not1_saveexec_b32 s7, s7
	s_cbranch_execz .LBB70_2634
.LBB70_3088:
	v_add_f32_e64 v1, 0x46000000, |v0|
	s_and_not1_b32 s6, s6, exec_lo
	s_delay_alu instid0(VALU_DEP_1) | instskip(NEXT) | instid1(VALU_DEP_1)
	v_and_b32_e32 v1, 0xff, v1
	v_cmp_ne_u32_e32 vcc_lo, 0, v1
	s_and_b32 s9, vcc_lo, exec_lo
	s_delay_alu instid0(SALU_CYCLE_1)
	s_or_b32 s6, s6, s9
	s_or_b32 exec_lo, exec_lo, s7
	v_mov_b32_e32 v3, 0
	s_and_saveexec_b32 s7, s6
	s_cbranch_execnz .LBB70_2635
	s_branch .LBB70_2636
.LBB70_3089:
	s_or_b32 s14, s14, exec_lo
	s_trap 2
	s_cbranch_execz .LBB70_2682
	s_branch .LBB70_2683
.LBB70_3090:
	s_and_not1_saveexec_b32 s6, s6
	s_cbranch_execz .LBB70_2647
.LBB70_3091:
	v_add_f32_e64 v1, 0x42800000, |v0|
	s_and_not1_b32 s3, s3, exec_lo
	s_delay_alu instid0(VALU_DEP_1) | instskip(NEXT) | instid1(VALU_DEP_1)
	v_and_b32_e32 v1, 0xff, v1
	v_cmp_ne_u32_e32 vcc_lo, 0, v1
	s_and_b32 s7, vcc_lo, exec_lo
	s_delay_alu instid0(SALU_CYCLE_1)
	s_or_b32 s3, s3, s7
	s_or_b32 exec_lo, exec_lo, s6
	v_mov_b32_e32 v3, 0
	s_and_saveexec_b32 s6, s3
	s_cbranch_execnz .LBB70_2648
	s_branch .LBB70_2649
.LBB70_3092:
	s_and_not1_saveexec_b32 s8, s8
	s_cbranch_execz .LBB70_2798
.LBB70_3093:
	v_add_f32_e64 v1, 0x46000000, |v2|
	s_and_not1_b32 s7, s7, exec_lo
	s_delay_alu instid0(VALU_DEP_1) | instskip(NEXT) | instid1(VALU_DEP_1)
	v_and_b32_e32 v1, 0xff, v1
	v_cmp_ne_u32_e32 vcc_lo, 0, v1
	s_and_b32 s9, vcc_lo, exec_lo
	s_delay_alu instid0(SALU_CYCLE_1)
	s_or_b32 s7, s7, s9
	s_or_b32 exec_lo, exec_lo, s8
	v_mov_b32_e32 v3, 0
	s_and_saveexec_b32 s8, s7
	s_cbranch_execnz .LBB70_2799
	s_branch .LBB70_2800
.LBB70_3094:
	s_or_b32 s14, s14, exec_lo
	s_trap 2
	s_cbranch_execz .LBB70_2846
	s_branch .LBB70_2847
.LBB70_3095:
	s_and_not1_saveexec_b32 s7, s7
	s_cbranch_execz .LBB70_2811
.LBB70_3096:
	v_add_f32_e64 v1, 0x42800000, |v2|
	s_and_not1_b32 s6, s6, exec_lo
	s_delay_alu instid0(VALU_DEP_1) | instskip(NEXT) | instid1(VALU_DEP_1)
	v_and_b32_e32 v1, 0xff, v1
	v_cmp_ne_u32_e32 vcc_lo, 0, v1
	s_and_b32 s8, vcc_lo, exec_lo
	s_delay_alu instid0(SALU_CYCLE_1)
	s_or_b32 s6, s6, s8
	s_or_b32 exec_lo, exec_lo, s7
	v_mov_b32_e32 v3, 0
	s_and_saveexec_b32 s7, s6
	s_cbranch_execnz .LBB70_2812
	s_branch .LBB70_2813
.LBB70_3097:
	s_and_not1_saveexec_b32 s8, s8
	s_cbranch_execz .LBB70_2917
.LBB70_3098:
	v_add_f32_e64 v1, 0x46000000, |v4|
	s_and_not1_b32 s7, s7, exec_lo
	s_delay_alu instid0(VALU_DEP_1) | instskip(NEXT) | instid1(VALU_DEP_1)
	v_and_b32_e32 v1, 0xff, v1
	v_cmp_ne_u32_e32 vcc_lo, 0, v1
	s_and_b32 s9, vcc_lo, exec_lo
	s_delay_alu instid0(SALU_CYCLE_1)
	s_or_b32 s7, s7, s9
	s_or_b32 exec_lo, exec_lo, s8
	v_mov_b32_e32 v5, 0
	s_and_saveexec_b32 s8, s7
	s_cbranch_execnz .LBB70_2918
	s_branch .LBB70_2919
.LBB70_3099:
	s_or_b32 s14, s14, exec_lo
	s_trap 2
	s_cbranch_execz .LBB70_2965
	s_branch .LBB70_2966
.LBB70_3100:
	s_and_not1_saveexec_b32 s7, s7
	s_cbranch_execz .LBB70_2930
.LBB70_3101:
	v_add_f32_e64 v1, 0x42800000, |v4|
	s_and_not1_b32 s6, s6, exec_lo
	s_delay_alu instid0(VALU_DEP_1) | instskip(NEXT) | instid1(VALU_DEP_1)
	v_and_b32_e32 v1, 0xff, v1
	v_cmp_ne_u32_e32 vcc_lo, 0, v1
	s_and_b32 s8, vcc_lo, exec_lo
	s_delay_alu instid0(SALU_CYCLE_1)
	s_or_b32 s6, s6, s8
	s_or_b32 exec_lo, exec_lo, s7
	v_mov_b32_e32 v5, 0
	s_and_saveexec_b32 s7, s6
	s_cbranch_execnz .LBB70_2931
	s_branch .LBB70_2932
.LBB70_3102:
	s_and_not1_saveexec_b32 s5, s5
	s_cbranch_execz .LBB70_3037
.LBB70_3103:
	v_add_f32_e64 v2, 0x46000000, |v6|
	s_and_not1_b32 s4, s4, exec_lo
	s_delay_alu instid0(VALU_DEP_1) | instskip(NEXT) | instid1(VALU_DEP_1)
	v_and_b32_e32 v2, 0xff, v2
	v_cmp_ne_u32_e32 vcc_lo, 0, v2
	s_and_b32 s6, vcc_lo, exec_lo
	s_delay_alu instid0(SALU_CYCLE_1)
	s_or_b32 s4, s4, s6
	s_or_b32 exec_lo, exec_lo, s5
	v_mov_b32_e32 v3, 0
	s_and_saveexec_b32 s5, s4
	s_cbranch_execnz .LBB70_3038
	s_branch .LBB70_3039
.LBB70_3104:
	s_mov_b32 s2, 0
	s_or_b32 s14, s14, exec_lo
	s_trap 2
	s_branch .LBB70_3083
.LBB70_3105:
	s_and_not1_saveexec_b32 s4, s4
	s_cbranch_execz .LBB70_3049
.LBB70_3106:
	v_add_f32_e64 v2, 0x42800000, |v6|
	s_and_not1_b32 s3, s3, exec_lo
	s_delay_alu instid0(VALU_DEP_1) | instskip(NEXT) | instid1(VALU_DEP_1)
	v_and_b32_e32 v2, 0xff, v2
	v_cmp_ne_u32_e32 vcc_lo, 0, v2
	s_and_b32 s5, vcc_lo, exec_lo
	s_delay_alu instid0(SALU_CYCLE_1)
	s_or_b32 s3, s3, s5
	s_or_b32 exec_lo, exec_lo, s4
	v_mov_b32_e32 v3, 0
	s_and_saveexec_b32 s4, s3
	s_cbranch_execnz .LBB70_3050
	s_branch .LBB70_3051
	.section	.rodata,"a",@progbits
	.p2align	6, 0x0
	.amdhsa_kernel _ZN2at6native32elementwise_kernel_manual_unrollILi128ELi4EZNS0_15gpu_kernel_implIZZZNS0_12_GLOBAL__N_124softplus_backward_kernelERNS_18TensorIteratorBaseERKN3c106ScalarES9_ENKUlvE_clEvENKUlvE0_clEvEUlffE_EEvS5_RKT_EUlibE_EEviT1_
		.amdhsa_group_segment_fixed_size 0
		.amdhsa_private_segment_fixed_size 0
		.amdhsa_kernarg_size 56
		.amdhsa_user_sgpr_count 2
		.amdhsa_user_sgpr_dispatch_ptr 0
		.amdhsa_user_sgpr_queue_ptr 0
		.amdhsa_user_sgpr_kernarg_segment_ptr 1
		.amdhsa_user_sgpr_dispatch_id 0
		.amdhsa_user_sgpr_kernarg_preload_length 0
		.amdhsa_user_sgpr_kernarg_preload_offset 0
		.amdhsa_user_sgpr_private_segment_size 0
		.amdhsa_wavefront_size32 1
		.amdhsa_uses_dynamic_stack 0
		.amdhsa_enable_private_segment 0
		.amdhsa_system_sgpr_workgroup_id_x 1
		.amdhsa_system_sgpr_workgroup_id_y 0
		.amdhsa_system_sgpr_workgroup_id_z 0
		.amdhsa_system_sgpr_workgroup_info 0
		.amdhsa_system_vgpr_workitem_id 0
		.amdhsa_next_free_vgpr 16
		.amdhsa_next_free_sgpr 37
		.amdhsa_named_barrier_count 0
		.amdhsa_reserve_vcc 1
		.amdhsa_float_round_mode_32 0
		.amdhsa_float_round_mode_16_64 0
		.amdhsa_float_denorm_mode_32 3
		.amdhsa_float_denorm_mode_16_64 3
		.amdhsa_fp16_overflow 0
		.amdhsa_memory_ordered 1
		.amdhsa_forward_progress 1
		.amdhsa_inst_pref_size 255
		.amdhsa_round_robin_scheduling 0
		.amdhsa_exception_fp_ieee_invalid_op 0
		.amdhsa_exception_fp_denorm_src 0
		.amdhsa_exception_fp_ieee_div_zero 0
		.amdhsa_exception_fp_ieee_overflow 0
		.amdhsa_exception_fp_ieee_underflow 0
		.amdhsa_exception_fp_ieee_inexact 0
		.amdhsa_exception_int_div_zero 0
	.end_amdhsa_kernel
	.section	.text._ZN2at6native32elementwise_kernel_manual_unrollILi128ELi4EZNS0_15gpu_kernel_implIZZZNS0_12_GLOBAL__N_124softplus_backward_kernelERNS_18TensorIteratorBaseERKN3c106ScalarES9_ENKUlvE_clEvENKUlvE0_clEvEUlffE_EEvS5_RKT_EUlibE_EEviT1_,"axG",@progbits,_ZN2at6native32elementwise_kernel_manual_unrollILi128ELi4EZNS0_15gpu_kernel_implIZZZNS0_12_GLOBAL__N_124softplus_backward_kernelERNS_18TensorIteratorBaseERKN3c106ScalarES9_ENKUlvE_clEvENKUlvE0_clEvEUlffE_EEvS5_RKT_EUlibE_EEviT1_,comdat
.Lfunc_end70:
	.size	_ZN2at6native32elementwise_kernel_manual_unrollILi128ELi4EZNS0_15gpu_kernel_implIZZZNS0_12_GLOBAL__N_124softplus_backward_kernelERNS_18TensorIteratorBaseERKN3c106ScalarES9_ENKUlvE_clEvENKUlvE0_clEvEUlffE_EEvS5_RKT_EUlibE_EEviT1_, .Lfunc_end70-_ZN2at6native32elementwise_kernel_manual_unrollILi128ELi4EZNS0_15gpu_kernel_implIZZZNS0_12_GLOBAL__N_124softplus_backward_kernelERNS_18TensorIteratorBaseERKN3c106ScalarES9_ENKUlvE_clEvENKUlvE0_clEvEUlffE_EEvS5_RKT_EUlibE_EEviT1_
                                        ; -- End function
	.set _ZN2at6native32elementwise_kernel_manual_unrollILi128ELi4EZNS0_15gpu_kernel_implIZZZNS0_12_GLOBAL__N_124softplus_backward_kernelERNS_18TensorIteratorBaseERKN3c106ScalarES9_ENKUlvE_clEvENKUlvE0_clEvEUlffE_EEvS5_RKT_EUlibE_EEviT1_.num_vgpr, 16
	.set _ZN2at6native32elementwise_kernel_manual_unrollILi128ELi4EZNS0_15gpu_kernel_implIZZZNS0_12_GLOBAL__N_124softplus_backward_kernelERNS_18TensorIteratorBaseERKN3c106ScalarES9_ENKUlvE_clEvENKUlvE0_clEvEUlffE_EEvS5_RKT_EUlibE_EEviT1_.num_agpr, 0
	.set _ZN2at6native32elementwise_kernel_manual_unrollILi128ELi4EZNS0_15gpu_kernel_implIZZZNS0_12_GLOBAL__N_124softplus_backward_kernelERNS_18TensorIteratorBaseERKN3c106ScalarES9_ENKUlvE_clEvENKUlvE0_clEvEUlffE_EEvS5_RKT_EUlibE_EEviT1_.numbered_sgpr, 37
	.set _ZN2at6native32elementwise_kernel_manual_unrollILi128ELi4EZNS0_15gpu_kernel_implIZZZNS0_12_GLOBAL__N_124softplus_backward_kernelERNS_18TensorIteratorBaseERKN3c106ScalarES9_ENKUlvE_clEvENKUlvE0_clEvEUlffE_EEvS5_RKT_EUlibE_EEviT1_.num_named_barrier, 0
	.set _ZN2at6native32elementwise_kernel_manual_unrollILi128ELi4EZNS0_15gpu_kernel_implIZZZNS0_12_GLOBAL__N_124softplus_backward_kernelERNS_18TensorIteratorBaseERKN3c106ScalarES9_ENKUlvE_clEvENKUlvE0_clEvEUlffE_EEvS5_RKT_EUlibE_EEviT1_.private_seg_size, 0
	.set _ZN2at6native32elementwise_kernel_manual_unrollILi128ELi4EZNS0_15gpu_kernel_implIZZZNS0_12_GLOBAL__N_124softplus_backward_kernelERNS_18TensorIteratorBaseERKN3c106ScalarES9_ENKUlvE_clEvENKUlvE0_clEvEUlffE_EEvS5_RKT_EUlibE_EEviT1_.uses_vcc, 1
	.set _ZN2at6native32elementwise_kernel_manual_unrollILi128ELi4EZNS0_15gpu_kernel_implIZZZNS0_12_GLOBAL__N_124softplus_backward_kernelERNS_18TensorIteratorBaseERKN3c106ScalarES9_ENKUlvE_clEvENKUlvE0_clEvEUlffE_EEvS5_RKT_EUlibE_EEviT1_.uses_flat_scratch, 0
	.set _ZN2at6native32elementwise_kernel_manual_unrollILi128ELi4EZNS0_15gpu_kernel_implIZZZNS0_12_GLOBAL__N_124softplus_backward_kernelERNS_18TensorIteratorBaseERKN3c106ScalarES9_ENKUlvE_clEvENKUlvE0_clEvEUlffE_EEvS5_RKT_EUlibE_EEviT1_.has_dyn_sized_stack, 0
	.set _ZN2at6native32elementwise_kernel_manual_unrollILi128ELi4EZNS0_15gpu_kernel_implIZZZNS0_12_GLOBAL__N_124softplus_backward_kernelERNS_18TensorIteratorBaseERKN3c106ScalarES9_ENKUlvE_clEvENKUlvE0_clEvEUlffE_EEvS5_RKT_EUlibE_EEviT1_.has_recursion, 0
	.set _ZN2at6native32elementwise_kernel_manual_unrollILi128ELi4EZNS0_15gpu_kernel_implIZZZNS0_12_GLOBAL__N_124softplus_backward_kernelERNS_18TensorIteratorBaseERKN3c106ScalarES9_ENKUlvE_clEvENKUlvE0_clEvEUlffE_EEvS5_RKT_EUlibE_EEviT1_.has_indirect_call, 0
	.section	.AMDGPU.csdata,"",@progbits
; Kernel info:
; codeLenInByte = 57732
; TotalNumSgprs: 39
; NumVgprs: 16
; ScratchSize: 0
; MemoryBound: 1
; FloatMode: 240
; IeeeMode: 1
; LDSByteSize: 0 bytes/workgroup (compile time only)
; SGPRBlocks: 0
; VGPRBlocks: 0
; NumSGPRsForWavesPerEU: 39
; NumVGPRsForWavesPerEU: 16
; NamedBarCnt: 0
; Occupancy: 16
; WaveLimiterHint : 0
; COMPUTE_PGM_RSRC2:SCRATCH_EN: 0
; COMPUTE_PGM_RSRC2:USER_SGPR: 2
; COMPUTE_PGM_RSRC2:TRAP_HANDLER: 0
; COMPUTE_PGM_RSRC2:TGID_X_EN: 1
; COMPUTE_PGM_RSRC2:TGID_Y_EN: 0
; COMPUTE_PGM_RSRC2:TGID_Z_EN: 0
; COMPUTE_PGM_RSRC2:TIDIG_COMP_CNT: 0
	.section	.text._ZN2at6native32elementwise_kernel_manual_unrollILi128ELi4EZNS0_12_GLOBAL__N_142type_specialized_broadcast_kernel_launcherILi0EE5applyIZZZNS2_24softplus_backward_kernelERNS_18TensorIteratorBaseERKN3c106ScalarESB_ENKUlvE_clEvENKUlvE0_clEvEUlffE_St5arrayIPcLm3EESF_INS8_10ScalarTypeELm3EE16OffsetCalculatorILi3EjLb0EEEEvlT_T0_T1_T2_EUlibE_EEviSO_,"axG",@progbits,_ZN2at6native32elementwise_kernel_manual_unrollILi128ELi4EZNS0_12_GLOBAL__N_142type_specialized_broadcast_kernel_launcherILi0EE5applyIZZZNS2_24softplus_backward_kernelERNS_18TensorIteratorBaseERKN3c106ScalarESB_ENKUlvE_clEvENKUlvE0_clEvEUlffE_St5arrayIPcLm3EESF_INS8_10ScalarTypeELm3EE16OffsetCalculatorILi3EjLb0EEEEvlT_T0_T1_T2_EUlibE_EEviSO_,comdat
	.globl	_ZN2at6native32elementwise_kernel_manual_unrollILi128ELi4EZNS0_12_GLOBAL__N_142type_specialized_broadcast_kernel_launcherILi0EE5applyIZZZNS2_24softplus_backward_kernelERNS_18TensorIteratorBaseERKN3c106ScalarESB_ENKUlvE_clEvENKUlvE0_clEvEUlffE_St5arrayIPcLm3EESF_INS8_10ScalarTypeELm3EE16OffsetCalculatorILi3EjLb0EEEEvlT_T0_T1_T2_EUlibE_EEviSO_ ; -- Begin function _ZN2at6native32elementwise_kernel_manual_unrollILi128ELi4EZNS0_12_GLOBAL__N_142type_specialized_broadcast_kernel_launcherILi0EE5applyIZZZNS2_24softplus_backward_kernelERNS_18TensorIteratorBaseERKN3c106ScalarESB_ENKUlvE_clEvENKUlvE0_clEvEUlffE_St5arrayIPcLm3EESF_INS8_10ScalarTypeELm3EE16OffsetCalculatorILi3EjLb0EEEEvlT_T0_T1_T2_EUlibE_EEviSO_
	.p2align	8
	.type	_ZN2at6native32elementwise_kernel_manual_unrollILi128ELi4EZNS0_12_GLOBAL__N_142type_specialized_broadcast_kernel_launcherILi0EE5applyIZZZNS2_24softplus_backward_kernelERNS_18TensorIteratorBaseERKN3c106ScalarESB_ENKUlvE_clEvENKUlvE0_clEvEUlffE_St5arrayIPcLm3EESF_INS8_10ScalarTypeELm3EE16OffsetCalculatorILi3EjLb0EEEEvlT_T0_T1_T2_EUlibE_EEviSO_,@function
_ZN2at6native32elementwise_kernel_manual_unrollILi128ELi4EZNS0_12_GLOBAL__N_142type_specialized_broadcast_kernel_launcherILi0EE5applyIZZZNS2_24softplus_backward_kernelERNS_18TensorIteratorBaseERKN3c106ScalarESB_ENKUlvE_clEvENKUlvE0_clEvEUlffE_St5arrayIPcLm3EESF_INS8_10ScalarTypeELm3EE16OffsetCalculatorILi3EjLb0EEEEvlT_T0_T1_T2_EUlibE_EEviSO_: ; @_ZN2at6native32elementwise_kernel_manual_unrollILi128ELi4EZNS0_12_GLOBAL__N_142type_specialized_broadcast_kernel_launcherILi0EE5applyIZZZNS2_24softplus_backward_kernelERNS_18TensorIteratorBaseERKN3c106ScalarESB_ENKUlvE_clEvENKUlvE0_clEvEUlffE_St5arrayIPcLm3EESF_INS8_10ScalarTypeELm3EE16OffsetCalculatorILi3EjLb0EEEEvlT_T0_T1_T2_EUlibE_EEviSO_
; %bb.0:
	s_clause 0x1
	s_load_b32 s28, s[0:1], 0x8
	s_load_b32 s35, s[0:1], 0x0
	s_bfe_u32 s2, ttmp6, 0x4000c
	s_and_b32 s3, ttmp6, 15
	s_add_co_i32 s2, s2, 1
	s_getreg_b32 s4, hwreg(HW_REG_IB_STS2, 6, 4)
	s_mul_i32 s2, ttmp9, s2
	s_add_nc_u64 s[16:17], s[0:1], 8
	s_add_co_i32 s3, s3, s2
	s_cmp_eq_u32 s4, 0
	s_mov_b32 s23, 0
	s_cselect_b32 s2, ttmp9, s3
	s_wait_xcnt 0x0
	s_mov_b32 s0, exec_lo
	v_lshl_or_b32 v0, s2, 9, v0
	s_delay_alu instid0(VALU_DEP_1) | instskip(SKIP_2) | instid1(SALU_CYCLE_1)
	v_or_b32_e32 v2, 0x180, v0
	s_wait_kmcnt 0x0
	s_add_co_i32 s29, s28, -1
	s_cmp_gt_u32 s29, 1
	s_cselect_b32 s30, -1, 0
	v_cmpx_le_i32_e64 s35, v2
	s_xor_b32 s31, exec_lo, s0
	s_cbranch_execz .LBB71_62
; %bb.1:
	s_clause 0x4
	s_load_b128 s[8:11], s[16:17], 0x4
	s_load_b64 s[18:19], s[16:17], 0x14
	s_load_b128 s[12:15], s[16:17], 0xc4
	s_load_b64 s[20:21], s[16:17], 0xd4
	s_load_b256 s[0:7], s[16:17], 0x188
	s_cmp_lg_u32 s28, 0
	s_mov_b32 s25, s23
	s_cselect_b32 s36, -1, 0
	s_min_u32 s34, s29, 15
	s_cmp_gt_u32 s28, 1
	s_cselect_b32 s33, -1, 0
	s_wait_kmcnt 0x0
	s_mov_b32 s22, s9
	s_mov_b32 s24, s18
	s_mov_b32 s9, exec_lo
	v_cmpx_gt_i32_e64 s35, v0
	s_cbranch_execnz .LBB71_5
; %bb.2:
	s_or_b32 exec_lo, exec_lo, s9
	s_delay_alu instid0(SALU_CYCLE_1)
	s_mov_b32 s9, exec_lo
	v_cmpx_gt_i32_e64 s35, v0
	s_cbranch_execnz .LBB71_19
.LBB71_3:
	s_or_b32 exec_lo, exec_lo, s9
	s_delay_alu instid0(SALU_CYCLE_1)
	s_mov_b32 s9, exec_lo
	v_cmpx_gt_i32_e64 s35, v0
	s_cbranch_execnz .LBB71_33
.LBB71_4:
	s_or_b32 exec_lo, exec_lo, s9
	s_delay_alu instid0(SALU_CYCLE_1)
	s_mov_b32 s9, exec_lo
	v_cmpx_gt_i32_e64 s35, v0
	s_cbranch_execnz .LBB71_47
	s_branch .LBB71_61
.LBB71_5:
	s_and_not1_b32 vcc_lo, exec_lo, s30
	s_cbranch_vccnz .LBB71_11
; %bb.6:
	s_and_not1_b32 vcc_lo, exec_lo, s36
	s_cbranch_vccnz .LBB71_12
; %bb.7:
	v_dual_mov_b32 v4, 0 :: v_dual_mov_b32 v1, v0
	v_dual_mov_b32 v6, 0 :: v_dual_mov_b32 v5, 0
	s_add_co_i32 s18, s34, 1
	s_mov_b64 s[26:27], 0xffffffffffffffe8
	s_and_b32 s18, s18, 30
	s_add_nc_u64 s[26:27], s[16:17], s[26:27]
.LBB71_8:                               ; =>This Inner Loop Header: Depth=1
	s_clause 0x1
	s_load_b128 s[40:43], s[26:27], 0x1c
	s_load_b64 s[38:39], s[26:27], 0x2c
	s_add_co_i32 s18, s18, -2
	s_delay_alu instid0(SALU_CYCLE_1) | instskip(SKIP_2) | instid1(VALU_DEP_1)
	s_cmp_lg_u32 s18, 0
	s_wait_kmcnt 0x0
	v_mul_hi_u32 v2, s41, v1
	v_add_nc_u32_e32 v2, v1, v2
	s_delay_alu instid0(VALU_DEP_1) | instskip(NEXT) | instid1(VALU_DEP_1)
	v_lshrrev_b32_e32 v2, s42, v2
	v_mul_hi_u32 v3, s38, v2
	v_mul_lo_u32 v7, v2, s40
	s_clause 0x1
	s_load_b128 s[44:47], s[26:27], 0xdc
	s_load_b64 s[40:41], s[26:27], 0xec
	s_wait_xcnt 0x0
	s_add_nc_u64 s[26:27], s[26:27], 24
	s_delay_alu instid0(VALU_DEP_2) | instskip(NEXT) | instid1(VALU_DEP_2)
	v_add_nc_u32_e32 v3, v2, v3
	v_sub_nc_u32_e32 v7, v1, v7
	s_delay_alu instid0(VALU_DEP_2) | instskip(SKIP_1) | instid1(VALU_DEP_2)
	v_lshrrev_b32_e32 v1, s39, v3
	s_wait_kmcnt 0x0
	v_mad_u32 v4, v7, s44, v4
	s_delay_alu instid0(VALU_DEP_2) | instskip(SKIP_2) | instid1(VALU_DEP_3)
	v_mul_lo_u32 v3, v1, s43
	v_mad_u32 v5, v7, s46, v5
	v_mad_u32 v6, v7, s45, v6
	v_sub_nc_u32_e32 v2, v2, v3
	s_delay_alu instid0(VALU_DEP_1) | instskip(NEXT) | instid1(VALU_DEP_4)
	v_mad_u32 v4, v2, s47, v4
	v_mad_u32 v5, v2, s41, v5
	s_delay_alu instid0(VALU_DEP_4)
	v_mad_u32 v6, v2, s40, v6
	s_cbranch_scc1 .LBB71_8
; %bb.9:
	s_bitcmp1_b32 s34, 0
	s_cselect_b32 s18, -1, 0
	s_delay_alu instid0(SALU_CYCLE_1)
	s_and_b32 vcc_lo, exec_lo, s18
	s_cbranch_vccnz .LBB71_13
; %bb.10:
	s_clause 0x1
	s_load_b96 s[40:42], s[26:27], 0x1c
	s_load_b96 s[44:46], s[26:27], 0xdc
	s_wait_kmcnt 0x0
	v_mul_hi_u32 v2, s41, v1
	s_delay_alu instid0(VALU_DEP_1) | instskip(NEXT) | instid1(VALU_DEP_1)
	v_add_nc_u32_e32 v2, v1, v2
	v_lshrrev_b32_e32 v2, s42, v2
	s_delay_alu instid0(VALU_DEP_1) | instskip(NEXT) | instid1(VALU_DEP_1)
	v_mul_lo_u32 v2, v2, s40
	v_sub_nc_u32_e32 v1, v1, v2
	s_delay_alu instid0(VALU_DEP_1)
	v_mad_u32 v4, v1, s44, v4
	v_mad_u32 v6, v1, s45, v6
	;; [unrolled: 1-line block ×3, first 2 shown]
	s_cbranch_execz .LBB71_14
	s_branch .LBB71_16
.LBB71_11:
                                        ; implicit-def: $vgpr5
                                        ; implicit-def: $vgpr6
                                        ; implicit-def: $vgpr4
	s_branch .LBB71_14
.LBB71_12:
	v_dual_mov_b32 v5, 0 :: v_dual_mov_b32 v6, 0
	v_mov_b32_e32 v4, 0
.LBB71_13:
	s_cbranch_execnz .LBB71_16
.LBB71_14:
	v_mov_b32_e32 v1, 0
	s_and_not1_b32 vcc_lo, exec_lo, s33
	s_delay_alu instid0(VALU_DEP_1) | instskip(NEXT) | instid1(VALU_DEP_1)
	v_mul_u64_e32 v[2:3], s[22:23], v[0:1]
	v_add_nc_u32_e32 v2, v0, v3
	s_delay_alu instid0(VALU_DEP_1) | instskip(NEXT) | instid1(VALU_DEP_1)
	v_lshrrev_b32_e32 v2, s10, v2
	v_mul_lo_u32 v3, v2, s8
	s_delay_alu instid0(VALU_DEP_1) | instskip(NEXT) | instid1(VALU_DEP_1)
	v_sub_nc_u32_e32 v3, v0, v3
	v_mul_lo_u32 v4, v3, s12
	v_mul_lo_u32 v5, v3, s14
	;; [unrolled: 1-line block ×3, first 2 shown]
	s_cbranch_vccnz .LBB71_16
; %bb.15:
	v_mov_b32_e32 v3, v1
	s_delay_alu instid0(VALU_DEP_1) | instskip(NEXT) | instid1(VALU_DEP_1)
	v_mul_u64_e32 v[8:9], s[24:25], v[2:3]
	v_add_nc_u32_e32 v1, v2, v9
	s_delay_alu instid0(VALU_DEP_1) | instskip(NEXT) | instid1(VALU_DEP_1)
	v_lshrrev_b32_e32 v1, s19, v1
	v_mul_lo_u32 v1, v1, s11
	s_delay_alu instid0(VALU_DEP_1) | instskip(NEXT) | instid1(VALU_DEP_1)
	v_sub_nc_u32_e32 v1, v2, v1
	v_mad_u32 v4, v1, s15, v4
	v_mad_u32 v6, v1, s20, v6
	;; [unrolled: 1-line block ×3, first 2 shown]
.LBB71_16:
	global_load_u16 v2, v5, s[4:5]
	global_load_b32 v1, v6, s[2:3]
	s_mov_b32 s18, exec_lo
	s_wait_loadcnt 0x1
	v_lshlrev_b32_e32 v2, 16, v2
	s_delay_alu instid0(VALU_DEP_1) | instskip(SKIP_1) | instid1(VALU_DEP_1)
	v_mul_f32_e32 v2, s6, v2
	s_wait_xcnt 0x0
	v_cmpx_nlt_f32_e32 s7, v2
	s_cbranch_execz .LBB71_18
; %bb.17:
	v_mul_f32_e32 v3, 0x3fb8aa3b, v2
	v_cmp_ngt_f32_e32 vcc_lo, 0xc2ce8ed0, v2
	s_delay_alu instid0(VALU_DEP_2) | instskip(SKIP_1) | instid1(VALU_DEP_1)
	v_rndne_f32_e32 v5, v3
	v_fma_f32 v6, 0x3fb8aa3b, v2, -v3
	v_dual_sub_f32 v3, v3, v5 :: v_dual_fmamk_f32 v6, v2, 0x32a5705f, v6
	v_cvt_i32_f32_e32 v5, v5
	s_delay_alu instid0(VALU_DEP_2) | instskip(NEXT) | instid1(VALU_DEP_1)
	v_add_f32_e32 v3, v3, v6
	v_exp_f32_e32 v3, v3
	v_nop
	s_delay_alu instid0(TRANS32_DEP_1) | instskip(NEXT) | instid1(VALU_DEP_1)
	v_ldexp_f32 v3, v3, v5
	v_cndmask_b32_e32 v3, 0, v3, vcc_lo
	v_cmp_nlt_f32_e32 vcc_lo, 0x42b17218, v2
	s_delay_alu instid0(VALU_DEP_2) | instskip(SKIP_1) | instid1(VALU_DEP_1)
	v_cndmask_b32_e32 v2, 0x7f800000, v3, vcc_lo
	s_wait_loadcnt 0x0
	v_dual_mul_f32 v1, v1, v2 :: v_dual_add_f32 v2, 1.0, v2
	s_delay_alu instid0(VALU_DEP_1) | instskip(NEXT) | instid1(VALU_DEP_1)
	v_div_scale_f32 v3, null, v2, v2, v1
	v_rcp_f32_e32 v5, v3
	v_nop
	s_delay_alu instid0(TRANS32_DEP_1) | instskip(NEXT) | instid1(VALU_DEP_1)
	v_fma_f32 v6, -v3, v5, 1.0
	v_fmac_f32_e32 v5, v6, v5
	v_div_scale_f32 v6, vcc_lo, v1, v2, v1
	s_delay_alu instid0(VALU_DEP_1) | instskip(NEXT) | instid1(VALU_DEP_1)
	v_mul_f32_e32 v7, v6, v5
	v_fma_f32 v8, -v3, v7, v6
	s_delay_alu instid0(VALU_DEP_1) | instskip(NEXT) | instid1(VALU_DEP_1)
	v_fmac_f32_e32 v7, v8, v5
	v_fma_f32 v3, -v3, v7, v6
	s_delay_alu instid0(VALU_DEP_1) | instskip(NEXT) | instid1(VALU_DEP_1)
	v_div_fmas_f32 v3, v3, v5, v7
	v_div_fixup_f32 v1, v3, v2, v1
.LBB71_18:
	s_or_b32 exec_lo, exec_lo, s18
	v_add_nc_u32_e32 v0, 0x80, v0
	s_wait_loadcnt 0x0
	global_store_b32 v4, v1, s[0:1]
	s_wait_xcnt 0x0
	s_or_b32 exec_lo, exec_lo, s9
	s_delay_alu instid0(SALU_CYCLE_1)
	s_mov_b32 s9, exec_lo
	v_cmpx_gt_i32_e64 s35, v0
	s_cbranch_execz .LBB71_3
.LBB71_19:
	s_and_not1_b32 vcc_lo, exec_lo, s30
	s_cbranch_vccnz .LBB71_25
; %bb.20:
	s_and_not1_b32 vcc_lo, exec_lo, s36
	s_cbranch_vccnz .LBB71_26
; %bb.21:
	v_dual_mov_b32 v4, 0 :: v_dual_mov_b32 v1, v0
	v_dual_mov_b32 v6, 0 :: v_dual_mov_b32 v5, 0
	s_add_co_i32 s18, s34, 1
	s_mov_b64 s[26:27], 0xffffffffffffffe8
	s_and_b32 s18, s18, 30
	s_add_nc_u64 s[26:27], s[16:17], s[26:27]
.LBB71_22:                              ; =>This Inner Loop Header: Depth=1
	s_clause 0x1
	s_load_b128 s[40:43], s[26:27], 0x1c
	s_load_b64 s[38:39], s[26:27], 0x2c
	s_add_co_i32 s18, s18, -2
	s_delay_alu instid0(SALU_CYCLE_1) | instskip(SKIP_2) | instid1(VALU_DEP_1)
	s_cmp_eq_u32 s18, 0
	s_wait_kmcnt 0x0
	v_mul_hi_u32 v2, s41, v1
	v_add_nc_u32_e32 v2, v1, v2
	s_delay_alu instid0(VALU_DEP_1) | instskip(NEXT) | instid1(VALU_DEP_1)
	v_lshrrev_b32_e32 v2, s42, v2
	v_mul_hi_u32 v3, s38, v2
	v_mul_lo_u32 v7, v2, s40
	s_clause 0x1
	s_load_b128 s[44:47], s[26:27], 0xdc
	s_load_b64 s[40:41], s[26:27], 0xec
	s_wait_xcnt 0x0
	s_add_nc_u64 s[26:27], s[26:27], 24
	s_delay_alu instid0(VALU_DEP_2) | instskip(NEXT) | instid1(VALU_DEP_2)
	v_add_nc_u32_e32 v3, v2, v3
	v_sub_nc_u32_e32 v7, v1, v7
	s_delay_alu instid0(VALU_DEP_2) | instskip(SKIP_1) | instid1(VALU_DEP_2)
	v_lshrrev_b32_e32 v1, s39, v3
	s_wait_kmcnt 0x0
	v_mad_u32 v4, v7, s44, v4
	s_delay_alu instid0(VALU_DEP_2) | instskip(SKIP_2) | instid1(VALU_DEP_3)
	v_mul_lo_u32 v3, v1, s43
	v_mad_u32 v5, v7, s46, v5
	v_mad_u32 v6, v7, s45, v6
	v_sub_nc_u32_e32 v2, v2, v3
	s_delay_alu instid0(VALU_DEP_1) | instskip(NEXT) | instid1(VALU_DEP_4)
	v_mad_u32 v4, v2, s47, v4
	v_mad_u32 v5, v2, s41, v5
	s_delay_alu instid0(VALU_DEP_4)
	v_mad_u32 v6, v2, s40, v6
	s_cbranch_scc0 .LBB71_22
; %bb.23:
	s_bitcmp1_b32 s34, 0
	s_cselect_b32 s18, -1, 0
	s_delay_alu instid0(SALU_CYCLE_1)
	s_and_b32 vcc_lo, exec_lo, s18
	s_cbranch_vccnz .LBB71_27
; %bb.24:
	s_clause 0x1
	s_load_b96 s[40:42], s[26:27], 0x1c
	s_load_b96 s[44:46], s[26:27], 0xdc
	s_wait_kmcnt 0x0
	v_mul_hi_u32 v2, s41, v1
	s_delay_alu instid0(VALU_DEP_1) | instskip(NEXT) | instid1(VALU_DEP_1)
	v_add_nc_u32_e32 v2, v1, v2
	v_lshrrev_b32_e32 v2, s42, v2
	s_delay_alu instid0(VALU_DEP_1) | instskip(NEXT) | instid1(VALU_DEP_1)
	v_mul_lo_u32 v2, v2, s40
	v_sub_nc_u32_e32 v1, v1, v2
	s_delay_alu instid0(VALU_DEP_1)
	v_mad_u32 v4, v1, s44, v4
	v_mad_u32 v6, v1, s45, v6
	;; [unrolled: 1-line block ×3, first 2 shown]
	s_branch .LBB71_27
.LBB71_25:
                                        ; implicit-def: $vgpr5
                                        ; implicit-def: $vgpr6
                                        ; implicit-def: $vgpr4
	s_branch .LBB71_28
.LBB71_26:
	v_dual_mov_b32 v5, 0 :: v_dual_mov_b32 v6, 0
	v_mov_b32_e32 v4, 0
.LBB71_27:
	s_cbranch_execnz .LBB71_30
.LBB71_28:
	v_mov_b32_e32 v1, 0
	s_and_not1_b32 vcc_lo, exec_lo, s33
	s_delay_alu instid0(VALU_DEP_1) | instskip(NEXT) | instid1(VALU_DEP_1)
	v_mul_u64_e32 v[2:3], s[22:23], v[0:1]
	v_add_nc_u32_e32 v2, v0, v3
	s_delay_alu instid0(VALU_DEP_1) | instskip(NEXT) | instid1(VALU_DEP_1)
	v_lshrrev_b32_e32 v2, s10, v2
	v_mul_lo_u32 v3, v2, s8
	s_delay_alu instid0(VALU_DEP_1) | instskip(NEXT) | instid1(VALU_DEP_1)
	v_sub_nc_u32_e32 v3, v0, v3
	v_mul_lo_u32 v4, v3, s12
	v_mul_lo_u32 v5, v3, s14
	;; [unrolled: 1-line block ×3, first 2 shown]
	s_cbranch_vccnz .LBB71_30
; %bb.29:
	v_mov_b32_e32 v3, v1
	s_delay_alu instid0(VALU_DEP_1) | instskip(NEXT) | instid1(VALU_DEP_1)
	v_mul_u64_e32 v[8:9], s[24:25], v[2:3]
	v_add_nc_u32_e32 v1, v2, v9
	s_delay_alu instid0(VALU_DEP_1) | instskip(NEXT) | instid1(VALU_DEP_1)
	v_lshrrev_b32_e32 v1, s19, v1
	v_mul_lo_u32 v1, v1, s11
	s_delay_alu instid0(VALU_DEP_1) | instskip(NEXT) | instid1(VALU_DEP_1)
	v_sub_nc_u32_e32 v1, v2, v1
	v_mad_u32 v4, v1, s15, v4
	v_mad_u32 v6, v1, s20, v6
	;; [unrolled: 1-line block ×3, first 2 shown]
.LBB71_30:
	global_load_u16 v2, v5, s[4:5]
	global_load_b32 v1, v6, s[2:3]
	s_mov_b32 s18, exec_lo
	s_wait_loadcnt 0x1
	v_lshlrev_b32_e32 v2, 16, v2
	s_delay_alu instid0(VALU_DEP_1) | instskip(SKIP_1) | instid1(VALU_DEP_1)
	v_mul_f32_e32 v2, s6, v2
	s_wait_xcnt 0x0
	v_cmpx_nlt_f32_e32 s7, v2
	s_cbranch_execz .LBB71_32
; %bb.31:
	v_mul_f32_e32 v3, 0x3fb8aa3b, v2
	v_cmp_ngt_f32_e32 vcc_lo, 0xc2ce8ed0, v2
	s_delay_alu instid0(VALU_DEP_2) | instskip(SKIP_1) | instid1(VALU_DEP_1)
	v_rndne_f32_e32 v5, v3
	v_fma_f32 v6, 0x3fb8aa3b, v2, -v3
	v_dual_sub_f32 v3, v3, v5 :: v_dual_fmamk_f32 v6, v2, 0x32a5705f, v6
	v_cvt_i32_f32_e32 v5, v5
	s_delay_alu instid0(VALU_DEP_2) | instskip(NEXT) | instid1(VALU_DEP_1)
	v_add_f32_e32 v3, v3, v6
	v_exp_f32_e32 v3, v3
	v_nop
	s_delay_alu instid0(TRANS32_DEP_1) | instskip(NEXT) | instid1(VALU_DEP_1)
	v_ldexp_f32 v3, v3, v5
	v_cndmask_b32_e32 v3, 0, v3, vcc_lo
	v_cmp_nlt_f32_e32 vcc_lo, 0x42b17218, v2
	s_delay_alu instid0(VALU_DEP_2) | instskip(SKIP_1) | instid1(VALU_DEP_1)
	v_cndmask_b32_e32 v2, 0x7f800000, v3, vcc_lo
	s_wait_loadcnt 0x0
	v_dual_mul_f32 v1, v1, v2 :: v_dual_add_f32 v2, 1.0, v2
	s_delay_alu instid0(VALU_DEP_1) | instskip(NEXT) | instid1(VALU_DEP_1)
	v_div_scale_f32 v3, null, v2, v2, v1
	v_rcp_f32_e32 v5, v3
	v_nop
	s_delay_alu instid0(TRANS32_DEP_1) | instskip(NEXT) | instid1(VALU_DEP_1)
	v_fma_f32 v6, -v3, v5, 1.0
	v_fmac_f32_e32 v5, v6, v5
	v_div_scale_f32 v6, vcc_lo, v1, v2, v1
	s_delay_alu instid0(VALU_DEP_1) | instskip(NEXT) | instid1(VALU_DEP_1)
	v_mul_f32_e32 v7, v6, v5
	v_fma_f32 v8, -v3, v7, v6
	s_delay_alu instid0(VALU_DEP_1) | instskip(NEXT) | instid1(VALU_DEP_1)
	v_fmac_f32_e32 v7, v8, v5
	v_fma_f32 v3, -v3, v7, v6
	s_delay_alu instid0(VALU_DEP_1) | instskip(NEXT) | instid1(VALU_DEP_1)
	v_div_fmas_f32 v3, v3, v5, v7
	v_div_fixup_f32 v1, v3, v2, v1
.LBB71_32:
	s_or_b32 exec_lo, exec_lo, s18
	v_add_nc_u32_e32 v0, 0x80, v0
	s_wait_loadcnt 0x0
	global_store_b32 v4, v1, s[0:1]
	s_wait_xcnt 0x0
	s_or_b32 exec_lo, exec_lo, s9
	s_delay_alu instid0(SALU_CYCLE_1)
	s_mov_b32 s9, exec_lo
	v_cmpx_gt_i32_e64 s35, v0
	s_cbranch_execz .LBB71_4
.LBB71_33:
	s_and_not1_b32 vcc_lo, exec_lo, s30
	s_cbranch_vccnz .LBB71_39
; %bb.34:
	s_and_not1_b32 vcc_lo, exec_lo, s36
	s_cbranch_vccnz .LBB71_40
; %bb.35:
	v_dual_mov_b32 v4, 0 :: v_dual_mov_b32 v1, v0
	v_dual_mov_b32 v6, 0 :: v_dual_mov_b32 v5, 0
	s_add_co_i32 s18, s34, 1
	s_mov_b64 s[26:27], 0xffffffffffffffe8
	s_and_b32 s18, s18, 30
	s_add_nc_u64 s[26:27], s[16:17], s[26:27]
.LBB71_36:                              ; =>This Inner Loop Header: Depth=1
	s_clause 0x1
	s_load_b128 s[40:43], s[26:27], 0x1c
	s_load_b64 s[38:39], s[26:27], 0x2c
	s_add_co_i32 s18, s18, -2
	s_delay_alu instid0(SALU_CYCLE_1) | instskip(SKIP_2) | instid1(VALU_DEP_1)
	s_cmp_eq_u32 s18, 0
	s_wait_kmcnt 0x0
	v_mul_hi_u32 v2, s41, v1
	v_add_nc_u32_e32 v2, v1, v2
	s_delay_alu instid0(VALU_DEP_1) | instskip(NEXT) | instid1(VALU_DEP_1)
	v_lshrrev_b32_e32 v2, s42, v2
	v_mul_hi_u32 v3, s38, v2
	v_mul_lo_u32 v7, v2, s40
	s_clause 0x1
	s_load_b128 s[44:47], s[26:27], 0xdc
	s_load_b64 s[40:41], s[26:27], 0xec
	s_wait_xcnt 0x0
	s_add_nc_u64 s[26:27], s[26:27], 24
	s_delay_alu instid0(VALU_DEP_2) | instskip(NEXT) | instid1(VALU_DEP_2)
	v_add_nc_u32_e32 v3, v2, v3
	v_sub_nc_u32_e32 v7, v1, v7
	s_delay_alu instid0(VALU_DEP_2) | instskip(SKIP_1) | instid1(VALU_DEP_2)
	v_lshrrev_b32_e32 v1, s39, v3
	s_wait_kmcnt 0x0
	v_mad_u32 v4, v7, s44, v4
	s_delay_alu instid0(VALU_DEP_2) | instskip(SKIP_2) | instid1(VALU_DEP_3)
	v_mul_lo_u32 v3, v1, s43
	v_mad_u32 v5, v7, s46, v5
	v_mad_u32 v6, v7, s45, v6
	v_sub_nc_u32_e32 v2, v2, v3
	s_delay_alu instid0(VALU_DEP_1) | instskip(NEXT) | instid1(VALU_DEP_4)
	v_mad_u32 v4, v2, s47, v4
	v_mad_u32 v5, v2, s41, v5
	s_delay_alu instid0(VALU_DEP_4)
	v_mad_u32 v6, v2, s40, v6
	s_cbranch_scc0 .LBB71_36
; %bb.37:
	s_bitcmp1_b32 s34, 0
	s_cselect_b32 s18, -1, 0
	s_delay_alu instid0(SALU_CYCLE_1)
	s_and_b32 vcc_lo, exec_lo, s18
	s_cbranch_vccnz .LBB71_41
; %bb.38:
	s_clause 0x1
	s_load_b96 s[40:42], s[26:27], 0x1c
	s_load_b96 s[44:46], s[26:27], 0xdc
	s_wait_kmcnt 0x0
	v_mul_hi_u32 v2, s41, v1
	s_delay_alu instid0(VALU_DEP_1) | instskip(NEXT) | instid1(VALU_DEP_1)
	v_add_nc_u32_e32 v2, v1, v2
	v_lshrrev_b32_e32 v2, s42, v2
	s_delay_alu instid0(VALU_DEP_1) | instskip(NEXT) | instid1(VALU_DEP_1)
	v_mul_lo_u32 v2, v2, s40
	v_sub_nc_u32_e32 v1, v1, v2
	s_delay_alu instid0(VALU_DEP_1)
	v_mad_u32 v4, v1, s44, v4
	v_mad_u32 v6, v1, s45, v6
	;; [unrolled: 1-line block ×3, first 2 shown]
	s_branch .LBB71_41
.LBB71_39:
                                        ; implicit-def: $vgpr5
                                        ; implicit-def: $vgpr6
                                        ; implicit-def: $vgpr4
	s_branch .LBB71_42
.LBB71_40:
	v_dual_mov_b32 v5, 0 :: v_dual_mov_b32 v6, 0
	v_mov_b32_e32 v4, 0
.LBB71_41:
	s_cbranch_execnz .LBB71_44
.LBB71_42:
	v_mov_b32_e32 v1, 0
	s_and_not1_b32 vcc_lo, exec_lo, s33
	s_delay_alu instid0(VALU_DEP_1) | instskip(NEXT) | instid1(VALU_DEP_1)
	v_mul_u64_e32 v[2:3], s[22:23], v[0:1]
	v_add_nc_u32_e32 v2, v0, v3
	s_delay_alu instid0(VALU_DEP_1) | instskip(NEXT) | instid1(VALU_DEP_1)
	v_lshrrev_b32_e32 v2, s10, v2
	v_mul_lo_u32 v3, v2, s8
	s_delay_alu instid0(VALU_DEP_1) | instskip(NEXT) | instid1(VALU_DEP_1)
	v_sub_nc_u32_e32 v3, v0, v3
	v_mul_lo_u32 v4, v3, s12
	v_mul_lo_u32 v5, v3, s14
	;; [unrolled: 1-line block ×3, first 2 shown]
	s_cbranch_vccnz .LBB71_44
; %bb.43:
	v_mov_b32_e32 v3, v1
	s_delay_alu instid0(VALU_DEP_1) | instskip(NEXT) | instid1(VALU_DEP_1)
	v_mul_u64_e32 v[8:9], s[24:25], v[2:3]
	v_add_nc_u32_e32 v1, v2, v9
	s_delay_alu instid0(VALU_DEP_1) | instskip(NEXT) | instid1(VALU_DEP_1)
	v_lshrrev_b32_e32 v1, s19, v1
	v_mul_lo_u32 v1, v1, s11
	s_delay_alu instid0(VALU_DEP_1) | instskip(NEXT) | instid1(VALU_DEP_1)
	v_sub_nc_u32_e32 v1, v2, v1
	v_mad_u32 v4, v1, s15, v4
	v_mad_u32 v6, v1, s20, v6
	;; [unrolled: 1-line block ×3, first 2 shown]
.LBB71_44:
	global_load_u16 v2, v5, s[4:5]
	global_load_b32 v1, v6, s[2:3]
	s_mov_b32 s18, exec_lo
	s_wait_loadcnt 0x1
	v_lshlrev_b32_e32 v2, 16, v2
	s_delay_alu instid0(VALU_DEP_1) | instskip(SKIP_1) | instid1(VALU_DEP_1)
	v_mul_f32_e32 v2, s6, v2
	s_wait_xcnt 0x0
	v_cmpx_nlt_f32_e32 s7, v2
	s_cbranch_execz .LBB71_46
; %bb.45:
	v_mul_f32_e32 v3, 0x3fb8aa3b, v2
	v_cmp_ngt_f32_e32 vcc_lo, 0xc2ce8ed0, v2
	s_delay_alu instid0(VALU_DEP_2) | instskip(SKIP_1) | instid1(VALU_DEP_1)
	v_rndne_f32_e32 v5, v3
	v_fma_f32 v6, 0x3fb8aa3b, v2, -v3
	v_dual_sub_f32 v3, v3, v5 :: v_dual_fmamk_f32 v6, v2, 0x32a5705f, v6
	v_cvt_i32_f32_e32 v5, v5
	s_delay_alu instid0(VALU_DEP_2) | instskip(NEXT) | instid1(VALU_DEP_1)
	v_add_f32_e32 v3, v3, v6
	v_exp_f32_e32 v3, v3
	v_nop
	s_delay_alu instid0(TRANS32_DEP_1) | instskip(NEXT) | instid1(VALU_DEP_1)
	v_ldexp_f32 v3, v3, v5
	v_cndmask_b32_e32 v3, 0, v3, vcc_lo
	v_cmp_nlt_f32_e32 vcc_lo, 0x42b17218, v2
	s_delay_alu instid0(VALU_DEP_2) | instskip(SKIP_1) | instid1(VALU_DEP_1)
	v_cndmask_b32_e32 v2, 0x7f800000, v3, vcc_lo
	s_wait_loadcnt 0x0
	v_dual_mul_f32 v1, v1, v2 :: v_dual_add_f32 v2, 1.0, v2
	s_delay_alu instid0(VALU_DEP_1) | instskip(NEXT) | instid1(VALU_DEP_1)
	v_div_scale_f32 v3, null, v2, v2, v1
	v_rcp_f32_e32 v5, v3
	v_nop
	s_delay_alu instid0(TRANS32_DEP_1) | instskip(NEXT) | instid1(VALU_DEP_1)
	v_fma_f32 v6, -v3, v5, 1.0
	v_fmac_f32_e32 v5, v6, v5
	v_div_scale_f32 v6, vcc_lo, v1, v2, v1
	s_delay_alu instid0(VALU_DEP_1) | instskip(NEXT) | instid1(VALU_DEP_1)
	v_mul_f32_e32 v7, v6, v5
	v_fma_f32 v8, -v3, v7, v6
	s_delay_alu instid0(VALU_DEP_1) | instskip(NEXT) | instid1(VALU_DEP_1)
	v_fmac_f32_e32 v7, v8, v5
	v_fma_f32 v3, -v3, v7, v6
	s_delay_alu instid0(VALU_DEP_1) | instskip(NEXT) | instid1(VALU_DEP_1)
	v_div_fmas_f32 v3, v3, v5, v7
	v_div_fixup_f32 v1, v3, v2, v1
.LBB71_46:
	s_or_b32 exec_lo, exec_lo, s18
	v_add_nc_u32_e32 v0, 0x80, v0
	s_wait_loadcnt 0x0
	global_store_b32 v4, v1, s[0:1]
	s_wait_xcnt 0x0
	s_or_b32 exec_lo, exec_lo, s9
	s_delay_alu instid0(SALU_CYCLE_1)
	s_mov_b32 s9, exec_lo
	v_cmpx_gt_i32_e64 s35, v0
	s_cbranch_execz .LBB71_61
.LBB71_47:
	s_and_not1_b32 vcc_lo, exec_lo, s30
	s_cbranch_vccnz .LBB71_53
; %bb.48:
	s_and_not1_b32 vcc_lo, exec_lo, s36
	s_cbranch_vccnz .LBB71_54
; %bb.49:
	v_dual_mov_b32 v4, 0 :: v_dual_mov_b32 v1, v0
	v_dual_mov_b32 v6, 0 :: v_dual_mov_b32 v5, 0
	s_add_co_i32 s18, s34, 1
	s_mov_b64 s[26:27], 0xffffffffffffffe8
	s_and_b32 s18, s18, 30
	s_add_nc_u64 s[26:27], s[16:17], s[26:27]
.LBB71_50:                              ; =>This Inner Loop Header: Depth=1
	s_clause 0x1
	s_load_b128 s[36:39], s[26:27], 0x1c
	s_load_b64 s[44:45], s[26:27], 0x2c
	s_add_co_i32 s18, s18, -2
	s_delay_alu instid0(SALU_CYCLE_1) | instskip(SKIP_2) | instid1(VALU_DEP_1)
	s_cmp_eq_u32 s18, 0
	s_wait_kmcnt 0x0
	v_mul_hi_u32 v2, s37, v1
	v_add_nc_u32_e32 v2, v1, v2
	s_delay_alu instid0(VALU_DEP_1) | instskip(NEXT) | instid1(VALU_DEP_1)
	v_lshrrev_b32_e32 v2, s38, v2
	v_mul_hi_u32 v3, s44, v2
	v_mul_lo_u32 v7, v2, s36
	s_clause 0x1
	s_load_b128 s[40:43], s[26:27], 0xdc
	s_load_b64 s[36:37], s[26:27], 0xec
	s_wait_xcnt 0x0
	s_add_nc_u64 s[26:27], s[26:27], 24
	s_delay_alu instid0(VALU_DEP_2) | instskip(NEXT) | instid1(VALU_DEP_2)
	v_add_nc_u32_e32 v3, v2, v3
	v_sub_nc_u32_e32 v7, v1, v7
	s_delay_alu instid0(VALU_DEP_2) | instskip(SKIP_1) | instid1(VALU_DEP_2)
	v_lshrrev_b32_e32 v1, s45, v3
	s_wait_kmcnt 0x0
	v_mad_u32 v4, v7, s40, v4
	s_delay_alu instid0(VALU_DEP_2) | instskip(SKIP_2) | instid1(VALU_DEP_3)
	v_mul_lo_u32 v3, v1, s39
	v_mad_u32 v5, v7, s42, v5
	v_mad_u32 v6, v7, s41, v6
	v_sub_nc_u32_e32 v2, v2, v3
	s_delay_alu instid0(VALU_DEP_1) | instskip(NEXT) | instid1(VALU_DEP_4)
	v_mad_u32 v4, v2, s43, v4
	v_mad_u32 v5, v2, s37, v5
	s_delay_alu instid0(VALU_DEP_4)
	v_mad_u32 v6, v2, s36, v6
	s_cbranch_scc0 .LBB71_50
; %bb.51:
	s_bitcmp1_b32 s34, 0
	s_cselect_b32 s18, -1, 0
	s_delay_alu instid0(SALU_CYCLE_1)
	s_and_b32 vcc_lo, exec_lo, s18
	s_cbranch_vccnz .LBB71_55
; %bb.52:
	s_clause 0x1
	s_load_b96 s[36:38], s[26:27], 0x1c
	s_load_b96 s[40:42], s[26:27], 0xdc
	s_wait_kmcnt 0x0
	v_mul_hi_u32 v2, s37, v1
	s_delay_alu instid0(VALU_DEP_1) | instskip(NEXT) | instid1(VALU_DEP_1)
	v_add_nc_u32_e32 v2, v1, v2
	v_lshrrev_b32_e32 v2, s38, v2
	s_delay_alu instid0(VALU_DEP_1) | instskip(NEXT) | instid1(VALU_DEP_1)
	v_mul_lo_u32 v2, v2, s36
	v_sub_nc_u32_e32 v1, v1, v2
	s_delay_alu instid0(VALU_DEP_1)
	v_mad_u32 v4, v1, s40, v4
	v_mad_u32 v6, v1, s41, v6
	;; [unrolled: 1-line block ×3, first 2 shown]
	s_branch .LBB71_55
.LBB71_53:
                                        ; implicit-def: $vgpr5
                                        ; implicit-def: $vgpr6
                                        ; implicit-def: $vgpr4
	s_branch .LBB71_56
.LBB71_54:
	v_dual_mov_b32 v5, 0 :: v_dual_mov_b32 v6, 0
	v_mov_b32_e32 v4, 0
.LBB71_55:
	s_cbranch_execnz .LBB71_58
.LBB71_56:
	v_mov_b32_e32 v1, 0
	s_and_not1_b32 vcc_lo, exec_lo, s33
	s_delay_alu instid0(VALU_DEP_1) | instskip(NEXT) | instid1(VALU_DEP_1)
	v_mul_u64_e32 v[2:3], s[22:23], v[0:1]
	v_add_nc_u32_e32 v2, v0, v3
	s_delay_alu instid0(VALU_DEP_1) | instskip(NEXT) | instid1(VALU_DEP_1)
	v_lshrrev_b32_e32 v2, s10, v2
	v_mul_lo_u32 v3, v2, s8
	s_delay_alu instid0(VALU_DEP_1) | instskip(NEXT) | instid1(VALU_DEP_1)
	v_sub_nc_u32_e32 v0, v0, v3
	v_mul_lo_u32 v4, v0, s12
	v_mul_lo_u32 v5, v0, s14
	;; [unrolled: 1-line block ×3, first 2 shown]
	s_cbranch_vccnz .LBB71_58
; %bb.57:
	v_mov_b32_e32 v3, v1
	s_delay_alu instid0(VALU_DEP_1) | instskip(NEXT) | instid1(VALU_DEP_1)
	v_mul_u64_e32 v[0:1], s[24:25], v[2:3]
	v_add_nc_u32_e32 v0, v2, v1
	s_delay_alu instid0(VALU_DEP_1) | instskip(NEXT) | instid1(VALU_DEP_1)
	v_lshrrev_b32_e32 v0, s19, v0
	v_mul_lo_u32 v0, v0, s11
	s_delay_alu instid0(VALU_DEP_1) | instskip(NEXT) | instid1(VALU_DEP_1)
	v_sub_nc_u32_e32 v0, v2, v0
	v_mad_u32 v4, v0, s15, v4
	v_mad_u32 v6, v0, s20, v6
	;; [unrolled: 1-line block ×3, first 2 shown]
.LBB71_58:
	global_load_u16 v1, v5, s[4:5]
	global_load_b32 v0, v6, s[2:3]
	s_wait_xcnt 0x0
	s_mov_b32 s2, exec_lo
	s_wait_loadcnt 0x1
	v_lshlrev_b32_e32 v1, 16, v1
	s_delay_alu instid0(VALU_DEP_1) | instskip(NEXT) | instid1(VALU_DEP_1)
	v_mul_f32_e32 v1, s6, v1
	v_cmpx_nlt_f32_e32 s7, v1
	s_cbranch_execz .LBB71_60
; %bb.59:
	v_mul_f32_e32 v2, 0x3fb8aa3b, v1
	v_cmp_ngt_f32_e32 vcc_lo, 0xc2ce8ed0, v1
	s_delay_alu instid0(VALU_DEP_2) | instskip(SKIP_1) | instid1(VALU_DEP_1)
	v_rndne_f32_e32 v3, v2
	v_fma_f32 v5, 0x3fb8aa3b, v1, -v2
	v_dual_sub_f32 v2, v2, v3 :: v_dual_fmamk_f32 v5, v1, 0x32a5705f, v5
	v_cvt_i32_f32_e32 v3, v3
	s_delay_alu instid0(VALU_DEP_2) | instskip(NEXT) | instid1(VALU_DEP_1)
	v_add_f32_e32 v2, v2, v5
	v_exp_f32_e32 v2, v2
	v_nop
	s_delay_alu instid0(TRANS32_DEP_1) | instskip(NEXT) | instid1(VALU_DEP_1)
	v_ldexp_f32 v2, v2, v3
	v_cndmask_b32_e32 v2, 0, v2, vcc_lo
	v_cmp_nlt_f32_e32 vcc_lo, 0x42b17218, v1
	s_delay_alu instid0(VALU_DEP_2) | instskip(SKIP_1) | instid1(VALU_DEP_1)
	v_cndmask_b32_e32 v1, 0x7f800000, v2, vcc_lo
	s_wait_loadcnt 0x0
	v_dual_mul_f32 v0, v0, v1 :: v_dual_add_f32 v1, 1.0, v1
	s_delay_alu instid0(VALU_DEP_1) | instskip(NEXT) | instid1(VALU_DEP_1)
	v_div_scale_f32 v2, null, v1, v1, v0
	v_rcp_f32_e32 v3, v2
	v_nop
	s_delay_alu instid0(TRANS32_DEP_1) | instskip(NEXT) | instid1(VALU_DEP_1)
	v_fma_f32 v5, -v2, v3, 1.0
	v_fmac_f32_e32 v3, v5, v3
	v_div_scale_f32 v5, vcc_lo, v0, v1, v0
	s_delay_alu instid0(VALU_DEP_1) | instskip(NEXT) | instid1(VALU_DEP_1)
	v_mul_f32_e32 v6, v5, v3
	v_fma_f32 v7, -v2, v6, v5
	s_delay_alu instid0(VALU_DEP_1) | instskip(NEXT) | instid1(VALU_DEP_1)
	v_fmac_f32_e32 v6, v7, v3
	v_fma_f32 v2, -v2, v6, v5
	s_delay_alu instid0(VALU_DEP_1) | instskip(NEXT) | instid1(VALU_DEP_1)
	v_div_fmas_f32 v2, v2, v3, v6
	v_div_fixup_f32 v0, v2, v1, v0
.LBB71_60:
	s_or_b32 exec_lo, exec_lo, s2
	s_wait_loadcnt 0x0
	global_store_b32 v4, v0, s[0:1]
.LBB71_61:
	s_wait_xcnt 0x0
	s_or_b32 exec_lo, exec_lo, s9
                                        ; implicit-def: $vgpr2
                                        ; implicit-def: $vgpr0
.LBB71_62:
	s_and_not1_saveexec_b32 s0, s31
	s_cbranch_execz .LBB71_69
; %bb.63:
	v_cndmask_b32_e64 v8, 0, 1, s30
	s_and_not1_b32 vcc_lo, exec_lo, s30
	s_cbranch_vccnz .LBB71_70
; %bb.64:
	s_cmp_lg_u32 s28, 0
	s_mov_b32 s2, 0
	s_cbranch_scc0 .LBB71_74
; %bb.65:
	s_min_u32 s3, s29, 15
	v_dual_mov_b32 v1, 0 :: v_dual_mov_b32 v5, v0
	v_dual_mov_b32 v4, 0 :: v_dual_mov_b32 v3, 0
	s_add_co_i32 s4, s3, 1
	s_mov_b64 s[0:1], 0xffffffffffffffe8
	s_and_b32 s4, s4, 30
	s_add_nc_u64 s[0:1], s[16:17], s[0:1]
.LBB71_66:                              ; =>This Inner Loop Header: Depth=1
	s_clause 0x1
	s_load_b128 s[8:11], s[0:1], 0x1c
	s_load_b64 s[6:7], s[0:1], 0x2c
	s_add_co_i32 s4, s4, -2
	s_delay_alu instid0(SALU_CYCLE_1) | instskip(SKIP_2) | instid1(VALU_DEP_1)
	s_cmp_lg_u32 s4, 0
	s_wait_kmcnt 0x0
	v_mul_hi_u32 v6, s9, v5
	v_add_nc_u32_e32 v6, v5, v6
	s_delay_alu instid0(VALU_DEP_1) | instskip(NEXT) | instid1(VALU_DEP_1)
	v_lshrrev_b32_e32 v6, s10, v6
	v_mul_hi_u32 v7, s6, v6
	v_mul_lo_u32 v9, v6, s8
	s_clause 0x1
	s_load_b128 s[12:15], s[0:1], 0xdc
	s_load_b64 s[8:9], s[0:1], 0xec
	s_wait_xcnt 0x0
	s_add_nc_u64 s[0:1], s[0:1], 24
	s_delay_alu instid0(VALU_DEP_1) | instskip(NEXT) | instid1(VALU_DEP_1)
	v_dual_add_nc_u32 v7, v6, v7 :: v_dual_sub_nc_u32 v9, v5, v9
	v_lshrrev_b32_e32 v5, s7, v7
	s_wait_kmcnt 0x0
	s_delay_alu instid0(VALU_DEP_2) | instskip(NEXT) | instid1(VALU_DEP_2)
	v_mad_u32 v1, v9, s12, v1
	v_mul_lo_u32 v7, v5, s11
	v_mad_u32 v3, v9, s14, v3
	v_mad_u32 v4, v9, s13, v4
	s_delay_alu instid0(VALU_DEP_3) | instskip(NEXT) | instid1(VALU_DEP_1)
	v_sub_nc_u32_e32 v6, v6, v7
	v_mad_u32 v1, v6, s15, v1
	s_delay_alu instid0(VALU_DEP_4) | instskip(NEXT) | instid1(VALU_DEP_4)
	v_mad_u32 v3, v6, s9, v3
	v_mad_u32 v4, v6, s8, v4
	s_cbranch_scc1 .LBB71_66
; %bb.67:
	s_bitcmp1_b32 s3, 0
	s_cselect_b32 s3, -1, 0
	s_delay_alu instid0(SALU_CYCLE_1)
	s_and_b32 vcc_lo, exec_lo, s3
	s_cbranch_vccnz .LBB71_71
; %bb.68:
	s_clause 0x1
	s_load_b96 s[4:6], s[0:1], 0x1c
	s_load_b96 s[8:10], s[0:1], 0xdc
	s_wait_kmcnt 0x0
	v_mul_hi_u32 v6, s5, v5
	s_delay_alu instid0(VALU_DEP_1) | instskip(NEXT) | instid1(VALU_DEP_1)
	v_add_nc_u32_e32 v6, v5, v6
	v_lshrrev_b32_e32 v6, s6, v6
	s_delay_alu instid0(VALU_DEP_1) | instskip(NEXT) | instid1(VALU_DEP_1)
	v_mul_lo_u32 v6, v6, s4
	v_sub_nc_u32_e32 v5, v5, v6
	s_delay_alu instid0(VALU_DEP_1)
	v_mad_u32 v1, v5, s8, v1
	v_mad_u32 v4, v5, s9, v4
	;; [unrolled: 1-line block ×3, first 2 shown]
	s_and_not1_b32 vcc_lo, exec_lo, s2
	s_cbranch_vccz .LBB71_72
	s_branch .LBB71_75
.LBB71_69:
	s_endpgm
.LBB71_70:
	s_mov_b32 s2, -1
                                        ; implicit-def: $vgpr3
                                        ; implicit-def: $vgpr4
                                        ; implicit-def: $vgpr1
.LBB71_71:
	s_delay_alu instid0(SALU_CYCLE_1)
	s_and_not1_b32 vcc_lo, exec_lo, s2
	s_cbranch_vccnz .LBB71_75
.LBB71_72:
	s_clause 0x1
	s_load_b96 s[0:2], s[16:17], 0x4
	s_load_b96 s[4:6], s[16:17], 0xc4
	s_cmp_lt_u32 s28, 2
	s_wait_kmcnt 0x0
	v_mul_hi_u32 v1, s1, v0
	s_delay_alu instid0(VALU_DEP_1) | instskip(NEXT) | instid1(VALU_DEP_1)
	v_add_nc_u32_e32 v1, v0, v1
	v_lshrrev_b32_e32 v5, s2, v1
	s_delay_alu instid0(VALU_DEP_1) | instskip(NEXT) | instid1(VALU_DEP_1)
	v_mul_lo_u32 v1, v5, s0
	v_sub_nc_u32_e32 v4, v0, v1
	s_delay_alu instid0(VALU_DEP_1)
	v_mul_lo_u32 v1, v4, s4
	v_mul_lo_u32 v3, v4, s6
	;; [unrolled: 1-line block ×3, first 2 shown]
	s_cbranch_scc1 .LBB71_75
; %bb.73:
	s_clause 0x1
	s_load_b96 s[0:2], s[16:17], 0x10
	s_load_b96 s[4:6], s[16:17], 0xd0
	s_wait_kmcnt 0x0
	v_mul_hi_u32 v6, s1, v5
	s_delay_alu instid0(VALU_DEP_1) | instskip(NEXT) | instid1(VALU_DEP_1)
	v_add_nc_u32_e32 v6, v5, v6
	v_lshrrev_b32_e32 v6, s2, v6
	s_delay_alu instid0(VALU_DEP_1) | instskip(NEXT) | instid1(VALU_DEP_1)
	v_mul_lo_u32 v6, v6, s0
	v_sub_nc_u32_e32 v5, v5, v6
	s_delay_alu instid0(VALU_DEP_1)
	v_mad_u32 v1, v5, s4, v1
	v_mad_u32 v4, v5, s5, v4
	;; [unrolled: 1-line block ×3, first 2 shown]
	s_branch .LBB71_75
.LBB71_74:
	v_dual_mov_b32 v3, 0 :: v_dual_mov_b32 v4, 0
	v_mov_b32_e32 v1, 0
	s_and_not1_b32 vcc_lo, exec_lo, s2
	s_cbranch_vccz .LBB71_72
.LBB71_75:
	v_cmp_ne_u32_e32 vcc_lo, 1, v8
	v_add_nc_u32_e32 v9, 0x80, v0
	s_cbranch_vccnz .LBB71_81
; %bb.76:
	s_cmp_lg_u32 s28, 0
	s_mov_b32 s2, 0
	s_cbranch_scc0 .LBB71_85
; %bb.77:
	s_min_u32 s3, s29, 15
	v_dual_mov_b32 v5, 0 :: v_dual_mov_b32 v10, v9
	v_dual_mov_b32 v7, 0 :: v_dual_mov_b32 v6, 0
	s_add_co_i32 s4, s3, 1
	s_mov_b64 s[0:1], 0xffffffffffffffe8
	s_and_b32 s4, s4, 30
	s_add_nc_u64 s[0:1], s[16:17], s[0:1]
.LBB71_78:                              ; =>This Inner Loop Header: Depth=1
	s_clause 0x1
	s_load_b128 s[8:11], s[0:1], 0x1c
	s_load_b64 s[6:7], s[0:1], 0x2c
	s_add_co_i32 s4, s4, -2
	s_delay_alu instid0(SALU_CYCLE_1) | instskip(SKIP_2) | instid1(VALU_DEP_1)
	s_cmp_lg_u32 s4, 0
	s_wait_kmcnt 0x0
	v_mul_hi_u32 v11, s9, v10
	v_add_nc_u32_e32 v11, v10, v11
	s_delay_alu instid0(VALU_DEP_1) | instskip(NEXT) | instid1(VALU_DEP_1)
	v_lshrrev_b32_e32 v11, s10, v11
	v_mul_hi_u32 v12, s6, v11
	v_mul_lo_u32 v13, v11, s8
	s_clause 0x1
	s_load_b128 s[12:15], s[0:1], 0xdc
	s_load_b64 s[8:9], s[0:1], 0xec
	s_wait_xcnt 0x0
	s_add_nc_u64 s[0:1], s[0:1], 24
	s_delay_alu instid0(VALU_DEP_1) | instskip(NEXT) | instid1(VALU_DEP_1)
	v_dual_add_nc_u32 v12, v11, v12 :: v_dual_sub_nc_u32 v13, v10, v13
	v_lshrrev_b32_e32 v10, s7, v12
	s_wait_kmcnt 0x0
	s_delay_alu instid0(VALU_DEP_2) | instskip(NEXT) | instid1(VALU_DEP_2)
	v_mad_u32 v5, v13, s12, v5
	v_mul_lo_u32 v12, v10, s11
	v_mad_u32 v6, v13, s14, v6
	v_mad_u32 v7, v13, s13, v7
	s_delay_alu instid0(VALU_DEP_3) | instskip(NEXT) | instid1(VALU_DEP_1)
	v_sub_nc_u32_e32 v11, v11, v12
	v_mad_u32 v5, v11, s15, v5
	s_delay_alu instid0(VALU_DEP_4) | instskip(NEXT) | instid1(VALU_DEP_4)
	v_mad_u32 v6, v11, s9, v6
	v_mad_u32 v7, v11, s8, v7
	s_cbranch_scc1 .LBB71_78
; %bb.79:
	s_bitcmp1_b32 s3, 0
	s_cselect_b32 s3, -1, 0
	s_delay_alu instid0(SALU_CYCLE_1)
	s_and_b32 vcc_lo, exec_lo, s3
	s_cbranch_vccnz .LBB71_82
; %bb.80:
	s_clause 0x1
	s_load_b96 s[4:6], s[0:1], 0x1c
	s_load_b96 s[8:10], s[0:1], 0xdc
	s_wait_kmcnt 0x0
	v_mul_hi_u32 v11, s5, v10
	s_delay_alu instid0(VALU_DEP_1) | instskip(NEXT) | instid1(VALU_DEP_1)
	v_add_nc_u32_e32 v11, v10, v11
	v_lshrrev_b32_e32 v11, s6, v11
	s_delay_alu instid0(VALU_DEP_1) | instskip(NEXT) | instid1(VALU_DEP_1)
	v_mul_lo_u32 v11, v11, s4
	v_sub_nc_u32_e32 v10, v10, v11
	s_delay_alu instid0(VALU_DEP_1)
	v_mad_u32 v5, v10, s8, v5
	v_mad_u32 v7, v10, s9, v7
	;; [unrolled: 1-line block ×3, first 2 shown]
	s_and_not1_b32 vcc_lo, exec_lo, s2
	s_cbranch_vccz .LBB71_83
	s_branch .LBB71_86
.LBB71_81:
	s_mov_b32 s2, -1
                                        ; implicit-def: $vgpr6
                                        ; implicit-def: $vgpr7
                                        ; implicit-def: $vgpr5
.LBB71_82:
	s_delay_alu instid0(SALU_CYCLE_1)
	s_and_not1_b32 vcc_lo, exec_lo, s2
	s_cbranch_vccnz .LBB71_86
.LBB71_83:
	s_clause 0x1
	s_load_b96 s[0:2], s[16:17], 0x4
	s_load_b96 s[4:6], s[16:17], 0xc4
	s_cmp_lt_u32 s28, 2
	s_wait_kmcnt 0x0
	v_mul_hi_u32 v5, s1, v9
	s_delay_alu instid0(VALU_DEP_1) | instskip(NEXT) | instid1(VALU_DEP_1)
	v_add_nc_u32_e32 v5, v9, v5
	v_lshrrev_b32_e32 v10, s2, v5
	s_delay_alu instid0(VALU_DEP_1) | instskip(NEXT) | instid1(VALU_DEP_1)
	v_mul_lo_u32 v5, v10, s0
	v_sub_nc_u32_e32 v7, v9, v5
	s_delay_alu instid0(VALU_DEP_1)
	v_mul_lo_u32 v5, v7, s4
	v_mul_lo_u32 v6, v7, s6
	;; [unrolled: 1-line block ×3, first 2 shown]
	s_cbranch_scc1 .LBB71_86
; %bb.84:
	s_clause 0x1
	s_load_b96 s[0:2], s[16:17], 0x10
	s_load_b96 s[4:6], s[16:17], 0xd0
	s_wait_kmcnt 0x0
	v_mul_hi_u32 v9, s1, v10
	s_delay_alu instid0(VALU_DEP_1) | instskip(NEXT) | instid1(VALU_DEP_1)
	v_add_nc_u32_e32 v9, v10, v9
	v_lshrrev_b32_e32 v9, s2, v9
	s_delay_alu instid0(VALU_DEP_1) | instskip(NEXT) | instid1(VALU_DEP_1)
	v_mul_lo_u32 v9, v9, s0
	v_sub_nc_u32_e32 v9, v10, v9
	s_delay_alu instid0(VALU_DEP_1)
	v_mad_u32 v5, v9, s4, v5
	v_mad_u32 v7, v9, s5, v7
	;; [unrolled: 1-line block ×3, first 2 shown]
	s_branch .LBB71_86
.LBB71_85:
	v_dual_mov_b32 v6, 0 :: v_dual_mov_b32 v7, 0
	v_mov_b32_e32 v5, 0
	s_and_not1_b32 vcc_lo, exec_lo, s2
	s_cbranch_vccz .LBB71_83
.LBB71_86:
	v_cmp_ne_u32_e32 vcc_lo, 1, v8
	v_add_nc_u32_e32 v11, 0x100, v0
	s_cbranch_vccnz .LBB71_92
; %bb.87:
	s_cmp_lg_u32 s28, 0
	s_mov_b32 s2, 0
	s_cbranch_scc0 .LBB71_96
; %bb.88:
	s_min_u32 s3, s29, 15
	v_dual_mov_b32 v0, 0 :: v_dual_mov_b32 v12, v11
	v_dual_mov_b32 v10, 0 :: v_dual_mov_b32 v9, 0
	s_add_co_i32 s4, s3, 1
	s_mov_b64 s[0:1], 0xffffffffffffffe8
	s_and_b32 s4, s4, 30
	s_add_nc_u64 s[0:1], s[16:17], s[0:1]
.LBB71_89:                              ; =>This Inner Loop Header: Depth=1
	s_clause 0x1
	s_load_b128 s[8:11], s[0:1], 0x1c
	s_load_b64 s[6:7], s[0:1], 0x2c
	s_add_co_i32 s4, s4, -2
	s_delay_alu instid0(SALU_CYCLE_1) | instskip(SKIP_2) | instid1(VALU_DEP_1)
	s_cmp_lg_u32 s4, 0
	s_wait_kmcnt 0x0
	v_mul_hi_u32 v13, s9, v12
	v_add_nc_u32_e32 v13, v12, v13
	s_delay_alu instid0(VALU_DEP_1) | instskip(NEXT) | instid1(VALU_DEP_1)
	v_lshrrev_b32_e32 v13, s10, v13
	v_mul_hi_u32 v14, s6, v13
	v_mul_lo_u32 v15, v13, s8
	s_clause 0x1
	s_load_b128 s[12:15], s[0:1], 0xdc
	s_load_b64 s[8:9], s[0:1], 0xec
	s_wait_xcnt 0x0
	s_add_nc_u64 s[0:1], s[0:1], 24
	s_delay_alu instid0(VALU_DEP_1) | instskip(NEXT) | instid1(VALU_DEP_1)
	v_dual_add_nc_u32 v14, v13, v14 :: v_dual_sub_nc_u32 v15, v12, v15
	v_lshrrev_b32_e32 v12, s7, v14
	s_wait_kmcnt 0x0
	s_delay_alu instid0(VALU_DEP_2) | instskip(NEXT) | instid1(VALU_DEP_2)
	v_mad_u32 v0, v15, s12, v0
	v_mul_lo_u32 v14, v12, s11
	v_mad_u32 v9, v15, s14, v9
	v_mad_u32 v10, v15, s13, v10
	s_delay_alu instid0(VALU_DEP_3) | instskip(NEXT) | instid1(VALU_DEP_1)
	v_sub_nc_u32_e32 v13, v13, v14
	v_mad_u32 v0, v13, s15, v0
	s_delay_alu instid0(VALU_DEP_4) | instskip(NEXT) | instid1(VALU_DEP_4)
	v_mad_u32 v9, v13, s9, v9
	v_mad_u32 v10, v13, s8, v10
	s_cbranch_scc1 .LBB71_89
; %bb.90:
	s_bitcmp1_b32 s3, 0
	s_cselect_b32 s3, -1, 0
	s_delay_alu instid0(SALU_CYCLE_1)
	s_and_b32 vcc_lo, exec_lo, s3
	s_cbranch_vccnz .LBB71_93
; %bb.91:
	s_clause 0x1
	s_load_b96 s[4:6], s[0:1], 0x1c
	s_load_b96 s[8:10], s[0:1], 0xdc
	s_wait_kmcnt 0x0
	v_mul_hi_u32 v13, s5, v12
	s_delay_alu instid0(VALU_DEP_1) | instskip(NEXT) | instid1(VALU_DEP_1)
	v_add_nc_u32_e32 v13, v12, v13
	v_lshrrev_b32_e32 v13, s6, v13
	s_delay_alu instid0(VALU_DEP_1) | instskip(NEXT) | instid1(VALU_DEP_1)
	v_mul_lo_u32 v13, v13, s4
	v_sub_nc_u32_e32 v12, v12, v13
	s_delay_alu instid0(VALU_DEP_1)
	v_mad_u32 v0, v12, s8, v0
	v_mad_u32 v10, v12, s9, v10
	v_mad_u32 v9, v12, s10, v9
	s_and_not1_b32 vcc_lo, exec_lo, s2
	s_cbranch_vccz .LBB71_94
	s_branch .LBB71_97
.LBB71_92:
	s_mov_b32 s2, -1
                                        ; implicit-def: $vgpr9
                                        ; implicit-def: $vgpr10
                                        ; implicit-def: $vgpr0
.LBB71_93:
	s_delay_alu instid0(SALU_CYCLE_1)
	s_and_not1_b32 vcc_lo, exec_lo, s2
	s_cbranch_vccnz .LBB71_97
.LBB71_94:
	s_clause 0x1
	s_load_b96 s[0:2], s[16:17], 0x4
	s_load_b96 s[4:6], s[16:17], 0xc4
	s_cmp_lt_u32 s28, 2
	s_wait_kmcnt 0x0
	v_mul_hi_u32 v0, s1, v11
	s_delay_alu instid0(VALU_DEP_1) | instskip(NEXT) | instid1(VALU_DEP_1)
	v_add_nc_u32_e32 v0, v11, v0
	v_lshrrev_b32_e32 v12, s2, v0
	s_delay_alu instid0(VALU_DEP_1) | instskip(NEXT) | instid1(VALU_DEP_1)
	v_mul_lo_u32 v0, v12, s0
	v_sub_nc_u32_e32 v10, v11, v0
	s_delay_alu instid0(VALU_DEP_1)
	v_mul_lo_u32 v0, v10, s4
	v_mul_lo_u32 v9, v10, s6
	;; [unrolled: 1-line block ×3, first 2 shown]
	s_cbranch_scc1 .LBB71_97
; %bb.95:
	s_clause 0x1
	s_load_b96 s[0:2], s[16:17], 0x10
	s_load_b96 s[4:6], s[16:17], 0xd0
	s_wait_kmcnt 0x0
	v_mul_hi_u32 v11, s1, v12
	s_delay_alu instid0(VALU_DEP_1) | instskip(NEXT) | instid1(VALU_DEP_1)
	v_add_nc_u32_e32 v11, v12, v11
	v_lshrrev_b32_e32 v11, s2, v11
	s_delay_alu instid0(VALU_DEP_1) | instskip(NEXT) | instid1(VALU_DEP_1)
	v_mul_lo_u32 v11, v11, s0
	v_sub_nc_u32_e32 v11, v12, v11
	s_delay_alu instid0(VALU_DEP_1)
	v_mad_u32 v0, v11, s4, v0
	v_mad_u32 v10, v11, s5, v10
	;; [unrolled: 1-line block ×3, first 2 shown]
	s_branch .LBB71_97
.LBB71_96:
	v_dual_mov_b32 v9, 0 :: v_dual_mov_b32 v10, 0
	v_mov_b32_e32 v0, 0
	s_and_not1_b32 vcc_lo, exec_lo, s2
	s_cbranch_vccz .LBB71_94
.LBB71_97:
	v_cmp_ne_u32_e32 vcc_lo, 1, v8
	s_cbranch_vccnz .LBB71_103
; %bb.98:
	s_cmp_lg_u32 s28, 0
	s_mov_b32 s2, 0
	s_cbranch_scc0 .LBB71_107
; %bb.99:
	s_min_u32 s3, s29, 15
	v_dual_mov_b32 v8, 0 :: v_dual_mov_b32 v13, v2
	v_dual_mov_b32 v12, 0 :: v_dual_mov_b32 v11, 0
	s_add_co_i32 s4, s3, 1
	s_mov_b64 s[0:1], 0xffffffffffffffe8
	s_and_b32 s4, s4, 30
	s_add_nc_u64 s[0:1], s[16:17], s[0:1]
.LBB71_100:                             ; =>This Inner Loop Header: Depth=1
	s_clause 0x1
	s_load_b128 s[8:11], s[0:1], 0x1c
	s_load_b64 s[6:7], s[0:1], 0x2c
	s_add_co_i32 s4, s4, -2
	s_delay_alu instid0(SALU_CYCLE_1) | instskip(SKIP_2) | instid1(VALU_DEP_1)
	s_cmp_lg_u32 s4, 0
	s_wait_kmcnt 0x0
	v_mul_hi_u32 v14, s9, v13
	v_add_nc_u32_e32 v14, v13, v14
	s_delay_alu instid0(VALU_DEP_1) | instskip(NEXT) | instid1(VALU_DEP_1)
	v_lshrrev_b32_e32 v14, s10, v14
	v_mul_hi_u32 v15, s6, v14
	v_mul_lo_u32 v16, v14, s8
	s_clause 0x1
	s_load_b128 s[12:15], s[0:1], 0xdc
	s_load_b64 s[8:9], s[0:1], 0xec
	s_wait_xcnt 0x0
	s_add_nc_u64 s[0:1], s[0:1], 24
	s_delay_alu instid0(VALU_DEP_1) | instskip(NEXT) | instid1(VALU_DEP_1)
	v_dual_add_nc_u32 v15, v14, v15 :: v_dual_sub_nc_u32 v16, v13, v16
	v_lshrrev_b32_e32 v13, s7, v15
	s_wait_kmcnt 0x0
	s_delay_alu instid0(VALU_DEP_2) | instskip(NEXT) | instid1(VALU_DEP_2)
	v_mad_u32 v8, v16, s12, v8
	v_mul_lo_u32 v15, v13, s11
	v_mad_u32 v11, v16, s14, v11
	v_mad_u32 v12, v16, s13, v12
	s_delay_alu instid0(VALU_DEP_3) | instskip(NEXT) | instid1(VALU_DEP_1)
	v_sub_nc_u32_e32 v14, v14, v15
	v_mad_u32 v8, v14, s15, v8
	s_delay_alu instid0(VALU_DEP_4) | instskip(NEXT) | instid1(VALU_DEP_4)
	v_mad_u32 v11, v14, s9, v11
	v_mad_u32 v12, v14, s8, v12
	s_cbranch_scc1 .LBB71_100
; %bb.101:
	s_bitcmp1_b32 s3, 0
	s_cselect_b32 s3, -1, 0
	s_delay_alu instid0(SALU_CYCLE_1)
	s_and_b32 vcc_lo, exec_lo, s3
	s_cbranch_vccnz .LBB71_104
; %bb.102:
	s_clause 0x1
	s_load_b96 s[4:6], s[0:1], 0x1c
	s_load_b96 s[8:10], s[0:1], 0xdc
	s_wait_kmcnt 0x0
	v_mul_hi_u32 v14, s5, v13
	s_delay_alu instid0(VALU_DEP_1) | instskip(NEXT) | instid1(VALU_DEP_1)
	v_add_nc_u32_e32 v14, v13, v14
	v_lshrrev_b32_e32 v14, s6, v14
	s_delay_alu instid0(VALU_DEP_1) | instskip(NEXT) | instid1(VALU_DEP_1)
	v_mul_lo_u32 v14, v14, s4
	v_sub_nc_u32_e32 v13, v13, v14
	s_delay_alu instid0(VALU_DEP_1)
	v_mad_u32 v8, v13, s8, v8
	v_mad_u32 v12, v13, s9, v12
	;; [unrolled: 1-line block ×3, first 2 shown]
	s_and_not1_b32 vcc_lo, exec_lo, s2
	s_cbranch_vccz .LBB71_105
	s_branch .LBB71_108
.LBB71_103:
	s_mov_b32 s2, -1
                                        ; implicit-def: $vgpr11
                                        ; implicit-def: $vgpr12
                                        ; implicit-def: $vgpr8
.LBB71_104:
	s_delay_alu instid0(SALU_CYCLE_1)
	s_and_not1_b32 vcc_lo, exec_lo, s2
	s_cbranch_vccnz .LBB71_108
.LBB71_105:
	s_clause 0x1
	s_load_b96 s[0:2], s[16:17], 0x4
	s_load_b96 s[4:6], s[16:17], 0xc4
	s_cmp_lt_u32 s28, 2
	s_wait_kmcnt 0x0
	v_mul_hi_u32 v8, s1, v2
	s_delay_alu instid0(VALU_DEP_1) | instskip(NEXT) | instid1(VALU_DEP_1)
	v_add_nc_u32_e32 v8, v2, v8
	v_lshrrev_b32_e32 v13, s2, v8
	s_delay_alu instid0(VALU_DEP_1) | instskip(NEXT) | instid1(VALU_DEP_1)
	v_mul_lo_u32 v8, v13, s0
	v_sub_nc_u32_e32 v2, v2, v8
	s_delay_alu instid0(VALU_DEP_1)
	v_mul_lo_u32 v8, v2, s4
	v_mul_lo_u32 v11, v2, s6
	;; [unrolled: 1-line block ×3, first 2 shown]
	s_cbranch_scc1 .LBB71_108
; %bb.106:
	s_clause 0x1
	s_load_b96 s[0:2], s[16:17], 0x10
	s_load_b96 s[4:6], s[16:17], 0xd0
	s_wait_kmcnt 0x0
	v_mul_hi_u32 v2, s1, v13
	s_delay_alu instid0(VALU_DEP_1) | instskip(NEXT) | instid1(VALU_DEP_1)
	v_add_nc_u32_e32 v2, v13, v2
	v_lshrrev_b32_e32 v2, s2, v2
	s_delay_alu instid0(VALU_DEP_1) | instskip(NEXT) | instid1(VALU_DEP_1)
	v_mul_lo_u32 v2, v2, s0
	v_sub_nc_u32_e32 v2, v13, v2
	s_delay_alu instid0(VALU_DEP_1)
	v_mad_u32 v8, v2, s4, v8
	v_mad_u32 v12, v2, s5, v12
	;; [unrolled: 1-line block ×3, first 2 shown]
	s_branch .LBB71_108
.LBB71_107:
	v_dual_mov_b32 v11, 0 :: v_dual_mov_b32 v12, 0
	v_mov_b32_e32 v8, 0
	s_and_not1_b32 vcc_lo, exec_lo, s2
	s_cbranch_vccz .LBB71_105
.LBB71_108:
	s_load_b256 s[0:7], s[16:17], 0x188
	s_mov_b32 s8, exec_lo
	s_wait_kmcnt 0x0
	global_load_u16 v13, v3, s[4:5]
	global_load_b32 v2, v4, s[2:3]
	s_wait_loadcnt 0x1
	s_wait_xcnt 0x1
	v_lshlrev_b32_e32 v3, 16, v13
	s_delay_alu instid0(VALU_DEP_1) | instskip(SKIP_1) | instid1(VALU_DEP_1)
	v_mul_f32_e32 v3, s6, v3
	s_wait_xcnt 0x0
	v_cmpx_nlt_f32_e32 s7, v3
	s_cbranch_execz .LBB71_110
; %bb.109:
	v_mul_f32_e32 v4, 0x3fb8aa3b, v3
	v_cmp_ngt_f32_e32 vcc_lo, 0xc2ce8ed0, v3
	s_delay_alu instid0(VALU_DEP_2) | instskip(SKIP_1) | instid1(VALU_DEP_2)
	v_rndne_f32_e32 v13, v4
	v_fma_f32 v14, 0x3fb8aa3b, v3, -v4
	v_sub_f32_e32 v4, v4, v13
	s_delay_alu instid0(VALU_DEP_2) | instskip(SKIP_1) | instid1(VALU_DEP_2)
	v_fmamk_f32 v14, v3, 0x32a5705f, v14
	v_cvt_i32_f32_e32 v13, v13
	v_add_f32_e32 v4, v4, v14
	s_delay_alu instid0(VALU_DEP_1) | instskip(SKIP_1) | instid1(TRANS32_DEP_1)
	v_exp_f32_e32 v4, v4
	v_nop
	v_ldexp_f32 v4, v4, v13
	s_delay_alu instid0(VALU_DEP_1) | instskip(SKIP_1) | instid1(VALU_DEP_2)
	v_cndmask_b32_e32 v4, 0, v4, vcc_lo
	v_cmp_nlt_f32_e32 vcc_lo, 0x42b17218, v3
	v_cndmask_b32_e32 v3, 0x7f800000, v4, vcc_lo
	s_wait_loadcnt 0x0
	s_delay_alu instid0(VALU_DEP_1) | instskip(NEXT) | instid1(VALU_DEP_1)
	v_dual_mul_f32 v2, v2, v3 :: v_dual_add_f32 v3, 1.0, v3
	v_div_scale_f32 v4, null, v3, v3, v2
	s_delay_alu instid0(VALU_DEP_1) | instskip(SKIP_1) | instid1(TRANS32_DEP_1)
	v_rcp_f32_e32 v13, v4
	v_nop
	v_fma_f32 v14, -v4, v13, 1.0
	s_delay_alu instid0(VALU_DEP_1) | instskip(SKIP_1) | instid1(VALU_DEP_1)
	v_fmac_f32_e32 v13, v14, v13
	v_div_scale_f32 v14, vcc_lo, v2, v3, v2
	v_mul_f32_e32 v15, v14, v13
	s_delay_alu instid0(VALU_DEP_1) | instskip(NEXT) | instid1(VALU_DEP_1)
	v_fma_f32 v16, -v4, v15, v14
	v_fmac_f32_e32 v15, v16, v13
	s_delay_alu instid0(VALU_DEP_1) | instskip(NEXT) | instid1(VALU_DEP_1)
	v_fma_f32 v4, -v4, v15, v14
	v_div_fmas_f32 v4, v4, v13, v15
	s_delay_alu instid0(VALU_DEP_1)
	v_div_fixup_f32 v2, v4, v3, v2
.LBB71_110:
	s_or_b32 exec_lo, exec_lo, s8
	global_load_u16 v4, v6, s[4:5]
	global_load_b32 v3, v7, s[2:3]
	s_mov_b32 s8, exec_lo
	s_wait_loadcnt 0x1
	v_lshlrev_b32_e32 v4, 16, v4
	s_delay_alu instid0(VALU_DEP_1) | instskip(SKIP_1) | instid1(VALU_DEP_1)
	v_mul_f32_e32 v4, s6, v4
	s_wait_xcnt 0x0
	v_cmpx_nlt_f32_e32 s7, v4
	s_cbranch_execz .LBB71_112
; %bb.111:
	v_mul_f32_e32 v6, 0x3fb8aa3b, v4
	v_cmp_ngt_f32_e32 vcc_lo, 0xc2ce8ed0, v4
	s_delay_alu instid0(VALU_DEP_2) | instskip(SKIP_1) | instid1(VALU_DEP_1)
	v_rndne_f32_e32 v7, v6
	v_fma_f32 v13, 0x3fb8aa3b, v4, -v6
	v_dual_sub_f32 v6, v6, v7 :: v_dual_fmamk_f32 v13, v4, 0x32a5705f, v13
	v_cvt_i32_f32_e32 v7, v7
	s_delay_alu instid0(VALU_DEP_2) | instskip(NEXT) | instid1(VALU_DEP_1)
	v_add_f32_e32 v6, v6, v13
	v_exp_f32_e32 v6, v6
	v_nop
	s_delay_alu instid0(TRANS32_DEP_1) | instskip(NEXT) | instid1(VALU_DEP_1)
	v_ldexp_f32 v6, v6, v7
	v_cndmask_b32_e32 v6, 0, v6, vcc_lo
	v_cmp_nlt_f32_e32 vcc_lo, 0x42b17218, v4
	s_delay_alu instid0(VALU_DEP_2) | instskip(SKIP_1) | instid1(VALU_DEP_1)
	v_cndmask_b32_e32 v4, 0x7f800000, v6, vcc_lo
	s_wait_loadcnt 0x0
	v_dual_mul_f32 v3, v3, v4 :: v_dual_add_f32 v4, 1.0, v4
	s_delay_alu instid0(VALU_DEP_1) | instskip(NEXT) | instid1(VALU_DEP_1)
	v_div_scale_f32 v6, null, v4, v4, v3
	v_rcp_f32_e32 v7, v6
	v_nop
	s_delay_alu instid0(TRANS32_DEP_1) | instskip(NEXT) | instid1(VALU_DEP_1)
	v_fma_f32 v13, -v6, v7, 1.0
	v_fmac_f32_e32 v7, v13, v7
	v_div_scale_f32 v13, vcc_lo, v3, v4, v3
	s_delay_alu instid0(VALU_DEP_1) | instskip(NEXT) | instid1(VALU_DEP_1)
	v_mul_f32_e32 v14, v13, v7
	v_fma_f32 v15, -v6, v14, v13
	s_delay_alu instid0(VALU_DEP_1) | instskip(NEXT) | instid1(VALU_DEP_1)
	v_fmac_f32_e32 v14, v15, v7
	v_fma_f32 v6, -v6, v14, v13
	s_delay_alu instid0(VALU_DEP_1) | instskip(NEXT) | instid1(VALU_DEP_1)
	v_div_fmas_f32 v6, v6, v7, v14
	v_div_fixup_f32 v3, v6, v4, v3
.LBB71_112:
	s_or_b32 exec_lo, exec_lo, s8
	global_load_u16 v6, v9, s[4:5]
	global_load_b32 v4, v10, s[2:3]
	s_mov_b32 s8, exec_lo
	s_wait_loadcnt 0x1
	v_lshlrev_b32_e32 v6, 16, v6
	s_delay_alu instid0(VALU_DEP_1) | instskip(SKIP_1) | instid1(VALU_DEP_1)
	v_mul_f32_e32 v6, s6, v6
	s_wait_xcnt 0x0
	v_cmpx_nlt_f32_e32 s7, v6
	s_cbranch_execz .LBB71_114
; %bb.113:
	v_mul_f32_e32 v7, 0x3fb8aa3b, v6
	v_cmp_ngt_f32_e32 vcc_lo, 0xc2ce8ed0, v6
	s_delay_alu instid0(VALU_DEP_2) | instskip(SKIP_1) | instid1(VALU_DEP_1)
	v_rndne_f32_e32 v9, v7
	v_fma_f32 v10, 0x3fb8aa3b, v6, -v7
	v_dual_sub_f32 v7, v7, v9 :: v_dual_fmamk_f32 v10, v6, 0x32a5705f, v10
	v_cvt_i32_f32_e32 v9, v9
	s_delay_alu instid0(VALU_DEP_2) | instskip(NEXT) | instid1(VALU_DEP_1)
	v_add_f32_e32 v7, v7, v10
	v_exp_f32_e32 v7, v7
	v_nop
	s_delay_alu instid0(TRANS32_DEP_1) | instskip(NEXT) | instid1(VALU_DEP_1)
	v_ldexp_f32 v7, v7, v9
	v_cndmask_b32_e32 v7, 0, v7, vcc_lo
	v_cmp_nlt_f32_e32 vcc_lo, 0x42b17218, v6
	s_delay_alu instid0(VALU_DEP_2) | instskip(SKIP_1) | instid1(VALU_DEP_1)
	v_cndmask_b32_e32 v6, 0x7f800000, v7, vcc_lo
	s_wait_loadcnt 0x0
	v_dual_mul_f32 v4, v4, v6 :: v_dual_add_f32 v6, 1.0, v6
	s_delay_alu instid0(VALU_DEP_1) | instskip(NEXT) | instid1(VALU_DEP_1)
	v_div_scale_f32 v7, null, v6, v6, v4
	v_rcp_f32_e32 v9, v7
	v_nop
	s_delay_alu instid0(TRANS32_DEP_1) | instskip(NEXT) | instid1(VALU_DEP_1)
	v_fma_f32 v10, -v7, v9, 1.0
	v_fmac_f32_e32 v9, v10, v9
	v_div_scale_f32 v10, vcc_lo, v4, v6, v4
	s_delay_alu instid0(VALU_DEP_1) | instskip(NEXT) | instid1(VALU_DEP_1)
	v_mul_f32_e32 v13, v10, v9
	v_fma_f32 v14, -v7, v13, v10
	s_delay_alu instid0(VALU_DEP_1) | instskip(NEXT) | instid1(VALU_DEP_1)
	v_fmac_f32_e32 v13, v14, v9
	v_fma_f32 v7, -v7, v13, v10
	s_delay_alu instid0(VALU_DEP_1) | instskip(NEXT) | instid1(VALU_DEP_1)
	v_div_fmas_f32 v7, v7, v9, v13
	v_div_fixup_f32 v4, v7, v6, v4
.LBB71_114:
	s_or_b32 exec_lo, exec_lo, s8
	global_load_u16 v7, v11, s[4:5]
	global_load_b32 v6, v12, s[2:3]
	s_wait_xcnt 0x0
	s_mov_b32 s2, exec_lo
	s_wait_loadcnt 0x1
	v_lshlrev_b32_e32 v7, 16, v7
	s_delay_alu instid0(VALU_DEP_1) | instskip(NEXT) | instid1(VALU_DEP_1)
	v_mul_f32_e32 v7, s6, v7
	v_cmpx_nlt_f32_e32 s7, v7
	s_cbranch_execz .LBB71_116
; %bb.115:
	v_mul_f32_e32 v9, 0x3fb8aa3b, v7
	v_cmp_ngt_f32_e32 vcc_lo, 0xc2ce8ed0, v7
	s_delay_alu instid0(VALU_DEP_2) | instskip(SKIP_1) | instid1(VALU_DEP_2)
	v_rndne_f32_e32 v10, v9
	v_fma_f32 v11, 0x3fb8aa3b, v7, -v9
	v_sub_f32_e32 v9, v9, v10
	s_delay_alu instid0(VALU_DEP_2) | instskip(SKIP_1) | instid1(VALU_DEP_2)
	v_fmamk_f32 v11, v7, 0x32a5705f, v11
	v_cvt_i32_f32_e32 v10, v10
	v_add_f32_e32 v9, v9, v11
	s_delay_alu instid0(VALU_DEP_1) | instskip(SKIP_1) | instid1(TRANS32_DEP_1)
	v_exp_f32_e32 v9, v9
	v_nop
	v_ldexp_f32 v9, v9, v10
	s_delay_alu instid0(VALU_DEP_1) | instskip(SKIP_1) | instid1(VALU_DEP_2)
	v_cndmask_b32_e32 v9, 0, v9, vcc_lo
	v_cmp_nlt_f32_e32 vcc_lo, 0x42b17218, v7
	v_cndmask_b32_e32 v7, 0x7f800000, v9, vcc_lo
	s_wait_loadcnt 0x0
	s_delay_alu instid0(VALU_DEP_1) | instskip(NEXT) | instid1(VALU_DEP_1)
	v_dual_mul_f32 v6, v6, v7 :: v_dual_add_f32 v7, 1.0, v7
	v_div_scale_f32 v9, null, v7, v7, v6
	s_delay_alu instid0(VALU_DEP_1) | instskip(SKIP_1) | instid1(TRANS32_DEP_1)
	v_rcp_f32_e32 v10, v9
	v_nop
	v_fma_f32 v11, -v9, v10, 1.0
	s_delay_alu instid0(VALU_DEP_1) | instskip(SKIP_1) | instid1(VALU_DEP_1)
	v_fmac_f32_e32 v10, v11, v10
	v_div_scale_f32 v11, vcc_lo, v6, v7, v6
	v_mul_f32_e32 v12, v11, v10
	s_delay_alu instid0(VALU_DEP_1) | instskip(NEXT) | instid1(VALU_DEP_1)
	v_fma_f32 v13, -v9, v12, v11
	v_fmac_f32_e32 v12, v13, v10
	s_delay_alu instid0(VALU_DEP_1) | instskip(NEXT) | instid1(VALU_DEP_1)
	v_fma_f32 v9, -v9, v12, v11
	v_div_fmas_f32 v9, v9, v10, v12
	s_delay_alu instid0(VALU_DEP_1)
	v_div_fixup_f32 v6, v9, v7, v6
.LBB71_116:
	s_or_b32 exec_lo, exec_lo, s2
	s_clause 0x2
	global_store_b32 v1, v2, s[0:1]
	global_store_b32 v5, v3, s[0:1]
	;; [unrolled: 1-line block ×3, first 2 shown]
	s_wait_loadcnt 0x0
	global_store_b32 v8, v6, s[0:1]
	s_endpgm
	.section	.rodata,"a",@progbits
	.p2align	6, 0x0
	.amdhsa_kernel _ZN2at6native32elementwise_kernel_manual_unrollILi128ELi4EZNS0_12_GLOBAL__N_142type_specialized_broadcast_kernel_launcherILi0EE5applyIZZZNS2_24softplus_backward_kernelERNS_18TensorIteratorBaseERKN3c106ScalarESB_ENKUlvE_clEvENKUlvE0_clEvEUlffE_St5arrayIPcLm3EESF_INS8_10ScalarTypeELm3EE16OffsetCalculatorILi3EjLb0EEEEvlT_T0_T1_T2_EUlibE_EEviSO_
		.amdhsa_group_segment_fixed_size 0
		.amdhsa_private_segment_fixed_size 0
		.amdhsa_kernarg_size 432
		.amdhsa_user_sgpr_count 2
		.amdhsa_user_sgpr_dispatch_ptr 0
		.amdhsa_user_sgpr_queue_ptr 0
		.amdhsa_user_sgpr_kernarg_segment_ptr 1
		.amdhsa_user_sgpr_dispatch_id 0
		.amdhsa_user_sgpr_kernarg_preload_length 0
		.amdhsa_user_sgpr_kernarg_preload_offset 0
		.amdhsa_user_sgpr_private_segment_size 0
		.amdhsa_wavefront_size32 1
		.amdhsa_uses_dynamic_stack 0
		.amdhsa_enable_private_segment 0
		.amdhsa_system_sgpr_workgroup_id_x 1
		.amdhsa_system_sgpr_workgroup_id_y 0
		.amdhsa_system_sgpr_workgroup_id_z 0
		.amdhsa_system_sgpr_workgroup_info 0
		.amdhsa_system_vgpr_workitem_id 0
		.amdhsa_next_free_vgpr 17
		.amdhsa_next_free_sgpr 48
		.amdhsa_named_barrier_count 0
		.amdhsa_reserve_vcc 1
		.amdhsa_float_round_mode_32 0
		.amdhsa_float_round_mode_16_64 0
		.amdhsa_float_denorm_mode_32 3
		.amdhsa_float_denorm_mode_16_64 3
		.amdhsa_fp16_overflow 0
		.amdhsa_memory_ordered 1
		.amdhsa_forward_progress 1
		.amdhsa_inst_pref_size 57
		.amdhsa_round_robin_scheduling 0
		.amdhsa_exception_fp_ieee_invalid_op 0
		.amdhsa_exception_fp_denorm_src 0
		.amdhsa_exception_fp_ieee_div_zero 0
		.amdhsa_exception_fp_ieee_overflow 0
		.amdhsa_exception_fp_ieee_underflow 0
		.amdhsa_exception_fp_ieee_inexact 0
		.amdhsa_exception_int_div_zero 0
	.end_amdhsa_kernel
	.section	.text._ZN2at6native32elementwise_kernel_manual_unrollILi128ELi4EZNS0_12_GLOBAL__N_142type_specialized_broadcast_kernel_launcherILi0EE5applyIZZZNS2_24softplus_backward_kernelERNS_18TensorIteratorBaseERKN3c106ScalarESB_ENKUlvE_clEvENKUlvE0_clEvEUlffE_St5arrayIPcLm3EESF_INS8_10ScalarTypeELm3EE16OffsetCalculatorILi3EjLb0EEEEvlT_T0_T1_T2_EUlibE_EEviSO_,"axG",@progbits,_ZN2at6native32elementwise_kernel_manual_unrollILi128ELi4EZNS0_12_GLOBAL__N_142type_specialized_broadcast_kernel_launcherILi0EE5applyIZZZNS2_24softplus_backward_kernelERNS_18TensorIteratorBaseERKN3c106ScalarESB_ENKUlvE_clEvENKUlvE0_clEvEUlffE_St5arrayIPcLm3EESF_INS8_10ScalarTypeELm3EE16OffsetCalculatorILi3EjLb0EEEEvlT_T0_T1_T2_EUlibE_EEviSO_,comdat
.Lfunc_end71:
	.size	_ZN2at6native32elementwise_kernel_manual_unrollILi128ELi4EZNS0_12_GLOBAL__N_142type_specialized_broadcast_kernel_launcherILi0EE5applyIZZZNS2_24softplus_backward_kernelERNS_18TensorIteratorBaseERKN3c106ScalarESB_ENKUlvE_clEvENKUlvE0_clEvEUlffE_St5arrayIPcLm3EESF_INS8_10ScalarTypeELm3EE16OffsetCalculatorILi3EjLb0EEEEvlT_T0_T1_T2_EUlibE_EEviSO_, .Lfunc_end71-_ZN2at6native32elementwise_kernel_manual_unrollILi128ELi4EZNS0_12_GLOBAL__N_142type_specialized_broadcast_kernel_launcherILi0EE5applyIZZZNS2_24softplus_backward_kernelERNS_18TensorIteratorBaseERKN3c106ScalarESB_ENKUlvE_clEvENKUlvE0_clEvEUlffE_St5arrayIPcLm3EESF_INS8_10ScalarTypeELm3EE16OffsetCalculatorILi3EjLb0EEEEvlT_T0_T1_T2_EUlibE_EEviSO_
                                        ; -- End function
	.set _ZN2at6native32elementwise_kernel_manual_unrollILi128ELi4EZNS0_12_GLOBAL__N_142type_specialized_broadcast_kernel_launcherILi0EE5applyIZZZNS2_24softplus_backward_kernelERNS_18TensorIteratorBaseERKN3c106ScalarESB_ENKUlvE_clEvENKUlvE0_clEvEUlffE_St5arrayIPcLm3EESF_INS8_10ScalarTypeELm3EE16OffsetCalculatorILi3EjLb0EEEEvlT_T0_T1_T2_EUlibE_EEviSO_.num_vgpr, 17
	.set _ZN2at6native32elementwise_kernel_manual_unrollILi128ELi4EZNS0_12_GLOBAL__N_142type_specialized_broadcast_kernel_launcherILi0EE5applyIZZZNS2_24softplus_backward_kernelERNS_18TensorIteratorBaseERKN3c106ScalarESB_ENKUlvE_clEvENKUlvE0_clEvEUlffE_St5arrayIPcLm3EESF_INS8_10ScalarTypeELm3EE16OffsetCalculatorILi3EjLb0EEEEvlT_T0_T1_T2_EUlibE_EEviSO_.num_agpr, 0
	.set _ZN2at6native32elementwise_kernel_manual_unrollILi128ELi4EZNS0_12_GLOBAL__N_142type_specialized_broadcast_kernel_launcherILi0EE5applyIZZZNS2_24softplus_backward_kernelERNS_18TensorIteratorBaseERKN3c106ScalarESB_ENKUlvE_clEvENKUlvE0_clEvEUlffE_St5arrayIPcLm3EESF_INS8_10ScalarTypeELm3EE16OffsetCalculatorILi3EjLb0EEEEvlT_T0_T1_T2_EUlibE_EEviSO_.numbered_sgpr, 48
	.set _ZN2at6native32elementwise_kernel_manual_unrollILi128ELi4EZNS0_12_GLOBAL__N_142type_specialized_broadcast_kernel_launcherILi0EE5applyIZZZNS2_24softplus_backward_kernelERNS_18TensorIteratorBaseERKN3c106ScalarESB_ENKUlvE_clEvENKUlvE0_clEvEUlffE_St5arrayIPcLm3EESF_INS8_10ScalarTypeELm3EE16OffsetCalculatorILi3EjLb0EEEEvlT_T0_T1_T2_EUlibE_EEviSO_.num_named_barrier, 0
	.set _ZN2at6native32elementwise_kernel_manual_unrollILi128ELi4EZNS0_12_GLOBAL__N_142type_specialized_broadcast_kernel_launcherILi0EE5applyIZZZNS2_24softplus_backward_kernelERNS_18TensorIteratorBaseERKN3c106ScalarESB_ENKUlvE_clEvENKUlvE0_clEvEUlffE_St5arrayIPcLm3EESF_INS8_10ScalarTypeELm3EE16OffsetCalculatorILi3EjLb0EEEEvlT_T0_T1_T2_EUlibE_EEviSO_.private_seg_size, 0
	.set _ZN2at6native32elementwise_kernel_manual_unrollILi128ELi4EZNS0_12_GLOBAL__N_142type_specialized_broadcast_kernel_launcherILi0EE5applyIZZZNS2_24softplus_backward_kernelERNS_18TensorIteratorBaseERKN3c106ScalarESB_ENKUlvE_clEvENKUlvE0_clEvEUlffE_St5arrayIPcLm3EESF_INS8_10ScalarTypeELm3EE16OffsetCalculatorILi3EjLb0EEEEvlT_T0_T1_T2_EUlibE_EEviSO_.uses_vcc, 1
	.set _ZN2at6native32elementwise_kernel_manual_unrollILi128ELi4EZNS0_12_GLOBAL__N_142type_specialized_broadcast_kernel_launcherILi0EE5applyIZZZNS2_24softplus_backward_kernelERNS_18TensorIteratorBaseERKN3c106ScalarESB_ENKUlvE_clEvENKUlvE0_clEvEUlffE_St5arrayIPcLm3EESF_INS8_10ScalarTypeELm3EE16OffsetCalculatorILi3EjLb0EEEEvlT_T0_T1_T2_EUlibE_EEviSO_.uses_flat_scratch, 0
	.set _ZN2at6native32elementwise_kernel_manual_unrollILi128ELi4EZNS0_12_GLOBAL__N_142type_specialized_broadcast_kernel_launcherILi0EE5applyIZZZNS2_24softplus_backward_kernelERNS_18TensorIteratorBaseERKN3c106ScalarESB_ENKUlvE_clEvENKUlvE0_clEvEUlffE_St5arrayIPcLm3EESF_INS8_10ScalarTypeELm3EE16OffsetCalculatorILi3EjLb0EEEEvlT_T0_T1_T2_EUlibE_EEviSO_.has_dyn_sized_stack, 0
	.set _ZN2at6native32elementwise_kernel_manual_unrollILi128ELi4EZNS0_12_GLOBAL__N_142type_specialized_broadcast_kernel_launcherILi0EE5applyIZZZNS2_24softplus_backward_kernelERNS_18TensorIteratorBaseERKN3c106ScalarESB_ENKUlvE_clEvENKUlvE0_clEvEUlffE_St5arrayIPcLm3EESF_INS8_10ScalarTypeELm3EE16OffsetCalculatorILi3EjLb0EEEEvlT_T0_T1_T2_EUlibE_EEviSO_.has_recursion, 0
	.set _ZN2at6native32elementwise_kernel_manual_unrollILi128ELi4EZNS0_12_GLOBAL__N_142type_specialized_broadcast_kernel_launcherILi0EE5applyIZZZNS2_24softplus_backward_kernelERNS_18TensorIteratorBaseERKN3c106ScalarESB_ENKUlvE_clEvENKUlvE0_clEvEUlffE_St5arrayIPcLm3EESF_INS8_10ScalarTypeELm3EE16OffsetCalculatorILi3EjLb0EEEEvlT_T0_T1_T2_EUlibE_EEviSO_.has_indirect_call, 0
	.section	.AMDGPU.csdata,"",@progbits
; Kernel info:
; codeLenInByte = 7284
; TotalNumSgprs: 50
; NumVgprs: 17
; ScratchSize: 0
; MemoryBound: 0
; FloatMode: 240
; IeeeMode: 1
; LDSByteSize: 0 bytes/workgroup (compile time only)
; SGPRBlocks: 0
; VGPRBlocks: 1
; NumSGPRsForWavesPerEU: 50
; NumVGPRsForWavesPerEU: 17
; NamedBarCnt: 0
; Occupancy: 16
; WaveLimiterHint : 1
; COMPUTE_PGM_RSRC2:SCRATCH_EN: 0
; COMPUTE_PGM_RSRC2:USER_SGPR: 2
; COMPUTE_PGM_RSRC2:TRAP_HANDLER: 0
; COMPUTE_PGM_RSRC2:TGID_X_EN: 1
; COMPUTE_PGM_RSRC2:TGID_Y_EN: 0
; COMPUTE_PGM_RSRC2:TGID_Z_EN: 0
; COMPUTE_PGM_RSRC2:TIDIG_COMP_CNT: 0
	.section	.text._ZN2at6native32elementwise_kernel_manual_unrollILi128ELi4EZNS0_12_GLOBAL__N_142type_specialized_broadcast_kernel_launcherILi1EE5applyIZZZNS2_24softplus_backward_kernelERNS_18TensorIteratorBaseERKN3c106ScalarESB_ENKUlvE_clEvENKUlvE0_clEvEUlffE_St5arrayIPcLm3EESF_INS8_10ScalarTypeELm3EE16OffsetCalculatorILi3EjLb0EEEEvlT_T0_T1_T2_EUlibE_EEviSO_,"axG",@progbits,_ZN2at6native32elementwise_kernel_manual_unrollILi128ELi4EZNS0_12_GLOBAL__N_142type_specialized_broadcast_kernel_launcherILi1EE5applyIZZZNS2_24softplus_backward_kernelERNS_18TensorIteratorBaseERKN3c106ScalarESB_ENKUlvE_clEvENKUlvE0_clEvEUlffE_St5arrayIPcLm3EESF_INS8_10ScalarTypeELm3EE16OffsetCalculatorILi3EjLb0EEEEvlT_T0_T1_T2_EUlibE_EEviSO_,comdat
	.globl	_ZN2at6native32elementwise_kernel_manual_unrollILi128ELi4EZNS0_12_GLOBAL__N_142type_specialized_broadcast_kernel_launcherILi1EE5applyIZZZNS2_24softplus_backward_kernelERNS_18TensorIteratorBaseERKN3c106ScalarESB_ENKUlvE_clEvENKUlvE0_clEvEUlffE_St5arrayIPcLm3EESF_INS8_10ScalarTypeELm3EE16OffsetCalculatorILi3EjLb0EEEEvlT_T0_T1_T2_EUlibE_EEviSO_ ; -- Begin function _ZN2at6native32elementwise_kernel_manual_unrollILi128ELi4EZNS0_12_GLOBAL__N_142type_specialized_broadcast_kernel_launcherILi1EE5applyIZZZNS2_24softplus_backward_kernelERNS_18TensorIteratorBaseERKN3c106ScalarESB_ENKUlvE_clEvENKUlvE0_clEvEUlffE_St5arrayIPcLm3EESF_INS8_10ScalarTypeELm3EE16OffsetCalculatorILi3EjLb0EEEEvlT_T0_T1_T2_EUlibE_EEviSO_
	.p2align	8
	.type	_ZN2at6native32elementwise_kernel_manual_unrollILi128ELi4EZNS0_12_GLOBAL__N_142type_specialized_broadcast_kernel_launcherILi1EE5applyIZZZNS2_24softplus_backward_kernelERNS_18TensorIteratorBaseERKN3c106ScalarESB_ENKUlvE_clEvENKUlvE0_clEvEUlffE_St5arrayIPcLm3EESF_INS8_10ScalarTypeELm3EE16OffsetCalculatorILi3EjLb0EEEEvlT_T0_T1_T2_EUlibE_EEviSO_,@function
_ZN2at6native32elementwise_kernel_manual_unrollILi128ELi4EZNS0_12_GLOBAL__N_142type_specialized_broadcast_kernel_launcherILi1EE5applyIZZZNS2_24softplus_backward_kernelERNS_18TensorIteratorBaseERKN3c106ScalarESB_ENKUlvE_clEvENKUlvE0_clEvEUlffE_St5arrayIPcLm3EESF_INS8_10ScalarTypeELm3EE16OffsetCalculatorILi3EjLb0EEEEvlT_T0_T1_T2_EUlibE_EEviSO_: ; @_ZN2at6native32elementwise_kernel_manual_unrollILi128ELi4EZNS0_12_GLOBAL__N_142type_specialized_broadcast_kernel_launcherILi1EE5applyIZZZNS2_24softplus_backward_kernelERNS_18TensorIteratorBaseERKN3c106ScalarESB_ENKUlvE_clEvENKUlvE0_clEvEUlffE_St5arrayIPcLm3EESF_INS8_10ScalarTypeELm3EE16OffsetCalculatorILi3EjLb0EEEEvlT_T0_T1_T2_EUlibE_EEviSO_
; %bb.0:
	s_clause 0x1
	s_load_b32 s28, s[0:1], 0x8
	s_load_b32 s35, s[0:1], 0x0
	s_bfe_u32 s2, ttmp6, 0x4000c
	s_and_b32 s3, ttmp6, 15
	s_add_co_i32 s2, s2, 1
	s_getreg_b32 s4, hwreg(HW_REG_IB_STS2, 6, 4)
	s_mul_i32 s2, ttmp9, s2
	s_add_nc_u64 s[16:17], s[0:1], 8
	s_add_co_i32 s3, s3, s2
	s_cmp_eq_u32 s4, 0
	s_mov_b32 s23, 0
	s_cselect_b32 s2, ttmp9, s3
	s_wait_xcnt 0x0
	s_mov_b32 s0, exec_lo
	v_lshl_or_b32 v0, s2, 9, v0
	s_delay_alu instid0(VALU_DEP_1) | instskip(SKIP_2) | instid1(SALU_CYCLE_1)
	v_or_b32_e32 v2, 0x180, v0
	s_wait_kmcnt 0x0
	s_add_co_i32 s29, s28, -1
	s_cmp_gt_u32 s29, 1
	s_cselect_b32 s30, -1, 0
	v_cmpx_le_i32_e64 s35, v2
	s_xor_b32 s31, exec_lo, s0
	s_cbranch_execz .LBB72_62
; %bb.1:
	s_clause 0x4
	s_load_b128 s[8:11], s[16:17], 0x4
	s_load_b64 s[18:19], s[16:17], 0x14
	s_load_b128 s[12:15], s[16:17], 0xc4
	s_load_b64 s[20:21], s[16:17], 0xd4
	s_load_b256 s[0:7], s[16:17], 0x188
	s_cmp_lg_u32 s28, 0
	s_mov_b32 s25, s23
	s_cselect_b32 s36, -1, 0
	s_min_u32 s34, s29, 15
	s_cmp_gt_u32 s28, 1
	s_cselect_b32 s33, -1, 0
	s_wait_kmcnt 0x0
	s_mov_b32 s22, s9
	s_mov_b32 s24, s18
	s_mov_b32 s9, exec_lo
	v_cmpx_gt_i32_e64 s35, v0
	s_cbranch_execnz .LBB72_5
; %bb.2:
	s_or_b32 exec_lo, exec_lo, s9
	s_delay_alu instid0(SALU_CYCLE_1)
	s_mov_b32 s9, exec_lo
	v_cmpx_gt_i32_e64 s35, v0
	s_cbranch_execnz .LBB72_19
.LBB72_3:
	s_or_b32 exec_lo, exec_lo, s9
	s_delay_alu instid0(SALU_CYCLE_1)
	s_mov_b32 s9, exec_lo
	v_cmpx_gt_i32_e64 s35, v0
	s_cbranch_execnz .LBB72_33
.LBB72_4:
	s_or_b32 exec_lo, exec_lo, s9
	s_delay_alu instid0(SALU_CYCLE_1)
	s_mov_b32 s9, exec_lo
	v_cmpx_gt_i32_e64 s35, v0
	s_cbranch_execnz .LBB72_47
	s_branch .LBB72_61
.LBB72_5:
	s_and_not1_b32 vcc_lo, exec_lo, s30
	s_cbranch_vccnz .LBB72_11
; %bb.6:
	s_and_not1_b32 vcc_lo, exec_lo, s36
	s_cbranch_vccnz .LBB72_12
; %bb.7:
	v_dual_mov_b32 v4, 0 :: v_dual_mov_b32 v1, v0
	v_dual_mov_b32 v6, 0 :: v_dual_mov_b32 v5, 0
	s_add_co_i32 s18, s34, 1
	s_mov_b64 s[26:27], 0xffffffffffffffe8
	s_and_b32 s18, s18, 30
	s_add_nc_u64 s[26:27], s[16:17], s[26:27]
.LBB72_8:                               ; =>This Inner Loop Header: Depth=1
	s_clause 0x1
	s_load_b128 s[40:43], s[26:27], 0x1c
	s_load_b64 s[38:39], s[26:27], 0x2c
	s_add_co_i32 s18, s18, -2
	s_delay_alu instid0(SALU_CYCLE_1) | instskip(SKIP_2) | instid1(VALU_DEP_1)
	s_cmp_lg_u32 s18, 0
	s_wait_kmcnt 0x0
	v_mul_hi_u32 v2, s41, v1
	v_add_nc_u32_e32 v2, v1, v2
	s_delay_alu instid0(VALU_DEP_1) | instskip(NEXT) | instid1(VALU_DEP_1)
	v_lshrrev_b32_e32 v2, s42, v2
	v_mul_hi_u32 v3, s38, v2
	v_mul_lo_u32 v7, v2, s40
	s_clause 0x1
	s_load_b128 s[44:47], s[26:27], 0xdc
	s_load_b64 s[40:41], s[26:27], 0xec
	s_wait_xcnt 0x0
	s_add_nc_u64 s[26:27], s[26:27], 24
	s_delay_alu instid0(VALU_DEP_2) | instskip(NEXT) | instid1(VALU_DEP_2)
	v_add_nc_u32_e32 v3, v2, v3
	v_sub_nc_u32_e32 v7, v1, v7
	s_delay_alu instid0(VALU_DEP_2) | instskip(SKIP_1) | instid1(VALU_DEP_2)
	v_lshrrev_b32_e32 v1, s39, v3
	s_wait_kmcnt 0x0
	v_mad_u32 v4, v7, s44, v4
	s_delay_alu instid0(VALU_DEP_2) | instskip(SKIP_2) | instid1(VALU_DEP_3)
	v_mul_lo_u32 v3, v1, s43
	v_mad_u32 v5, v7, s46, v5
	v_mad_u32 v6, v7, s45, v6
	v_sub_nc_u32_e32 v2, v2, v3
	s_delay_alu instid0(VALU_DEP_1) | instskip(NEXT) | instid1(VALU_DEP_4)
	v_mad_u32 v4, v2, s47, v4
	v_mad_u32 v5, v2, s41, v5
	s_delay_alu instid0(VALU_DEP_4)
	v_mad_u32 v6, v2, s40, v6
	s_cbranch_scc1 .LBB72_8
; %bb.9:
	s_bitcmp1_b32 s34, 0
	s_cselect_b32 s18, -1, 0
	s_delay_alu instid0(SALU_CYCLE_1)
	s_and_b32 vcc_lo, exec_lo, s18
	s_cbranch_vccnz .LBB72_13
; %bb.10:
	s_clause 0x1
	s_load_b96 s[40:42], s[26:27], 0x1c
	s_load_b96 s[44:46], s[26:27], 0xdc
	s_wait_kmcnt 0x0
	v_mul_hi_u32 v2, s41, v1
	s_delay_alu instid0(VALU_DEP_1) | instskip(NEXT) | instid1(VALU_DEP_1)
	v_add_nc_u32_e32 v2, v1, v2
	v_lshrrev_b32_e32 v2, s42, v2
	s_delay_alu instid0(VALU_DEP_1) | instskip(NEXT) | instid1(VALU_DEP_1)
	v_mul_lo_u32 v2, v2, s40
	v_sub_nc_u32_e32 v1, v1, v2
	s_delay_alu instid0(VALU_DEP_1)
	v_mad_u32 v4, v1, s44, v4
	v_mad_u32 v6, v1, s45, v6
	;; [unrolled: 1-line block ×3, first 2 shown]
	s_cbranch_execz .LBB72_14
	s_branch .LBB72_16
.LBB72_11:
                                        ; implicit-def: $vgpr5
                                        ; implicit-def: $vgpr6
                                        ; implicit-def: $vgpr4
	s_branch .LBB72_14
.LBB72_12:
	v_dual_mov_b32 v5, 0 :: v_dual_mov_b32 v6, 0
	v_mov_b32_e32 v4, 0
.LBB72_13:
	s_cbranch_execnz .LBB72_16
.LBB72_14:
	v_mov_b32_e32 v1, 0
	s_and_not1_b32 vcc_lo, exec_lo, s33
	s_delay_alu instid0(VALU_DEP_1) | instskip(NEXT) | instid1(VALU_DEP_1)
	v_mul_u64_e32 v[2:3], s[22:23], v[0:1]
	v_add_nc_u32_e32 v2, v0, v3
	s_delay_alu instid0(VALU_DEP_1) | instskip(NEXT) | instid1(VALU_DEP_1)
	v_lshrrev_b32_e32 v2, s10, v2
	v_mul_lo_u32 v3, v2, s8
	s_delay_alu instid0(VALU_DEP_1) | instskip(NEXT) | instid1(VALU_DEP_1)
	v_sub_nc_u32_e32 v3, v0, v3
	v_mul_lo_u32 v4, v3, s12
	v_mul_lo_u32 v5, v3, s14
	;; [unrolled: 1-line block ×3, first 2 shown]
	s_cbranch_vccnz .LBB72_16
; %bb.15:
	v_mov_b32_e32 v3, v1
	s_delay_alu instid0(VALU_DEP_1) | instskip(NEXT) | instid1(VALU_DEP_1)
	v_mul_u64_e32 v[8:9], s[24:25], v[2:3]
	v_add_nc_u32_e32 v1, v2, v9
	s_delay_alu instid0(VALU_DEP_1) | instskip(NEXT) | instid1(VALU_DEP_1)
	v_lshrrev_b32_e32 v1, s19, v1
	v_mul_lo_u32 v1, v1, s11
	s_delay_alu instid0(VALU_DEP_1) | instskip(NEXT) | instid1(VALU_DEP_1)
	v_sub_nc_u32_e32 v1, v2, v1
	v_mad_u32 v4, v1, s15, v4
	v_mad_u32 v6, v1, s20, v6
	;; [unrolled: 1-line block ×3, first 2 shown]
.LBB72_16:
	global_load_b32 v1, v5, s[4:5]
	global_load_u16 v3, v6, s[2:3]
	s_mov_b32 s18, exec_lo
	s_wait_loadcnt 0x0
	v_dual_mul_f32 v2, s6, v1 :: v_dual_lshlrev_b32 v1, 16, v3
	s_delay_alu instid0(VALU_DEP_1)
	v_cmpx_nlt_f32_e32 s7, v2
	s_cbranch_execz .LBB72_18
; %bb.17:
	v_mul_f32_e32 v3, 0x3fb8aa3b, v2
	v_cmp_ngt_f32_e32 vcc_lo, 0xc2ce8ed0, v2
	s_delay_alu instid0(VALU_DEP_2) | instskip(SKIP_1) | instid1(VALU_DEP_1)
	v_rndne_f32_e32 v5, v3
	v_fma_f32 v6, 0x3fb8aa3b, v2, -v3
	v_dual_sub_f32 v3, v3, v5 :: v_dual_fmamk_f32 v6, v2, 0x32a5705f, v6
	v_cvt_i32_f32_e32 v5, v5
	s_delay_alu instid0(VALU_DEP_2) | instskip(NEXT) | instid1(VALU_DEP_1)
	v_add_f32_e32 v3, v3, v6
	v_exp_f32_e32 v3, v3
	v_nop
	s_delay_alu instid0(TRANS32_DEP_1) | instskip(NEXT) | instid1(VALU_DEP_1)
	v_ldexp_f32 v3, v3, v5
	v_cndmask_b32_e32 v3, 0, v3, vcc_lo
	v_cmp_nlt_f32_e32 vcc_lo, 0x42b17218, v2
	s_delay_alu instid0(VALU_DEP_2) | instskip(NEXT) | instid1(VALU_DEP_1)
	v_cndmask_b32_e32 v2, 0x7f800000, v3, vcc_lo
	v_dual_mul_f32 v1, v2, v1 :: v_dual_add_f32 v2, 1.0, v2
	s_delay_alu instid0(VALU_DEP_1) | instskip(NEXT) | instid1(VALU_DEP_1)
	v_div_scale_f32 v3, null, v2, v2, v1
	v_rcp_f32_e32 v5, v3
	v_nop
	s_delay_alu instid0(TRANS32_DEP_1) | instskip(NEXT) | instid1(VALU_DEP_1)
	v_fma_f32 v6, -v3, v5, 1.0
	v_fmac_f32_e32 v5, v6, v5
	v_div_scale_f32 v6, vcc_lo, v1, v2, v1
	s_delay_alu instid0(VALU_DEP_1) | instskip(NEXT) | instid1(VALU_DEP_1)
	v_mul_f32_e32 v7, v6, v5
	v_fma_f32 v8, -v3, v7, v6
	s_delay_alu instid0(VALU_DEP_1) | instskip(NEXT) | instid1(VALU_DEP_1)
	v_fmac_f32_e32 v7, v8, v5
	v_fma_f32 v3, -v3, v7, v6
	s_delay_alu instid0(VALU_DEP_1) | instskip(NEXT) | instid1(VALU_DEP_1)
	v_div_fmas_f32 v3, v3, v5, v7
	v_div_fixup_f32 v1, v3, v2, v1
.LBB72_18:
	s_or_b32 exec_lo, exec_lo, s18
	v_add_nc_u32_e32 v0, 0x80, v0
	global_store_b32 v4, v1, s[0:1]
	s_wait_xcnt 0x0
	s_or_b32 exec_lo, exec_lo, s9
	s_delay_alu instid0(SALU_CYCLE_1)
	s_mov_b32 s9, exec_lo
	v_cmpx_gt_i32_e64 s35, v0
	s_cbranch_execz .LBB72_3
.LBB72_19:
	s_and_not1_b32 vcc_lo, exec_lo, s30
	s_cbranch_vccnz .LBB72_25
; %bb.20:
	s_and_not1_b32 vcc_lo, exec_lo, s36
	s_cbranch_vccnz .LBB72_26
; %bb.21:
	v_dual_mov_b32 v4, 0 :: v_dual_mov_b32 v1, v0
	v_dual_mov_b32 v6, 0 :: v_dual_mov_b32 v5, 0
	s_add_co_i32 s18, s34, 1
	s_mov_b64 s[26:27], 0xffffffffffffffe8
	s_and_b32 s18, s18, 30
	s_add_nc_u64 s[26:27], s[16:17], s[26:27]
.LBB72_22:                              ; =>This Inner Loop Header: Depth=1
	s_clause 0x1
	s_load_b128 s[40:43], s[26:27], 0x1c
	s_load_b64 s[38:39], s[26:27], 0x2c
	s_add_co_i32 s18, s18, -2
	s_delay_alu instid0(SALU_CYCLE_1) | instskip(SKIP_2) | instid1(VALU_DEP_1)
	s_cmp_eq_u32 s18, 0
	s_wait_kmcnt 0x0
	v_mul_hi_u32 v2, s41, v1
	v_add_nc_u32_e32 v2, v1, v2
	s_delay_alu instid0(VALU_DEP_1) | instskip(NEXT) | instid1(VALU_DEP_1)
	v_lshrrev_b32_e32 v2, s42, v2
	v_mul_hi_u32 v3, s38, v2
	v_mul_lo_u32 v7, v2, s40
	s_clause 0x1
	s_load_b128 s[44:47], s[26:27], 0xdc
	s_load_b64 s[40:41], s[26:27], 0xec
	s_wait_xcnt 0x0
	s_add_nc_u64 s[26:27], s[26:27], 24
	s_delay_alu instid0(VALU_DEP_2) | instskip(NEXT) | instid1(VALU_DEP_2)
	v_add_nc_u32_e32 v3, v2, v3
	v_sub_nc_u32_e32 v7, v1, v7
	s_delay_alu instid0(VALU_DEP_2) | instskip(SKIP_1) | instid1(VALU_DEP_2)
	v_lshrrev_b32_e32 v1, s39, v3
	s_wait_kmcnt 0x0
	v_mad_u32 v4, v7, s44, v4
	s_delay_alu instid0(VALU_DEP_2) | instskip(SKIP_2) | instid1(VALU_DEP_3)
	v_mul_lo_u32 v3, v1, s43
	v_mad_u32 v5, v7, s46, v5
	v_mad_u32 v6, v7, s45, v6
	v_sub_nc_u32_e32 v2, v2, v3
	s_delay_alu instid0(VALU_DEP_1) | instskip(NEXT) | instid1(VALU_DEP_4)
	v_mad_u32 v4, v2, s47, v4
	v_mad_u32 v5, v2, s41, v5
	s_delay_alu instid0(VALU_DEP_4)
	v_mad_u32 v6, v2, s40, v6
	s_cbranch_scc0 .LBB72_22
; %bb.23:
	s_bitcmp1_b32 s34, 0
	s_cselect_b32 s18, -1, 0
	s_delay_alu instid0(SALU_CYCLE_1)
	s_and_b32 vcc_lo, exec_lo, s18
	s_cbranch_vccnz .LBB72_27
; %bb.24:
	s_clause 0x1
	s_load_b96 s[40:42], s[26:27], 0x1c
	s_load_b96 s[44:46], s[26:27], 0xdc
	s_wait_kmcnt 0x0
	v_mul_hi_u32 v2, s41, v1
	s_delay_alu instid0(VALU_DEP_1) | instskip(NEXT) | instid1(VALU_DEP_1)
	v_add_nc_u32_e32 v2, v1, v2
	v_lshrrev_b32_e32 v2, s42, v2
	s_delay_alu instid0(VALU_DEP_1) | instskip(NEXT) | instid1(VALU_DEP_1)
	v_mul_lo_u32 v2, v2, s40
	v_sub_nc_u32_e32 v1, v1, v2
	s_delay_alu instid0(VALU_DEP_1)
	v_mad_u32 v4, v1, s44, v4
	v_mad_u32 v6, v1, s45, v6
	;; [unrolled: 1-line block ×3, first 2 shown]
	s_branch .LBB72_27
.LBB72_25:
                                        ; implicit-def: $vgpr5
                                        ; implicit-def: $vgpr6
                                        ; implicit-def: $vgpr4
	s_branch .LBB72_28
.LBB72_26:
	v_dual_mov_b32 v5, 0 :: v_dual_mov_b32 v6, 0
	v_mov_b32_e32 v4, 0
.LBB72_27:
	s_cbranch_execnz .LBB72_30
.LBB72_28:
	v_mov_b32_e32 v1, 0
	s_and_not1_b32 vcc_lo, exec_lo, s33
	s_delay_alu instid0(VALU_DEP_1) | instskip(NEXT) | instid1(VALU_DEP_1)
	v_mul_u64_e32 v[2:3], s[22:23], v[0:1]
	v_add_nc_u32_e32 v2, v0, v3
	s_delay_alu instid0(VALU_DEP_1) | instskip(NEXT) | instid1(VALU_DEP_1)
	v_lshrrev_b32_e32 v2, s10, v2
	v_mul_lo_u32 v3, v2, s8
	s_delay_alu instid0(VALU_DEP_1) | instskip(NEXT) | instid1(VALU_DEP_1)
	v_sub_nc_u32_e32 v3, v0, v3
	v_mul_lo_u32 v4, v3, s12
	v_mul_lo_u32 v5, v3, s14
	;; [unrolled: 1-line block ×3, first 2 shown]
	s_cbranch_vccnz .LBB72_30
; %bb.29:
	v_mov_b32_e32 v3, v1
	s_delay_alu instid0(VALU_DEP_1) | instskip(NEXT) | instid1(VALU_DEP_1)
	v_mul_u64_e32 v[8:9], s[24:25], v[2:3]
	v_add_nc_u32_e32 v1, v2, v9
	s_delay_alu instid0(VALU_DEP_1) | instskip(NEXT) | instid1(VALU_DEP_1)
	v_lshrrev_b32_e32 v1, s19, v1
	v_mul_lo_u32 v1, v1, s11
	s_delay_alu instid0(VALU_DEP_1) | instskip(NEXT) | instid1(VALU_DEP_1)
	v_sub_nc_u32_e32 v1, v2, v1
	v_mad_u32 v4, v1, s15, v4
	v_mad_u32 v6, v1, s20, v6
	;; [unrolled: 1-line block ×3, first 2 shown]
.LBB72_30:
	global_load_b32 v1, v5, s[4:5]
	global_load_u16 v3, v6, s[2:3]
	s_mov_b32 s18, exec_lo
	s_wait_loadcnt 0x0
	v_dual_mul_f32 v2, s6, v1 :: v_dual_lshlrev_b32 v1, 16, v3
	s_wait_xcnt 0x0
	s_delay_alu instid0(VALU_DEP_1)
	v_cmpx_nlt_f32_e32 s7, v2
	s_cbranch_execz .LBB72_32
; %bb.31:
	v_mul_f32_e32 v3, 0x3fb8aa3b, v2
	v_cmp_ngt_f32_e32 vcc_lo, 0xc2ce8ed0, v2
	s_delay_alu instid0(VALU_DEP_2) | instskip(SKIP_1) | instid1(VALU_DEP_1)
	v_rndne_f32_e32 v5, v3
	v_fma_f32 v6, 0x3fb8aa3b, v2, -v3
	v_dual_sub_f32 v3, v3, v5 :: v_dual_fmamk_f32 v6, v2, 0x32a5705f, v6
	v_cvt_i32_f32_e32 v5, v5
	s_delay_alu instid0(VALU_DEP_2) | instskip(NEXT) | instid1(VALU_DEP_1)
	v_add_f32_e32 v3, v3, v6
	v_exp_f32_e32 v3, v3
	v_nop
	s_delay_alu instid0(TRANS32_DEP_1) | instskip(NEXT) | instid1(VALU_DEP_1)
	v_ldexp_f32 v3, v3, v5
	v_cndmask_b32_e32 v3, 0, v3, vcc_lo
	v_cmp_nlt_f32_e32 vcc_lo, 0x42b17218, v2
	s_delay_alu instid0(VALU_DEP_2) | instskip(NEXT) | instid1(VALU_DEP_1)
	v_cndmask_b32_e32 v2, 0x7f800000, v3, vcc_lo
	v_dual_mul_f32 v1, v2, v1 :: v_dual_add_f32 v2, 1.0, v2
	s_delay_alu instid0(VALU_DEP_1) | instskip(NEXT) | instid1(VALU_DEP_1)
	v_div_scale_f32 v3, null, v2, v2, v1
	v_rcp_f32_e32 v5, v3
	v_nop
	s_delay_alu instid0(TRANS32_DEP_1) | instskip(NEXT) | instid1(VALU_DEP_1)
	v_fma_f32 v6, -v3, v5, 1.0
	v_fmac_f32_e32 v5, v6, v5
	v_div_scale_f32 v6, vcc_lo, v1, v2, v1
	s_delay_alu instid0(VALU_DEP_1) | instskip(NEXT) | instid1(VALU_DEP_1)
	v_mul_f32_e32 v7, v6, v5
	v_fma_f32 v8, -v3, v7, v6
	s_delay_alu instid0(VALU_DEP_1) | instskip(NEXT) | instid1(VALU_DEP_1)
	v_fmac_f32_e32 v7, v8, v5
	v_fma_f32 v3, -v3, v7, v6
	s_delay_alu instid0(VALU_DEP_1) | instskip(NEXT) | instid1(VALU_DEP_1)
	v_div_fmas_f32 v3, v3, v5, v7
	v_div_fixup_f32 v1, v3, v2, v1
.LBB72_32:
	s_or_b32 exec_lo, exec_lo, s18
	v_add_nc_u32_e32 v0, 0x80, v0
	global_store_b32 v4, v1, s[0:1]
	s_wait_xcnt 0x0
	s_or_b32 exec_lo, exec_lo, s9
	s_delay_alu instid0(SALU_CYCLE_1)
	s_mov_b32 s9, exec_lo
	v_cmpx_gt_i32_e64 s35, v0
	s_cbranch_execz .LBB72_4
.LBB72_33:
	s_and_not1_b32 vcc_lo, exec_lo, s30
	s_cbranch_vccnz .LBB72_39
; %bb.34:
	s_and_not1_b32 vcc_lo, exec_lo, s36
	s_cbranch_vccnz .LBB72_40
; %bb.35:
	v_dual_mov_b32 v4, 0 :: v_dual_mov_b32 v1, v0
	v_dual_mov_b32 v6, 0 :: v_dual_mov_b32 v5, 0
	s_add_co_i32 s18, s34, 1
	s_mov_b64 s[26:27], 0xffffffffffffffe8
	s_and_b32 s18, s18, 30
	s_add_nc_u64 s[26:27], s[16:17], s[26:27]
.LBB72_36:                              ; =>This Inner Loop Header: Depth=1
	s_clause 0x1
	s_load_b128 s[40:43], s[26:27], 0x1c
	s_load_b64 s[38:39], s[26:27], 0x2c
	s_add_co_i32 s18, s18, -2
	s_delay_alu instid0(SALU_CYCLE_1) | instskip(SKIP_2) | instid1(VALU_DEP_1)
	s_cmp_eq_u32 s18, 0
	s_wait_kmcnt 0x0
	v_mul_hi_u32 v2, s41, v1
	v_add_nc_u32_e32 v2, v1, v2
	s_delay_alu instid0(VALU_DEP_1) | instskip(NEXT) | instid1(VALU_DEP_1)
	v_lshrrev_b32_e32 v2, s42, v2
	v_mul_hi_u32 v3, s38, v2
	v_mul_lo_u32 v7, v2, s40
	s_clause 0x1
	s_load_b128 s[44:47], s[26:27], 0xdc
	s_load_b64 s[40:41], s[26:27], 0xec
	s_wait_xcnt 0x0
	s_add_nc_u64 s[26:27], s[26:27], 24
	s_delay_alu instid0(VALU_DEP_2) | instskip(NEXT) | instid1(VALU_DEP_2)
	v_add_nc_u32_e32 v3, v2, v3
	v_sub_nc_u32_e32 v7, v1, v7
	s_delay_alu instid0(VALU_DEP_2) | instskip(SKIP_1) | instid1(VALU_DEP_2)
	v_lshrrev_b32_e32 v1, s39, v3
	s_wait_kmcnt 0x0
	v_mad_u32 v4, v7, s44, v4
	s_delay_alu instid0(VALU_DEP_2) | instskip(SKIP_2) | instid1(VALU_DEP_3)
	v_mul_lo_u32 v3, v1, s43
	v_mad_u32 v5, v7, s46, v5
	v_mad_u32 v6, v7, s45, v6
	v_sub_nc_u32_e32 v2, v2, v3
	s_delay_alu instid0(VALU_DEP_1) | instskip(NEXT) | instid1(VALU_DEP_4)
	v_mad_u32 v4, v2, s47, v4
	v_mad_u32 v5, v2, s41, v5
	s_delay_alu instid0(VALU_DEP_4)
	v_mad_u32 v6, v2, s40, v6
	s_cbranch_scc0 .LBB72_36
; %bb.37:
	s_bitcmp1_b32 s34, 0
	s_cselect_b32 s18, -1, 0
	s_delay_alu instid0(SALU_CYCLE_1)
	s_and_b32 vcc_lo, exec_lo, s18
	s_cbranch_vccnz .LBB72_41
; %bb.38:
	s_clause 0x1
	s_load_b96 s[40:42], s[26:27], 0x1c
	s_load_b96 s[44:46], s[26:27], 0xdc
	s_wait_kmcnt 0x0
	v_mul_hi_u32 v2, s41, v1
	s_delay_alu instid0(VALU_DEP_1) | instskip(NEXT) | instid1(VALU_DEP_1)
	v_add_nc_u32_e32 v2, v1, v2
	v_lshrrev_b32_e32 v2, s42, v2
	s_delay_alu instid0(VALU_DEP_1) | instskip(NEXT) | instid1(VALU_DEP_1)
	v_mul_lo_u32 v2, v2, s40
	v_sub_nc_u32_e32 v1, v1, v2
	s_delay_alu instid0(VALU_DEP_1)
	v_mad_u32 v4, v1, s44, v4
	v_mad_u32 v6, v1, s45, v6
	v_mad_u32 v5, v1, s46, v5
	s_branch .LBB72_41
.LBB72_39:
                                        ; implicit-def: $vgpr5
                                        ; implicit-def: $vgpr6
                                        ; implicit-def: $vgpr4
	s_branch .LBB72_42
.LBB72_40:
	v_dual_mov_b32 v5, 0 :: v_dual_mov_b32 v6, 0
	v_mov_b32_e32 v4, 0
.LBB72_41:
	s_cbranch_execnz .LBB72_44
.LBB72_42:
	v_mov_b32_e32 v1, 0
	s_and_not1_b32 vcc_lo, exec_lo, s33
	s_delay_alu instid0(VALU_DEP_1) | instskip(NEXT) | instid1(VALU_DEP_1)
	v_mul_u64_e32 v[2:3], s[22:23], v[0:1]
	v_add_nc_u32_e32 v2, v0, v3
	s_delay_alu instid0(VALU_DEP_1) | instskip(NEXT) | instid1(VALU_DEP_1)
	v_lshrrev_b32_e32 v2, s10, v2
	v_mul_lo_u32 v3, v2, s8
	s_delay_alu instid0(VALU_DEP_1) | instskip(NEXT) | instid1(VALU_DEP_1)
	v_sub_nc_u32_e32 v3, v0, v3
	v_mul_lo_u32 v4, v3, s12
	v_mul_lo_u32 v5, v3, s14
	;; [unrolled: 1-line block ×3, first 2 shown]
	s_cbranch_vccnz .LBB72_44
; %bb.43:
	v_mov_b32_e32 v3, v1
	s_delay_alu instid0(VALU_DEP_1) | instskip(NEXT) | instid1(VALU_DEP_1)
	v_mul_u64_e32 v[8:9], s[24:25], v[2:3]
	v_add_nc_u32_e32 v1, v2, v9
	s_delay_alu instid0(VALU_DEP_1) | instskip(NEXT) | instid1(VALU_DEP_1)
	v_lshrrev_b32_e32 v1, s19, v1
	v_mul_lo_u32 v1, v1, s11
	s_delay_alu instid0(VALU_DEP_1) | instskip(NEXT) | instid1(VALU_DEP_1)
	v_sub_nc_u32_e32 v1, v2, v1
	v_mad_u32 v4, v1, s15, v4
	v_mad_u32 v6, v1, s20, v6
	;; [unrolled: 1-line block ×3, first 2 shown]
.LBB72_44:
	global_load_b32 v1, v5, s[4:5]
	global_load_u16 v3, v6, s[2:3]
	s_mov_b32 s18, exec_lo
	s_wait_loadcnt 0x0
	v_dual_mul_f32 v2, s6, v1 :: v_dual_lshlrev_b32 v1, 16, v3
	s_wait_xcnt 0x0
	s_delay_alu instid0(VALU_DEP_1)
	v_cmpx_nlt_f32_e32 s7, v2
	s_cbranch_execz .LBB72_46
; %bb.45:
	v_mul_f32_e32 v3, 0x3fb8aa3b, v2
	v_cmp_ngt_f32_e32 vcc_lo, 0xc2ce8ed0, v2
	s_delay_alu instid0(VALU_DEP_2) | instskip(SKIP_1) | instid1(VALU_DEP_1)
	v_rndne_f32_e32 v5, v3
	v_fma_f32 v6, 0x3fb8aa3b, v2, -v3
	v_dual_sub_f32 v3, v3, v5 :: v_dual_fmamk_f32 v6, v2, 0x32a5705f, v6
	v_cvt_i32_f32_e32 v5, v5
	s_delay_alu instid0(VALU_DEP_2) | instskip(NEXT) | instid1(VALU_DEP_1)
	v_add_f32_e32 v3, v3, v6
	v_exp_f32_e32 v3, v3
	v_nop
	s_delay_alu instid0(TRANS32_DEP_1) | instskip(NEXT) | instid1(VALU_DEP_1)
	v_ldexp_f32 v3, v3, v5
	v_cndmask_b32_e32 v3, 0, v3, vcc_lo
	v_cmp_nlt_f32_e32 vcc_lo, 0x42b17218, v2
	s_delay_alu instid0(VALU_DEP_2) | instskip(NEXT) | instid1(VALU_DEP_1)
	v_cndmask_b32_e32 v2, 0x7f800000, v3, vcc_lo
	v_dual_mul_f32 v1, v2, v1 :: v_dual_add_f32 v2, 1.0, v2
	s_delay_alu instid0(VALU_DEP_1) | instskip(NEXT) | instid1(VALU_DEP_1)
	v_div_scale_f32 v3, null, v2, v2, v1
	v_rcp_f32_e32 v5, v3
	v_nop
	s_delay_alu instid0(TRANS32_DEP_1) | instskip(NEXT) | instid1(VALU_DEP_1)
	v_fma_f32 v6, -v3, v5, 1.0
	v_fmac_f32_e32 v5, v6, v5
	v_div_scale_f32 v6, vcc_lo, v1, v2, v1
	s_delay_alu instid0(VALU_DEP_1) | instskip(NEXT) | instid1(VALU_DEP_1)
	v_mul_f32_e32 v7, v6, v5
	v_fma_f32 v8, -v3, v7, v6
	s_delay_alu instid0(VALU_DEP_1) | instskip(NEXT) | instid1(VALU_DEP_1)
	v_fmac_f32_e32 v7, v8, v5
	v_fma_f32 v3, -v3, v7, v6
	s_delay_alu instid0(VALU_DEP_1) | instskip(NEXT) | instid1(VALU_DEP_1)
	v_div_fmas_f32 v3, v3, v5, v7
	v_div_fixup_f32 v1, v3, v2, v1
.LBB72_46:
	s_or_b32 exec_lo, exec_lo, s18
	v_add_nc_u32_e32 v0, 0x80, v0
	global_store_b32 v4, v1, s[0:1]
	s_wait_xcnt 0x0
	s_or_b32 exec_lo, exec_lo, s9
	s_delay_alu instid0(SALU_CYCLE_1)
	s_mov_b32 s9, exec_lo
	v_cmpx_gt_i32_e64 s35, v0
	s_cbranch_execz .LBB72_61
.LBB72_47:
	s_and_not1_b32 vcc_lo, exec_lo, s30
	s_cbranch_vccnz .LBB72_53
; %bb.48:
	s_and_not1_b32 vcc_lo, exec_lo, s36
	s_cbranch_vccnz .LBB72_54
; %bb.49:
	v_dual_mov_b32 v4, 0 :: v_dual_mov_b32 v1, v0
	v_dual_mov_b32 v6, 0 :: v_dual_mov_b32 v5, 0
	s_add_co_i32 s18, s34, 1
	s_mov_b64 s[26:27], 0xffffffffffffffe8
	s_and_b32 s18, s18, 30
	s_add_nc_u64 s[26:27], s[16:17], s[26:27]
.LBB72_50:                              ; =>This Inner Loop Header: Depth=1
	s_clause 0x1
	s_load_b128 s[36:39], s[26:27], 0x1c
	s_load_b64 s[44:45], s[26:27], 0x2c
	s_add_co_i32 s18, s18, -2
	s_delay_alu instid0(SALU_CYCLE_1) | instskip(SKIP_2) | instid1(VALU_DEP_1)
	s_cmp_eq_u32 s18, 0
	s_wait_kmcnt 0x0
	v_mul_hi_u32 v2, s37, v1
	v_add_nc_u32_e32 v2, v1, v2
	s_delay_alu instid0(VALU_DEP_1) | instskip(NEXT) | instid1(VALU_DEP_1)
	v_lshrrev_b32_e32 v2, s38, v2
	v_mul_hi_u32 v3, s44, v2
	v_mul_lo_u32 v7, v2, s36
	s_clause 0x1
	s_load_b128 s[40:43], s[26:27], 0xdc
	s_load_b64 s[36:37], s[26:27], 0xec
	s_wait_xcnt 0x0
	s_add_nc_u64 s[26:27], s[26:27], 24
	s_delay_alu instid0(VALU_DEP_2) | instskip(NEXT) | instid1(VALU_DEP_2)
	v_add_nc_u32_e32 v3, v2, v3
	v_sub_nc_u32_e32 v7, v1, v7
	s_delay_alu instid0(VALU_DEP_2) | instskip(SKIP_1) | instid1(VALU_DEP_2)
	v_lshrrev_b32_e32 v1, s45, v3
	s_wait_kmcnt 0x0
	v_mad_u32 v4, v7, s40, v4
	s_delay_alu instid0(VALU_DEP_2) | instskip(SKIP_2) | instid1(VALU_DEP_3)
	v_mul_lo_u32 v3, v1, s39
	v_mad_u32 v5, v7, s42, v5
	v_mad_u32 v6, v7, s41, v6
	v_sub_nc_u32_e32 v2, v2, v3
	s_delay_alu instid0(VALU_DEP_1) | instskip(NEXT) | instid1(VALU_DEP_4)
	v_mad_u32 v4, v2, s43, v4
	v_mad_u32 v5, v2, s37, v5
	s_delay_alu instid0(VALU_DEP_4)
	v_mad_u32 v6, v2, s36, v6
	s_cbranch_scc0 .LBB72_50
; %bb.51:
	s_bitcmp1_b32 s34, 0
	s_cselect_b32 s18, -1, 0
	s_delay_alu instid0(SALU_CYCLE_1)
	s_and_b32 vcc_lo, exec_lo, s18
	s_cbranch_vccnz .LBB72_55
; %bb.52:
	s_clause 0x1
	s_load_b96 s[36:38], s[26:27], 0x1c
	s_load_b96 s[40:42], s[26:27], 0xdc
	s_wait_kmcnt 0x0
	v_mul_hi_u32 v2, s37, v1
	s_delay_alu instid0(VALU_DEP_1) | instskip(NEXT) | instid1(VALU_DEP_1)
	v_add_nc_u32_e32 v2, v1, v2
	v_lshrrev_b32_e32 v2, s38, v2
	s_delay_alu instid0(VALU_DEP_1) | instskip(NEXT) | instid1(VALU_DEP_1)
	v_mul_lo_u32 v2, v2, s36
	v_sub_nc_u32_e32 v1, v1, v2
	s_delay_alu instid0(VALU_DEP_1)
	v_mad_u32 v4, v1, s40, v4
	v_mad_u32 v6, v1, s41, v6
	;; [unrolled: 1-line block ×3, first 2 shown]
	s_branch .LBB72_55
.LBB72_53:
                                        ; implicit-def: $vgpr5
                                        ; implicit-def: $vgpr6
                                        ; implicit-def: $vgpr4
	s_branch .LBB72_56
.LBB72_54:
	v_dual_mov_b32 v5, 0 :: v_dual_mov_b32 v6, 0
	v_mov_b32_e32 v4, 0
.LBB72_55:
	s_cbranch_execnz .LBB72_58
.LBB72_56:
	v_mov_b32_e32 v1, 0
	s_and_not1_b32 vcc_lo, exec_lo, s33
	s_delay_alu instid0(VALU_DEP_1) | instskip(NEXT) | instid1(VALU_DEP_1)
	v_mul_u64_e32 v[2:3], s[22:23], v[0:1]
	v_add_nc_u32_e32 v2, v0, v3
	s_delay_alu instid0(VALU_DEP_1) | instskip(NEXT) | instid1(VALU_DEP_1)
	v_lshrrev_b32_e32 v2, s10, v2
	v_mul_lo_u32 v3, v2, s8
	s_delay_alu instid0(VALU_DEP_1) | instskip(NEXT) | instid1(VALU_DEP_1)
	v_sub_nc_u32_e32 v0, v0, v3
	v_mul_lo_u32 v4, v0, s12
	v_mul_lo_u32 v5, v0, s14
	;; [unrolled: 1-line block ×3, first 2 shown]
	s_cbranch_vccnz .LBB72_58
; %bb.57:
	v_mov_b32_e32 v3, v1
	s_delay_alu instid0(VALU_DEP_1) | instskip(NEXT) | instid1(VALU_DEP_1)
	v_mul_u64_e32 v[0:1], s[24:25], v[2:3]
	v_add_nc_u32_e32 v0, v2, v1
	s_delay_alu instid0(VALU_DEP_1) | instskip(NEXT) | instid1(VALU_DEP_1)
	v_lshrrev_b32_e32 v0, s19, v0
	v_mul_lo_u32 v0, v0, s11
	s_delay_alu instid0(VALU_DEP_1) | instskip(NEXT) | instid1(VALU_DEP_1)
	v_sub_nc_u32_e32 v0, v2, v0
	v_mad_u32 v4, v0, s15, v4
	v_mad_u32 v6, v0, s20, v6
	;; [unrolled: 1-line block ×3, first 2 shown]
.LBB72_58:
	global_load_b32 v0, v5, s[4:5]
	global_load_u16 v2, v6, s[2:3]
	s_wait_xcnt 0x0
	s_mov_b32 s2, exec_lo
	s_wait_loadcnt 0x0
	v_dual_mul_f32 v1, s6, v0 :: v_dual_lshlrev_b32 v0, 16, v2
	s_delay_alu instid0(VALU_DEP_1)
	v_cmpx_nlt_f32_e32 s7, v1
	s_cbranch_execz .LBB72_60
; %bb.59:
	v_mul_f32_e32 v2, 0x3fb8aa3b, v1
	v_cmp_ngt_f32_e32 vcc_lo, 0xc2ce8ed0, v1
	s_delay_alu instid0(VALU_DEP_2) | instskip(SKIP_1) | instid1(VALU_DEP_1)
	v_rndne_f32_e32 v3, v2
	v_fma_f32 v5, 0x3fb8aa3b, v1, -v2
	v_dual_sub_f32 v2, v2, v3 :: v_dual_fmamk_f32 v5, v1, 0x32a5705f, v5
	v_cvt_i32_f32_e32 v3, v3
	s_delay_alu instid0(VALU_DEP_2) | instskip(NEXT) | instid1(VALU_DEP_1)
	v_add_f32_e32 v2, v2, v5
	v_exp_f32_e32 v2, v2
	v_nop
	s_delay_alu instid0(TRANS32_DEP_1) | instskip(NEXT) | instid1(VALU_DEP_1)
	v_ldexp_f32 v2, v2, v3
	v_cndmask_b32_e32 v2, 0, v2, vcc_lo
	v_cmp_nlt_f32_e32 vcc_lo, 0x42b17218, v1
	s_delay_alu instid0(VALU_DEP_2) | instskip(NEXT) | instid1(VALU_DEP_1)
	v_cndmask_b32_e32 v1, 0x7f800000, v2, vcc_lo
	v_dual_mul_f32 v0, v1, v0 :: v_dual_add_f32 v1, 1.0, v1
	s_delay_alu instid0(VALU_DEP_1) | instskip(NEXT) | instid1(VALU_DEP_1)
	v_div_scale_f32 v2, null, v1, v1, v0
	v_rcp_f32_e32 v3, v2
	v_nop
	s_delay_alu instid0(TRANS32_DEP_1) | instskip(NEXT) | instid1(VALU_DEP_1)
	v_fma_f32 v5, -v2, v3, 1.0
	v_fmac_f32_e32 v3, v5, v3
	v_div_scale_f32 v5, vcc_lo, v0, v1, v0
	s_delay_alu instid0(VALU_DEP_1) | instskip(NEXT) | instid1(VALU_DEP_1)
	v_mul_f32_e32 v6, v5, v3
	v_fma_f32 v7, -v2, v6, v5
	s_delay_alu instid0(VALU_DEP_1) | instskip(NEXT) | instid1(VALU_DEP_1)
	v_fmac_f32_e32 v6, v7, v3
	v_fma_f32 v2, -v2, v6, v5
	s_delay_alu instid0(VALU_DEP_1) | instskip(NEXT) | instid1(VALU_DEP_1)
	v_div_fmas_f32 v2, v2, v3, v6
	v_div_fixup_f32 v0, v2, v1, v0
.LBB72_60:
	s_or_b32 exec_lo, exec_lo, s2
	global_store_b32 v4, v0, s[0:1]
.LBB72_61:
	s_wait_xcnt 0x0
	s_or_b32 exec_lo, exec_lo, s9
                                        ; implicit-def: $vgpr2
                                        ; implicit-def: $vgpr0
.LBB72_62:
	s_and_not1_saveexec_b32 s0, s31
	s_cbranch_execz .LBB72_69
; %bb.63:
	v_cndmask_b32_e64 v8, 0, 1, s30
	s_and_not1_b32 vcc_lo, exec_lo, s30
	s_cbranch_vccnz .LBB72_70
; %bb.64:
	s_cmp_lg_u32 s28, 0
	s_mov_b32 s2, 0
	s_cbranch_scc0 .LBB72_74
; %bb.65:
	s_min_u32 s3, s29, 15
	v_dual_mov_b32 v1, 0 :: v_dual_mov_b32 v4, v0
	v_dual_mov_b32 v5, 0 :: v_dual_mov_b32 v3, 0
	s_add_co_i32 s4, s3, 1
	s_mov_b64 s[0:1], 0xffffffffffffffe8
	s_and_b32 s4, s4, 30
	s_add_nc_u64 s[0:1], s[16:17], s[0:1]
.LBB72_66:                              ; =>This Inner Loop Header: Depth=1
	s_clause 0x1
	s_load_b128 s[8:11], s[0:1], 0x1c
	s_load_b64 s[6:7], s[0:1], 0x2c
	s_add_co_i32 s4, s4, -2
	s_delay_alu instid0(SALU_CYCLE_1) | instskip(SKIP_2) | instid1(VALU_DEP_1)
	s_cmp_lg_u32 s4, 0
	s_wait_kmcnt 0x0
	v_mul_hi_u32 v6, s9, v4
	v_add_nc_u32_e32 v6, v4, v6
	s_delay_alu instid0(VALU_DEP_1) | instskip(NEXT) | instid1(VALU_DEP_1)
	v_lshrrev_b32_e32 v6, s10, v6
	v_mul_hi_u32 v7, s6, v6
	v_mul_lo_u32 v9, v6, s8
	s_clause 0x1
	s_load_b128 s[12:15], s[0:1], 0xdc
	s_load_b64 s[8:9], s[0:1], 0xec
	s_wait_xcnt 0x0
	s_add_nc_u64 s[0:1], s[0:1], 24
	s_delay_alu instid0(VALU_DEP_1) | instskip(NEXT) | instid1(VALU_DEP_1)
	v_dual_add_nc_u32 v7, v6, v7 :: v_dual_sub_nc_u32 v9, v4, v9
	v_lshrrev_b32_e32 v4, s7, v7
	s_wait_kmcnt 0x0
	s_delay_alu instid0(VALU_DEP_2) | instskip(NEXT) | instid1(VALU_DEP_2)
	v_mad_u32 v1, v9, s12, v1
	v_mul_lo_u32 v7, v4, s11
	v_mad_u32 v3, v9, s14, v3
	v_mad_u32 v5, v9, s13, v5
	s_delay_alu instid0(VALU_DEP_3) | instskip(NEXT) | instid1(VALU_DEP_1)
	v_sub_nc_u32_e32 v6, v6, v7
	v_mad_u32 v1, v6, s15, v1
	s_delay_alu instid0(VALU_DEP_4) | instskip(NEXT) | instid1(VALU_DEP_4)
	v_mad_u32 v3, v6, s9, v3
	v_mad_u32 v5, v6, s8, v5
	s_cbranch_scc1 .LBB72_66
; %bb.67:
	s_bitcmp1_b32 s3, 0
	s_cselect_b32 s3, -1, 0
	s_delay_alu instid0(SALU_CYCLE_1)
	s_and_b32 vcc_lo, exec_lo, s3
	s_cbranch_vccnz .LBB72_71
; %bb.68:
	s_clause 0x1
	s_load_b96 s[4:6], s[0:1], 0x1c
	s_load_b96 s[8:10], s[0:1], 0xdc
	s_wait_kmcnt 0x0
	v_mul_hi_u32 v6, s5, v4
	s_delay_alu instid0(VALU_DEP_1) | instskip(NEXT) | instid1(VALU_DEP_1)
	v_add_nc_u32_e32 v6, v4, v6
	v_lshrrev_b32_e32 v6, s6, v6
	s_delay_alu instid0(VALU_DEP_1) | instskip(NEXT) | instid1(VALU_DEP_1)
	v_mul_lo_u32 v6, v6, s4
	v_sub_nc_u32_e32 v4, v4, v6
	s_delay_alu instid0(VALU_DEP_1)
	v_mad_u32 v1, v4, s8, v1
	v_mad_u32 v5, v4, s9, v5
	;; [unrolled: 1-line block ×3, first 2 shown]
	s_and_not1_b32 vcc_lo, exec_lo, s2
	s_cbranch_vccz .LBB72_72
	s_branch .LBB72_75
.LBB72_69:
	s_endpgm
.LBB72_70:
	s_mov_b32 s2, -1
                                        ; implicit-def: $vgpr3
                                        ; implicit-def: $vgpr5
                                        ; implicit-def: $vgpr1
.LBB72_71:
	s_delay_alu instid0(SALU_CYCLE_1)
	s_and_not1_b32 vcc_lo, exec_lo, s2
	s_cbranch_vccnz .LBB72_75
.LBB72_72:
	s_clause 0x1
	s_load_b96 s[0:2], s[16:17], 0x4
	s_load_b96 s[4:6], s[16:17], 0xc4
	s_cmp_lt_u32 s28, 2
	s_wait_kmcnt 0x0
	v_mul_hi_u32 v1, s1, v0
	s_delay_alu instid0(VALU_DEP_1) | instskip(NEXT) | instid1(VALU_DEP_1)
	v_add_nc_u32_e32 v1, v0, v1
	v_lshrrev_b32_e32 v4, s2, v1
	s_delay_alu instid0(VALU_DEP_1) | instskip(NEXT) | instid1(VALU_DEP_1)
	v_mul_lo_u32 v1, v4, s0
	v_sub_nc_u32_e32 v5, v0, v1
	s_delay_alu instid0(VALU_DEP_1)
	v_mul_lo_u32 v1, v5, s4
	v_mul_lo_u32 v3, v5, s6
	;; [unrolled: 1-line block ×3, first 2 shown]
	s_cbranch_scc1 .LBB72_75
; %bb.73:
	s_clause 0x1
	s_load_b96 s[0:2], s[16:17], 0x10
	s_load_b96 s[4:6], s[16:17], 0xd0
	s_wait_kmcnt 0x0
	v_mul_hi_u32 v6, s1, v4
	s_delay_alu instid0(VALU_DEP_1) | instskip(NEXT) | instid1(VALU_DEP_1)
	v_add_nc_u32_e32 v6, v4, v6
	v_lshrrev_b32_e32 v6, s2, v6
	s_delay_alu instid0(VALU_DEP_1) | instskip(NEXT) | instid1(VALU_DEP_1)
	v_mul_lo_u32 v6, v6, s0
	v_sub_nc_u32_e32 v4, v4, v6
	s_delay_alu instid0(VALU_DEP_1)
	v_mad_u32 v1, v4, s4, v1
	v_mad_u32 v5, v4, s5, v5
	;; [unrolled: 1-line block ×3, first 2 shown]
	s_branch .LBB72_75
.LBB72_74:
	v_dual_mov_b32 v3, 0 :: v_dual_mov_b32 v5, 0
	v_mov_b32_e32 v1, 0
	s_and_not1_b32 vcc_lo, exec_lo, s2
	s_cbranch_vccz .LBB72_72
.LBB72_75:
	v_cmp_ne_u32_e32 vcc_lo, 1, v8
	v_add_nc_u32_e32 v9, 0x80, v0
	s_cbranch_vccnz .LBB72_81
; %bb.76:
	s_cmp_lg_u32 s28, 0
	s_mov_b32 s2, 0
	s_cbranch_scc0 .LBB72_85
; %bb.77:
	s_min_u32 s3, s29, 15
	v_dual_mov_b32 v4, 0 :: v_dual_mov_b32 v10, v9
	v_dual_mov_b32 v7, 0 :: v_dual_mov_b32 v6, 0
	s_add_co_i32 s4, s3, 1
	s_mov_b64 s[0:1], 0xffffffffffffffe8
	s_and_b32 s4, s4, 30
	s_add_nc_u64 s[0:1], s[16:17], s[0:1]
.LBB72_78:                              ; =>This Inner Loop Header: Depth=1
	s_clause 0x1
	s_load_b128 s[8:11], s[0:1], 0x1c
	s_load_b64 s[6:7], s[0:1], 0x2c
	s_add_co_i32 s4, s4, -2
	s_delay_alu instid0(SALU_CYCLE_1) | instskip(SKIP_2) | instid1(VALU_DEP_1)
	s_cmp_lg_u32 s4, 0
	s_wait_kmcnt 0x0
	v_mul_hi_u32 v11, s9, v10
	v_add_nc_u32_e32 v11, v10, v11
	s_delay_alu instid0(VALU_DEP_1) | instskip(NEXT) | instid1(VALU_DEP_1)
	v_lshrrev_b32_e32 v11, s10, v11
	v_mul_hi_u32 v12, s6, v11
	v_mul_lo_u32 v13, v11, s8
	s_clause 0x1
	s_load_b128 s[12:15], s[0:1], 0xdc
	s_load_b64 s[8:9], s[0:1], 0xec
	s_wait_xcnt 0x0
	s_add_nc_u64 s[0:1], s[0:1], 24
	s_delay_alu instid0(VALU_DEP_1) | instskip(NEXT) | instid1(VALU_DEP_1)
	v_dual_add_nc_u32 v12, v11, v12 :: v_dual_sub_nc_u32 v13, v10, v13
	v_lshrrev_b32_e32 v10, s7, v12
	s_wait_kmcnt 0x0
	s_delay_alu instid0(VALU_DEP_2) | instskip(NEXT) | instid1(VALU_DEP_2)
	v_mad_u32 v4, v13, s12, v4
	v_mul_lo_u32 v12, v10, s11
	v_mad_u32 v6, v13, s14, v6
	v_mad_u32 v7, v13, s13, v7
	s_delay_alu instid0(VALU_DEP_3) | instskip(NEXT) | instid1(VALU_DEP_1)
	v_sub_nc_u32_e32 v11, v11, v12
	v_mad_u32 v4, v11, s15, v4
	s_delay_alu instid0(VALU_DEP_4) | instskip(NEXT) | instid1(VALU_DEP_4)
	v_mad_u32 v6, v11, s9, v6
	v_mad_u32 v7, v11, s8, v7
	s_cbranch_scc1 .LBB72_78
; %bb.79:
	s_bitcmp1_b32 s3, 0
	s_cselect_b32 s3, -1, 0
	s_delay_alu instid0(SALU_CYCLE_1)
	s_and_b32 vcc_lo, exec_lo, s3
	s_cbranch_vccnz .LBB72_82
; %bb.80:
	s_clause 0x1
	s_load_b96 s[4:6], s[0:1], 0x1c
	s_load_b96 s[8:10], s[0:1], 0xdc
	s_wait_kmcnt 0x0
	v_mul_hi_u32 v11, s5, v10
	s_delay_alu instid0(VALU_DEP_1) | instskip(NEXT) | instid1(VALU_DEP_1)
	v_add_nc_u32_e32 v11, v10, v11
	v_lshrrev_b32_e32 v11, s6, v11
	s_delay_alu instid0(VALU_DEP_1) | instskip(NEXT) | instid1(VALU_DEP_1)
	v_mul_lo_u32 v11, v11, s4
	v_sub_nc_u32_e32 v10, v10, v11
	s_delay_alu instid0(VALU_DEP_1)
	v_mad_u32 v4, v10, s8, v4
	v_mad_u32 v7, v10, s9, v7
	;; [unrolled: 1-line block ×3, first 2 shown]
	s_and_not1_b32 vcc_lo, exec_lo, s2
	s_cbranch_vccz .LBB72_83
	s_branch .LBB72_86
.LBB72_81:
	s_mov_b32 s2, -1
                                        ; implicit-def: $vgpr6
                                        ; implicit-def: $vgpr7
                                        ; implicit-def: $vgpr4
.LBB72_82:
	s_delay_alu instid0(SALU_CYCLE_1)
	s_and_not1_b32 vcc_lo, exec_lo, s2
	s_cbranch_vccnz .LBB72_86
.LBB72_83:
	s_clause 0x1
	s_load_b96 s[0:2], s[16:17], 0x4
	s_load_b96 s[4:6], s[16:17], 0xc4
	s_cmp_lt_u32 s28, 2
	s_wait_kmcnt 0x0
	v_mul_hi_u32 v4, s1, v9
	s_delay_alu instid0(VALU_DEP_1) | instskip(NEXT) | instid1(VALU_DEP_1)
	v_add_nc_u32_e32 v4, v9, v4
	v_lshrrev_b32_e32 v10, s2, v4
	s_delay_alu instid0(VALU_DEP_1) | instskip(NEXT) | instid1(VALU_DEP_1)
	v_mul_lo_u32 v4, v10, s0
	v_sub_nc_u32_e32 v7, v9, v4
	s_delay_alu instid0(VALU_DEP_1)
	v_mul_lo_u32 v4, v7, s4
	v_mul_lo_u32 v6, v7, s6
	;; [unrolled: 1-line block ×3, first 2 shown]
	s_cbranch_scc1 .LBB72_86
; %bb.84:
	s_clause 0x1
	s_load_b96 s[0:2], s[16:17], 0x10
	s_load_b96 s[4:6], s[16:17], 0xd0
	s_wait_kmcnt 0x0
	v_mul_hi_u32 v9, s1, v10
	s_delay_alu instid0(VALU_DEP_1) | instskip(NEXT) | instid1(VALU_DEP_1)
	v_add_nc_u32_e32 v9, v10, v9
	v_lshrrev_b32_e32 v9, s2, v9
	s_delay_alu instid0(VALU_DEP_1) | instskip(NEXT) | instid1(VALU_DEP_1)
	v_mul_lo_u32 v9, v9, s0
	v_sub_nc_u32_e32 v9, v10, v9
	s_delay_alu instid0(VALU_DEP_1)
	v_mad_u32 v4, v9, s4, v4
	v_mad_u32 v7, v9, s5, v7
	;; [unrolled: 1-line block ×3, first 2 shown]
	s_branch .LBB72_86
.LBB72_85:
	v_dual_mov_b32 v6, 0 :: v_dual_mov_b32 v7, 0
	v_mov_b32_e32 v4, 0
	s_and_not1_b32 vcc_lo, exec_lo, s2
	s_cbranch_vccz .LBB72_83
.LBB72_86:
	v_cmp_ne_u32_e32 vcc_lo, 1, v8
	v_add_nc_u32_e32 v11, 0x100, v0
	s_cbranch_vccnz .LBB72_92
; %bb.87:
	s_cmp_lg_u32 s28, 0
	s_mov_b32 s2, 0
	s_cbranch_scc0 .LBB72_96
; %bb.88:
	s_min_u32 s3, s29, 15
	v_dual_mov_b32 v0, 0 :: v_dual_mov_b32 v12, v11
	v_dual_mov_b32 v10, 0 :: v_dual_mov_b32 v9, 0
	s_add_co_i32 s4, s3, 1
	s_mov_b64 s[0:1], 0xffffffffffffffe8
	s_and_b32 s4, s4, 30
	s_add_nc_u64 s[0:1], s[16:17], s[0:1]
.LBB72_89:                              ; =>This Inner Loop Header: Depth=1
	s_clause 0x1
	s_load_b128 s[8:11], s[0:1], 0x1c
	s_load_b64 s[6:7], s[0:1], 0x2c
	s_add_co_i32 s4, s4, -2
	s_delay_alu instid0(SALU_CYCLE_1) | instskip(SKIP_2) | instid1(VALU_DEP_1)
	s_cmp_lg_u32 s4, 0
	s_wait_kmcnt 0x0
	v_mul_hi_u32 v13, s9, v12
	v_add_nc_u32_e32 v13, v12, v13
	s_delay_alu instid0(VALU_DEP_1) | instskip(NEXT) | instid1(VALU_DEP_1)
	v_lshrrev_b32_e32 v13, s10, v13
	v_mul_hi_u32 v14, s6, v13
	v_mul_lo_u32 v15, v13, s8
	s_clause 0x1
	s_load_b128 s[12:15], s[0:1], 0xdc
	s_load_b64 s[8:9], s[0:1], 0xec
	s_wait_xcnt 0x0
	s_add_nc_u64 s[0:1], s[0:1], 24
	s_delay_alu instid0(VALU_DEP_1) | instskip(NEXT) | instid1(VALU_DEP_1)
	v_dual_add_nc_u32 v14, v13, v14 :: v_dual_sub_nc_u32 v15, v12, v15
	v_lshrrev_b32_e32 v12, s7, v14
	s_wait_kmcnt 0x0
	s_delay_alu instid0(VALU_DEP_2) | instskip(NEXT) | instid1(VALU_DEP_2)
	v_mad_u32 v0, v15, s12, v0
	v_mul_lo_u32 v14, v12, s11
	v_mad_u32 v9, v15, s14, v9
	v_mad_u32 v10, v15, s13, v10
	s_delay_alu instid0(VALU_DEP_3) | instskip(NEXT) | instid1(VALU_DEP_1)
	v_sub_nc_u32_e32 v13, v13, v14
	v_mad_u32 v0, v13, s15, v0
	s_delay_alu instid0(VALU_DEP_4) | instskip(NEXT) | instid1(VALU_DEP_4)
	v_mad_u32 v9, v13, s9, v9
	v_mad_u32 v10, v13, s8, v10
	s_cbranch_scc1 .LBB72_89
; %bb.90:
	s_bitcmp1_b32 s3, 0
	s_cselect_b32 s3, -1, 0
	s_delay_alu instid0(SALU_CYCLE_1)
	s_and_b32 vcc_lo, exec_lo, s3
	s_cbranch_vccnz .LBB72_93
; %bb.91:
	s_clause 0x1
	s_load_b96 s[4:6], s[0:1], 0x1c
	s_load_b96 s[8:10], s[0:1], 0xdc
	s_wait_kmcnt 0x0
	v_mul_hi_u32 v13, s5, v12
	s_delay_alu instid0(VALU_DEP_1) | instskip(NEXT) | instid1(VALU_DEP_1)
	v_add_nc_u32_e32 v13, v12, v13
	v_lshrrev_b32_e32 v13, s6, v13
	s_delay_alu instid0(VALU_DEP_1) | instskip(NEXT) | instid1(VALU_DEP_1)
	v_mul_lo_u32 v13, v13, s4
	v_sub_nc_u32_e32 v12, v12, v13
	s_delay_alu instid0(VALU_DEP_1)
	v_mad_u32 v0, v12, s8, v0
	v_mad_u32 v10, v12, s9, v10
	;; [unrolled: 1-line block ×3, first 2 shown]
	s_and_not1_b32 vcc_lo, exec_lo, s2
	s_cbranch_vccz .LBB72_94
	s_branch .LBB72_97
.LBB72_92:
	s_mov_b32 s2, -1
                                        ; implicit-def: $vgpr9
                                        ; implicit-def: $vgpr10
                                        ; implicit-def: $vgpr0
.LBB72_93:
	s_delay_alu instid0(SALU_CYCLE_1)
	s_and_not1_b32 vcc_lo, exec_lo, s2
	s_cbranch_vccnz .LBB72_97
.LBB72_94:
	s_clause 0x1
	s_load_b96 s[0:2], s[16:17], 0x4
	s_load_b96 s[4:6], s[16:17], 0xc4
	s_cmp_lt_u32 s28, 2
	s_wait_kmcnt 0x0
	v_mul_hi_u32 v0, s1, v11
	s_delay_alu instid0(VALU_DEP_1) | instskip(NEXT) | instid1(VALU_DEP_1)
	v_add_nc_u32_e32 v0, v11, v0
	v_lshrrev_b32_e32 v12, s2, v0
	s_delay_alu instid0(VALU_DEP_1) | instskip(NEXT) | instid1(VALU_DEP_1)
	v_mul_lo_u32 v0, v12, s0
	v_sub_nc_u32_e32 v10, v11, v0
	s_delay_alu instid0(VALU_DEP_1)
	v_mul_lo_u32 v0, v10, s4
	v_mul_lo_u32 v9, v10, s6
	;; [unrolled: 1-line block ×3, first 2 shown]
	s_cbranch_scc1 .LBB72_97
; %bb.95:
	s_clause 0x1
	s_load_b96 s[0:2], s[16:17], 0x10
	s_load_b96 s[4:6], s[16:17], 0xd0
	s_wait_kmcnt 0x0
	v_mul_hi_u32 v11, s1, v12
	s_delay_alu instid0(VALU_DEP_1) | instskip(NEXT) | instid1(VALU_DEP_1)
	v_add_nc_u32_e32 v11, v12, v11
	v_lshrrev_b32_e32 v11, s2, v11
	s_delay_alu instid0(VALU_DEP_1) | instskip(NEXT) | instid1(VALU_DEP_1)
	v_mul_lo_u32 v11, v11, s0
	v_sub_nc_u32_e32 v11, v12, v11
	s_delay_alu instid0(VALU_DEP_1)
	v_mad_u32 v0, v11, s4, v0
	v_mad_u32 v10, v11, s5, v10
	;; [unrolled: 1-line block ×3, first 2 shown]
	s_branch .LBB72_97
.LBB72_96:
	v_dual_mov_b32 v9, 0 :: v_dual_mov_b32 v10, 0
	v_mov_b32_e32 v0, 0
	s_and_not1_b32 vcc_lo, exec_lo, s2
	s_cbranch_vccz .LBB72_94
.LBB72_97:
	v_cmp_ne_u32_e32 vcc_lo, 1, v8
	s_cbranch_vccnz .LBB72_103
; %bb.98:
	s_cmp_lg_u32 s28, 0
	s_mov_b32 s2, 0
	s_cbranch_scc0 .LBB72_107
; %bb.99:
	s_min_u32 s3, s29, 15
	v_dual_mov_b32 v8, 0 :: v_dual_mov_b32 v13, v2
	v_dual_mov_b32 v12, 0 :: v_dual_mov_b32 v11, 0
	s_add_co_i32 s4, s3, 1
	s_mov_b64 s[0:1], 0xffffffffffffffe8
	s_and_b32 s4, s4, 30
	s_add_nc_u64 s[0:1], s[16:17], s[0:1]
.LBB72_100:                             ; =>This Inner Loop Header: Depth=1
	s_clause 0x1
	s_load_b128 s[8:11], s[0:1], 0x1c
	s_load_b64 s[6:7], s[0:1], 0x2c
	s_add_co_i32 s4, s4, -2
	s_delay_alu instid0(SALU_CYCLE_1) | instskip(SKIP_2) | instid1(VALU_DEP_1)
	s_cmp_lg_u32 s4, 0
	s_wait_kmcnt 0x0
	v_mul_hi_u32 v14, s9, v13
	v_add_nc_u32_e32 v14, v13, v14
	s_delay_alu instid0(VALU_DEP_1) | instskip(NEXT) | instid1(VALU_DEP_1)
	v_lshrrev_b32_e32 v14, s10, v14
	v_mul_hi_u32 v15, s6, v14
	v_mul_lo_u32 v16, v14, s8
	s_clause 0x1
	s_load_b128 s[12:15], s[0:1], 0xdc
	s_load_b64 s[8:9], s[0:1], 0xec
	s_wait_xcnt 0x0
	s_add_nc_u64 s[0:1], s[0:1], 24
	s_delay_alu instid0(VALU_DEP_1) | instskip(NEXT) | instid1(VALU_DEP_1)
	v_dual_add_nc_u32 v15, v14, v15 :: v_dual_sub_nc_u32 v16, v13, v16
	v_lshrrev_b32_e32 v13, s7, v15
	s_wait_kmcnt 0x0
	s_delay_alu instid0(VALU_DEP_2) | instskip(NEXT) | instid1(VALU_DEP_2)
	v_mad_u32 v8, v16, s12, v8
	v_mul_lo_u32 v15, v13, s11
	v_mad_u32 v11, v16, s14, v11
	v_mad_u32 v12, v16, s13, v12
	s_delay_alu instid0(VALU_DEP_3) | instskip(NEXT) | instid1(VALU_DEP_1)
	v_sub_nc_u32_e32 v14, v14, v15
	v_mad_u32 v8, v14, s15, v8
	s_delay_alu instid0(VALU_DEP_4) | instskip(NEXT) | instid1(VALU_DEP_4)
	v_mad_u32 v11, v14, s9, v11
	v_mad_u32 v12, v14, s8, v12
	s_cbranch_scc1 .LBB72_100
; %bb.101:
	s_bitcmp1_b32 s3, 0
	s_cselect_b32 s3, -1, 0
	s_delay_alu instid0(SALU_CYCLE_1)
	s_and_b32 vcc_lo, exec_lo, s3
	s_cbranch_vccnz .LBB72_104
; %bb.102:
	s_clause 0x1
	s_load_b96 s[4:6], s[0:1], 0x1c
	s_load_b96 s[8:10], s[0:1], 0xdc
	s_wait_kmcnt 0x0
	v_mul_hi_u32 v14, s5, v13
	s_delay_alu instid0(VALU_DEP_1) | instskip(NEXT) | instid1(VALU_DEP_1)
	v_add_nc_u32_e32 v14, v13, v14
	v_lshrrev_b32_e32 v14, s6, v14
	s_delay_alu instid0(VALU_DEP_1) | instskip(NEXT) | instid1(VALU_DEP_1)
	v_mul_lo_u32 v14, v14, s4
	v_sub_nc_u32_e32 v13, v13, v14
	s_delay_alu instid0(VALU_DEP_1)
	v_mad_u32 v8, v13, s8, v8
	v_mad_u32 v12, v13, s9, v12
	;; [unrolled: 1-line block ×3, first 2 shown]
	s_and_not1_b32 vcc_lo, exec_lo, s2
	s_cbranch_vccz .LBB72_105
	s_branch .LBB72_108
.LBB72_103:
	s_mov_b32 s2, -1
                                        ; implicit-def: $vgpr11
                                        ; implicit-def: $vgpr12
                                        ; implicit-def: $vgpr8
.LBB72_104:
	s_delay_alu instid0(SALU_CYCLE_1)
	s_and_not1_b32 vcc_lo, exec_lo, s2
	s_cbranch_vccnz .LBB72_108
.LBB72_105:
	s_clause 0x1
	s_load_b96 s[0:2], s[16:17], 0x4
	s_load_b96 s[4:6], s[16:17], 0xc4
	s_cmp_lt_u32 s28, 2
	s_wait_kmcnt 0x0
	v_mul_hi_u32 v8, s1, v2
	s_delay_alu instid0(VALU_DEP_1) | instskip(NEXT) | instid1(VALU_DEP_1)
	v_add_nc_u32_e32 v8, v2, v8
	v_lshrrev_b32_e32 v13, s2, v8
	s_delay_alu instid0(VALU_DEP_1) | instskip(NEXT) | instid1(VALU_DEP_1)
	v_mul_lo_u32 v8, v13, s0
	v_sub_nc_u32_e32 v2, v2, v8
	s_delay_alu instid0(VALU_DEP_1)
	v_mul_lo_u32 v8, v2, s4
	v_mul_lo_u32 v11, v2, s6
	;; [unrolled: 1-line block ×3, first 2 shown]
	s_cbranch_scc1 .LBB72_108
; %bb.106:
	s_clause 0x1
	s_load_b96 s[0:2], s[16:17], 0x10
	s_load_b96 s[4:6], s[16:17], 0xd0
	s_wait_kmcnt 0x0
	v_mul_hi_u32 v2, s1, v13
	s_delay_alu instid0(VALU_DEP_1) | instskip(NEXT) | instid1(VALU_DEP_1)
	v_add_nc_u32_e32 v2, v13, v2
	v_lshrrev_b32_e32 v2, s2, v2
	s_delay_alu instid0(VALU_DEP_1) | instskip(NEXT) | instid1(VALU_DEP_1)
	v_mul_lo_u32 v2, v2, s0
	v_sub_nc_u32_e32 v2, v13, v2
	s_delay_alu instid0(VALU_DEP_1)
	v_mad_u32 v8, v2, s4, v8
	v_mad_u32 v12, v2, s5, v12
	;; [unrolled: 1-line block ×3, first 2 shown]
	s_branch .LBB72_108
.LBB72_107:
	v_dual_mov_b32 v11, 0 :: v_dual_mov_b32 v12, 0
	v_mov_b32_e32 v8, 0
	s_and_not1_b32 vcc_lo, exec_lo, s2
	s_cbranch_vccz .LBB72_105
.LBB72_108:
	s_load_b256 s[0:7], s[16:17], 0x188
	s_mov_b32 s8, exec_lo
	s_wait_kmcnt 0x0
	global_load_b32 v2, v3, s[4:5]
	global_load_u16 v13, v5, s[2:3]
	s_wait_loadcnt 0x0
	s_wait_xcnt 0x1
	v_dual_mul_f32 v3, s6, v2 :: v_dual_lshlrev_b32 v2, 16, v13
	s_wait_xcnt 0x0
	s_delay_alu instid0(VALU_DEP_1)
	v_cmpx_nlt_f32_e32 s7, v3
	s_cbranch_execz .LBB72_110
; %bb.109:
	v_mul_f32_e32 v5, 0x3fb8aa3b, v3
	v_cmp_ngt_f32_e32 vcc_lo, 0xc2ce8ed0, v3
	s_delay_alu instid0(VALU_DEP_2) | instskip(SKIP_1) | instid1(VALU_DEP_1)
	v_rndne_f32_e32 v13, v5
	v_fma_f32 v14, 0x3fb8aa3b, v3, -v5
	v_dual_sub_f32 v5, v5, v13 :: v_dual_fmamk_f32 v14, v3, 0x32a5705f, v14
	v_cvt_i32_f32_e32 v13, v13
	s_delay_alu instid0(VALU_DEP_2) | instskip(NEXT) | instid1(VALU_DEP_1)
	v_add_f32_e32 v5, v5, v14
	v_exp_f32_e32 v5, v5
	v_nop
	s_delay_alu instid0(TRANS32_DEP_1) | instskip(NEXT) | instid1(VALU_DEP_1)
	v_ldexp_f32 v5, v5, v13
	v_cndmask_b32_e32 v5, 0, v5, vcc_lo
	v_cmp_nlt_f32_e32 vcc_lo, 0x42b17218, v3
	s_delay_alu instid0(VALU_DEP_2) | instskip(NEXT) | instid1(VALU_DEP_1)
	v_cndmask_b32_e32 v3, 0x7f800000, v5, vcc_lo
	v_dual_mul_f32 v2, v3, v2 :: v_dual_add_f32 v3, 1.0, v3
	s_delay_alu instid0(VALU_DEP_1) | instskip(NEXT) | instid1(VALU_DEP_1)
	v_div_scale_f32 v5, null, v3, v3, v2
	v_rcp_f32_e32 v13, v5
	v_nop
	s_delay_alu instid0(TRANS32_DEP_1) | instskip(NEXT) | instid1(VALU_DEP_1)
	v_fma_f32 v14, -v5, v13, 1.0
	v_fmac_f32_e32 v13, v14, v13
	v_div_scale_f32 v14, vcc_lo, v2, v3, v2
	s_delay_alu instid0(VALU_DEP_1) | instskip(NEXT) | instid1(VALU_DEP_1)
	v_mul_f32_e32 v15, v14, v13
	v_fma_f32 v16, -v5, v15, v14
	s_delay_alu instid0(VALU_DEP_1) | instskip(NEXT) | instid1(VALU_DEP_1)
	v_fmac_f32_e32 v15, v16, v13
	v_fma_f32 v5, -v5, v15, v14
	s_delay_alu instid0(VALU_DEP_1) | instskip(NEXT) | instid1(VALU_DEP_1)
	v_div_fmas_f32 v5, v5, v13, v15
	v_div_fixup_f32 v2, v5, v3, v2
.LBB72_110:
	s_or_b32 exec_lo, exec_lo, s8
	global_load_b32 v3, v6, s[4:5]
	global_load_u16 v13, v7, s[2:3]
	s_mov_b32 s8, exec_lo
	s_wait_loadcnt 0x0
	v_dual_mul_f32 v5, s6, v3 :: v_dual_lshlrev_b32 v3, 16, v13
	s_wait_xcnt 0x0
	s_delay_alu instid0(VALU_DEP_1)
	v_cmpx_nlt_f32_e32 s7, v5
	s_cbranch_execz .LBB72_112
; %bb.111:
	v_mul_f32_e32 v6, 0x3fb8aa3b, v5
	v_cmp_ngt_f32_e32 vcc_lo, 0xc2ce8ed0, v5
	s_delay_alu instid0(VALU_DEP_2) | instskip(SKIP_1) | instid1(VALU_DEP_1)
	v_rndne_f32_e32 v7, v6
	v_fma_f32 v13, 0x3fb8aa3b, v5, -v6
	v_dual_sub_f32 v6, v6, v7 :: v_dual_fmamk_f32 v13, v5, 0x32a5705f, v13
	v_cvt_i32_f32_e32 v7, v7
	s_delay_alu instid0(VALU_DEP_2) | instskip(NEXT) | instid1(VALU_DEP_1)
	v_add_f32_e32 v6, v6, v13
	v_exp_f32_e32 v6, v6
	v_nop
	s_delay_alu instid0(TRANS32_DEP_1) | instskip(NEXT) | instid1(VALU_DEP_1)
	v_ldexp_f32 v6, v6, v7
	v_cndmask_b32_e32 v6, 0, v6, vcc_lo
	v_cmp_nlt_f32_e32 vcc_lo, 0x42b17218, v5
	s_delay_alu instid0(VALU_DEP_2) | instskip(NEXT) | instid1(VALU_DEP_1)
	v_cndmask_b32_e32 v5, 0x7f800000, v6, vcc_lo
	v_dual_mul_f32 v3, v5, v3 :: v_dual_add_f32 v5, 1.0, v5
	s_delay_alu instid0(VALU_DEP_1) | instskip(NEXT) | instid1(VALU_DEP_1)
	v_div_scale_f32 v6, null, v5, v5, v3
	v_rcp_f32_e32 v7, v6
	v_nop
	s_delay_alu instid0(TRANS32_DEP_1) | instskip(NEXT) | instid1(VALU_DEP_1)
	v_fma_f32 v13, -v6, v7, 1.0
	v_fmac_f32_e32 v7, v13, v7
	v_div_scale_f32 v13, vcc_lo, v3, v5, v3
	s_delay_alu instid0(VALU_DEP_1) | instskip(NEXT) | instid1(VALU_DEP_1)
	v_mul_f32_e32 v14, v13, v7
	v_fma_f32 v15, -v6, v14, v13
	s_delay_alu instid0(VALU_DEP_1) | instskip(NEXT) | instid1(VALU_DEP_1)
	v_fmac_f32_e32 v14, v15, v7
	v_fma_f32 v6, -v6, v14, v13
	s_delay_alu instid0(VALU_DEP_1) | instskip(NEXT) | instid1(VALU_DEP_1)
	v_div_fmas_f32 v6, v6, v7, v14
	v_div_fixup_f32 v3, v6, v5, v3
.LBB72_112:
	s_or_b32 exec_lo, exec_lo, s8
	global_load_b32 v5, v9, s[4:5]
	global_load_u16 v7, v10, s[2:3]
	s_mov_b32 s8, exec_lo
	s_wait_loadcnt 0x0
	v_dual_mul_f32 v6, s6, v5 :: v_dual_lshlrev_b32 v5, 16, v7
	s_wait_xcnt 0x0
	s_delay_alu instid0(VALU_DEP_1)
	v_cmpx_nlt_f32_e32 s7, v6
	s_cbranch_execz .LBB72_114
; %bb.113:
	v_mul_f32_e32 v7, 0x3fb8aa3b, v6
	v_cmp_ngt_f32_e32 vcc_lo, 0xc2ce8ed0, v6
	s_delay_alu instid0(VALU_DEP_2) | instskip(SKIP_1) | instid1(VALU_DEP_1)
	v_rndne_f32_e32 v9, v7
	v_fma_f32 v10, 0x3fb8aa3b, v6, -v7
	v_dual_sub_f32 v7, v7, v9 :: v_dual_fmamk_f32 v10, v6, 0x32a5705f, v10
	v_cvt_i32_f32_e32 v9, v9
	s_delay_alu instid0(VALU_DEP_2) | instskip(NEXT) | instid1(VALU_DEP_1)
	v_add_f32_e32 v7, v7, v10
	v_exp_f32_e32 v7, v7
	v_nop
	s_delay_alu instid0(TRANS32_DEP_1) | instskip(NEXT) | instid1(VALU_DEP_1)
	v_ldexp_f32 v7, v7, v9
	v_cndmask_b32_e32 v7, 0, v7, vcc_lo
	v_cmp_nlt_f32_e32 vcc_lo, 0x42b17218, v6
	s_delay_alu instid0(VALU_DEP_2) | instskip(NEXT) | instid1(VALU_DEP_1)
	v_cndmask_b32_e32 v6, 0x7f800000, v7, vcc_lo
	v_dual_mul_f32 v5, v6, v5 :: v_dual_add_f32 v6, 1.0, v6
	s_delay_alu instid0(VALU_DEP_1) | instskip(NEXT) | instid1(VALU_DEP_1)
	v_div_scale_f32 v7, null, v6, v6, v5
	v_rcp_f32_e32 v9, v7
	v_nop
	s_delay_alu instid0(TRANS32_DEP_1) | instskip(NEXT) | instid1(VALU_DEP_1)
	v_fma_f32 v10, -v7, v9, 1.0
	v_fmac_f32_e32 v9, v10, v9
	v_div_scale_f32 v10, vcc_lo, v5, v6, v5
	s_delay_alu instid0(VALU_DEP_1) | instskip(NEXT) | instid1(VALU_DEP_1)
	v_mul_f32_e32 v13, v10, v9
	v_fma_f32 v14, -v7, v13, v10
	s_delay_alu instid0(VALU_DEP_1) | instskip(NEXT) | instid1(VALU_DEP_1)
	v_fmac_f32_e32 v13, v14, v9
	v_fma_f32 v7, -v7, v13, v10
	s_delay_alu instid0(VALU_DEP_1) | instskip(NEXT) | instid1(VALU_DEP_1)
	v_div_fmas_f32 v7, v7, v9, v13
	v_div_fixup_f32 v5, v7, v6, v5
.LBB72_114:
	s_or_b32 exec_lo, exec_lo, s8
	global_load_b32 v6, v11, s[4:5]
	global_load_u16 v9, v12, s[2:3]
	s_wait_xcnt 0x0
	s_mov_b32 s2, exec_lo
	s_wait_loadcnt 0x0
	v_dual_mul_f32 v7, s6, v6 :: v_dual_lshlrev_b32 v6, 16, v9
	s_delay_alu instid0(VALU_DEP_1)
	v_cmpx_nlt_f32_e32 s7, v7
	s_cbranch_execz .LBB72_116
; %bb.115:
	v_mul_f32_e32 v9, 0x3fb8aa3b, v7
	v_cmp_ngt_f32_e32 vcc_lo, 0xc2ce8ed0, v7
	s_delay_alu instid0(VALU_DEP_2) | instskip(SKIP_1) | instid1(VALU_DEP_2)
	v_rndne_f32_e32 v10, v9
	v_fma_f32 v11, 0x3fb8aa3b, v7, -v9
	v_sub_f32_e32 v9, v9, v10
	s_delay_alu instid0(VALU_DEP_2) | instskip(SKIP_1) | instid1(VALU_DEP_2)
	v_fmamk_f32 v11, v7, 0x32a5705f, v11
	v_cvt_i32_f32_e32 v10, v10
	v_add_f32_e32 v9, v9, v11
	s_delay_alu instid0(VALU_DEP_1) | instskip(SKIP_1) | instid1(TRANS32_DEP_1)
	v_exp_f32_e32 v9, v9
	v_nop
	v_ldexp_f32 v9, v9, v10
	s_delay_alu instid0(VALU_DEP_1) | instskip(SKIP_1) | instid1(VALU_DEP_2)
	v_cndmask_b32_e32 v9, 0, v9, vcc_lo
	v_cmp_nlt_f32_e32 vcc_lo, 0x42b17218, v7
	v_cndmask_b32_e32 v7, 0x7f800000, v9, vcc_lo
	s_delay_alu instid0(VALU_DEP_1) | instskip(NEXT) | instid1(VALU_DEP_1)
	v_dual_mul_f32 v6, v7, v6 :: v_dual_add_f32 v7, 1.0, v7
	v_div_scale_f32 v9, null, v7, v7, v6
	s_delay_alu instid0(VALU_DEP_1) | instskip(SKIP_1) | instid1(TRANS32_DEP_1)
	v_rcp_f32_e32 v10, v9
	v_nop
	v_fma_f32 v11, -v9, v10, 1.0
	s_delay_alu instid0(VALU_DEP_1) | instskip(SKIP_1) | instid1(VALU_DEP_1)
	v_fmac_f32_e32 v10, v11, v10
	v_div_scale_f32 v11, vcc_lo, v6, v7, v6
	v_mul_f32_e32 v12, v11, v10
	s_delay_alu instid0(VALU_DEP_1) | instskip(NEXT) | instid1(VALU_DEP_1)
	v_fma_f32 v13, -v9, v12, v11
	v_fmac_f32_e32 v12, v13, v10
	s_delay_alu instid0(VALU_DEP_1) | instskip(NEXT) | instid1(VALU_DEP_1)
	v_fma_f32 v9, -v9, v12, v11
	v_div_fmas_f32 v9, v9, v10, v12
	s_delay_alu instid0(VALU_DEP_1)
	v_div_fixup_f32 v6, v9, v7, v6
.LBB72_116:
	s_or_b32 exec_lo, exec_lo, s2
	s_clause 0x3
	global_store_b32 v1, v2, s[0:1]
	global_store_b32 v4, v3, s[0:1]
	;; [unrolled: 1-line block ×4, first 2 shown]
	s_endpgm
	.section	.rodata,"a",@progbits
	.p2align	6, 0x0
	.amdhsa_kernel _ZN2at6native32elementwise_kernel_manual_unrollILi128ELi4EZNS0_12_GLOBAL__N_142type_specialized_broadcast_kernel_launcherILi1EE5applyIZZZNS2_24softplus_backward_kernelERNS_18TensorIteratorBaseERKN3c106ScalarESB_ENKUlvE_clEvENKUlvE0_clEvEUlffE_St5arrayIPcLm3EESF_INS8_10ScalarTypeELm3EE16OffsetCalculatorILi3EjLb0EEEEvlT_T0_T1_T2_EUlibE_EEviSO_
		.amdhsa_group_segment_fixed_size 0
		.amdhsa_private_segment_fixed_size 0
		.amdhsa_kernarg_size 432
		.amdhsa_user_sgpr_count 2
		.amdhsa_user_sgpr_dispatch_ptr 0
		.amdhsa_user_sgpr_queue_ptr 0
		.amdhsa_user_sgpr_kernarg_segment_ptr 1
		.amdhsa_user_sgpr_dispatch_id 0
		.amdhsa_user_sgpr_kernarg_preload_length 0
		.amdhsa_user_sgpr_kernarg_preload_offset 0
		.amdhsa_user_sgpr_private_segment_size 0
		.amdhsa_wavefront_size32 1
		.amdhsa_uses_dynamic_stack 0
		.amdhsa_enable_private_segment 0
		.amdhsa_system_sgpr_workgroup_id_x 1
		.amdhsa_system_sgpr_workgroup_id_y 0
		.amdhsa_system_sgpr_workgroup_id_z 0
		.amdhsa_system_sgpr_workgroup_info 0
		.amdhsa_system_vgpr_workitem_id 0
		.amdhsa_next_free_vgpr 17
		.amdhsa_next_free_sgpr 48
		.amdhsa_named_barrier_count 0
		.amdhsa_reserve_vcc 1
		.amdhsa_float_round_mode_32 0
		.amdhsa_float_round_mode_16_64 0
		.amdhsa_float_denorm_mode_32 3
		.amdhsa_float_denorm_mode_16_64 3
		.amdhsa_fp16_overflow 0
		.amdhsa_memory_ordered 1
		.amdhsa_forward_progress 1
		.amdhsa_inst_pref_size 57
		.amdhsa_round_robin_scheduling 0
		.amdhsa_exception_fp_ieee_invalid_op 0
		.amdhsa_exception_fp_denorm_src 0
		.amdhsa_exception_fp_ieee_div_zero 0
		.amdhsa_exception_fp_ieee_overflow 0
		.amdhsa_exception_fp_ieee_underflow 0
		.amdhsa_exception_fp_ieee_inexact 0
		.amdhsa_exception_int_div_zero 0
	.end_amdhsa_kernel
	.section	.text._ZN2at6native32elementwise_kernel_manual_unrollILi128ELi4EZNS0_12_GLOBAL__N_142type_specialized_broadcast_kernel_launcherILi1EE5applyIZZZNS2_24softplus_backward_kernelERNS_18TensorIteratorBaseERKN3c106ScalarESB_ENKUlvE_clEvENKUlvE0_clEvEUlffE_St5arrayIPcLm3EESF_INS8_10ScalarTypeELm3EE16OffsetCalculatorILi3EjLb0EEEEvlT_T0_T1_T2_EUlibE_EEviSO_,"axG",@progbits,_ZN2at6native32elementwise_kernel_manual_unrollILi128ELi4EZNS0_12_GLOBAL__N_142type_specialized_broadcast_kernel_launcherILi1EE5applyIZZZNS2_24softplus_backward_kernelERNS_18TensorIteratorBaseERKN3c106ScalarESB_ENKUlvE_clEvENKUlvE0_clEvEUlffE_St5arrayIPcLm3EESF_INS8_10ScalarTypeELm3EE16OffsetCalculatorILi3EjLb0EEEEvlT_T0_T1_T2_EUlibE_EEviSO_,comdat
.Lfunc_end72:
	.size	_ZN2at6native32elementwise_kernel_manual_unrollILi128ELi4EZNS0_12_GLOBAL__N_142type_specialized_broadcast_kernel_launcherILi1EE5applyIZZZNS2_24softplus_backward_kernelERNS_18TensorIteratorBaseERKN3c106ScalarESB_ENKUlvE_clEvENKUlvE0_clEvEUlffE_St5arrayIPcLm3EESF_INS8_10ScalarTypeELm3EE16OffsetCalculatorILi3EjLb0EEEEvlT_T0_T1_T2_EUlibE_EEviSO_, .Lfunc_end72-_ZN2at6native32elementwise_kernel_manual_unrollILi128ELi4EZNS0_12_GLOBAL__N_142type_specialized_broadcast_kernel_launcherILi1EE5applyIZZZNS2_24softplus_backward_kernelERNS_18TensorIteratorBaseERKN3c106ScalarESB_ENKUlvE_clEvENKUlvE0_clEvEUlffE_St5arrayIPcLm3EESF_INS8_10ScalarTypeELm3EE16OffsetCalculatorILi3EjLb0EEEEvlT_T0_T1_T2_EUlibE_EEviSO_
                                        ; -- End function
	.set _ZN2at6native32elementwise_kernel_manual_unrollILi128ELi4EZNS0_12_GLOBAL__N_142type_specialized_broadcast_kernel_launcherILi1EE5applyIZZZNS2_24softplus_backward_kernelERNS_18TensorIteratorBaseERKN3c106ScalarESB_ENKUlvE_clEvENKUlvE0_clEvEUlffE_St5arrayIPcLm3EESF_INS8_10ScalarTypeELm3EE16OffsetCalculatorILi3EjLb0EEEEvlT_T0_T1_T2_EUlibE_EEviSO_.num_vgpr, 17
	.set _ZN2at6native32elementwise_kernel_manual_unrollILi128ELi4EZNS0_12_GLOBAL__N_142type_specialized_broadcast_kernel_launcherILi1EE5applyIZZZNS2_24softplus_backward_kernelERNS_18TensorIteratorBaseERKN3c106ScalarESB_ENKUlvE_clEvENKUlvE0_clEvEUlffE_St5arrayIPcLm3EESF_INS8_10ScalarTypeELm3EE16OffsetCalculatorILi3EjLb0EEEEvlT_T0_T1_T2_EUlibE_EEviSO_.num_agpr, 0
	.set _ZN2at6native32elementwise_kernel_manual_unrollILi128ELi4EZNS0_12_GLOBAL__N_142type_specialized_broadcast_kernel_launcherILi1EE5applyIZZZNS2_24softplus_backward_kernelERNS_18TensorIteratorBaseERKN3c106ScalarESB_ENKUlvE_clEvENKUlvE0_clEvEUlffE_St5arrayIPcLm3EESF_INS8_10ScalarTypeELm3EE16OffsetCalculatorILi3EjLb0EEEEvlT_T0_T1_T2_EUlibE_EEviSO_.numbered_sgpr, 48
	.set _ZN2at6native32elementwise_kernel_manual_unrollILi128ELi4EZNS0_12_GLOBAL__N_142type_specialized_broadcast_kernel_launcherILi1EE5applyIZZZNS2_24softplus_backward_kernelERNS_18TensorIteratorBaseERKN3c106ScalarESB_ENKUlvE_clEvENKUlvE0_clEvEUlffE_St5arrayIPcLm3EESF_INS8_10ScalarTypeELm3EE16OffsetCalculatorILi3EjLb0EEEEvlT_T0_T1_T2_EUlibE_EEviSO_.num_named_barrier, 0
	.set _ZN2at6native32elementwise_kernel_manual_unrollILi128ELi4EZNS0_12_GLOBAL__N_142type_specialized_broadcast_kernel_launcherILi1EE5applyIZZZNS2_24softplus_backward_kernelERNS_18TensorIteratorBaseERKN3c106ScalarESB_ENKUlvE_clEvENKUlvE0_clEvEUlffE_St5arrayIPcLm3EESF_INS8_10ScalarTypeELm3EE16OffsetCalculatorILi3EjLb0EEEEvlT_T0_T1_T2_EUlibE_EEviSO_.private_seg_size, 0
	.set _ZN2at6native32elementwise_kernel_manual_unrollILi128ELi4EZNS0_12_GLOBAL__N_142type_specialized_broadcast_kernel_launcherILi1EE5applyIZZZNS2_24softplus_backward_kernelERNS_18TensorIteratorBaseERKN3c106ScalarESB_ENKUlvE_clEvENKUlvE0_clEvEUlffE_St5arrayIPcLm3EESF_INS8_10ScalarTypeELm3EE16OffsetCalculatorILi3EjLb0EEEEvlT_T0_T1_T2_EUlibE_EEviSO_.uses_vcc, 1
	.set _ZN2at6native32elementwise_kernel_manual_unrollILi128ELi4EZNS0_12_GLOBAL__N_142type_specialized_broadcast_kernel_launcherILi1EE5applyIZZZNS2_24softplus_backward_kernelERNS_18TensorIteratorBaseERKN3c106ScalarESB_ENKUlvE_clEvENKUlvE0_clEvEUlffE_St5arrayIPcLm3EESF_INS8_10ScalarTypeELm3EE16OffsetCalculatorILi3EjLb0EEEEvlT_T0_T1_T2_EUlibE_EEviSO_.uses_flat_scratch, 0
	.set _ZN2at6native32elementwise_kernel_manual_unrollILi128ELi4EZNS0_12_GLOBAL__N_142type_specialized_broadcast_kernel_launcherILi1EE5applyIZZZNS2_24softplus_backward_kernelERNS_18TensorIteratorBaseERKN3c106ScalarESB_ENKUlvE_clEvENKUlvE0_clEvEUlffE_St5arrayIPcLm3EESF_INS8_10ScalarTypeELm3EE16OffsetCalculatorILi3EjLb0EEEEvlT_T0_T1_T2_EUlibE_EEviSO_.has_dyn_sized_stack, 0
	.set _ZN2at6native32elementwise_kernel_manual_unrollILi128ELi4EZNS0_12_GLOBAL__N_142type_specialized_broadcast_kernel_launcherILi1EE5applyIZZZNS2_24softplus_backward_kernelERNS_18TensorIteratorBaseERKN3c106ScalarESB_ENKUlvE_clEvENKUlvE0_clEvEUlffE_St5arrayIPcLm3EESF_INS8_10ScalarTypeELm3EE16OffsetCalculatorILi3EjLb0EEEEvlT_T0_T1_T2_EUlibE_EEviSO_.has_recursion, 0
	.set _ZN2at6native32elementwise_kernel_manual_unrollILi128ELi4EZNS0_12_GLOBAL__N_142type_specialized_broadcast_kernel_launcherILi1EE5applyIZZZNS2_24softplus_backward_kernelERNS_18TensorIteratorBaseERKN3c106ScalarESB_ENKUlvE_clEvENKUlvE0_clEvEUlffE_St5arrayIPcLm3EESF_INS8_10ScalarTypeELm3EE16OffsetCalculatorILi3EjLb0EEEEvlT_T0_T1_T2_EUlibE_EEviSO_.has_indirect_call, 0
	.section	.AMDGPU.csdata,"",@progbits
; Kernel info:
; codeLenInByte = 7236
; TotalNumSgprs: 50
; NumVgprs: 17
; ScratchSize: 0
; MemoryBound: 0
; FloatMode: 240
; IeeeMode: 1
; LDSByteSize: 0 bytes/workgroup (compile time only)
; SGPRBlocks: 0
; VGPRBlocks: 1
; NumSGPRsForWavesPerEU: 50
; NumVGPRsForWavesPerEU: 17
; NamedBarCnt: 0
; Occupancy: 16
; WaveLimiterHint : 1
; COMPUTE_PGM_RSRC2:SCRATCH_EN: 0
; COMPUTE_PGM_RSRC2:USER_SGPR: 2
; COMPUTE_PGM_RSRC2:TRAP_HANDLER: 0
; COMPUTE_PGM_RSRC2:TGID_X_EN: 1
; COMPUTE_PGM_RSRC2:TGID_Y_EN: 0
; COMPUTE_PGM_RSRC2:TGID_Z_EN: 0
; COMPUTE_PGM_RSRC2:TIDIG_COMP_CNT: 0
	.section	.text._ZN2at6native32elementwise_kernel_manual_unrollILi128ELi4EZNS0_12_GLOBAL__N_142type_specialized_broadcast_kernel_launcherILi2EE5applyIZZZNS2_24softplus_backward_kernelERNS_18TensorIteratorBaseERKN3c106ScalarESB_ENKUlvE_clEvENKUlvE0_clEvEUlffE_St5arrayIPcLm3EESF_INS8_10ScalarTypeELm3EE16OffsetCalculatorILi3EjLb0EEEEvlT_T0_T1_T2_EUlibE_EEviSO_,"axG",@progbits,_ZN2at6native32elementwise_kernel_manual_unrollILi128ELi4EZNS0_12_GLOBAL__N_142type_specialized_broadcast_kernel_launcherILi2EE5applyIZZZNS2_24softplus_backward_kernelERNS_18TensorIteratorBaseERKN3c106ScalarESB_ENKUlvE_clEvENKUlvE0_clEvEUlffE_St5arrayIPcLm3EESF_INS8_10ScalarTypeELm3EE16OffsetCalculatorILi3EjLb0EEEEvlT_T0_T1_T2_EUlibE_EEviSO_,comdat
	.globl	_ZN2at6native32elementwise_kernel_manual_unrollILi128ELi4EZNS0_12_GLOBAL__N_142type_specialized_broadcast_kernel_launcherILi2EE5applyIZZZNS2_24softplus_backward_kernelERNS_18TensorIteratorBaseERKN3c106ScalarESB_ENKUlvE_clEvENKUlvE0_clEvEUlffE_St5arrayIPcLm3EESF_INS8_10ScalarTypeELm3EE16OffsetCalculatorILi3EjLb0EEEEvlT_T0_T1_T2_EUlibE_EEviSO_ ; -- Begin function _ZN2at6native32elementwise_kernel_manual_unrollILi128ELi4EZNS0_12_GLOBAL__N_142type_specialized_broadcast_kernel_launcherILi2EE5applyIZZZNS2_24softplus_backward_kernelERNS_18TensorIteratorBaseERKN3c106ScalarESB_ENKUlvE_clEvENKUlvE0_clEvEUlffE_St5arrayIPcLm3EESF_INS8_10ScalarTypeELm3EE16OffsetCalculatorILi3EjLb0EEEEvlT_T0_T1_T2_EUlibE_EEviSO_
	.p2align	8
	.type	_ZN2at6native32elementwise_kernel_manual_unrollILi128ELi4EZNS0_12_GLOBAL__N_142type_specialized_broadcast_kernel_launcherILi2EE5applyIZZZNS2_24softplus_backward_kernelERNS_18TensorIteratorBaseERKN3c106ScalarESB_ENKUlvE_clEvENKUlvE0_clEvEUlffE_St5arrayIPcLm3EESF_INS8_10ScalarTypeELm3EE16OffsetCalculatorILi3EjLb0EEEEvlT_T0_T1_T2_EUlibE_EEviSO_,@function
_ZN2at6native32elementwise_kernel_manual_unrollILi128ELi4EZNS0_12_GLOBAL__N_142type_specialized_broadcast_kernel_launcherILi2EE5applyIZZZNS2_24softplus_backward_kernelERNS_18TensorIteratorBaseERKN3c106ScalarESB_ENKUlvE_clEvENKUlvE0_clEvEUlffE_St5arrayIPcLm3EESF_INS8_10ScalarTypeELm3EE16OffsetCalculatorILi3EjLb0EEEEvlT_T0_T1_T2_EUlibE_EEviSO_: ; @_ZN2at6native32elementwise_kernel_manual_unrollILi128ELi4EZNS0_12_GLOBAL__N_142type_specialized_broadcast_kernel_launcherILi2EE5applyIZZZNS2_24softplus_backward_kernelERNS_18TensorIteratorBaseERKN3c106ScalarESB_ENKUlvE_clEvENKUlvE0_clEvEUlffE_St5arrayIPcLm3EESF_INS8_10ScalarTypeELm3EE16OffsetCalculatorILi3EjLb0EEEEvlT_T0_T1_T2_EUlibE_EEviSO_
; %bb.0:
	s_clause 0x1
	s_load_b32 s28, s[0:1], 0x8
	s_load_b32 s35, s[0:1], 0x0
	s_bfe_u32 s2, ttmp6, 0x4000c
	s_and_b32 s3, ttmp6, 15
	s_add_co_i32 s2, s2, 1
	s_getreg_b32 s4, hwreg(HW_REG_IB_STS2, 6, 4)
	s_mul_i32 s2, ttmp9, s2
	s_add_nc_u64 s[16:17], s[0:1], 8
	s_add_co_i32 s3, s3, s2
	s_cmp_eq_u32 s4, 0
	s_mov_b32 s23, 0
	s_cselect_b32 s2, ttmp9, s3
	s_wait_xcnt 0x0
	s_mov_b32 s0, exec_lo
	v_lshl_or_b32 v0, s2, 9, v0
	s_delay_alu instid0(VALU_DEP_1) | instskip(SKIP_2) | instid1(SALU_CYCLE_1)
	v_or_b32_e32 v3, 0x180, v0
	s_wait_kmcnt 0x0
	s_add_co_i32 s29, s28, -1
	s_cmp_gt_u32 s29, 1
	s_cselect_b32 s30, -1, 0
	v_cmpx_le_i32_e64 s35, v3
	s_xor_b32 s31, exec_lo, s0
	s_cbranch_execz .LBB73_62
; %bb.1:
	s_clause 0x4
	s_load_b128 s[8:11], s[16:17], 0x4
	s_load_b64 s[18:19], s[16:17], 0x14
	s_load_b128 s[12:15], s[16:17], 0xc4
	s_load_b64 s[20:21], s[16:17], 0xd4
	s_load_b256 s[0:7], s[16:17], 0x188
	s_cmp_lg_u32 s28, 0
	s_mov_b32 s25, s23
	s_cselect_b32 s36, -1, 0
	s_min_u32 s34, s29, 15
	s_cmp_gt_u32 s28, 1
	s_cselect_b32 s33, -1, 0
	s_wait_kmcnt 0x0
	s_mov_b32 s22, s9
	s_mov_b32 s24, s18
	s_mov_b32 s9, exec_lo
	v_cmpx_gt_i32_e64 s35, v0
	s_cbranch_execnz .LBB73_5
; %bb.2:
	s_or_b32 exec_lo, exec_lo, s9
	s_delay_alu instid0(SALU_CYCLE_1)
	s_mov_b32 s9, exec_lo
	v_cmpx_gt_i32_e64 s35, v0
	s_cbranch_execnz .LBB73_19
.LBB73_3:
	s_or_b32 exec_lo, exec_lo, s9
	s_delay_alu instid0(SALU_CYCLE_1)
	s_mov_b32 s9, exec_lo
	v_cmpx_gt_i32_e64 s35, v0
	s_cbranch_execnz .LBB73_33
.LBB73_4:
	s_or_b32 exec_lo, exec_lo, s9
	s_delay_alu instid0(SALU_CYCLE_1)
	s_mov_b32 s9, exec_lo
	v_cmpx_gt_i32_e64 s35, v0
	s_cbranch_execnz .LBB73_47
	s_branch .LBB73_61
.LBB73_5:
	s_and_not1_b32 vcc_lo, exec_lo, s30
	s_cbranch_vccnz .LBB73_11
; %bb.6:
	s_and_not1_b32 vcc_lo, exec_lo, s36
	s_cbranch_vccnz .LBB73_12
; %bb.7:
	v_dual_mov_b32 v4, 0 :: v_dual_mov_b32 v1, v0
	v_dual_mov_b32 v6, 0 :: v_dual_mov_b32 v5, 0
	s_add_co_i32 s18, s34, 1
	s_mov_b64 s[26:27], 0xffffffffffffffe8
	s_and_b32 s18, s18, 30
	s_add_nc_u64 s[26:27], s[16:17], s[26:27]
.LBB73_8:                               ; =>This Inner Loop Header: Depth=1
	s_clause 0x1
	s_load_b128 s[40:43], s[26:27], 0x1c
	s_load_b64 s[38:39], s[26:27], 0x2c
	s_add_co_i32 s18, s18, -2
	s_delay_alu instid0(SALU_CYCLE_1) | instskip(SKIP_2) | instid1(VALU_DEP_1)
	s_cmp_lg_u32 s18, 0
	s_wait_kmcnt 0x0
	v_mul_hi_u32 v2, s41, v1
	v_add_nc_u32_e32 v2, v1, v2
	s_delay_alu instid0(VALU_DEP_1) | instskip(NEXT) | instid1(VALU_DEP_1)
	v_lshrrev_b32_e32 v2, s42, v2
	v_mul_hi_u32 v3, s38, v2
	v_mul_lo_u32 v7, v2, s40
	s_clause 0x1
	s_load_b128 s[44:47], s[26:27], 0xdc
	s_load_b64 s[40:41], s[26:27], 0xec
	s_wait_xcnt 0x0
	s_add_nc_u64 s[26:27], s[26:27], 24
	s_delay_alu instid0(VALU_DEP_2) | instskip(NEXT) | instid1(VALU_DEP_2)
	v_add_nc_u32_e32 v3, v2, v3
	v_sub_nc_u32_e32 v7, v1, v7
	s_delay_alu instid0(VALU_DEP_2) | instskip(SKIP_1) | instid1(VALU_DEP_2)
	v_lshrrev_b32_e32 v1, s39, v3
	s_wait_kmcnt 0x0
	v_mad_u32 v4, v7, s44, v4
	s_delay_alu instid0(VALU_DEP_2) | instskip(SKIP_2) | instid1(VALU_DEP_3)
	v_mul_lo_u32 v3, v1, s43
	v_mad_u32 v5, v7, s46, v5
	v_mad_u32 v6, v7, s45, v6
	v_sub_nc_u32_e32 v2, v2, v3
	s_delay_alu instid0(VALU_DEP_1) | instskip(NEXT) | instid1(VALU_DEP_4)
	v_mad_u32 v4, v2, s47, v4
	v_mad_u32 v5, v2, s41, v5
	s_delay_alu instid0(VALU_DEP_4)
	v_mad_u32 v6, v2, s40, v6
	s_cbranch_scc1 .LBB73_8
; %bb.9:
	s_bitcmp1_b32 s34, 0
	s_cselect_b32 s18, -1, 0
	s_delay_alu instid0(SALU_CYCLE_1)
	s_and_b32 vcc_lo, exec_lo, s18
	s_cbranch_vccnz .LBB73_13
; %bb.10:
	s_clause 0x1
	s_load_b96 s[40:42], s[26:27], 0x1c
	s_load_b96 s[44:46], s[26:27], 0xdc
	s_wait_kmcnt 0x0
	v_mul_hi_u32 v2, s41, v1
	s_delay_alu instid0(VALU_DEP_1) | instskip(NEXT) | instid1(VALU_DEP_1)
	v_add_nc_u32_e32 v2, v1, v2
	v_lshrrev_b32_e32 v2, s42, v2
	s_delay_alu instid0(VALU_DEP_1) | instskip(NEXT) | instid1(VALU_DEP_1)
	v_mul_lo_u32 v2, v2, s40
	v_sub_nc_u32_e32 v1, v1, v2
	s_delay_alu instid0(VALU_DEP_1)
	v_mad_u32 v4, v1, s44, v4
	v_mad_u32 v6, v1, s45, v6
	;; [unrolled: 1-line block ×3, first 2 shown]
	s_cbranch_execz .LBB73_14
	s_branch .LBB73_16
.LBB73_11:
                                        ; implicit-def: $vgpr5
                                        ; implicit-def: $vgpr6
                                        ; implicit-def: $vgpr4
	s_branch .LBB73_14
.LBB73_12:
	v_dual_mov_b32 v5, 0 :: v_dual_mov_b32 v6, 0
	v_mov_b32_e32 v4, 0
.LBB73_13:
	s_cbranch_execnz .LBB73_16
.LBB73_14:
	v_mov_b32_e32 v1, 0
	s_and_not1_b32 vcc_lo, exec_lo, s33
	s_delay_alu instid0(VALU_DEP_1) | instskip(NEXT) | instid1(VALU_DEP_1)
	v_mul_u64_e32 v[2:3], s[22:23], v[0:1]
	v_add_nc_u32_e32 v2, v0, v3
	s_delay_alu instid0(VALU_DEP_1) | instskip(NEXT) | instid1(VALU_DEP_1)
	v_lshrrev_b32_e32 v2, s10, v2
	v_mul_lo_u32 v3, v2, s8
	s_delay_alu instid0(VALU_DEP_1) | instskip(NEXT) | instid1(VALU_DEP_1)
	v_sub_nc_u32_e32 v3, v0, v3
	v_mul_lo_u32 v4, v3, s12
	v_mul_lo_u32 v5, v3, s14
	;; [unrolled: 1-line block ×3, first 2 shown]
	s_cbranch_vccnz .LBB73_16
; %bb.15:
	v_mov_b32_e32 v3, v1
	s_delay_alu instid0(VALU_DEP_1) | instskip(NEXT) | instid1(VALU_DEP_1)
	v_mul_u64_e32 v[8:9], s[24:25], v[2:3]
	v_add_nc_u32_e32 v1, v2, v9
	s_delay_alu instid0(VALU_DEP_1) | instskip(NEXT) | instid1(VALU_DEP_1)
	v_lshrrev_b32_e32 v1, s19, v1
	v_mul_lo_u32 v1, v1, s11
	s_delay_alu instid0(VALU_DEP_1) | instskip(NEXT) | instid1(VALU_DEP_1)
	v_sub_nc_u32_e32 v1, v2, v1
	v_mad_u32 v4, v1, s15, v4
	v_mad_u32 v6, v1, s20, v6
	;; [unrolled: 1-line block ×3, first 2 shown]
.LBB73_16:
	global_load_b32 v1, v5, s[4:5]
	global_load_u16 v3, v6, s[2:3]
	s_mov_b32 s18, exec_lo
	s_wait_loadcnt 0x0
	v_dual_mul_f32 v2, s6, v1 :: v_dual_lshlrev_b32 v1, 16, v3
	s_delay_alu instid0(VALU_DEP_1)
	v_cmpx_nlt_f32_e32 s7, v2
	s_cbranch_execz .LBB73_18
; %bb.17:
	v_mul_f32_e32 v3, 0x3fb8aa3b, v2
	v_cmp_ngt_f32_e32 vcc_lo, 0xc2ce8ed0, v2
	s_delay_alu instid0(VALU_DEP_2) | instskip(SKIP_1) | instid1(VALU_DEP_1)
	v_rndne_f32_e32 v5, v3
	v_fma_f32 v6, 0x3fb8aa3b, v2, -v3
	v_dual_sub_f32 v3, v3, v5 :: v_dual_fmamk_f32 v6, v2, 0x32a5705f, v6
	v_cvt_i32_f32_e32 v5, v5
	s_delay_alu instid0(VALU_DEP_2) | instskip(NEXT) | instid1(VALU_DEP_1)
	v_add_f32_e32 v3, v3, v6
	v_exp_f32_e32 v3, v3
	v_nop
	s_delay_alu instid0(TRANS32_DEP_1) | instskip(NEXT) | instid1(VALU_DEP_1)
	v_ldexp_f32 v3, v3, v5
	v_cndmask_b32_e32 v3, 0, v3, vcc_lo
	v_cmp_nlt_f32_e32 vcc_lo, 0x42b17218, v2
	s_delay_alu instid0(VALU_DEP_2) | instskip(NEXT) | instid1(VALU_DEP_1)
	v_cndmask_b32_e32 v2, 0x7f800000, v3, vcc_lo
	v_dual_mul_f32 v1, v2, v1 :: v_dual_add_f32 v2, 1.0, v2
	s_delay_alu instid0(VALU_DEP_1) | instskip(NEXT) | instid1(VALU_DEP_1)
	v_div_scale_f32 v3, null, v2, v2, v1
	v_rcp_f32_e32 v5, v3
	v_nop
	s_delay_alu instid0(TRANS32_DEP_1) | instskip(NEXT) | instid1(VALU_DEP_1)
	v_fma_f32 v6, -v3, v5, 1.0
	v_fmac_f32_e32 v5, v6, v5
	v_div_scale_f32 v6, vcc_lo, v1, v2, v1
	s_delay_alu instid0(VALU_DEP_1) | instskip(NEXT) | instid1(VALU_DEP_1)
	v_mul_f32_e32 v7, v6, v5
	v_fma_f32 v8, -v3, v7, v6
	s_delay_alu instid0(VALU_DEP_1) | instskip(NEXT) | instid1(VALU_DEP_1)
	v_fmac_f32_e32 v7, v8, v5
	v_fma_f32 v3, -v3, v7, v6
	s_delay_alu instid0(VALU_DEP_1) | instskip(NEXT) | instid1(VALU_DEP_1)
	v_div_fmas_f32 v3, v3, v5, v7
	v_div_fixup_f32 v1, v3, v2, v1
.LBB73_18:
	s_or_b32 exec_lo, exec_lo, s18
	s_delay_alu instid0(VALU_DEP_1) | instskip(SKIP_2) | instid1(VALU_DEP_3)
	v_bfe_u32 v2, v1, 16, 1
	v_cmp_o_f32_e32 vcc_lo, v1, v1
	v_add_nc_u32_e32 v0, 0x80, v0
	v_add3_u32 v2, v1, v2, 0x7fff
	s_delay_alu instid0(VALU_DEP_1) | instskip(NEXT) | instid1(VALU_DEP_1)
	v_lshrrev_b32_e32 v2, 16, v2
	v_cndmask_b32_e32 v1, 0x7fc0, v2, vcc_lo
	global_store_b16 v4, v1, s[0:1]
	s_wait_xcnt 0x0
	s_or_b32 exec_lo, exec_lo, s9
	s_delay_alu instid0(SALU_CYCLE_1)
	s_mov_b32 s9, exec_lo
	v_cmpx_gt_i32_e64 s35, v0
	s_cbranch_execz .LBB73_3
.LBB73_19:
	s_and_not1_b32 vcc_lo, exec_lo, s30
	s_cbranch_vccnz .LBB73_25
; %bb.20:
	s_and_not1_b32 vcc_lo, exec_lo, s36
	s_cbranch_vccnz .LBB73_26
; %bb.21:
	v_dual_mov_b32 v4, 0 :: v_dual_mov_b32 v1, v0
	v_dual_mov_b32 v6, 0 :: v_dual_mov_b32 v5, 0
	s_add_co_i32 s18, s34, 1
	s_mov_b64 s[26:27], 0xffffffffffffffe8
	s_and_b32 s18, s18, 30
	s_add_nc_u64 s[26:27], s[16:17], s[26:27]
.LBB73_22:                              ; =>This Inner Loop Header: Depth=1
	s_clause 0x1
	s_load_b128 s[40:43], s[26:27], 0x1c
	s_load_b64 s[38:39], s[26:27], 0x2c
	s_add_co_i32 s18, s18, -2
	s_delay_alu instid0(SALU_CYCLE_1) | instskip(SKIP_2) | instid1(VALU_DEP_1)
	s_cmp_eq_u32 s18, 0
	s_wait_kmcnt 0x0
	v_mul_hi_u32 v2, s41, v1
	v_add_nc_u32_e32 v2, v1, v2
	s_delay_alu instid0(VALU_DEP_1) | instskip(NEXT) | instid1(VALU_DEP_1)
	v_lshrrev_b32_e32 v2, s42, v2
	v_mul_hi_u32 v3, s38, v2
	v_mul_lo_u32 v7, v2, s40
	s_clause 0x1
	s_load_b128 s[44:47], s[26:27], 0xdc
	s_load_b64 s[40:41], s[26:27], 0xec
	s_wait_xcnt 0x0
	s_add_nc_u64 s[26:27], s[26:27], 24
	s_delay_alu instid0(VALU_DEP_2) | instskip(NEXT) | instid1(VALU_DEP_2)
	v_add_nc_u32_e32 v3, v2, v3
	v_sub_nc_u32_e32 v7, v1, v7
	s_delay_alu instid0(VALU_DEP_2) | instskip(SKIP_1) | instid1(VALU_DEP_2)
	v_lshrrev_b32_e32 v1, s39, v3
	s_wait_kmcnt 0x0
	v_mad_u32 v4, v7, s44, v4
	s_delay_alu instid0(VALU_DEP_2) | instskip(SKIP_2) | instid1(VALU_DEP_3)
	v_mul_lo_u32 v3, v1, s43
	v_mad_u32 v5, v7, s46, v5
	v_mad_u32 v6, v7, s45, v6
	v_sub_nc_u32_e32 v2, v2, v3
	s_delay_alu instid0(VALU_DEP_1) | instskip(NEXT) | instid1(VALU_DEP_4)
	v_mad_u32 v4, v2, s47, v4
	v_mad_u32 v5, v2, s41, v5
	s_delay_alu instid0(VALU_DEP_4)
	v_mad_u32 v6, v2, s40, v6
	s_cbranch_scc0 .LBB73_22
; %bb.23:
	s_bitcmp1_b32 s34, 0
	s_cselect_b32 s18, -1, 0
	s_delay_alu instid0(SALU_CYCLE_1)
	s_and_b32 vcc_lo, exec_lo, s18
	s_cbranch_vccnz .LBB73_27
; %bb.24:
	s_clause 0x1
	s_load_b96 s[40:42], s[26:27], 0x1c
	s_load_b96 s[44:46], s[26:27], 0xdc
	s_wait_kmcnt 0x0
	v_mul_hi_u32 v2, s41, v1
	s_delay_alu instid0(VALU_DEP_1) | instskip(NEXT) | instid1(VALU_DEP_1)
	v_add_nc_u32_e32 v2, v1, v2
	v_lshrrev_b32_e32 v2, s42, v2
	s_delay_alu instid0(VALU_DEP_1) | instskip(NEXT) | instid1(VALU_DEP_1)
	v_mul_lo_u32 v2, v2, s40
	v_sub_nc_u32_e32 v1, v1, v2
	s_delay_alu instid0(VALU_DEP_1)
	v_mad_u32 v4, v1, s44, v4
	v_mad_u32 v6, v1, s45, v6
	;; [unrolled: 1-line block ×3, first 2 shown]
	s_branch .LBB73_27
.LBB73_25:
                                        ; implicit-def: $vgpr5
                                        ; implicit-def: $vgpr6
                                        ; implicit-def: $vgpr4
	s_branch .LBB73_28
.LBB73_26:
	v_dual_mov_b32 v5, 0 :: v_dual_mov_b32 v6, 0
	v_mov_b32_e32 v4, 0
.LBB73_27:
	s_cbranch_execnz .LBB73_30
.LBB73_28:
	v_mov_b32_e32 v1, 0
	s_and_not1_b32 vcc_lo, exec_lo, s33
	s_delay_alu instid0(VALU_DEP_1) | instskip(NEXT) | instid1(VALU_DEP_1)
	v_mul_u64_e32 v[2:3], s[22:23], v[0:1]
	v_add_nc_u32_e32 v2, v0, v3
	s_delay_alu instid0(VALU_DEP_1) | instskip(NEXT) | instid1(VALU_DEP_1)
	v_lshrrev_b32_e32 v2, s10, v2
	v_mul_lo_u32 v3, v2, s8
	s_delay_alu instid0(VALU_DEP_1) | instskip(NEXT) | instid1(VALU_DEP_1)
	v_sub_nc_u32_e32 v3, v0, v3
	v_mul_lo_u32 v4, v3, s12
	v_mul_lo_u32 v5, v3, s14
	;; [unrolled: 1-line block ×3, first 2 shown]
	s_cbranch_vccnz .LBB73_30
; %bb.29:
	v_mov_b32_e32 v3, v1
	s_delay_alu instid0(VALU_DEP_1) | instskip(NEXT) | instid1(VALU_DEP_1)
	v_mul_u64_e32 v[8:9], s[24:25], v[2:3]
	v_add_nc_u32_e32 v1, v2, v9
	s_delay_alu instid0(VALU_DEP_1) | instskip(NEXT) | instid1(VALU_DEP_1)
	v_lshrrev_b32_e32 v1, s19, v1
	v_mul_lo_u32 v1, v1, s11
	s_delay_alu instid0(VALU_DEP_1) | instskip(NEXT) | instid1(VALU_DEP_1)
	v_sub_nc_u32_e32 v1, v2, v1
	v_mad_u32 v4, v1, s15, v4
	v_mad_u32 v6, v1, s20, v6
	;; [unrolled: 1-line block ×3, first 2 shown]
.LBB73_30:
	global_load_b32 v1, v5, s[4:5]
	global_load_u16 v3, v6, s[2:3]
	s_mov_b32 s18, exec_lo
	s_wait_loadcnt 0x0
	v_dual_mul_f32 v2, s6, v1 :: v_dual_lshlrev_b32 v1, 16, v3
	s_wait_xcnt 0x0
	s_delay_alu instid0(VALU_DEP_1)
	v_cmpx_nlt_f32_e32 s7, v2
	s_cbranch_execz .LBB73_32
; %bb.31:
	v_mul_f32_e32 v3, 0x3fb8aa3b, v2
	v_cmp_ngt_f32_e32 vcc_lo, 0xc2ce8ed0, v2
	s_delay_alu instid0(VALU_DEP_2) | instskip(SKIP_1) | instid1(VALU_DEP_1)
	v_rndne_f32_e32 v5, v3
	v_fma_f32 v6, 0x3fb8aa3b, v2, -v3
	v_dual_sub_f32 v3, v3, v5 :: v_dual_fmamk_f32 v6, v2, 0x32a5705f, v6
	v_cvt_i32_f32_e32 v5, v5
	s_delay_alu instid0(VALU_DEP_2) | instskip(NEXT) | instid1(VALU_DEP_1)
	v_add_f32_e32 v3, v3, v6
	v_exp_f32_e32 v3, v3
	v_nop
	s_delay_alu instid0(TRANS32_DEP_1) | instskip(NEXT) | instid1(VALU_DEP_1)
	v_ldexp_f32 v3, v3, v5
	v_cndmask_b32_e32 v3, 0, v3, vcc_lo
	v_cmp_nlt_f32_e32 vcc_lo, 0x42b17218, v2
	s_delay_alu instid0(VALU_DEP_2) | instskip(NEXT) | instid1(VALU_DEP_1)
	v_cndmask_b32_e32 v2, 0x7f800000, v3, vcc_lo
	v_dual_mul_f32 v1, v2, v1 :: v_dual_add_f32 v2, 1.0, v2
	s_delay_alu instid0(VALU_DEP_1) | instskip(NEXT) | instid1(VALU_DEP_1)
	v_div_scale_f32 v3, null, v2, v2, v1
	v_rcp_f32_e32 v5, v3
	v_nop
	s_delay_alu instid0(TRANS32_DEP_1) | instskip(NEXT) | instid1(VALU_DEP_1)
	v_fma_f32 v6, -v3, v5, 1.0
	v_fmac_f32_e32 v5, v6, v5
	v_div_scale_f32 v6, vcc_lo, v1, v2, v1
	s_delay_alu instid0(VALU_DEP_1) | instskip(NEXT) | instid1(VALU_DEP_1)
	v_mul_f32_e32 v7, v6, v5
	v_fma_f32 v8, -v3, v7, v6
	s_delay_alu instid0(VALU_DEP_1) | instskip(NEXT) | instid1(VALU_DEP_1)
	v_fmac_f32_e32 v7, v8, v5
	v_fma_f32 v3, -v3, v7, v6
	s_delay_alu instid0(VALU_DEP_1) | instskip(NEXT) | instid1(VALU_DEP_1)
	v_div_fmas_f32 v3, v3, v5, v7
	v_div_fixup_f32 v1, v3, v2, v1
.LBB73_32:
	s_or_b32 exec_lo, exec_lo, s18
	s_delay_alu instid0(VALU_DEP_1) | instskip(SKIP_2) | instid1(VALU_DEP_3)
	v_bfe_u32 v2, v1, 16, 1
	v_cmp_o_f32_e32 vcc_lo, v1, v1
	v_add_nc_u32_e32 v0, 0x80, v0
	v_add3_u32 v2, v1, v2, 0x7fff
	s_delay_alu instid0(VALU_DEP_1) | instskip(NEXT) | instid1(VALU_DEP_1)
	v_lshrrev_b32_e32 v2, 16, v2
	v_cndmask_b32_e32 v1, 0x7fc0, v2, vcc_lo
	global_store_b16 v4, v1, s[0:1]
	s_wait_xcnt 0x0
	s_or_b32 exec_lo, exec_lo, s9
	s_delay_alu instid0(SALU_CYCLE_1)
	s_mov_b32 s9, exec_lo
	v_cmpx_gt_i32_e64 s35, v0
	s_cbranch_execz .LBB73_4
.LBB73_33:
	s_and_not1_b32 vcc_lo, exec_lo, s30
	s_cbranch_vccnz .LBB73_39
; %bb.34:
	s_and_not1_b32 vcc_lo, exec_lo, s36
	s_cbranch_vccnz .LBB73_40
; %bb.35:
	v_dual_mov_b32 v4, 0 :: v_dual_mov_b32 v1, v0
	v_dual_mov_b32 v6, 0 :: v_dual_mov_b32 v5, 0
	s_add_co_i32 s18, s34, 1
	s_mov_b64 s[26:27], 0xffffffffffffffe8
	s_and_b32 s18, s18, 30
	s_add_nc_u64 s[26:27], s[16:17], s[26:27]
.LBB73_36:                              ; =>This Inner Loop Header: Depth=1
	s_clause 0x1
	s_load_b128 s[40:43], s[26:27], 0x1c
	s_load_b64 s[38:39], s[26:27], 0x2c
	s_add_co_i32 s18, s18, -2
	s_delay_alu instid0(SALU_CYCLE_1) | instskip(SKIP_2) | instid1(VALU_DEP_1)
	s_cmp_eq_u32 s18, 0
	s_wait_kmcnt 0x0
	v_mul_hi_u32 v2, s41, v1
	v_add_nc_u32_e32 v2, v1, v2
	s_delay_alu instid0(VALU_DEP_1) | instskip(NEXT) | instid1(VALU_DEP_1)
	v_lshrrev_b32_e32 v2, s42, v2
	v_mul_hi_u32 v3, s38, v2
	v_mul_lo_u32 v7, v2, s40
	s_clause 0x1
	s_load_b128 s[44:47], s[26:27], 0xdc
	s_load_b64 s[40:41], s[26:27], 0xec
	s_wait_xcnt 0x0
	s_add_nc_u64 s[26:27], s[26:27], 24
	s_delay_alu instid0(VALU_DEP_2) | instskip(NEXT) | instid1(VALU_DEP_2)
	v_add_nc_u32_e32 v3, v2, v3
	v_sub_nc_u32_e32 v7, v1, v7
	s_delay_alu instid0(VALU_DEP_2) | instskip(SKIP_1) | instid1(VALU_DEP_2)
	v_lshrrev_b32_e32 v1, s39, v3
	s_wait_kmcnt 0x0
	v_mad_u32 v4, v7, s44, v4
	s_delay_alu instid0(VALU_DEP_2) | instskip(SKIP_2) | instid1(VALU_DEP_3)
	v_mul_lo_u32 v3, v1, s43
	v_mad_u32 v5, v7, s46, v5
	v_mad_u32 v6, v7, s45, v6
	v_sub_nc_u32_e32 v2, v2, v3
	s_delay_alu instid0(VALU_DEP_1) | instskip(NEXT) | instid1(VALU_DEP_4)
	v_mad_u32 v4, v2, s47, v4
	v_mad_u32 v5, v2, s41, v5
	s_delay_alu instid0(VALU_DEP_4)
	v_mad_u32 v6, v2, s40, v6
	s_cbranch_scc0 .LBB73_36
; %bb.37:
	s_bitcmp1_b32 s34, 0
	s_cselect_b32 s18, -1, 0
	s_delay_alu instid0(SALU_CYCLE_1)
	s_and_b32 vcc_lo, exec_lo, s18
	s_cbranch_vccnz .LBB73_41
; %bb.38:
	s_clause 0x1
	s_load_b96 s[40:42], s[26:27], 0x1c
	s_load_b96 s[44:46], s[26:27], 0xdc
	s_wait_kmcnt 0x0
	v_mul_hi_u32 v2, s41, v1
	s_delay_alu instid0(VALU_DEP_1) | instskip(NEXT) | instid1(VALU_DEP_1)
	v_add_nc_u32_e32 v2, v1, v2
	v_lshrrev_b32_e32 v2, s42, v2
	s_delay_alu instid0(VALU_DEP_1) | instskip(NEXT) | instid1(VALU_DEP_1)
	v_mul_lo_u32 v2, v2, s40
	v_sub_nc_u32_e32 v1, v1, v2
	s_delay_alu instid0(VALU_DEP_1)
	v_mad_u32 v4, v1, s44, v4
	v_mad_u32 v6, v1, s45, v6
	;; [unrolled: 1-line block ×3, first 2 shown]
	s_branch .LBB73_41
.LBB73_39:
                                        ; implicit-def: $vgpr5
                                        ; implicit-def: $vgpr6
                                        ; implicit-def: $vgpr4
	s_branch .LBB73_42
.LBB73_40:
	v_dual_mov_b32 v5, 0 :: v_dual_mov_b32 v6, 0
	v_mov_b32_e32 v4, 0
.LBB73_41:
	s_cbranch_execnz .LBB73_44
.LBB73_42:
	v_mov_b32_e32 v1, 0
	s_and_not1_b32 vcc_lo, exec_lo, s33
	s_delay_alu instid0(VALU_DEP_1) | instskip(NEXT) | instid1(VALU_DEP_1)
	v_mul_u64_e32 v[2:3], s[22:23], v[0:1]
	v_add_nc_u32_e32 v2, v0, v3
	s_delay_alu instid0(VALU_DEP_1) | instskip(NEXT) | instid1(VALU_DEP_1)
	v_lshrrev_b32_e32 v2, s10, v2
	v_mul_lo_u32 v3, v2, s8
	s_delay_alu instid0(VALU_DEP_1) | instskip(NEXT) | instid1(VALU_DEP_1)
	v_sub_nc_u32_e32 v3, v0, v3
	v_mul_lo_u32 v4, v3, s12
	v_mul_lo_u32 v5, v3, s14
	;; [unrolled: 1-line block ×3, first 2 shown]
	s_cbranch_vccnz .LBB73_44
; %bb.43:
	v_mov_b32_e32 v3, v1
	s_delay_alu instid0(VALU_DEP_1) | instskip(NEXT) | instid1(VALU_DEP_1)
	v_mul_u64_e32 v[8:9], s[24:25], v[2:3]
	v_add_nc_u32_e32 v1, v2, v9
	s_delay_alu instid0(VALU_DEP_1) | instskip(NEXT) | instid1(VALU_DEP_1)
	v_lshrrev_b32_e32 v1, s19, v1
	v_mul_lo_u32 v1, v1, s11
	s_delay_alu instid0(VALU_DEP_1) | instskip(NEXT) | instid1(VALU_DEP_1)
	v_sub_nc_u32_e32 v1, v2, v1
	v_mad_u32 v4, v1, s15, v4
	v_mad_u32 v6, v1, s20, v6
	;; [unrolled: 1-line block ×3, first 2 shown]
.LBB73_44:
	global_load_b32 v1, v5, s[4:5]
	global_load_u16 v3, v6, s[2:3]
	s_mov_b32 s18, exec_lo
	s_wait_loadcnt 0x0
	v_dual_mul_f32 v2, s6, v1 :: v_dual_lshlrev_b32 v1, 16, v3
	s_wait_xcnt 0x0
	s_delay_alu instid0(VALU_DEP_1)
	v_cmpx_nlt_f32_e32 s7, v2
	s_cbranch_execz .LBB73_46
; %bb.45:
	v_mul_f32_e32 v3, 0x3fb8aa3b, v2
	v_cmp_ngt_f32_e32 vcc_lo, 0xc2ce8ed0, v2
	s_delay_alu instid0(VALU_DEP_2) | instskip(SKIP_1) | instid1(VALU_DEP_1)
	v_rndne_f32_e32 v5, v3
	v_fma_f32 v6, 0x3fb8aa3b, v2, -v3
	v_dual_sub_f32 v3, v3, v5 :: v_dual_fmamk_f32 v6, v2, 0x32a5705f, v6
	v_cvt_i32_f32_e32 v5, v5
	s_delay_alu instid0(VALU_DEP_2) | instskip(NEXT) | instid1(VALU_DEP_1)
	v_add_f32_e32 v3, v3, v6
	v_exp_f32_e32 v3, v3
	v_nop
	s_delay_alu instid0(TRANS32_DEP_1) | instskip(NEXT) | instid1(VALU_DEP_1)
	v_ldexp_f32 v3, v3, v5
	v_cndmask_b32_e32 v3, 0, v3, vcc_lo
	v_cmp_nlt_f32_e32 vcc_lo, 0x42b17218, v2
	s_delay_alu instid0(VALU_DEP_2) | instskip(NEXT) | instid1(VALU_DEP_1)
	v_cndmask_b32_e32 v2, 0x7f800000, v3, vcc_lo
	v_dual_mul_f32 v1, v2, v1 :: v_dual_add_f32 v2, 1.0, v2
	s_delay_alu instid0(VALU_DEP_1) | instskip(NEXT) | instid1(VALU_DEP_1)
	v_div_scale_f32 v3, null, v2, v2, v1
	v_rcp_f32_e32 v5, v3
	v_nop
	s_delay_alu instid0(TRANS32_DEP_1) | instskip(NEXT) | instid1(VALU_DEP_1)
	v_fma_f32 v6, -v3, v5, 1.0
	v_fmac_f32_e32 v5, v6, v5
	v_div_scale_f32 v6, vcc_lo, v1, v2, v1
	s_delay_alu instid0(VALU_DEP_1) | instskip(NEXT) | instid1(VALU_DEP_1)
	v_mul_f32_e32 v7, v6, v5
	v_fma_f32 v8, -v3, v7, v6
	s_delay_alu instid0(VALU_DEP_1) | instskip(NEXT) | instid1(VALU_DEP_1)
	v_fmac_f32_e32 v7, v8, v5
	v_fma_f32 v3, -v3, v7, v6
	s_delay_alu instid0(VALU_DEP_1) | instskip(NEXT) | instid1(VALU_DEP_1)
	v_div_fmas_f32 v3, v3, v5, v7
	v_div_fixup_f32 v1, v3, v2, v1
.LBB73_46:
	s_or_b32 exec_lo, exec_lo, s18
	s_delay_alu instid0(VALU_DEP_1) | instskip(SKIP_2) | instid1(VALU_DEP_3)
	v_bfe_u32 v2, v1, 16, 1
	v_cmp_o_f32_e32 vcc_lo, v1, v1
	v_add_nc_u32_e32 v0, 0x80, v0
	v_add3_u32 v2, v1, v2, 0x7fff
	s_delay_alu instid0(VALU_DEP_1) | instskip(NEXT) | instid1(VALU_DEP_1)
	v_lshrrev_b32_e32 v2, 16, v2
	v_cndmask_b32_e32 v1, 0x7fc0, v2, vcc_lo
	global_store_b16 v4, v1, s[0:1]
	s_wait_xcnt 0x0
	s_or_b32 exec_lo, exec_lo, s9
	s_delay_alu instid0(SALU_CYCLE_1)
	s_mov_b32 s9, exec_lo
	v_cmpx_gt_i32_e64 s35, v0
	s_cbranch_execz .LBB73_61
.LBB73_47:
	s_and_not1_b32 vcc_lo, exec_lo, s30
	s_cbranch_vccnz .LBB73_53
; %bb.48:
	s_and_not1_b32 vcc_lo, exec_lo, s36
	s_cbranch_vccnz .LBB73_54
; %bb.49:
	v_dual_mov_b32 v4, 0 :: v_dual_mov_b32 v1, v0
	v_dual_mov_b32 v6, 0 :: v_dual_mov_b32 v5, 0
	s_add_co_i32 s18, s34, 1
	s_mov_b64 s[26:27], 0xffffffffffffffe8
	s_and_b32 s18, s18, 30
	s_add_nc_u64 s[26:27], s[16:17], s[26:27]
.LBB73_50:                              ; =>This Inner Loop Header: Depth=1
	s_clause 0x1
	s_load_b128 s[36:39], s[26:27], 0x1c
	s_load_b64 s[44:45], s[26:27], 0x2c
	s_add_co_i32 s18, s18, -2
	s_delay_alu instid0(SALU_CYCLE_1) | instskip(SKIP_2) | instid1(VALU_DEP_1)
	s_cmp_eq_u32 s18, 0
	s_wait_kmcnt 0x0
	v_mul_hi_u32 v2, s37, v1
	v_add_nc_u32_e32 v2, v1, v2
	s_delay_alu instid0(VALU_DEP_1) | instskip(NEXT) | instid1(VALU_DEP_1)
	v_lshrrev_b32_e32 v2, s38, v2
	v_mul_hi_u32 v3, s44, v2
	v_mul_lo_u32 v7, v2, s36
	s_clause 0x1
	s_load_b128 s[40:43], s[26:27], 0xdc
	s_load_b64 s[36:37], s[26:27], 0xec
	s_wait_xcnt 0x0
	s_add_nc_u64 s[26:27], s[26:27], 24
	s_delay_alu instid0(VALU_DEP_2) | instskip(NEXT) | instid1(VALU_DEP_2)
	v_add_nc_u32_e32 v3, v2, v3
	v_sub_nc_u32_e32 v7, v1, v7
	s_delay_alu instid0(VALU_DEP_2) | instskip(SKIP_1) | instid1(VALU_DEP_2)
	v_lshrrev_b32_e32 v1, s45, v3
	s_wait_kmcnt 0x0
	v_mad_u32 v4, v7, s40, v4
	s_delay_alu instid0(VALU_DEP_2) | instskip(SKIP_2) | instid1(VALU_DEP_3)
	v_mul_lo_u32 v3, v1, s39
	v_mad_u32 v5, v7, s42, v5
	v_mad_u32 v6, v7, s41, v6
	v_sub_nc_u32_e32 v2, v2, v3
	s_delay_alu instid0(VALU_DEP_1) | instskip(NEXT) | instid1(VALU_DEP_4)
	v_mad_u32 v4, v2, s43, v4
	v_mad_u32 v5, v2, s37, v5
	s_delay_alu instid0(VALU_DEP_4)
	v_mad_u32 v6, v2, s36, v6
	s_cbranch_scc0 .LBB73_50
; %bb.51:
	s_bitcmp1_b32 s34, 0
	s_cselect_b32 s18, -1, 0
	s_delay_alu instid0(SALU_CYCLE_1)
	s_and_b32 vcc_lo, exec_lo, s18
	s_cbranch_vccnz .LBB73_55
; %bb.52:
	s_clause 0x1
	s_load_b96 s[36:38], s[26:27], 0x1c
	s_load_b96 s[40:42], s[26:27], 0xdc
	s_wait_kmcnt 0x0
	v_mul_hi_u32 v2, s37, v1
	s_delay_alu instid0(VALU_DEP_1) | instskip(NEXT) | instid1(VALU_DEP_1)
	v_add_nc_u32_e32 v2, v1, v2
	v_lshrrev_b32_e32 v2, s38, v2
	s_delay_alu instid0(VALU_DEP_1) | instskip(NEXT) | instid1(VALU_DEP_1)
	v_mul_lo_u32 v2, v2, s36
	v_sub_nc_u32_e32 v1, v1, v2
	s_delay_alu instid0(VALU_DEP_1)
	v_mad_u32 v4, v1, s40, v4
	v_mad_u32 v6, v1, s41, v6
	;; [unrolled: 1-line block ×3, first 2 shown]
	s_branch .LBB73_55
.LBB73_53:
                                        ; implicit-def: $vgpr5
                                        ; implicit-def: $vgpr6
                                        ; implicit-def: $vgpr4
	s_branch .LBB73_56
.LBB73_54:
	v_dual_mov_b32 v5, 0 :: v_dual_mov_b32 v6, 0
	v_mov_b32_e32 v4, 0
.LBB73_55:
	s_cbranch_execnz .LBB73_58
.LBB73_56:
	v_mov_b32_e32 v1, 0
	s_and_not1_b32 vcc_lo, exec_lo, s33
	s_delay_alu instid0(VALU_DEP_1) | instskip(NEXT) | instid1(VALU_DEP_1)
	v_mul_u64_e32 v[2:3], s[22:23], v[0:1]
	v_add_nc_u32_e32 v2, v0, v3
	s_delay_alu instid0(VALU_DEP_1) | instskip(NEXT) | instid1(VALU_DEP_1)
	v_lshrrev_b32_e32 v2, s10, v2
	v_mul_lo_u32 v3, v2, s8
	s_delay_alu instid0(VALU_DEP_1) | instskip(NEXT) | instid1(VALU_DEP_1)
	v_sub_nc_u32_e32 v0, v0, v3
	v_mul_lo_u32 v4, v0, s12
	v_mul_lo_u32 v5, v0, s14
	;; [unrolled: 1-line block ×3, first 2 shown]
	s_cbranch_vccnz .LBB73_58
; %bb.57:
	v_mov_b32_e32 v3, v1
	s_delay_alu instid0(VALU_DEP_1) | instskip(NEXT) | instid1(VALU_DEP_1)
	v_mul_u64_e32 v[0:1], s[24:25], v[2:3]
	v_add_nc_u32_e32 v0, v2, v1
	s_delay_alu instid0(VALU_DEP_1) | instskip(NEXT) | instid1(VALU_DEP_1)
	v_lshrrev_b32_e32 v0, s19, v0
	v_mul_lo_u32 v0, v0, s11
	s_delay_alu instid0(VALU_DEP_1) | instskip(NEXT) | instid1(VALU_DEP_1)
	v_sub_nc_u32_e32 v0, v2, v0
	v_mad_u32 v4, v0, s15, v4
	v_mad_u32 v6, v0, s20, v6
	;; [unrolled: 1-line block ×3, first 2 shown]
.LBB73_58:
	global_load_b32 v0, v5, s[4:5]
	global_load_u16 v2, v6, s[2:3]
	s_wait_xcnt 0x0
	s_mov_b32 s2, exec_lo
	s_wait_loadcnt 0x0
	v_dual_mul_f32 v1, s6, v0 :: v_dual_lshlrev_b32 v0, 16, v2
	s_delay_alu instid0(VALU_DEP_1)
	v_cmpx_nlt_f32_e32 s7, v1
	s_cbranch_execz .LBB73_60
; %bb.59:
	v_mul_f32_e32 v2, 0x3fb8aa3b, v1
	v_cmp_ngt_f32_e32 vcc_lo, 0xc2ce8ed0, v1
	s_delay_alu instid0(VALU_DEP_2) | instskip(SKIP_1) | instid1(VALU_DEP_1)
	v_rndne_f32_e32 v3, v2
	v_fma_f32 v5, 0x3fb8aa3b, v1, -v2
	v_dual_sub_f32 v2, v2, v3 :: v_dual_fmamk_f32 v5, v1, 0x32a5705f, v5
	v_cvt_i32_f32_e32 v3, v3
	s_delay_alu instid0(VALU_DEP_2) | instskip(NEXT) | instid1(VALU_DEP_1)
	v_add_f32_e32 v2, v2, v5
	v_exp_f32_e32 v2, v2
	v_nop
	s_delay_alu instid0(TRANS32_DEP_1) | instskip(NEXT) | instid1(VALU_DEP_1)
	v_ldexp_f32 v2, v2, v3
	v_cndmask_b32_e32 v2, 0, v2, vcc_lo
	v_cmp_nlt_f32_e32 vcc_lo, 0x42b17218, v1
	s_delay_alu instid0(VALU_DEP_2) | instskip(NEXT) | instid1(VALU_DEP_1)
	v_cndmask_b32_e32 v1, 0x7f800000, v2, vcc_lo
	v_dual_mul_f32 v0, v1, v0 :: v_dual_add_f32 v1, 1.0, v1
	s_delay_alu instid0(VALU_DEP_1) | instskip(NEXT) | instid1(VALU_DEP_1)
	v_div_scale_f32 v2, null, v1, v1, v0
	v_rcp_f32_e32 v3, v2
	v_nop
	s_delay_alu instid0(TRANS32_DEP_1) | instskip(NEXT) | instid1(VALU_DEP_1)
	v_fma_f32 v5, -v2, v3, 1.0
	v_fmac_f32_e32 v3, v5, v3
	v_div_scale_f32 v5, vcc_lo, v0, v1, v0
	s_delay_alu instid0(VALU_DEP_1) | instskip(NEXT) | instid1(VALU_DEP_1)
	v_mul_f32_e32 v6, v5, v3
	v_fma_f32 v7, -v2, v6, v5
	s_delay_alu instid0(VALU_DEP_1) | instskip(NEXT) | instid1(VALU_DEP_1)
	v_fmac_f32_e32 v6, v7, v3
	v_fma_f32 v2, -v2, v6, v5
	s_delay_alu instid0(VALU_DEP_1) | instskip(NEXT) | instid1(VALU_DEP_1)
	v_div_fmas_f32 v2, v2, v3, v6
	v_div_fixup_f32 v0, v2, v1, v0
.LBB73_60:
	s_or_b32 exec_lo, exec_lo, s2
	s_delay_alu instid0(VALU_DEP_1) | instskip(SKIP_1) | instid1(VALU_DEP_2)
	v_bfe_u32 v1, v0, 16, 1
	v_cmp_o_f32_e32 vcc_lo, v0, v0
	v_add3_u32 v1, v0, v1, 0x7fff
	s_delay_alu instid0(VALU_DEP_1) | instskip(NEXT) | instid1(VALU_DEP_1)
	v_lshrrev_b32_e32 v1, 16, v1
	v_cndmask_b32_e32 v0, 0x7fc0, v1, vcc_lo
	global_store_b16 v4, v0, s[0:1]
.LBB73_61:
	s_wait_xcnt 0x0
	s_or_b32 exec_lo, exec_lo, s9
                                        ; implicit-def: $vgpr3
                                        ; implicit-def: $vgpr0
.LBB73_62:
	s_and_not1_saveexec_b32 s0, s31
	s_cbranch_execz .LBB73_69
; %bb.63:
	v_cndmask_b32_e64 v8, 0, 1, s30
	s_and_not1_b32 vcc_lo, exec_lo, s30
	s_cbranch_vccnz .LBB73_70
; %bb.64:
	s_cmp_lg_u32 s28, 0
	s_mov_b32 s2, 0
	s_cbranch_scc0 .LBB73_74
; %bb.65:
	s_min_u32 s3, s29, 15
	v_dual_mov_b32 v1, 0 :: v_dual_mov_b32 v2, v0
	v_dual_mov_b32 v5, 0 :: v_dual_mov_b32 v4, 0
	s_add_co_i32 s4, s3, 1
	s_mov_b64 s[0:1], 0xffffffffffffffe8
	s_and_b32 s4, s4, 30
	s_add_nc_u64 s[0:1], s[16:17], s[0:1]
.LBB73_66:                              ; =>This Inner Loop Header: Depth=1
	s_clause 0x1
	s_load_b128 s[8:11], s[0:1], 0x1c
	s_load_b64 s[6:7], s[0:1], 0x2c
	s_add_co_i32 s4, s4, -2
	s_delay_alu instid0(SALU_CYCLE_1) | instskip(SKIP_2) | instid1(VALU_DEP_1)
	s_cmp_lg_u32 s4, 0
	s_wait_kmcnt 0x0
	v_mul_hi_u32 v6, s9, v2
	v_add_nc_u32_e32 v6, v2, v6
	s_delay_alu instid0(VALU_DEP_1) | instskip(NEXT) | instid1(VALU_DEP_1)
	v_lshrrev_b32_e32 v6, s10, v6
	v_mul_hi_u32 v7, s6, v6
	v_mul_lo_u32 v9, v6, s8
	s_clause 0x1
	s_load_b128 s[12:15], s[0:1], 0xdc
	s_load_b64 s[8:9], s[0:1], 0xec
	s_wait_xcnt 0x0
	s_add_nc_u64 s[0:1], s[0:1], 24
	s_delay_alu instid0(VALU_DEP_2) | instskip(NEXT) | instid1(VALU_DEP_1)
	v_add_nc_u32_e32 v7, v6, v7
	v_dual_sub_nc_u32 v9, v2, v9 :: v_dual_lshrrev_b32 v2, s7, v7
	s_wait_kmcnt 0x0
	s_delay_alu instid0(VALU_DEP_1) | instskip(NEXT) | instid1(VALU_DEP_2)
	v_mad_u32 v1, v9, s12, v1
	v_mul_lo_u32 v7, v2, s11
	v_mad_u32 v4, v9, s14, v4
	v_mad_u32 v5, v9, s13, v5
	s_delay_alu instid0(VALU_DEP_3) | instskip(NEXT) | instid1(VALU_DEP_1)
	v_sub_nc_u32_e32 v6, v6, v7
	v_mad_u32 v1, v6, s15, v1
	s_delay_alu instid0(VALU_DEP_4) | instskip(NEXT) | instid1(VALU_DEP_4)
	v_mad_u32 v4, v6, s9, v4
	v_mad_u32 v5, v6, s8, v5
	s_cbranch_scc1 .LBB73_66
; %bb.67:
	s_bitcmp1_b32 s3, 0
	s_cselect_b32 s3, -1, 0
	s_delay_alu instid0(SALU_CYCLE_1)
	s_and_b32 vcc_lo, exec_lo, s3
	s_cbranch_vccnz .LBB73_71
; %bb.68:
	s_clause 0x1
	s_load_b96 s[4:6], s[0:1], 0x1c
	s_load_b96 s[8:10], s[0:1], 0xdc
	s_wait_kmcnt 0x0
	v_mul_hi_u32 v6, s5, v2
	s_delay_alu instid0(VALU_DEP_1) | instskip(NEXT) | instid1(VALU_DEP_1)
	v_add_nc_u32_e32 v6, v2, v6
	v_lshrrev_b32_e32 v6, s6, v6
	s_delay_alu instid0(VALU_DEP_1) | instskip(NEXT) | instid1(VALU_DEP_1)
	v_mul_lo_u32 v6, v6, s4
	v_sub_nc_u32_e32 v2, v2, v6
	s_delay_alu instid0(VALU_DEP_1)
	v_mad_u32 v1, v2, s8, v1
	v_mad_u32 v5, v2, s9, v5
	;; [unrolled: 1-line block ×3, first 2 shown]
	s_and_not1_b32 vcc_lo, exec_lo, s2
	s_cbranch_vccz .LBB73_72
	s_branch .LBB73_75
.LBB73_69:
	s_endpgm
.LBB73_70:
	s_mov_b32 s2, -1
                                        ; implicit-def: $vgpr4
                                        ; implicit-def: $vgpr5
                                        ; implicit-def: $vgpr1
.LBB73_71:
	s_delay_alu instid0(SALU_CYCLE_1)
	s_and_not1_b32 vcc_lo, exec_lo, s2
	s_cbranch_vccnz .LBB73_75
.LBB73_72:
	s_clause 0x1
	s_load_b96 s[0:2], s[16:17], 0x4
	s_load_b96 s[4:6], s[16:17], 0xc4
	s_cmp_lt_u32 s28, 2
	s_wait_kmcnt 0x0
	v_mul_hi_u32 v1, s1, v0
	s_delay_alu instid0(VALU_DEP_1) | instskip(NEXT) | instid1(VALU_DEP_1)
	v_add_nc_u32_e32 v1, v0, v1
	v_lshrrev_b32_e32 v2, s2, v1
	s_delay_alu instid0(VALU_DEP_1) | instskip(NEXT) | instid1(VALU_DEP_1)
	v_mul_lo_u32 v1, v2, s0
	v_sub_nc_u32_e32 v5, v0, v1
	s_delay_alu instid0(VALU_DEP_1)
	v_mul_lo_u32 v1, v5, s4
	v_mul_lo_u32 v4, v5, s6
	;; [unrolled: 1-line block ×3, first 2 shown]
	s_cbranch_scc1 .LBB73_75
; %bb.73:
	s_clause 0x1
	s_load_b96 s[0:2], s[16:17], 0x10
	s_load_b96 s[4:6], s[16:17], 0xd0
	s_wait_kmcnt 0x0
	v_mul_hi_u32 v6, s1, v2
	s_delay_alu instid0(VALU_DEP_1) | instskip(NEXT) | instid1(VALU_DEP_1)
	v_add_nc_u32_e32 v6, v2, v6
	v_lshrrev_b32_e32 v6, s2, v6
	s_delay_alu instid0(VALU_DEP_1) | instskip(NEXT) | instid1(VALU_DEP_1)
	v_mul_lo_u32 v6, v6, s0
	v_sub_nc_u32_e32 v2, v2, v6
	s_delay_alu instid0(VALU_DEP_1)
	v_mad_u32 v1, v2, s4, v1
	v_mad_u32 v5, v2, s5, v5
	;; [unrolled: 1-line block ×3, first 2 shown]
	s_branch .LBB73_75
.LBB73_74:
	v_dual_mov_b32 v4, 0 :: v_dual_mov_b32 v5, 0
	v_mov_b32_e32 v1, 0
	s_and_not1_b32 vcc_lo, exec_lo, s2
	s_cbranch_vccz .LBB73_72
.LBB73_75:
	v_cmp_ne_u32_e32 vcc_lo, 1, v8
	v_add_nc_u32_e32 v9, 0x80, v0
	s_cbranch_vccnz .LBB73_81
; %bb.76:
	s_cmp_lg_u32 s28, 0
	s_mov_b32 s2, 0
	s_cbranch_scc0 .LBB73_85
; %bb.77:
	s_min_u32 s3, s29, 15
	v_dual_mov_b32 v2, 0 :: v_dual_mov_b32 v10, v9
	v_dual_mov_b32 v7, 0 :: v_dual_mov_b32 v6, 0
	s_add_co_i32 s4, s3, 1
	s_mov_b64 s[0:1], 0xffffffffffffffe8
	s_and_b32 s4, s4, 30
	s_add_nc_u64 s[0:1], s[16:17], s[0:1]
.LBB73_78:                              ; =>This Inner Loop Header: Depth=1
	s_clause 0x1
	s_load_b128 s[8:11], s[0:1], 0x1c
	s_load_b64 s[6:7], s[0:1], 0x2c
	s_add_co_i32 s4, s4, -2
	s_delay_alu instid0(SALU_CYCLE_1) | instskip(SKIP_2) | instid1(VALU_DEP_1)
	s_cmp_lg_u32 s4, 0
	s_wait_kmcnt 0x0
	v_mul_hi_u32 v11, s9, v10
	v_add_nc_u32_e32 v11, v10, v11
	s_delay_alu instid0(VALU_DEP_1) | instskip(NEXT) | instid1(VALU_DEP_1)
	v_lshrrev_b32_e32 v11, s10, v11
	v_mul_hi_u32 v12, s6, v11
	v_mul_lo_u32 v13, v11, s8
	s_clause 0x1
	s_load_b128 s[12:15], s[0:1], 0xdc
	s_load_b64 s[8:9], s[0:1], 0xec
	s_wait_xcnt 0x0
	s_add_nc_u64 s[0:1], s[0:1], 24
	s_delay_alu instid0(VALU_DEP_1) | instskip(NEXT) | instid1(VALU_DEP_1)
	v_dual_add_nc_u32 v12, v11, v12 :: v_dual_sub_nc_u32 v13, v10, v13
	v_lshrrev_b32_e32 v10, s7, v12
	s_wait_kmcnt 0x0
	s_delay_alu instid0(VALU_DEP_2) | instskip(NEXT) | instid1(VALU_DEP_2)
	v_mad_u32 v2, v13, s12, v2
	v_mul_lo_u32 v12, v10, s11
	v_mad_u32 v6, v13, s14, v6
	v_mad_u32 v7, v13, s13, v7
	s_delay_alu instid0(VALU_DEP_3) | instskip(NEXT) | instid1(VALU_DEP_1)
	v_sub_nc_u32_e32 v11, v11, v12
	v_mad_u32 v2, v11, s15, v2
	s_delay_alu instid0(VALU_DEP_4) | instskip(NEXT) | instid1(VALU_DEP_4)
	v_mad_u32 v6, v11, s9, v6
	v_mad_u32 v7, v11, s8, v7
	s_cbranch_scc1 .LBB73_78
; %bb.79:
	s_bitcmp1_b32 s3, 0
	s_cselect_b32 s3, -1, 0
	s_delay_alu instid0(SALU_CYCLE_1)
	s_and_b32 vcc_lo, exec_lo, s3
	s_cbranch_vccnz .LBB73_82
; %bb.80:
	s_clause 0x1
	s_load_b96 s[4:6], s[0:1], 0x1c
	s_load_b96 s[8:10], s[0:1], 0xdc
	s_wait_kmcnt 0x0
	v_mul_hi_u32 v11, s5, v10
	s_delay_alu instid0(VALU_DEP_1) | instskip(NEXT) | instid1(VALU_DEP_1)
	v_add_nc_u32_e32 v11, v10, v11
	v_lshrrev_b32_e32 v11, s6, v11
	s_delay_alu instid0(VALU_DEP_1) | instskip(NEXT) | instid1(VALU_DEP_1)
	v_mul_lo_u32 v11, v11, s4
	v_sub_nc_u32_e32 v10, v10, v11
	s_delay_alu instid0(VALU_DEP_1)
	v_mad_u32 v2, v10, s8, v2
	v_mad_u32 v7, v10, s9, v7
	v_mad_u32 v6, v10, s10, v6
	s_and_not1_b32 vcc_lo, exec_lo, s2
	s_cbranch_vccz .LBB73_83
	s_branch .LBB73_86
.LBB73_81:
	s_mov_b32 s2, -1
                                        ; implicit-def: $vgpr6
                                        ; implicit-def: $vgpr7
                                        ; implicit-def: $vgpr2
.LBB73_82:
	s_delay_alu instid0(SALU_CYCLE_1)
	s_and_not1_b32 vcc_lo, exec_lo, s2
	s_cbranch_vccnz .LBB73_86
.LBB73_83:
	s_clause 0x1
	s_load_b96 s[0:2], s[16:17], 0x4
	s_load_b96 s[4:6], s[16:17], 0xc4
	s_cmp_lt_u32 s28, 2
	s_wait_kmcnt 0x0
	v_mul_hi_u32 v2, s1, v9
	s_delay_alu instid0(VALU_DEP_1) | instskip(NEXT) | instid1(VALU_DEP_1)
	v_add_nc_u32_e32 v2, v9, v2
	v_lshrrev_b32_e32 v10, s2, v2
	s_delay_alu instid0(VALU_DEP_1) | instskip(NEXT) | instid1(VALU_DEP_1)
	v_mul_lo_u32 v2, v10, s0
	v_sub_nc_u32_e32 v7, v9, v2
	s_delay_alu instid0(VALU_DEP_1)
	v_mul_lo_u32 v2, v7, s4
	v_mul_lo_u32 v6, v7, s6
	;; [unrolled: 1-line block ×3, first 2 shown]
	s_cbranch_scc1 .LBB73_86
; %bb.84:
	s_clause 0x1
	s_load_b96 s[0:2], s[16:17], 0x10
	s_load_b96 s[4:6], s[16:17], 0xd0
	s_wait_kmcnt 0x0
	v_mul_hi_u32 v9, s1, v10
	s_delay_alu instid0(VALU_DEP_1) | instskip(NEXT) | instid1(VALU_DEP_1)
	v_add_nc_u32_e32 v9, v10, v9
	v_lshrrev_b32_e32 v9, s2, v9
	s_delay_alu instid0(VALU_DEP_1) | instskip(NEXT) | instid1(VALU_DEP_1)
	v_mul_lo_u32 v9, v9, s0
	v_sub_nc_u32_e32 v9, v10, v9
	s_delay_alu instid0(VALU_DEP_1)
	v_mad_u32 v2, v9, s4, v2
	v_mad_u32 v7, v9, s5, v7
	;; [unrolled: 1-line block ×3, first 2 shown]
	s_branch .LBB73_86
.LBB73_85:
	v_dual_mov_b32 v6, 0 :: v_dual_mov_b32 v7, 0
	v_mov_b32_e32 v2, 0
	s_and_not1_b32 vcc_lo, exec_lo, s2
	s_cbranch_vccz .LBB73_83
.LBB73_86:
	v_cmp_ne_u32_e32 vcc_lo, 1, v8
	v_add_nc_u32_e32 v11, 0x100, v0
	s_cbranch_vccnz .LBB73_92
; %bb.87:
	s_cmp_lg_u32 s28, 0
	s_mov_b32 s2, 0
	s_cbranch_scc0 .LBB73_96
; %bb.88:
	s_min_u32 s3, s29, 15
	v_dual_mov_b32 v0, 0 :: v_dual_mov_b32 v12, v11
	v_dual_mov_b32 v10, 0 :: v_dual_mov_b32 v9, 0
	s_add_co_i32 s4, s3, 1
	s_mov_b64 s[0:1], 0xffffffffffffffe8
	s_and_b32 s4, s4, 30
	s_add_nc_u64 s[0:1], s[16:17], s[0:1]
.LBB73_89:                              ; =>This Inner Loop Header: Depth=1
	s_clause 0x1
	s_load_b128 s[8:11], s[0:1], 0x1c
	s_load_b64 s[6:7], s[0:1], 0x2c
	s_add_co_i32 s4, s4, -2
	s_delay_alu instid0(SALU_CYCLE_1) | instskip(SKIP_2) | instid1(VALU_DEP_1)
	s_cmp_lg_u32 s4, 0
	s_wait_kmcnt 0x0
	v_mul_hi_u32 v13, s9, v12
	v_add_nc_u32_e32 v13, v12, v13
	s_delay_alu instid0(VALU_DEP_1) | instskip(NEXT) | instid1(VALU_DEP_1)
	v_lshrrev_b32_e32 v13, s10, v13
	v_mul_hi_u32 v14, s6, v13
	v_mul_lo_u32 v15, v13, s8
	s_clause 0x1
	s_load_b128 s[12:15], s[0:1], 0xdc
	s_load_b64 s[8:9], s[0:1], 0xec
	s_wait_xcnt 0x0
	s_add_nc_u64 s[0:1], s[0:1], 24
	s_delay_alu instid0(VALU_DEP_1) | instskip(NEXT) | instid1(VALU_DEP_1)
	v_dual_add_nc_u32 v14, v13, v14 :: v_dual_sub_nc_u32 v15, v12, v15
	v_lshrrev_b32_e32 v12, s7, v14
	s_wait_kmcnt 0x0
	s_delay_alu instid0(VALU_DEP_2) | instskip(NEXT) | instid1(VALU_DEP_2)
	v_mad_u32 v0, v15, s12, v0
	v_mul_lo_u32 v14, v12, s11
	v_mad_u32 v9, v15, s14, v9
	v_mad_u32 v10, v15, s13, v10
	s_delay_alu instid0(VALU_DEP_3) | instskip(NEXT) | instid1(VALU_DEP_1)
	v_sub_nc_u32_e32 v13, v13, v14
	v_mad_u32 v0, v13, s15, v0
	s_delay_alu instid0(VALU_DEP_4) | instskip(NEXT) | instid1(VALU_DEP_4)
	v_mad_u32 v9, v13, s9, v9
	v_mad_u32 v10, v13, s8, v10
	s_cbranch_scc1 .LBB73_89
; %bb.90:
	s_bitcmp1_b32 s3, 0
	s_cselect_b32 s3, -1, 0
	s_delay_alu instid0(SALU_CYCLE_1)
	s_and_b32 vcc_lo, exec_lo, s3
	s_cbranch_vccnz .LBB73_93
; %bb.91:
	s_clause 0x1
	s_load_b96 s[4:6], s[0:1], 0x1c
	s_load_b96 s[8:10], s[0:1], 0xdc
	s_wait_kmcnt 0x0
	v_mul_hi_u32 v13, s5, v12
	s_delay_alu instid0(VALU_DEP_1) | instskip(NEXT) | instid1(VALU_DEP_1)
	v_add_nc_u32_e32 v13, v12, v13
	v_lshrrev_b32_e32 v13, s6, v13
	s_delay_alu instid0(VALU_DEP_1) | instskip(NEXT) | instid1(VALU_DEP_1)
	v_mul_lo_u32 v13, v13, s4
	v_sub_nc_u32_e32 v12, v12, v13
	s_delay_alu instid0(VALU_DEP_1)
	v_mad_u32 v0, v12, s8, v0
	v_mad_u32 v10, v12, s9, v10
	;; [unrolled: 1-line block ×3, first 2 shown]
	s_and_not1_b32 vcc_lo, exec_lo, s2
	s_cbranch_vccz .LBB73_94
	s_branch .LBB73_97
.LBB73_92:
	s_mov_b32 s2, -1
                                        ; implicit-def: $vgpr9
                                        ; implicit-def: $vgpr10
                                        ; implicit-def: $vgpr0
.LBB73_93:
	s_delay_alu instid0(SALU_CYCLE_1)
	s_and_not1_b32 vcc_lo, exec_lo, s2
	s_cbranch_vccnz .LBB73_97
.LBB73_94:
	s_clause 0x1
	s_load_b96 s[0:2], s[16:17], 0x4
	s_load_b96 s[4:6], s[16:17], 0xc4
	s_cmp_lt_u32 s28, 2
	s_wait_kmcnt 0x0
	v_mul_hi_u32 v0, s1, v11
	s_delay_alu instid0(VALU_DEP_1) | instskip(NEXT) | instid1(VALU_DEP_1)
	v_add_nc_u32_e32 v0, v11, v0
	v_lshrrev_b32_e32 v12, s2, v0
	s_delay_alu instid0(VALU_DEP_1) | instskip(NEXT) | instid1(VALU_DEP_1)
	v_mul_lo_u32 v0, v12, s0
	v_sub_nc_u32_e32 v10, v11, v0
	s_delay_alu instid0(VALU_DEP_1)
	v_mul_lo_u32 v0, v10, s4
	v_mul_lo_u32 v9, v10, s6
	;; [unrolled: 1-line block ×3, first 2 shown]
	s_cbranch_scc1 .LBB73_97
; %bb.95:
	s_clause 0x1
	s_load_b96 s[0:2], s[16:17], 0x10
	s_load_b96 s[4:6], s[16:17], 0xd0
	s_wait_kmcnt 0x0
	v_mul_hi_u32 v11, s1, v12
	s_delay_alu instid0(VALU_DEP_1) | instskip(NEXT) | instid1(VALU_DEP_1)
	v_add_nc_u32_e32 v11, v12, v11
	v_lshrrev_b32_e32 v11, s2, v11
	s_delay_alu instid0(VALU_DEP_1) | instskip(NEXT) | instid1(VALU_DEP_1)
	v_mul_lo_u32 v11, v11, s0
	v_sub_nc_u32_e32 v11, v12, v11
	s_delay_alu instid0(VALU_DEP_1)
	v_mad_u32 v0, v11, s4, v0
	v_mad_u32 v10, v11, s5, v10
	;; [unrolled: 1-line block ×3, first 2 shown]
	s_branch .LBB73_97
.LBB73_96:
	v_dual_mov_b32 v9, 0 :: v_dual_mov_b32 v10, 0
	v_mov_b32_e32 v0, 0
	s_and_not1_b32 vcc_lo, exec_lo, s2
	s_cbranch_vccz .LBB73_94
.LBB73_97:
	v_cmp_ne_u32_e32 vcc_lo, 1, v8
	s_cbranch_vccnz .LBB73_103
; %bb.98:
	s_cmp_lg_u32 s28, 0
	s_mov_b32 s2, 0
	s_cbranch_scc0 .LBB73_107
; %bb.99:
	s_min_u32 s3, s29, 15
	v_dual_mov_b32 v8, 0 :: v_dual_mov_b32 v13, v3
	v_dual_mov_b32 v12, 0 :: v_dual_mov_b32 v11, 0
	s_add_co_i32 s4, s3, 1
	s_mov_b64 s[0:1], 0xffffffffffffffe8
	s_and_b32 s4, s4, 30
	s_add_nc_u64 s[0:1], s[16:17], s[0:1]
.LBB73_100:                             ; =>This Inner Loop Header: Depth=1
	s_clause 0x1
	s_load_b128 s[8:11], s[0:1], 0x1c
	s_load_b64 s[6:7], s[0:1], 0x2c
	s_add_co_i32 s4, s4, -2
	s_delay_alu instid0(SALU_CYCLE_1) | instskip(SKIP_2) | instid1(VALU_DEP_1)
	s_cmp_lg_u32 s4, 0
	s_wait_kmcnt 0x0
	v_mul_hi_u32 v14, s9, v13
	v_add_nc_u32_e32 v14, v13, v14
	s_delay_alu instid0(VALU_DEP_1) | instskip(NEXT) | instid1(VALU_DEP_1)
	v_lshrrev_b32_e32 v14, s10, v14
	v_mul_hi_u32 v15, s6, v14
	v_mul_lo_u32 v16, v14, s8
	s_clause 0x1
	s_load_b128 s[12:15], s[0:1], 0xdc
	s_load_b64 s[8:9], s[0:1], 0xec
	s_wait_xcnt 0x0
	s_add_nc_u64 s[0:1], s[0:1], 24
	s_delay_alu instid0(VALU_DEP_1) | instskip(NEXT) | instid1(VALU_DEP_1)
	v_dual_add_nc_u32 v15, v14, v15 :: v_dual_sub_nc_u32 v16, v13, v16
	v_lshrrev_b32_e32 v13, s7, v15
	s_wait_kmcnt 0x0
	s_delay_alu instid0(VALU_DEP_2) | instskip(NEXT) | instid1(VALU_DEP_2)
	v_mad_u32 v8, v16, s12, v8
	v_mul_lo_u32 v15, v13, s11
	v_mad_u32 v11, v16, s14, v11
	v_mad_u32 v12, v16, s13, v12
	s_delay_alu instid0(VALU_DEP_3) | instskip(NEXT) | instid1(VALU_DEP_1)
	v_sub_nc_u32_e32 v14, v14, v15
	v_mad_u32 v8, v14, s15, v8
	s_delay_alu instid0(VALU_DEP_4) | instskip(NEXT) | instid1(VALU_DEP_4)
	v_mad_u32 v11, v14, s9, v11
	v_mad_u32 v12, v14, s8, v12
	s_cbranch_scc1 .LBB73_100
; %bb.101:
	s_bitcmp1_b32 s3, 0
	s_cselect_b32 s3, -1, 0
	s_delay_alu instid0(SALU_CYCLE_1)
	s_and_b32 vcc_lo, exec_lo, s3
	s_cbranch_vccnz .LBB73_104
; %bb.102:
	s_clause 0x1
	s_load_b96 s[4:6], s[0:1], 0x1c
	s_load_b96 s[8:10], s[0:1], 0xdc
	s_wait_kmcnt 0x0
	v_mul_hi_u32 v14, s5, v13
	s_delay_alu instid0(VALU_DEP_1) | instskip(NEXT) | instid1(VALU_DEP_1)
	v_add_nc_u32_e32 v14, v13, v14
	v_lshrrev_b32_e32 v14, s6, v14
	s_delay_alu instid0(VALU_DEP_1) | instskip(NEXT) | instid1(VALU_DEP_1)
	v_mul_lo_u32 v14, v14, s4
	v_sub_nc_u32_e32 v13, v13, v14
	s_delay_alu instid0(VALU_DEP_1)
	v_mad_u32 v8, v13, s8, v8
	v_mad_u32 v12, v13, s9, v12
	;; [unrolled: 1-line block ×3, first 2 shown]
	s_and_not1_b32 vcc_lo, exec_lo, s2
	s_cbranch_vccz .LBB73_105
	s_branch .LBB73_108
.LBB73_103:
	s_mov_b32 s2, -1
                                        ; implicit-def: $vgpr11
                                        ; implicit-def: $vgpr12
                                        ; implicit-def: $vgpr8
.LBB73_104:
	s_delay_alu instid0(SALU_CYCLE_1)
	s_and_not1_b32 vcc_lo, exec_lo, s2
	s_cbranch_vccnz .LBB73_108
.LBB73_105:
	s_clause 0x1
	s_load_b96 s[0:2], s[16:17], 0x4
	s_load_b96 s[4:6], s[16:17], 0xc4
	s_cmp_lt_u32 s28, 2
	s_wait_kmcnt 0x0
	v_mul_hi_u32 v8, s1, v3
	s_delay_alu instid0(VALU_DEP_1) | instskip(NEXT) | instid1(VALU_DEP_1)
	v_add_nc_u32_e32 v8, v3, v8
	v_lshrrev_b32_e32 v13, s2, v8
	s_delay_alu instid0(VALU_DEP_1) | instskip(NEXT) | instid1(VALU_DEP_1)
	v_mul_lo_u32 v8, v13, s0
	v_sub_nc_u32_e32 v3, v3, v8
	s_delay_alu instid0(VALU_DEP_1)
	v_mul_lo_u32 v8, v3, s4
	v_mul_lo_u32 v11, v3, s6
	;; [unrolled: 1-line block ×3, first 2 shown]
	s_cbranch_scc1 .LBB73_108
; %bb.106:
	s_clause 0x1
	s_load_b96 s[0:2], s[16:17], 0x10
	s_load_b96 s[4:6], s[16:17], 0xd0
	s_wait_kmcnt 0x0
	v_mul_hi_u32 v3, s1, v13
	s_delay_alu instid0(VALU_DEP_1) | instskip(NEXT) | instid1(VALU_DEP_1)
	v_add_nc_u32_e32 v3, v13, v3
	v_lshrrev_b32_e32 v3, s2, v3
	s_delay_alu instid0(VALU_DEP_1) | instskip(NEXT) | instid1(VALU_DEP_1)
	v_mul_lo_u32 v3, v3, s0
	v_sub_nc_u32_e32 v3, v13, v3
	s_delay_alu instid0(VALU_DEP_1)
	v_mad_u32 v8, v3, s4, v8
	v_mad_u32 v12, v3, s5, v12
	;; [unrolled: 1-line block ×3, first 2 shown]
	s_branch .LBB73_108
.LBB73_107:
	v_dual_mov_b32 v11, 0 :: v_dual_mov_b32 v12, 0
	v_mov_b32_e32 v8, 0
	s_and_not1_b32 vcc_lo, exec_lo, s2
	s_cbranch_vccz .LBB73_105
.LBB73_108:
	s_load_b256 s[0:7], s[16:17], 0x188
	s_mov_b32 s8, exec_lo
	s_wait_kmcnt 0x0
	global_load_b32 v3, v4, s[4:5]
	global_load_u16 v13, v5, s[2:3]
	s_wait_loadcnt 0x0
	s_wait_xcnt 0x1
	v_dual_mul_f32 v4, s6, v3 :: v_dual_lshlrev_b32 v3, 16, v13
	s_wait_xcnt 0x0
	s_delay_alu instid0(VALU_DEP_1)
	v_cmpx_nlt_f32_e32 s7, v4
	s_cbranch_execz .LBB73_110
; %bb.109:
	v_mul_f32_e32 v5, 0x3fb8aa3b, v4
	v_cmp_ngt_f32_e32 vcc_lo, 0xc2ce8ed0, v4
	s_delay_alu instid0(VALU_DEP_2) | instskip(SKIP_1) | instid1(VALU_DEP_1)
	v_rndne_f32_e32 v13, v5
	v_fma_f32 v14, 0x3fb8aa3b, v4, -v5
	v_dual_sub_f32 v5, v5, v13 :: v_dual_fmamk_f32 v14, v4, 0x32a5705f, v14
	v_cvt_i32_f32_e32 v13, v13
	s_delay_alu instid0(VALU_DEP_2) | instskip(NEXT) | instid1(VALU_DEP_1)
	v_add_f32_e32 v5, v5, v14
	v_exp_f32_e32 v5, v5
	v_nop
	s_delay_alu instid0(TRANS32_DEP_1) | instskip(NEXT) | instid1(VALU_DEP_1)
	v_ldexp_f32 v5, v5, v13
	v_cndmask_b32_e32 v5, 0, v5, vcc_lo
	v_cmp_nlt_f32_e32 vcc_lo, 0x42b17218, v4
	s_delay_alu instid0(VALU_DEP_2) | instskip(NEXT) | instid1(VALU_DEP_1)
	v_cndmask_b32_e32 v4, 0x7f800000, v5, vcc_lo
	v_dual_mul_f32 v3, v4, v3 :: v_dual_add_f32 v4, 1.0, v4
	s_delay_alu instid0(VALU_DEP_1) | instskip(NEXT) | instid1(VALU_DEP_1)
	v_div_scale_f32 v5, null, v4, v4, v3
	v_rcp_f32_e32 v13, v5
	v_nop
	s_delay_alu instid0(TRANS32_DEP_1) | instskip(NEXT) | instid1(VALU_DEP_1)
	v_fma_f32 v14, -v5, v13, 1.0
	v_fmac_f32_e32 v13, v14, v13
	v_div_scale_f32 v14, vcc_lo, v3, v4, v3
	s_delay_alu instid0(VALU_DEP_1) | instskip(NEXT) | instid1(VALU_DEP_1)
	v_mul_f32_e32 v15, v14, v13
	v_fma_f32 v16, -v5, v15, v14
	s_delay_alu instid0(VALU_DEP_1) | instskip(NEXT) | instid1(VALU_DEP_1)
	v_fmac_f32_e32 v15, v16, v13
	v_fma_f32 v5, -v5, v15, v14
	s_delay_alu instid0(VALU_DEP_1) | instskip(NEXT) | instid1(VALU_DEP_1)
	v_div_fmas_f32 v5, v5, v13, v15
	v_div_fixup_f32 v3, v5, v4, v3
.LBB73_110:
	s_or_b32 exec_lo, exec_lo, s8
	global_load_b32 v4, v6, s[4:5]
	global_load_u16 v13, v7, s[2:3]
	s_mov_b32 s8, exec_lo
	s_wait_loadcnt 0x0
	v_dual_mul_f32 v5, s6, v4 :: v_dual_lshlrev_b32 v4, 16, v13
	s_wait_xcnt 0x0
	s_delay_alu instid0(VALU_DEP_1)
	v_cmpx_nlt_f32_e32 s7, v5
	s_cbranch_execz .LBB73_112
; %bb.111:
	v_mul_f32_e32 v6, 0x3fb8aa3b, v5
	v_cmp_ngt_f32_e32 vcc_lo, 0xc2ce8ed0, v5
	s_delay_alu instid0(VALU_DEP_2) | instskip(SKIP_1) | instid1(VALU_DEP_1)
	v_rndne_f32_e32 v7, v6
	v_fma_f32 v13, 0x3fb8aa3b, v5, -v6
	v_dual_sub_f32 v6, v6, v7 :: v_dual_fmamk_f32 v13, v5, 0x32a5705f, v13
	v_cvt_i32_f32_e32 v7, v7
	s_delay_alu instid0(VALU_DEP_2) | instskip(NEXT) | instid1(VALU_DEP_1)
	v_add_f32_e32 v6, v6, v13
	v_exp_f32_e32 v6, v6
	v_nop
	s_delay_alu instid0(TRANS32_DEP_1) | instskip(NEXT) | instid1(VALU_DEP_1)
	v_ldexp_f32 v6, v6, v7
	v_cndmask_b32_e32 v6, 0, v6, vcc_lo
	v_cmp_nlt_f32_e32 vcc_lo, 0x42b17218, v5
	s_delay_alu instid0(VALU_DEP_2) | instskip(NEXT) | instid1(VALU_DEP_1)
	v_cndmask_b32_e32 v5, 0x7f800000, v6, vcc_lo
	v_dual_mul_f32 v4, v5, v4 :: v_dual_add_f32 v5, 1.0, v5
	s_delay_alu instid0(VALU_DEP_1) | instskip(NEXT) | instid1(VALU_DEP_1)
	v_div_scale_f32 v6, null, v5, v5, v4
	v_rcp_f32_e32 v7, v6
	v_nop
	s_delay_alu instid0(TRANS32_DEP_1) | instskip(NEXT) | instid1(VALU_DEP_1)
	v_fma_f32 v13, -v6, v7, 1.0
	v_fmac_f32_e32 v7, v13, v7
	v_div_scale_f32 v13, vcc_lo, v4, v5, v4
	s_delay_alu instid0(VALU_DEP_1) | instskip(NEXT) | instid1(VALU_DEP_1)
	v_mul_f32_e32 v14, v13, v7
	v_fma_f32 v15, -v6, v14, v13
	s_delay_alu instid0(VALU_DEP_1) | instskip(NEXT) | instid1(VALU_DEP_1)
	v_fmac_f32_e32 v14, v15, v7
	v_fma_f32 v6, -v6, v14, v13
	s_delay_alu instid0(VALU_DEP_1) | instskip(NEXT) | instid1(VALU_DEP_1)
	v_div_fmas_f32 v6, v6, v7, v14
	v_div_fixup_f32 v4, v6, v5, v4
.LBB73_112:
	s_or_b32 exec_lo, exec_lo, s8
	global_load_b32 v5, v9, s[4:5]
	global_load_u16 v7, v10, s[2:3]
	s_mov_b32 s8, exec_lo
	s_wait_loadcnt 0x0
	v_dual_mul_f32 v6, s6, v5 :: v_dual_lshlrev_b32 v5, 16, v7
	s_wait_xcnt 0x0
	s_delay_alu instid0(VALU_DEP_1)
	v_cmpx_nlt_f32_e32 s7, v6
	s_cbranch_execz .LBB73_114
; %bb.113:
	v_mul_f32_e32 v7, 0x3fb8aa3b, v6
	v_cmp_ngt_f32_e32 vcc_lo, 0xc2ce8ed0, v6
	s_delay_alu instid0(VALU_DEP_2) | instskip(SKIP_1) | instid1(VALU_DEP_1)
	v_rndne_f32_e32 v9, v7
	v_fma_f32 v10, 0x3fb8aa3b, v6, -v7
	v_dual_sub_f32 v7, v7, v9 :: v_dual_fmamk_f32 v10, v6, 0x32a5705f, v10
	v_cvt_i32_f32_e32 v9, v9
	s_delay_alu instid0(VALU_DEP_2) | instskip(NEXT) | instid1(VALU_DEP_1)
	v_add_f32_e32 v7, v7, v10
	v_exp_f32_e32 v7, v7
	v_nop
	s_delay_alu instid0(TRANS32_DEP_1) | instskip(NEXT) | instid1(VALU_DEP_1)
	v_ldexp_f32 v7, v7, v9
	v_cndmask_b32_e32 v7, 0, v7, vcc_lo
	v_cmp_nlt_f32_e32 vcc_lo, 0x42b17218, v6
	s_delay_alu instid0(VALU_DEP_2) | instskip(NEXT) | instid1(VALU_DEP_1)
	v_cndmask_b32_e32 v6, 0x7f800000, v7, vcc_lo
	v_dual_mul_f32 v5, v6, v5 :: v_dual_add_f32 v6, 1.0, v6
	s_delay_alu instid0(VALU_DEP_1) | instskip(NEXT) | instid1(VALU_DEP_1)
	v_div_scale_f32 v7, null, v6, v6, v5
	v_rcp_f32_e32 v9, v7
	v_nop
	s_delay_alu instid0(TRANS32_DEP_1) | instskip(NEXT) | instid1(VALU_DEP_1)
	v_fma_f32 v10, -v7, v9, 1.0
	v_fmac_f32_e32 v9, v10, v9
	v_div_scale_f32 v10, vcc_lo, v5, v6, v5
	s_delay_alu instid0(VALU_DEP_1) | instskip(NEXT) | instid1(VALU_DEP_1)
	v_mul_f32_e32 v13, v10, v9
	v_fma_f32 v14, -v7, v13, v10
	s_delay_alu instid0(VALU_DEP_1) | instskip(NEXT) | instid1(VALU_DEP_1)
	v_fmac_f32_e32 v13, v14, v9
	v_fma_f32 v7, -v7, v13, v10
	s_delay_alu instid0(VALU_DEP_1) | instskip(NEXT) | instid1(VALU_DEP_1)
	v_div_fmas_f32 v7, v7, v9, v13
	v_div_fixup_f32 v5, v7, v6, v5
.LBB73_114:
	s_or_b32 exec_lo, exec_lo, s8
	global_load_b32 v6, v11, s[4:5]
	global_load_u16 v9, v12, s[2:3]
	s_wait_xcnt 0x0
	s_mov_b32 s2, exec_lo
	s_wait_loadcnt 0x0
	v_dual_mul_f32 v7, s6, v6 :: v_dual_lshlrev_b32 v6, 16, v9
	s_delay_alu instid0(VALU_DEP_1)
	v_cmpx_nlt_f32_e32 s7, v7
	s_cbranch_execz .LBB73_116
; %bb.115:
	v_mul_f32_e32 v9, 0x3fb8aa3b, v7
	v_cmp_ngt_f32_e32 vcc_lo, 0xc2ce8ed0, v7
	s_delay_alu instid0(VALU_DEP_2) | instskip(SKIP_1) | instid1(VALU_DEP_2)
	v_rndne_f32_e32 v10, v9
	v_fma_f32 v11, 0x3fb8aa3b, v7, -v9
	v_sub_f32_e32 v9, v9, v10
	s_delay_alu instid0(VALU_DEP_2) | instskip(SKIP_1) | instid1(VALU_DEP_2)
	v_fmamk_f32 v11, v7, 0x32a5705f, v11
	v_cvt_i32_f32_e32 v10, v10
	v_add_f32_e32 v9, v9, v11
	s_delay_alu instid0(VALU_DEP_1) | instskip(SKIP_1) | instid1(TRANS32_DEP_1)
	v_exp_f32_e32 v9, v9
	v_nop
	v_ldexp_f32 v9, v9, v10
	s_delay_alu instid0(VALU_DEP_1) | instskip(SKIP_1) | instid1(VALU_DEP_2)
	v_cndmask_b32_e32 v9, 0, v9, vcc_lo
	v_cmp_nlt_f32_e32 vcc_lo, 0x42b17218, v7
	v_cndmask_b32_e32 v7, 0x7f800000, v9, vcc_lo
	s_delay_alu instid0(VALU_DEP_1) | instskip(NEXT) | instid1(VALU_DEP_1)
	v_dual_mul_f32 v6, v7, v6 :: v_dual_add_f32 v7, 1.0, v7
	v_div_scale_f32 v9, null, v7, v7, v6
	s_delay_alu instid0(VALU_DEP_1) | instskip(SKIP_1) | instid1(TRANS32_DEP_1)
	v_rcp_f32_e32 v10, v9
	v_nop
	v_fma_f32 v11, -v9, v10, 1.0
	s_delay_alu instid0(VALU_DEP_1) | instskip(SKIP_1) | instid1(VALU_DEP_1)
	v_fmac_f32_e32 v10, v11, v10
	v_div_scale_f32 v11, vcc_lo, v6, v7, v6
	v_mul_f32_e32 v12, v11, v10
	s_delay_alu instid0(VALU_DEP_1) | instskip(NEXT) | instid1(VALU_DEP_1)
	v_fma_f32 v13, -v9, v12, v11
	v_fmac_f32_e32 v12, v13, v10
	s_delay_alu instid0(VALU_DEP_1) | instskip(NEXT) | instid1(VALU_DEP_1)
	v_fma_f32 v9, -v9, v12, v11
	v_div_fmas_f32 v9, v9, v10, v12
	s_delay_alu instid0(VALU_DEP_1)
	v_div_fixup_f32 v6, v9, v7, v6
.LBB73_116:
	s_or_b32 exec_lo, exec_lo, s2
	v_bfe_u32 v7, v3, 16, 1
	v_bfe_u32 v9, v4, 16, 1
	;; [unrolled: 1-line block ×3, first 2 shown]
	v_cmp_o_f32_e32 vcc_lo, v3, v3
	v_bfe_u32 v11, v6, 16, 1
	v_add3_u32 v7, v3, v7, 0x7fff
	v_add3_u32 v9, v4, v9, 0x7fff
	;; [unrolled: 1-line block ×3, first 2 shown]
	s_delay_alu instid0(VALU_DEP_4) | instskip(NEXT) | instid1(VALU_DEP_3)
	v_add3_u32 v11, v6, v11, 0x7fff
	v_dual_lshrrev_b32 v7, 16, v7 :: v_dual_lshrrev_b32 v9, 16, v9
	s_delay_alu instid0(VALU_DEP_2) | instskip(NEXT) | instid1(VALU_DEP_2)
	v_dual_lshrrev_b32 v10, 16, v10 :: v_dual_lshrrev_b32 v11, 16, v11
	v_cndmask_b32_e32 v3, 0x7fc0, v7, vcc_lo
	v_cmp_o_f32_e32 vcc_lo, v4, v4
	s_delay_alu instid0(VALU_DEP_4)
	v_cndmask_b32_e32 v4, 0x7fc0, v9, vcc_lo
	v_cmp_o_f32_e32 vcc_lo, v5, v5
	v_cndmask_b32_e32 v5, 0x7fc0, v10, vcc_lo
	v_cmp_o_f32_e32 vcc_lo, v6, v6
	v_cndmask_b32_e32 v6, 0x7fc0, v11, vcc_lo
	s_clause 0x3
	global_store_b16 v1, v3, s[0:1]
	global_store_b16 v2, v4, s[0:1]
	;; [unrolled: 1-line block ×4, first 2 shown]
	s_endpgm
	.section	.rodata,"a",@progbits
	.p2align	6, 0x0
	.amdhsa_kernel _ZN2at6native32elementwise_kernel_manual_unrollILi128ELi4EZNS0_12_GLOBAL__N_142type_specialized_broadcast_kernel_launcherILi2EE5applyIZZZNS2_24softplus_backward_kernelERNS_18TensorIteratorBaseERKN3c106ScalarESB_ENKUlvE_clEvENKUlvE0_clEvEUlffE_St5arrayIPcLm3EESF_INS8_10ScalarTypeELm3EE16OffsetCalculatorILi3EjLb0EEEEvlT_T0_T1_T2_EUlibE_EEviSO_
		.amdhsa_group_segment_fixed_size 0
		.amdhsa_private_segment_fixed_size 0
		.amdhsa_kernarg_size 432
		.amdhsa_user_sgpr_count 2
		.amdhsa_user_sgpr_dispatch_ptr 0
		.amdhsa_user_sgpr_queue_ptr 0
		.amdhsa_user_sgpr_kernarg_segment_ptr 1
		.amdhsa_user_sgpr_dispatch_id 0
		.amdhsa_user_sgpr_kernarg_preload_length 0
		.amdhsa_user_sgpr_kernarg_preload_offset 0
		.amdhsa_user_sgpr_private_segment_size 0
		.amdhsa_wavefront_size32 1
		.amdhsa_uses_dynamic_stack 0
		.amdhsa_enable_private_segment 0
		.amdhsa_system_sgpr_workgroup_id_x 1
		.amdhsa_system_sgpr_workgroup_id_y 0
		.amdhsa_system_sgpr_workgroup_id_z 0
		.amdhsa_system_sgpr_workgroup_info 0
		.amdhsa_system_vgpr_workitem_id 0
		.amdhsa_next_free_vgpr 17
		.amdhsa_next_free_sgpr 48
		.amdhsa_named_barrier_count 0
		.amdhsa_reserve_vcc 1
		.amdhsa_float_round_mode_32 0
		.amdhsa_float_round_mode_16_64 0
		.amdhsa_float_denorm_mode_32 3
		.amdhsa_float_denorm_mode_16_64 3
		.amdhsa_fp16_overflow 0
		.amdhsa_memory_ordered 1
		.amdhsa_forward_progress 1
		.amdhsa_inst_pref_size 60
		.amdhsa_round_robin_scheduling 0
		.amdhsa_exception_fp_ieee_invalid_op 0
		.amdhsa_exception_fp_denorm_src 0
		.amdhsa_exception_fp_ieee_div_zero 0
		.amdhsa_exception_fp_ieee_overflow 0
		.amdhsa_exception_fp_ieee_underflow 0
		.amdhsa_exception_fp_ieee_inexact 0
		.amdhsa_exception_int_div_zero 0
	.end_amdhsa_kernel
	.section	.text._ZN2at6native32elementwise_kernel_manual_unrollILi128ELi4EZNS0_12_GLOBAL__N_142type_specialized_broadcast_kernel_launcherILi2EE5applyIZZZNS2_24softplus_backward_kernelERNS_18TensorIteratorBaseERKN3c106ScalarESB_ENKUlvE_clEvENKUlvE0_clEvEUlffE_St5arrayIPcLm3EESF_INS8_10ScalarTypeELm3EE16OffsetCalculatorILi3EjLb0EEEEvlT_T0_T1_T2_EUlibE_EEviSO_,"axG",@progbits,_ZN2at6native32elementwise_kernel_manual_unrollILi128ELi4EZNS0_12_GLOBAL__N_142type_specialized_broadcast_kernel_launcherILi2EE5applyIZZZNS2_24softplus_backward_kernelERNS_18TensorIteratorBaseERKN3c106ScalarESB_ENKUlvE_clEvENKUlvE0_clEvEUlffE_St5arrayIPcLm3EESF_INS8_10ScalarTypeELm3EE16OffsetCalculatorILi3EjLb0EEEEvlT_T0_T1_T2_EUlibE_EEviSO_,comdat
.Lfunc_end73:
	.size	_ZN2at6native32elementwise_kernel_manual_unrollILi128ELi4EZNS0_12_GLOBAL__N_142type_specialized_broadcast_kernel_launcherILi2EE5applyIZZZNS2_24softplus_backward_kernelERNS_18TensorIteratorBaseERKN3c106ScalarESB_ENKUlvE_clEvENKUlvE0_clEvEUlffE_St5arrayIPcLm3EESF_INS8_10ScalarTypeELm3EE16OffsetCalculatorILi3EjLb0EEEEvlT_T0_T1_T2_EUlibE_EEviSO_, .Lfunc_end73-_ZN2at6native32elementwise_kernel_manual_unrollILi128ELi4EZNS0_12_GLOBAL__N_142type_specialized_broadcast_kernel_launcherILi2EE5applyIZZZNS2_24softplus_backward_kernelERNS_18TensorIteratorBaseERKN3c106ScalarESB_ENKUlvE_clEvENKUlvE0_clEvEUlffE_St5arrayIPcLm3EESF_INS8_10ScalarTypeELm3EE16OffsetCalculatorILi3EjLb0EEEEvlT_T0_T1_T2_EUlibE_EEviSO_
                                        ; -- End function
	.set _ZN2at6native32elementwise_kernel_manual_unrollILi128ELi4EZNS0_12_GLOBAL__N_142type_specialized_broadcast_kernel_launcherILi2EE5applyIZZZNS2_24softplus_backward_kernelERNS_18TensorIteratorBaseERKN3c106ScalarESB_ENKUlvE_clEvENKUlvE0_clEvEUlffE_St5arrayIPcLm3EESF_INS8_10ScalarTypeELm3EE16OffsetCalculatorILi3EjLb0EEEEvlT_T0_T1_T2_EUlibE_EEviSO_.num_vgpr, 17
	.set _ZN2at6native32elementwise_kernel_manual_unrollILi128ELi4EZNS0_12_GLOBAL__N_142type_specialized_broadcast_kernel_launcherILi2EE5applyIZZZNS2_24softplus_backward_kernelERNS_18TensorIteratorBaseERKN3c106ScalarESB_ENKUlvE_clEvENKUlvE0_clEvEUlffE_St5arrayIPcLm3EESF_INS8_10ScalarTypeELm3EE16OffsetCalculatorILi3EjLb0EEEEvlT_T0_T1_T2_EUlibE_EEviSO_.num_agpr, 0
	.set _ZN2at6native32elementwise_kernel_manual_unrollILi128ELi4EZNS0_12_GLOBAL__N_142type_specialized_broadcast_kernel_launcherILi2EE5applyIZZZNS2_24softplus_backward_kernelERNS_18TensorIteratorBaseERKN3c106ScalarESB_ENKUlvE_clEvENKUlvE0_clEvEUlffE_St5arrayIPcLm3EESF_INS8_10ScalarTypeELm3EE16OffsetCalculatorILi3EjLb0EEEEvlT_T0_T1_T2_EUlibE_EEviSO_.numbered_sgpr, 48
	.set _ZN2at6native32elementwise_kernel_manual_unrollILi128ELi4EZNS0_12_GLOBAL__N_142type_specialized_broadcast_kernel_launcherILi2EE5applyIZZZNS2_24softplus_backward_kernelERNS_18TensorIteratorBaseERKN3c106ScalarESB_ENKUlvE_clEvENKUlvE0_clEvEUlffE_St5arrayIPcLm3EESF_INS8_10ScalarTypeELm3EE16OffsetCalculatorILi3EjLb0EEEEvlT_T0_T1_T2_EUlibE_EEviSO_.num_named_barrier, 0
	.set _ZN2at6native32elementwise_kernel_manual_unrollILi128ELi4EZNS0_12_GLOBAL__N_142type_specialized_broadcast_kernel_launcherILi2EE5applyIZZZNS2_24softplus_backward_kernelERNS_18TensorIteratorBaseERKN3c106ScalarESB_ENKUlvE_clEvENKUlvE0_clEvEUlffE_St5arrayIPcLm3EESF_INS8_10ScalarTypeELm3EE16OffsetCalculatorILi3EjLb0EEEEvlT_T0_T1_T2_EUlibE_EEviSO_.private_seg_size, 0
	.set _ZN2at6native32elementwise_kernel_manual_unrollILi128ELi4EZNS0_12_GLOBAL__N_142type_specialized_broadcast_kernel_launcherILi2EE5applyIZZZNS2_24softplus_backward_kernelERNS_18TensorIteratorBaseERKN3c106ScalarESB_ENKUlvE_clEvENKUlvE0_clEvEUlffE_St5arrayIPcLm3EESF_INS8_10ScalarTypeELm3EE16OffsetCalculatorILi3EjLb0EEEEvlT_T0_T1_T2_EUlibE_EEviSO_.uses_vcc, 1
	.set _ZN2at6native32elementwise_kernel_manual_unrollILi128ELi4EZNS0_12_GLOBAL__N_142type_specialized_broadcast_kernel_launcherILi2EE5applyIZZZNS2_24softplus_backward_kernelERNS_18TensorIteratorBaseERKN3c106ScalarESB_ENKUlvE_clEvENKUlvE0_clEvEUlffE_St5arrayIPcLm3EESF_INS8_10ScalarTypeELm3EE16OffsetCalculatorILi3EjLb0EEEEvlT_T0_T1_T2_EUlibE_EEviSO_.uses_flat_scratch, 0
	.set _ZN2at6native32elementwise_kernel_manual_unrollILi128ELi4EZNS0_12_GLOBAL__N_142type_specialized_broadcast_kernel_launcherILi2EE5applyIZZZNS2_24softplus_backward_kernelERNS_18TensorIteratorBaseERKN3c106ScalarESB_ENKUlvE_clEvENKUlvE0_clEvEUlffE_St5arrayIPcLm3EESF_INS8_10ScalarTypeELm3EE16OffsetCalculatorILi3EjLb0EEEEvlT_T0_T1_T2_EUlibE_EEviSO_.has_dyn_sized_stack, 0
	.set _ZN2at6native32elementwise_kernel_manual_unrollILi128ELi4EZNS0_12_GLOBAL__N_142type_specialized_broadcast_kernel_launcherILi2EE5applyIZZZNS2_24softplus_backward_kernelERNS_18TensorIteratorBaseERKN3c106ScalarESB_ENKUlvE_clEvENKUlvE0_clEvEUlffE_St5arrayIPcLm3EESF_INS8_10ScalarTypeELm3EE16OffsetCalculatorILi3EjLb0EEEEvlT_T0_T1_T2_EUlibE_EEviSO_.has_recursion, 0
	.set _ZN2at6native32elementwise_kernel_manual_unrollILi128ELi4EZNS0_12_GLOBAL__N_142type_specialized_broadcast_kernel_launcherILi2EE5applyIZZZNS2_24softplus_backward_kernelERNS_18TensorIteratorBaseERKN3c106ScalarESB_ENKUlvE_clEvENKUlvE0_clEvEUlffE_St5arrayIPcLm3EESF_INS8_10ScalarTypeELm3EE16OffsetCalculatorILi3EjLb0EEEEvlT_T0_T1_T2_EUlibE_EEviSO_.has_indirect_call, 0
	.section	.AMDGPU.csdata,"",@progbits
; Kernel info:
; codeLenInByte = 7560
; TotalNumSgprs: 50
; NumVgprs: 17
; ScratchSize: 0
; MemoryBound: 0
; FloatMode: 240
; IeeeMode: 1
; LDSByteSize: 0 bytes/workgroup (compile time only)
; SGPRBlocks: 0
; VGPRBlocks: 1
; NumSGPRsForWavesPerEU: 50
; NumVGPRsForWavesPerEU: 17
; NamedBarCnt: 0
; Occupancy: 16
; WaveLimiterHint : 1
; COMPUTE_PGM_RSRC2:SCRATCH_EN: 0
; COMPUTE_PGM_RSRC2:USER_SGPR: 2
; COMPUTE_PGM_RSRC2:TRAP_HANDLER: 0
; COMPUTE_PGM_RSRC2:TGID_X_EN: 1
; COMPUTE_PGM_RSRC2:TGID_Y_EN: 0
; COMPUTE_PGM_RSRC2:TGID_Z_EN: 0
; COMPUTE_PGM_RSRC2:TIDIG_COMP_CNT: 0
	.section	.text._ZN2at6native32elementwise_kernel_manual_unrollILi128ELi4EZNS0_12_GLOBAL__N_142type_specialized_broadcast_kernel_launcherILi3EE5applyIZZZNS2_24softplus_backward_kernelERNS_18TensorIteratorBaseERKN3c106ScalarESB_ENKUlvE_clEvENKUlvE0_clEvEUlffE_St5arrayIPcLm3EESF_INS8_10ScalarTypeELm3EE16OffsetCalculatorILi3EjLb0EEEEvlT_T0_T1_T2_EUlibE_EEviSO_,"axG",@progbits,_ZN2at6native32elementwise_kernel_manual_unrollILi128ELi4EZNS0_12_GLOBAL__N_142type_specialized_broadcast_kernel_launcherILi3EE5applyIZZZNS2_24softplus_backward_kernelERNS_18TensorIteratorBaseERKN3c106ScalarESB_ENKUlvE_clEvENKUlvE0_clEvEUlffE_St5arrayIPcLm3EESF_INS8_10ScalarTypeELm3EE16OffsetCalculatorILi3EjLb0EEEEvlT_T0_T1_T2_EUlibE_EEviSO_,comdat
	.globl	_ZN2at6native32elementwise_kernel_manual_unrollILi128ELi4EZNS0_12_GLOBAL__N_142type_specialized_broadcast_kernel_launcherILi3EE5applyIZZZNS2_24softplus_backward_kernelERNS_18TensorIteratorBaseERKN3c106ScalarESB_ENKUlvE_clEvENKUlvE0_clEvEUlffE_St5arrayIPcLm3EESF_INS8_10ScalarTypeELm3EE16OffsetCalculatorILi3EjLb0EEEEvlT_T0_T1_T2_EUlibE_EEviSO_ ; -- Begin function _ZN2at6native32elementwise_kernel_manual_unrollILi128ELi4EZNS0_12_GLOBAL__N_142type_specialized_broadcast_kernel_launcherILi3EE5applyIZZZNS2_24softplus_backward_kernelERNS_18TensorIteratorBaseERKN3c106ScalarESB_ENKUlvE_clEvENKUlvE0_clEvEUlffE_St5arrayIPcLm3EESF_INS8_10ScalarTypeELm3EE16OffsetCalculatorILi3EjLb0EEEEvlT_T0_T1_T2_EUlibE_EEviSO_
	.p2align	8
	.type	_ZN2at6native32elementwise_kernel_manual_unrollILi128ELi4EZNS0_12_GLOBAL__N_142type_specialized_broadcast_kernel_launcherILi3EE5applyIZZZNS2_24softplus_backward_kernelERNS_18TensorIteratorBaseERKN3c106ScalarESB_ENKUlvE_clEvENKUlvE0_clEvEUlffE_St5arrayIPcLm3EESF_INS8_10ScalarTypeELm3EE16OffsetCalculatorILi3EjLb0EEEEvlT_T0_T1_T2_EUlibE_EEviSO_,@function
_ZN2at6native32elementwise_kernel_manual_unrollILi128ELi4EZNS0_12_GLOBAL__N_142type_specialized_broadcast_kernel_launcherILi3EE5applyIZZZNS2_24softplus_backward_kernelERNS_18TensorIteratorBaseERKN3c106ScalarESB_ENKUlvE_clEvENKUlvE0_clEvEUlffE_St5arrayIPcLm3EESF_INS8_10ScalarTypeELm3EE16OffsetCalculatorILi3EjLb0EEEEvlT_T0_T1_T2_EUlibE_EEviSO_: ; @_ZN2at6native32elementwise_kernel_manual_unrollILi128ELi4EZNS0_12_GLOBAL__N_142type_specialized_broadcast_kernel_launcherILi3EE5applyIZZZNS2_24softplus_backward_kernelERNS_18TensorIteratorBaseERKN3c106ScalarESB_ENKUlvE_clEvENKUlvE0_clEvEUlffE_St5arrayIPcLm3EESF_INS8_10ScalarTypeELm3EE16OffsetCalculatorILi3EjLb0EEEEvlT_T0_T1_T2_EUlibE_EEviSO_
; %bb.0:
	s_clause 0x1
	s_load_b32 s28, s[0:1], 0x8
	s_load_b32 s35, s[0:1], 0x0
	s_bfe_u32 s2, ttmp6, 0x4000c
	s_and_b32 s3, ttmp6, 15
	s_add_co_i32 s2, s2, 1
	s_getreg_b32 s4, hwreg(HW_REG_IB_STS2, 6, 4)
	s_mul_i32 s2, ttmp9, s2
	s_add_nc_u64 s[16:17], s[0:1], 8
	s_add_co_i32 s3, s3, s2
	s_cmp_eq_u32 s4, 0
	s_mov_b32 s23, 0
	s_cselect_b32 s2, ttmp9, s3
	s_wait_xcnt 0x0
	s_mov_b32 s0, exec_lo
	v_lshl_or_b32 v0, s2, 9, v0
	s_delay_alu instid0(VALU_DEP_1) | instskip(SKIP_2) | instid1(SALU_CYCLE_1)
	v_or_b32_e32 v2, 0x180, v0
	s_wait_kmcnt 0x0
	s_add_co_i32 s29, s28, -1
	s_cmp_gt_u32 s29, 1
	s_cselect_b32 s30, -1, 0
	v_cmpx_le_i32_e64 s35, v2
	s_xor_b32 s31, exec_lo, s0
	s_cbranch_execz .LBB74_62
; %bb.1:
	s_clause 0x4
	s_load_b128 s[8:11], s[16:17], 0x4
	s_load_b64 s[18:19], s[16:17], 0x14
	s_load_b128 s[12:15], s[16:17], 0xc4
	s_load_b64 s[20:21], s[16:17], 0xd4
	s_load_b256 s[0:7], s[16:17], 0x188
	s_cmp_lg_u32 s28, 0
	s_mov_b32 s25, s23
	s_cselect_b32 s36, -1, 0
	s_min_u32 s34, s29, 15
	s_cmp_gt_u32 s28, 1
	s_cselect_b32 s33, -1, 0
	s_wait_kmcnt 0x0
	s_mov_b32 s22, s9
	s_mov_b32 s24, s18
	s_mov_b32 s9, exec_lo
	v_cmpx_gt_i32_e64 s35, v0
	s_cbranch_execnz .LBB74_5
; %bb.2:
	s_or_b32 exec_lo, exec_lo, s9
	s_delay_alu instid0(SALU_CYCLE_1)
	s_mov_b32 s9, exec_lo
	v_cmpx_gt_i32_e64 s35, v0
	s_cbranch_execnz .LBB74_19
.LBB74_3:
	s_or_b32 exec_lo, exec_lo, s9
	s_delay_alu instid0(SALU_CYCLE_1)
	s_mov_b32 s9, exec_lo
	v_cmpx_gt_i32_e64 s35, v0
	s_cbranch_execnz .LBB74_33
.LBB74_4:
	s_or_b32 exec_lo, exec_lo, s9
	s_delay_alu instid0(SALU_CYCLE_1)
	s_mov_b32 s9, exec_lo
	v_cmpx_gt_i32_e64 s35, v0
	s_cbranch_execnz .LBB74_47
	s_branch .LBB74_61
.LBB74_5:
	s_and_not1_b32 vcc_lo, exec_lo, s30
	s_cbranch_vccnz .LBB74_11
; %bb.6:
	s_and_not1_b32 vcc_lo, exec_lo, s36
	s_cbranch_vccnz .LBB74_12
; %bb.7:
	v_dual_mov_b32 v4, 0 :: v_dual_mov_b32 v1, v0
	v_dual_mov_b32 v6, 0 :: v_dual_mov_b32 v5, 0
	s_add_co_i32 s18, s34, 1
	s_mov_b64 s[26:27], 0xffffffffffffffe8
	s_and_b32 s18, s18, 30
	s_add_nc_u64 s[26:27], s[16:17], s[26:27]
.LBB74_8:                               ; =>This Inner Loop Header: Depth=1
	s_clause 0x1
	s_load_b128 s[40:43], s[26:27], 0x1c
	s_load_b64 s[38:39], s[26:27], 0x2c
	s_add_co_i32 s18, s18, -2
	s_delay_alu instid0(SALU_CYCLE_1) | instskip(SKIP_2) | instid1(VALU_DEP_1)
	s_cmp_lg_u32 s18, 0
	s_wait_kmcnt 0x0
	v_mul_hi_u32 v2, s41, v1
	v_add_nc_u32_e32 v2, v1, v2
	s_delay_alu instid0(VALU_DEP_1) | instskip(NEXT) | instid1(VALU_DEP_1)
	v_lshrrev_b32_e32 v2, s42, v2
	v_mul_hi_u32 v3, s38, v2
	v_mul_lo_u32 v7, v2, s40
	s_clause 0x1
	s_load_b128 s[44:47], s[26:27], 0xdc
	s_load_b64 s[40:41], s[26:27], 0xec
	s_wait_xcnt 0x0
	s_add_nc_u64 s[26:27], s[26:27], 24
	s_delay_alu instid0(VALU_DEP_2) | instskip(NEXT) | instid1(VALU_DEP_2)
	v_add_nc_u32_e32 v3, v2, v3
	v_sub_nc_u32_e32 v7, v1, v7
	s_delay_alu instid0(VALU_DEP_2) | instskip(SKIP_1) | instid1(VALU_DEP_2)
	v_lshrrev_b32_e32 v1, s39, v3
	s_wait_kmcnt 0x0
	v_mad_u32 v4, v7, s44, v4
	s_delay_alu instid0(VALU_DEP_2) | instskip(SKIP_2) | instid1(VALU_DEP_3)
	v_mul_lo_u32 v3, v1, s43
	v_mad_u32 v5, v7, s46, v5
	v_mad_u32 v6, v7, s45, v6
	v_sub_nc_u32_e32 v2, v2, v3
	s_delay_alu instid0(VALU_DEP_1) | instskip(NEXT) | instid1(VALU_DEP_4)
	v_mad_u32 v4, v2, s47, v4
	v_mad_u32 v5, v2, s41, v5
	s_delay_alu instid0(VALU_DEP_4)
	v_mad_u32 v6, v2, s40, v6
	s_cbranch_scc1 .LBB74_8
; %bb.9:
	s_bitcmp1_b32 s34, 0
	s_cselect_b32 s18, -1, 0
	s_delay_alu instid0(SALU_CYCLE_1)
	s_and_b32 vcc_lo, exec_lo, s18
	s_cbranch_vccnz .LBB74_13
; %bb.10:
	s_clause 0x1
	s_load_b96 s[40:42], s[26:27], 0x1c
	s_load_b96 s[44:46], s[26:27], 0xdc
	s_wait_kmcnt 0x0
	v_mul_hi_u32 v2, s41, v1
	s_delay_alu instid0(VALU_DEP_1) | instskip(NEXT) | instid1(VALU_DEP_1)
	v_add_nc_u32_e32 v2, v1, v2
	v_lshrrev_b32_e32 v2, s42, v2
	s_delay_alu instid0(VALU_DEP_1) | instskip(NEXT) | instid1(VALU_DEP_1)
	v_mul_lo_u32 v2, v2, s40
	v_sub_nc_u32_e32 v1, v1, v2
	s_delay_alu instid0(VALU_DEP_1)
	v_mad_u32 v4, v1, s44, v4
	v_mad_u32 v6, v1, s45, v6
	;; [unrolled: 1-line block ×3, first 2 shown]
	s_cbranch_execz .LBB74_14
	s_branch .LBB74_16
.LBB74_11:
                                        ; implicit-def: $vgpr5
                                        ; implicit-def: $vgpr6
                                        ; implicit-def: $vgpr4
	s_branch .LBB74_14
.LBB74_12:
	v_dual_mov_b32 v5, 0 :: v_dual_mov_b32 v6, 0
	v_mov_b32_e32 v4, 0
.LBB74_13:
	s_cbranch_execnz .LBB74_16
.LBB74_14:
	v_mov_b32_e32 v1, 0
	s_and_not1_b32 vcc_lo, exec_lo, s33
	s_delay_alu instid0(VALU_DEP_1) | instskip(NEXT) | instid1(VALU_DEP_1)
	v_mul_u64_e32 v[2:3], s[22:23], v[0:1]
	v_add_nc_u32_e32 v2, v0, v3
	s_delay_alu instid0(VALU_DEP_1) | instskip(NEXT) | instid1(VALU_DEP_1)
	v_lshrrev_b32_e32 v2, s10, v2
	v_mul_lo_u32 v3, v2, s8
	s_delay_alu instid0(VALU_DEP_1) | instskip(NEXT) | instid1(VALU_DEP_1)
	v_sub_nc_u32_e32 v3, v0, v3
	v_mul_lo_u32 v4, v3, s12
	v_mul_lo_u32 v5, v3, s14
	;; [unrolled: 1-line block ×3, first 2 shown]
	s_cbranch_vccnz .LBB74_16
; %bb.15:
	v_mov_b32_e32 v3, v1
	s_delay_alu instid0(VALU_DEP_1) | instskip(NEXT) | instid1(VALU_DEP_1)
	v_mul_u64_e32 v[8:9], s[24:25], v[2:3]
	v_add_nc_u32_e32 v1, v2, v9
	s_delay_alu instid0(VALU_DEP_1) | instskip(NEXT) | instid1(VALU_DEP_1)
	v_lshrrev_b32_e32 v1, s19, v1
	v_mul_lo_u32 v1, v1, s11
	s_delay_alu instid0(VALU_DEP_1) | instskip(NEXT) | instid1(VALU_DEP_1)
	v_sub_nc_u32_e32 v1, v2, v1
	v_mad_u32 v4, v1, s15, v4
	v_mad_u32 v6, v1, s20, v6
	;; [unrolled: 1-line block ×3, first 2 shown]
.LBB74_16:
	global_load_u16 v2, v5, s[4:5]
	global_load_b32 v1, v6, s[2:3]
	s_mov_b32 s18, exec_lo
	s_wait_loadcnt 0x1
	v_cvt_f32_f16_e32 v2, v2
	s_delay_alu instid0(VALU_DEP_1) | instskip(SKIP_1) | instid1(VALU_DEP_1)
	v_mul_f32_e32 v2, s6, v2
	s_wait_xcnt 0x0
	v_cmpx_nlt_f32_e32 s7, v2
	s_cbranch_execz .LBB74_18
; %bb.17:
	v_mul_f32_e32 v3, 0x3fb8aa3b, v2
	v_cmp_ngt_f32_e32 vcc_lo, 0xc2ce8ed0, v2
	s_delay_alu instid0(VALU_DEP_2) | instskip(SKIP_1) | instid1(VALU_DEP_1)
	v_rndne_f32_e32 v5, v3
	v_fma_f32 v6, 0x3fb8aa3b, v2, -v3
	v_dual_sub_f32 v3, v3, v5 :: v_dual_fmamk_f32 v6, v2, 0x32a5705f, v6
	v_cvt_i32_f32_e32 v5, v5
	s_delay_alu instid0(VALU_DEP_2) | instskip(NEXT) | instid1(VALU_DEP_1)
	v_add_f32_e32 v3, v3, v6
	v_exp_f32_e32 v3, v3
	v_nop
	s_delay_alu instid0(TRANS32_DEP_1) | instskip(NEXT) | instid1(VALU_DEP_1)
	v_ldexp_f32 v3, v3, v5
	v_cndmask_b32_e32 v3, 0, v3, vcc_lo
	v_cmp_nlt_f32_e32 vcc_lo, 0x42b17218, v2
	s_delay_alu instid0(VALU_DEP_2) | instskip(SKIP_1) | instid1(VALU_DEP_1)
	v_cndmask_b32_e32 v2, 0x7f800000, v3, vcc_lo
	s_wait_loadcnt 0x0
	v_dual_mul_f32 v1, v1, v2 :: v_dual_add_f32 v2, 1.0, v2
	s_delay_alu instid0(VALU_DEP_1) | instskip(NEXT) | instid1(VALU_DEP_1)
	v_div_scale_f32 v3, null, v2, v2, v1
	v_rcp_f32_e32 v5, v3
	v_nop
	s_delay_alu instid0(TRANS32_DEP_1) | instskip(NEXT) | instid1(VALU_DEP_1)
	v_fma_f32 v6, -v3, v5, 1.0
	v_fmac_f32_e32 v5, v6, v5
	v_div_scale_f32 v6, vcc_lo, v1, v2, v1
	s_delay_alu instid0(VALU_DEP_1) | instskip(NEXT) | instid1(VALU_DEP_1)
	v_mul_f32_e32 v7, v6, v5
	v_fma_f32 v8, -v3, v7, v6
	s_delay_alu instid0(VALU_DEP_1) | instskip(NEXT) | instid1(VALU_DEP_1)
	v_fmac_f32_e32 v7, v8, v5
	v_fma_f32 v3, -v3, v7, v6
	s_delay_alu instid0(VALU_DEP_1) | instskip(NEXT) | instid1(VALU_DEP_1)
	v_div_fmas_f32 v3, v3, v5, v7
	v_div_fixup_f32 v1, v3, v2, v1
.LBB74_18:
	s_or_b32 exec_lo, exec_lo, s18
	v_add_nc_u32_e32 v0, 0x80, v0
	s_wait_loadcnt 0x0
	global_store_b32 v4, v1, s[0:1]
	s_wait_xcnt 0x0
	s_or_b32 exec_lo, exec_lo, s9
	s_delay_alu instid0(SALU_CYCLE_1)
	s_mov_b32 s9, exec_lo
	v_cmpx_gt_i32_e64 s35, v0
	s_cbranch_execz .LBB74_3
.LBB74_19:
	s_and_not1_b32 vcc_lo, exec_lo, s30
	s_cbranch_vccnz .LBB74_25
; %bb.20:
	s_and_not1_b32 vcc_lo, exec_lo, s36
	s_cbranch_vccnz .LBB74_26
; %bb.21:
	v_dual_mov_b32 v4, 0 :: v_dual_mov_b32 v1, v0
	v_dual_mov_b32 v6, 0 :: v_dual_mov_b32 v5, 0
	s_add_co_i32 s18, s34, 1
	s_mov_b64 s[26:27], 0xffffffffffffffe8
	s_and_b32 s18, s18, 30
	s_add_nc_u64 s[26:27], s[16:17], s[26:27]
.LBB74_22:                              ; =>This Inner Loop Header: Depth=1
	s_clause 0x1
	s_load_b128 s[40:43], s[26:27], 0x1c
	s_load_b64 s[38:39], s[26:27], 0x2c
	s_add_co_i32 s18, s18, -2
	s_delay_alu instid0(SALU_CYCLE_1) | instskip(SKIP_2) | instid1(VALU_DEP_1)
	s_cmp_eq_u32 s18, 0
	s_wait_kmcnt 0x0
	v_mul_hi_u32 v2, s41, v1
	v_add_nc_u32_e32 v2, v1, v2
	s_delay_alu instid0(VALU_DEP_1) | instskip(NEXT) | instid1(VALU_DEP_1)
	v_lshrrev_b32_e32 v2, s42, v2
	v_mul_hi_u32 v3, s38, v2
	v_mul_lo_u32 v7, v2, s40
	s_clause 0x1
	s_load_b128 s[44:47], s[26:27], 0xdc
	s_load_b64 s[40:41], s[26:27], 0xec
	s_wait_xcnt 0x0
	s_add_nc_u64 s[26:27], s[26:27], 24
	s_delay_alu instid0(VALU_DEP_2) | instskip(NEXT) | instid1(VALU_DEP_2)
	v_add_nc_u32_e32 v3, v2, v3
	v_sub_nc_u32_e32 v7, v1, v7
	s_delay_alu instid0(VALU_DEP_2) | instskip(SKIP_1) | instid1(VALU_DEP_2)
	v_lshrrev_b32_e32 v1, s39, v3
	s_wait_kmcnt 0x0
	v_mad_u32 v4, v7, s44, v4
	s_delay_alu instid0(VALU_DEP_2) | instskip(SKIP_2) | instid1(VALU_DEP_3)
	v_mul_lo_u32 v3, v1, s43
	v_mad_u32 v5, v7, s46, v5
	v_mad_u32 v6, v7, s45, v6
	v_sub_nc_u32_e32 v2, v2, v3
	s_delay_alu instid0(VALU_DEP_1) | instskip(NEXT) | instid1(VALU_DEP_4)
	v_mad_u32 v4, v2, s47, v4
	v_mad_u32 v5, v2, s41, v5
	s_delay_alu instid0(VALU_DEP_4)
	v_mad_u32 v6, v2, s40, v6
	s_cbranch_scc0 .LBB74_22
; %bb.23:
	s_bitcmp1_b32 s34, 0
	s_cselect_b32 s18, -1, 0
	s_delay_alu instid0(SALU_CYCLE_1)
	s_and_b32 vcc_lo, exec_lo, s18
	s_cbranch_vccnz .LBB74_27
; %bb.24:
	s_clause 0x1
	s_load_b96 s[40:42], s[26:27], 0x1c
	s_load_b96 s[44:46], s[26:27], 0xdc
	s_wait_kmcnt 0x0
	v_mul_hi_u32 v2, s41, v1
	s_delay_alu instid0(VALU_DEP_1) | instskip(NEXT) | instid1(VALU_DEP_1)
	v_add_nc_u32_e32 v2, v1, v2
	v_lshrrev_b32_e32 v2, s42, v2
	s_delay_alu instid0(VALU_DEP_1) | instskip(NEXT) | instid1(VALU_DEP_1)
	v_mul_lo_u32 v2, v2, s40
	v_sub_nc_u32_e32 v1, v1, v2
	s_delay_alu instid0(VALU_DEP_1)
	v_mad_u32 v4, v1, s44, v4
	v_mad_u32 v6, v1, s45, v6
	;; [unrolled: 1-line block ×3, first 2 shown]
	s_branch .LBB74_27
.LBB74_25:
                                        ; implicit-def: $vgpr5
                                        ; implicit-def: $vgpr6
                                        ; implicit-def: $vgpr4
	s_branch .LBB74_28
.LBB74_26:
	v_dual_mov_b32 v5, 0 :: v_dual_mov_b32 v6, 0
	v_mov_b32_e32 v4, 0
.LBB74_27:
	s_cbranch_execnz .LBB74_30
.LBB74_28:
	v_mov_b32_e32 v1, 0
	s_and_not1_b32 vcc_lo, exec_lo, s33
	s_delay_alu instid0(VALU_DEP_1) | instskip(NEXT) | instid1(VALU_DEP_1)
	v_mul_u64_e32 v[2:3], s[22:23], v[0:1]
	v_add_nc_u32_e32 v2, v0, v3
	s_delay_alu instid0(VALU_DEP_1) | instskip(NEXT) | instid1(VALU_DEP_1)
	v_lshrrev_b32_e32 v2, s10, v2
	v_mul_lo_u32 v3, v2, s8
	s_delay_alu instid0(VALU_DEP_1) | instskip(NEXT) | instid1(VALU_DEP_1)
	v_sub_nc_u32_e32 v3, v0, v3
	v_mul_lo_u32 v4, v3, s12
	v_mul_lo_u32 v5, v3, s14
	;; [unrolled: 1-line block ×3, first 2 shown]
	s_cbranch_vccnz .LBB74_30
; %bb.29:
	v_mov_b32_e32 v3, v1
	s_delay_alu instid0(VALU_DEP_1) | instskip(NEXT) | instid1(VALU_DEP_1)
	v_mul_u64_e32 v[8:9], s[24:25], v[2:3]
	v_add_nc_u32_e32 v1, v2, v9
	s_delay_alu instid0(VALU_DEP_1) | instskip(NEXT) | instid1(VALU_DEP_1)
	v_lshrrev_b32_e32 v1, s19, v1
	v_mul_lo_u32 v1, v1, s11
	s_delay_alu instid0(VALU_DEP_1) | instskip(NEXT) | instid1(VALU_DEP_1)
	v_sub_nc_u32_e32 v1, v2, v1
	v_mad_u32 v4, v1, s15, v4
	v_mad_u32 v6, v1, s20, v6
	;; [unrolled: 1-line block ×3, first 2 shown]
.LBB74_30:
	global_load_u16 v2, v5, s[4:5]
	global_load_b32 v1, v6, s[2:3]
	s_mov_b32 s18, exec_lo
	s_wait_loadcnt 0x1
	v_cvt_f32_f16_e32 v2, v2
	s_delay_alu instid0(VALU_DEP_1) | instskip(SKIP_1) | instid1(VALU_DEP_1)
	v_mul_f32_e32 v2, s6, v2
	s_wait_xcnt 0x0
	v_cmpx_nlt_f32_e32 s7, v2
	s_cbranch_execz .LBB74_32
; %bb.31:
	v_mul_f32_e32 v3, 0x3fb8aa3b, v2
	v_cmp_ngt_f32_e32 vcc_lo, 0xc2ce8ed0, v2
	s_delay_alu instid0(VALU_DEP_2) | instskip(SKIP_1) | instid1(VALU_DEP_1)
	v_rndne_f32_e32 v5, v3
	v_fma_f32 v6, 0x3fb8aa3b, v2, -v3
	v_dual_sub_f32 v3, v3, v5 :: v_dual_fmamk_f32 v6, v2, 0x32a5705f, v6
	v_cvt_i32_f32_e32 v5, v5
	s_delay_alu instid0(VALU_DEP_2) | instskip(NEXT) | instid1(VALU_DEP_1)
	v_add_f32_e32 v3, v3, v6
	v_exp_f32_e32 v3, v3
	v_nop
	s_delay_alu instid0(TRANS32_DEP_1) | instskip(NEXT) | instid1(VALU_DEP_1)
	v_ldexp_f32 v3, v3, v5
	v_cndmask_b32_e32 v3, 0, v3, vcc_lo
	v_cmp_nlt_f32_e32 vcc_lo, 0x42b17218, v2
	s_delay_alu instid0(VALU_DEP_2) | instskip(SKIP_1) | instid1(VALU_DEP_1)
	v_cndmask_b32_e32 v2, 0x7f800000, v3, vcc_lo
	s_wait_loadcnt 0x0
	v_dual_mul_f32 v1, v1, v2 :: v_dual_add_f32 v2, 1.0, v2
	s_delay_alu instid0(VALU_DEP_1) | instskip(NEXT) | instid1(VALU_DEP_1)
	v_div_scale_f32 v3, null, v2, v2, v1
	v_rcp_f32_e32 v5, v3
	v_nop
	s_delay_alu instid0(TRANS32_DEP_1) | instskip(NEXT) | instid1(VALU_DEP_1)
	v_fma_f32 v6, -v3, v5, 1.0
	v_fmac_f32_e32 v5, v6, v5
	v_div_scale_f32 v6, vcc_lo, v1, v2, v1
	s_delay_alu instid0(VALU_DEP_1) | instskip(NEXT) | instid1(VALU_DEP_1)
	v_mul_f32_e32 v7, v6, v5
	v_fma_f32 v8, -v3, v7, v6
	s_delay_alu instid0(VALU_DEP_1) | instskip(NEXT) | instid1(VALU_DEP_1)
	v_fmac_f32_e32 v7, v8, v5
	v_fma_f32 v3, -v3, v7, v6
	s_delay_alu instid0(VALU_DEP_1) | instskip(NEXT) | instid1(VALU_DEP_1)
	v_div_fmas_f32 v3, v3, v5, v7
	v_div_fixup_f32 v1, v3, v2, v1
.LBB74_32:
	s_or_b32 exec_lo, exec_lo, s18
	v_add_nc_u32_e32 v0, 0x80, v0
	s_wait_loadcnt 0x0
	global_store_b32 v4, v1, s[0:1]
	s_wait_xcnt 0x0
	s_or_b32 exec_lo, exec_lo, s9
	s_delay_alu instid0(SALU_CYCLE_1)
	s_mov_b32 s9, exec_lo
	v_cmpx_gt_i32_e64 s35, v0
	s_cbranch_execz .LBB74_4
.LBB74_33:
	s_and_not1_b32 vcc_lo, exec_lo, s30
	s_cbranch_vccnz .LBB74_39
; %bb.34:
	s_and_not1_b32 vcc_lo, exec_lo, s36
	s_cbranch_vccnz .LBB74_40
; %bb.35:
	v_dual_mov_b32 v4, 0 :: v_dual_mov_b32 v1, v0
	v_dual_mov_b32 v6, 0 :: v_dual_mov_b32 v5, 0
	s_add_co_i32 s18, s34, 1
	s_mov_b64 s[26:27], 0xffffffffffffffe8
	s_and_b32 s18, s18, 30
	s_add_nc_u64 s[26:27], s[16:17], s[26:27]
.LBB74_36:                              ; =>This Inner Loop Header: Depth=1
	s_clause 0x1
	s_load_b128 s[40:43], s[26:27], 0x1c
	s_load_b64 s[38:39], s[26:27], 0x2c
	s_add_co_i32 s18, s18, -2
	s_delay_alu instid0(SALU_CYCLE_1) | instskip(SKIP_2) | instid1(VALU_DEP_1)
	s_cmp_eq_u32 s18, 0
	s_wait_kmcnt 0x0
	v_mul_hi_u32 v2, s41, v1
	v_add_nc_u32_e32 v2, v1, v2
	s_delay_alu instid0(VALU_DEP_1) | instskip(NEXT) | instid1(VALU_DEP_1)
	v_lshrrev_b32_e32 v2, s42, v2
	v_mul_hi_u32 v3, s38, v2
	v_mul_lo_u32 v7, v2, s40
	s_clause 0x1
	s_load_b128 s[44:47], s[26:27], 0xdc
	s_load_b64 s[40:41], s[26:27], 0xec
	s_wait_xcnt 0x0
	s_add_nc_u64 s[26:27], s[26:27], 24
	s_delay_alu instid0(VALU_DEP_2) | instskip(NEXT) | instid1(VALU_DEP_2)
	v_add_nc_u32_e32 v3, v2, v3
	v_sub_nc_u32_e32 v7, v1, v7
	s_delay_alu instid0(VALU_DEP_2) | instskip(SKIP_1) | instid1(VALU_DEP_2)
	v_lshrrev_b32_e32 v1, s39, v3
	s_wait_kmcnt 0x0
	v_mad_u32 v4, v7, s44, v4
	s_delay_alu instid0(VALU_DEP_2) | instskip(SKIP_2) | instid1(VALU_DEP_3)
	v_mul_lo_u32 v3, v1, s43
	v_mad_u32 v5, v7, s46, v5
	v_mad_u32 v6, v7, s45, v6
	v_sub_nc_u32_e32 v2, v2, v3
	s_delay_alu instid0(VALU_DEP_1) | instskip(NEXT) | instid1(VALU_DEP_4)
	v_mad_u32 v4, v2, s47, v4
	v_mad_u32 v5, v2, s41, v5
	s_delay_alu instid0(VALU_DEP_4)
	v_mad_u32 v6, v2, s40, v6
	s_cbranch_scc0 .LBB74_36
; %bb.37:
	s_bitcmp1_b32 s34, 0
	s_cselect_b32 s18, -1, 0
	s_delay_alu instid0(SALU_CYCLE_1)
	s_and_b32 vcc_lo, exec_lo, s18
	s_cbranch_vccnz .LBB74_41
; %bb.38:
	s_clause 0x1
	s_load_b96 s[40:42], s[26:27], 0x1c
	s_load_b96 s[44:46], s[26:27], 0xdc
	s_wait_kmcnt 0x0
	v_mul_hi_u32 v2, s41, v1
	s_delay_alu instid0(VALU_DEP_1) | instskip(NEXT) | instid1(VALU_DEP_1)
	v_add_nc_u32_e32 v2, v1, v2
	v_lshrrev_b32_e32 v2, s42, v2
	s_delay_alu instid0(VALU_DEP_1) | instskip(NEXT) | instid1(VALU_DEP_1)
	v_mul_lo_u32 v2, v2, s40
	v_sub_nc_u32_e32 v1, v1, v2
	s_delay_alu instid0(VALU_DEP_1)
	v_mad_u32 v4, v1, s44, v4
	v_mad_u32 v6, v1, s45, v6
	;; [unrolled: 1-line block ×3, first 2 shown]
	s_branch .LBB74_41
.LBB74_39:
                                        ; implicit-def: $vgpr5
                                        ; implicit-def: $vgpr6
                                        ; implicit-def: $vgpr4
	s_branch .LBB74_42
.LBB74_40:
	v_dual_mov_b32 v5, 0 :: v_dual_mov_b32 v6, 0
	v_mov_b32_e32 v4, 0
.LBB74_41:
	s_cbranch_execnz .LBB74_44
.LBB74_42:
	v_mov_b32_e32 v1, 0
	s_and_not1_b32 vcc_lo, exec_lo, s33
	s_delay_alu instid0(VALU_DEP_1) | instskip(NEXT) | instid1(VALU_DEP_1)
	v_mul_u64_e32 v[2:3], s[22:23], v[0:1]
	v_add_nc_u32_e32 v2, v0, v3
	s_delay_alu instid0(VALU_DEP_1) | instskip(NEXT) | instid1(VALU_DEP_1)
	v_lshrrev_b32_e32 v2, s10, v2
	v_mul_lo_u32 v3, v2, s8
	s_delay_alu instid0(VALU_DEP_1) | instskip(NEXT) | instid1(VALU_DEP_1)
	v_sub_nc_u32_e32 v3, v0, v3
	v_mul_lo_u32 v4, v3, s12
	v_mul_lo_u32 v5, v3, s14
	;; [unrolled: 1-line block ×3, first 2 shown]
	s_cbranch_vccnz .LBB74_44
; %bb.43:
	v_mov_b32_e32 v3, v1
	s_delay_alu instid0(VALU_DEP_1) | instskip(NEXT) | instid1(VALU_DEP_1)
	v_mul_u64_e32 v[8:9], s[24:25], v[2:3]
	v_add_nc_u32_e32 v1, v2, v9
	s_delay_alu instid0(VALU_DEP_1) | instskip(NEXT) | instid1(VALU_DEP_1)
	v_lshrrev_b32_e32 v1, s19, v1
	v_mul_lo_u32 v1, v1, s11
	s_delay_alu instid0(VALU_DEP_1) | instskip(NEXT) | instid1(VALU_DEP_1)
	v_sub_nc_u32_e32 v1, v2, v1
	v_mad_u32 v4, v1, s15, v4
	v_mad_u32 v6, v1, s20, v6
	;; [unrolled: 1-line block ×3, first 2 shown]
.LBB74_44:
	global_load_u16 v2, v5, s[4:5]
	global_load_b32 v1, v6, s[2:3]
	s_mov_b32 s18, exec_lo
	s_wait_loadcnt 0x1
	v_cvt_f32_f16_e32 v2, v2
	s_delay_alu instid0(VALU_DEP_1) | instskip(SKIP_1) | instid1(VALU_DEP_1)
	v_mul_f32_e32 v2, s6, v2
	s_wait_xcnt 0x0
	v_cmpx_nlt_f32_e32 s7, v2
	s_cbranch_execz .LBB74_46
; %bb.45:
	v_mul_f32_e32 v3, 0x3fb8aa3b, v2
	v_cmp_ngt_f32_e32 vcc_lo, 0xc2ce8ed0, v2
	s_delay_alu instid0(VALU_DEP_2) | instskip(SKIP_1) | instid1(VALU_DEP_1)
	v_rndne_f32_e32 v5, v3
	v_fma_f32 v6, 0x3fb8aa3b, v2, -v3
	v_dual_sub_f32 v3, v3, v5 :: v_dual_fmamk_f32 v6, v2, 0x32a5705f, v6
	v_cvt_i32_f32_e32 v5, v5
	s_delay_alu instid0(VALU_DEP_2) | instskip(NEXT) | instid1(VALU_DEP_1)
	v_add_f32_e32 v3, v3, v6
	v_exp_f32_e32 v3, v3
	v_nop
	s_delay_alu instid0(TRANS32_DEP_1) | instskip(NEXT) | instid1(VALU_DEP_1)
	v_ldexp_f32 v3, v3, v5
	v_cndmask_b32_e32 v3, 0, v3, vcc_lo
	v_cmp_nlt_f32_e32 vcc_lo, 0x42b17218, v2
	s_delay_alu instid0(VALU_DEP_2) | instskip(SKIP_1) | instid1(VALU_DEP_1)
	v_cndmask_b32_e32 v2, 0x7f800000, v3, vcc_lo
	s_wait_loadcnt 0x0
	v_dual_mul_f32 v1, v1, v2 :: v_dual_add_f32 v2, 1.0, v2
	s_delay_alu instid0(VALU_DEP_1) | instskip(NEXT) | instid1(VALU_DEP_1)
	v_div_scale_f32 v3, null, v2, v2, v1
	v_rcp_f32_e32 v5, v3
	v_nop
	s_delay_alu instid0(TRANS32_DEP_1) | instskip(NEXT) | instid1(VALU_DEP_1)
	v_fma_f32 v6, -v3, v5, 1.0
	v_fmac_f32_e32 v5, v6, v5
	v_div_scale_f32 v6, vcc_lo, v1, v2, v1
	s_delay_alu instid0(VALU_DEP_1) | instskip(NEXT) | instid1(VALU_DEP_1)
	v_mul_f32_e32 v7, v6, v5
	v_fma_f32 v8, -v3, v7, v6
	s_delay_alu instid0(VALU_DEP_1) | instskip(NEXT) | instid1(VALU_DEP_1)
	v_fmac_f32_e32 v7, v8, v5
	v_fma_f32 v3, -v3, v7, v6
	s_delay_alu instid0(VALU_DEP_1) | instskip(NEXT) | instid1(VALU_DEP_1)
	v_div_fmas_f32 v3, v3, v5, v7
	v_div_fixup_f32 v1, v3, v2, v1
.LBB74_46:
	s_or_b32 exec_lo, exec_lo, s18
	v_add_nc_u32_e32 v0, 0x80, v0
	s_wait_loadcnt 0x0
	global_store_b32 v4, v1, s[0:1]
	s_wait_xcnt 0x0
	s_or_b32 exec_lo, exec_lo, s9
	s_delay_alu instid0(SALU_CYCLE_1)
	s_mov_b32 s9, exec_lo
	v_cmpx_gt_i32_e64 s35, v0
	s_cbranch_execz .LBB74_61
.LBB74_47:
	s_and_not1_b32 vcc_lo, exec_lo, s30
	s_cbranch_vccnz .LBB74_53
; %bb.48:
	s_and_not1_b32 vcc_lo, exec_lo, s36
	s_cbranch_vccnz .LBB74_54
; %bb.49:
	v_dual_mov_b32 v4, 0 :: v_dual_mov_b32 v1, v0
	v_dual_mov_b32 v6, 0 :: v_dual_mov_b32 v5, 0
	s_add_co_i32 s18, s34, 1
	s_mov_b64 s[26:27], 0xffffffffffffffe8
	s_and_b32 s18, s18, 30
	s_add_nc_u64 s[26:27], s[16:17], s[26:27]
.LBB74_50:                              ; =>This Inner Loop Header: Depth=1
	s_clause 0x1
	s_load_b128 s[36:39], s[26:27], 0x1c
	s_load_b64 s[44:45], s[26:27], 0x2c
	s_add_co_i32 s18, s18, -2
	s_delay_alu instid0(SALU_CYCLE_1) | instskip(SKIP_2) | instid1(VALU_DEP_1)
	s_cmp_eq_u32 s18, 0
	s_wait_kmcnt 0x0
	v_mul_hi_u32 v2, s37, v1
	v_add_nc_u32_e32 v2, v1, v2
	s_delay_alu instid0(VALU_DEP_1) | instskip(NEXT) | instid1(VALU_DEP_1)
	v_lshrrev_b32_e32 v2, s38, v2
	v_mul_hi_u32 v3, s44, v2
	v_mul_lo_u32 v7, v2, s36
	s_clause 0x1
	s_load_b128 s[40:43], s[26:27], 0xdc
	s_load_b64 s[36:37], s[26:27], 0xec
	s_wait_xcnt 0x0
	s_add_nc_u64 s[26:27], s[26:27], 24
	s_delay_alu instid0(VALU_DEP_2) | instskip(NEXT) | instid1(VALU_DEP_2)
	v_add_nc_u32_e32 v3, v2, v3
	v_sub_nc_u32_e32 v7, v1, v7
	s_delay_alu instid0(VALU_DEP_2) | instskip(SKIP_1) | instid1(VALU_DEP_2)
	v_lshrrev_b32_e32 v1, s45, v3
	s_wait_kmcnt 0x0
	v_mad_u32 v4, v7, s40, v4
	s_delay_alu instid0(VALU_DEP_2) | instskip(SKIP_2) | instid1(VALU_DEP_3)
	v_mul_lo_u32 v3, v1, s39
	v_mad_u32 v5, v7, s42, v5
	v_mad_u32 v6, v7, s41, v6
	v_sub_nc_u32_e32 v2, v2, v3
	s_delay_alu instid0(VALU_DEP_1) | instskip(NEXT) | instid1(VALU_DEP_4)
	v_mad_u32 v4, v2, s43, v4
	v_mad_u32 v5, v2, s37, v5
	s_delay_alu instid0(VALU_DEP_4)
	v_mad_u32 v6, v2, s36, v6
	s_cbranch_scc0 .LBB74_50
; %bb.51:
	s_bitcmp1_b32 s34, 0
	s_cselect_b32 s18, -1, 0
	s_delay_alu instid0(SALU_CYCLE_1)
	s_and_b32 vcc_lo, exec_lo, s18
	s_cbranch_vccnz .LBB74_55
; %bb.52:
	s_clause 0x1
	s_load_b96 s[36:38], s[26:27], 0x1c
	s_load_b96 s[40:42], s[26:27], 0xdc
	s_wait_kmcnt 0x0
	v_mul_hi_u32 v2, s37, v1
	s_delay_alu instid0(VALU_DEP_1) | instskip(NEXT) | instid1(VALU_DEP_1)
	v_add_nc_u32_e32 v2, v1, v2
	v_lshrrev_b32_e32 v2, s38, v2
	s_delay_alu instid0(VALU_DEP_1) | instskip(NEXT) | instid1(VALU_DEP_1)
	v_mul_lo_u32 v2, v2, s36
	v_sub_nc_u32_e32 v1, v1, v2
	s_delay_alu instid0(VALU_DEP_1)
	v_mad_u32 v4, v1, s40, v4
	v_mad_u32 v6, v1, s41, v6
	;; [unrolled: 1-line block ×3, first 2 shown]
	s_branch .LBB74_55
.LBB74_53:
                                        ; implicit-def: $vgpr5
                                        ; implicit-def: $vgpr6
                                        ; implicit-def: $vgpr4
	s_branch .LBB74_56
.LBB74_54:
	v_dual_mov_b32 v5, 0 :: v_dual_mov_b32 v6, 0
	v_mov_b32_e32 v4, 0
.LBB74_55:
	s_cbranch_execnz .LBB74_58
.LBB74_56:
	v_mov_b32_e32 v1, 0
	s_and_not1_b32 vcc_lo, exec_lo, s33
	s_delay_alu instid0(VALU_DEP_1) | instskip(NEXT) | instid1(VALU_DEP_1)
	v_mul_u64_e32 v[2:3], s[22:23], v[0:1]
	v_add_nc_u32_e32 v2, v0, v3
	s_delay_alu instid0(VALU_DEP_1) | instskip(NEXT) | instid1(VALU_DEP_1)
	v_lshrrev_b32_e32 v2, s10, v2
	v_mul_lo_u32 v3, v2, s8
	s_delay_alu instid0(VALU_DEP_1) | instskip(NEXT) | instid1(VALU_DEP_1)
	v_sub_nc_u32_e32 v0, v0, v3
	v_mul_lo_u32 v4, v0, s12
	v_mul_lo_u32 v5, v0, s14
	;; [unrolled: 1-line block ×3, first 2 shown]
	s_cbranch_vccnz .LBB74_58
; %bb.57:
	v_mov_b32_e32 v3, v1
	s_delay_alu instid0(VALU_DEP_1) | instskip(NEXT) | instid1(VALU_DEP_1)
	v_mul_u64_e32 v[0:1], s[24:25], v[2:3]
	v_add_nc_u32_e32 v0, v2, v1
	s_delay_alu instid0(VALU_DEP_1) | instskip(NEXT) | instid1(VALU_DEP_1)
	v_lshrrev_b32_e32 v0, s19, v0
	v_mul_lo_u32 v0, v0, s11
	s_delay_alu instid0(VALU_DEP_1) | instskip(NEXT) | instid1(VALU_DEP_1)
	v_sub_nc_u32_e32 v0, v2, v0
	v_mad_u32 v4, v0, s15, v4
	v_mad_u32 v6, v0, s20, v6
	;; [unrolled: 1-line block ×3, first 2 shown]
.LBB74_58:
	global_load_u16 v1, v5, s[4:5]
	global_load_b32 v0, v6, s[2:3]
	s_wait_xcnt 0x0
	s_mov_b32 s2, exec_lo
	s_wait_loadcnt 0x1
	v_cvt_f32_f16_e32 v1, v1
	s_delay_alu instid0(VALU_DEP_1) | instskip(NEXT) | instid1(VALU_DEP_1)
	v_mul_f32_e32 v1, s6, v1
	v_cmpx_nlt_f32_e32 s7, v1
	s_cbranch_execz .LBB74_60
; %bb.59:
	v_mul_f32_e32 v2, 0x3fb8aa3b, v1
	v_cmp_ngt_f32_e32 vcc_lo, 0xc2ce8ed0, v1
	s_delay_alu instid0(VALU_DEP_2) | instskip(SKIP_1) | instid1(VALU_DEP_1)
	v_rndne_f32_e32 v3, v2
	v_fma_f32 v5, 0x3fb8aa3b, v1, -v2
	v_dual_sub_f32 v2, v2, v3 :: v_dual_fmamk_f32 v5, v1, 0x32a5705f, v5
	v_cvt_i32_f32_e32 v3, v3
	s_delay_alu instid0(VALU_DEP_2) | instskip(NEXT) | instid1(VALU_DEP_1)
	v_add_f32_e32 v2, v2, v5
	v_exp_f32_e32 v2, v2
	v_nop
	s_delay_alu instid0(TRANS32_DEP_1) | instskip(NEXT) | instid1(VALU_DEP_1)
	v_ldexp_f32 v2, v2, v3
	v_cndmask_b32_e32 v2, 0, v2, vcc_lo
	v_cmp_nlt_f32_e32 vcc_lo, 0x42b17218, v1
	s_delay_alu instid0(VALU_DEP_2) | instskip(SKIP_1) | instid1(VALU_DEP_1)
	v_cndmask_b32_e32 v1, 0x7f800000, v2, vcc_lo
	s_wait_loadcnt 0x0
	v_dual_mul_f32 v0, v0, v1 :: v_dual_add_f32 v1, 1.0, v1
	s_delay_alu instid0(VALU_DEP_1) | instskip(NEXT) | instid1(VALU_DEP_1)
	v_div_scale_f32 v2, null, v1, v1, v0
	v_rcp_f32_e32 v3, v2
	v_nop
	s_delay_alu instid0(TRANS32_DEP_1) | instskip(NEXT) | instid1(VALU_DEP_1)
	v_fma_f32 v5, -v2, v3, 1.0
	v_fmac_f32_e32 v3, v5, v3
	v_div_scale_f32 v5, vcc_lo, v0, v1, v0
	s_delay_alu instid0(VALU_DEP_1) | instskip(NEXT) | instid1(VALU_DEP_1)
	v_mul_f32_e32 v6, v5, v3
	v_fma_f32 v7, -v2, v6, v5
	s_delay_alu instid0(VALU_DEP_1) | instskip(NEXT) | instid1(VALU_DEP_1)
	v_fmac_f32_e32 v6, v7, v3
	v_fma_f32 v2, -v2, v6, v5
	s_delay_alu instid0(VALU_DEP_1) | instskip(NEXT) | instid1(VALU_DEP_1)
	v_div_fmas_f32 v2, v2, v3, v6
	v_div_fixup_f32 v0, v2, v1, v0
.LBB74_60:
	s_or_b32 exec_lo, exec_lo, s2
	s_wait_loadcnt 0x0
	global_store_b32 v4, v0, s[0:1]
.LBB74_61:
	s_wait_xcnt 0x0
	s_or_b32 exec_lo, exec_lo, s9
                                        ; implicit-def: $vgpr2
                                        ; implicit-def: $vgpr0
.LBB74_62:
	s_and_not1_saveexec_b32 s0, s31
	s_cbranch_execz .LBB74_69
; %bb.63:
	v_cndmask_b32_e64 v8, 0, 1, s30
	s_and_not1_b32 vcc_lo, exec_lo, s30
	s_cbranch_vccnz .LBB74_70
; %bb.64:
	s_cmp_lg_u32 s28, 0
	s_mov_b32 s2, 0
	s_cbranch_scc0 .LBB74_74
; %bb.65:
	s_min_u32 s3, s29, 15
	v_dual_mov_b32 v1, 0 :: v_dual_mov_b32 v5, v0
	v_dual_mov_b32 v4, 0 :: v_dual_mov_b32 v3, 0
	s_add_co_i32 s4, s3, 1
	s_mov_b64 s[0:1], 0xffffffffffffffe8
	s_and_b32 s4, s4, 30
	s_add_nc_u64 s[0:1], s[16:17], s[0:1]
.LBB74_66:                              ; =>This Inner Loop Header: Depth=1
	s_clause 0x1
	s_load_b128 s[8:11], s[0:1], 0x1c
	s_load_b64 s[6:7], s[0:1], 0x2c
	s_add_co_i32 s4, s4, -2
	s_delay_alu instid0(SALU_CYCLE_1) | instskip(SKIP_2) | instid1(VALU_DEP_1)
	s_cmp_lg_u32 s4, 0
	s_wait_kmcnt 0x0
	v_mul_hi_u32 v6, s9, v5
	v_add_nc_u32_e32 v6, v5, v6
	s_delay_alu instid0(VALU_DEP_1) | instskip(NEXT) | instid1(VALU_DEP_1)
	v_lshrrev_b32_e32 v6, s10, v6
	v_mul_hi_u32 v7, s6, v6
	v_mul_lo_u32 v9, v6, s8
	s_clause 0x1
	s_load_b128 s[12:15], s[0:1], 0xdc
	s_load_b64 s[8:9], s[0:1], 0xec
	s_wait_xcnt 0x0
	s_add_nc_u64 s[0:1], s[0:1], 24
	s_delay_alu instid0(VALU_DEP_1) | instskip(NEXT) | instid1(VALU_DEP_1)
	v_dual_add_nc_u32 v7, v6, v7 :: v_dual_sub_nc_u32 v9, v5, v9
	v_lshrrev_b32_e32 v5, s7, v7
	s_wait_kmcnt 0x0
	s_delay_alu instid0(VALU_DEP_2) | instskip(NEXT) | instid1(VALU_DEP_2)
	v_mad_u32 v1, v9, s12, v1
	v_mul_lo_u32 v7, v5, s11
	v_mad_u32 v3, v9, s14, v3
	v_mad_u32 v4, v9, s13, v4
	s_delay_alu instid0(VALU_DEP_3) | instskip(NEXT) | instid1(VALU_DEP_1)
	v_sub_nc_u32_e32 v6, v6, v7
	v_mad_u32 v1, v6, s15, v1
	s_delay_alu instid0(VALU_DEP_4) | instskip(NEXT) | instid1(VALU_DEP_4)
	v_mad_u32 v3, v6, s9, v3
	v_mad_u32 v4, v6, s8, v4
	s_cbranch_scc1 .LBB74_66
; %bb.67:
	s_bitcmp1_b32 s3, 0
	s_cselect_b32 s3, -1, 0
	s_delay_alu instid0(SALU_CYCLE_1)
	s_and_b32 vcc_lo, exec_lo, s3
	s_cbranch_vccnz .LBB74_71
; %bb.68:
	s_clause 0x1
	s_load_b96 s[4:6], s[0:1], 0x1c
	s_load_b96 s[8:10], s[0:1], 0xdc
	s_wait_kmcnt 0x0
	v_mul_hi_u32 v6, s5, v5
	s_delay_alu instid0(VALU_DEP_1) | instskip(NEXT) | instid1(VALU_DEP_1)
	v_add_nc_u32_e32 v6, v5, v6
	v_lshrrev_b32_e32 v6, s6, v6
	s_delay_alu instid0(VALU_DEP_1) | instskip(NEXT) | instid1(VALU_DEP_1)
	v_mul_lo_u32 v6, v6, s4
	v_sub_nc_u32_e32 v5, v5, v6
	s_delay_alu instid0(VALU_DEP_1)
	v_mad_u32 v1, v5, s8, v1
	v_mad_u32 v4, v5, s9, v4
	;; [unrolled: 1-line block ×3, first 2 shown]
	s_and_not1_b32 vcc_lo, exec_lo, s2
	s_cbranch_vccz .LBB74_72
	s_branch .LBB74_75
.LBB74_69:
	s_endpgm
.LBB74_70:
	s_mov_b32 s2, -1
                                        ; implicit-def: $vgpr3
                                        ; implicit-def: $vgpr4
                                        ; implicit-def: $vgpr1
.LBB74_71:
	s_delay_alu instid0(SALU_CYCLE_1)
	s_and_not1_b32 vcc_lo, exec_lo, s2
	s_cbranch_vccnz .LBB74_75
.LBB74_72:
	s_clause 0x1
	s_load_b96 s[0:2], s[16:17], 0x4
	s_load_b96 s[4:6], s[16:17], 0xc4
	s_cmp_lt_u32 s28, 2
	s_wait_kmcnt 0x0
	v_mul_hi_u32 v1, s1, v0
	s_delay_alu instid0(VALU_DEP_1) | instskip(NEXT) | instid1(VALU_DEP_1)
	v_add_nc_u32_e32 v1, v0, v1
	v_lshrrev_b32_e32 v5, s2, v1
	s_delay_alu instid0(VALU_DEP_1) | instskip(NEXT) | instid1(VALU_DEP_1)
	v_mul_lo_u32 v1, v5, s0
	v_sub_nc_u32_e32 v4, v0, v1
	s_delay_alu instid0(VALU_DEP_1)
	v_mul_lo_u32 v1, v4, s4
	v_mul_lo_u32 v3, v4, s6
	;; [unrolled: 1-line block ×3, first 2 shown]
	s_cbranch_scc1 .LBB74_75
; %bb.73:
	s_clause 0x1
	s_load_b96 s[0:2], s[16:17], 0x10
	s_load_b96 s[4:6], s[16:17], 0xd0
	s_wait_kmcnt 0x0
	v_mul_hi_u32 v6, s1, v5
	s_delay_alu instid0(VALU_DEP_1) | instskip(NEXT) | instid1(VALU_DEP_1)
	v_add_nc_u32_e32 v6, v5, v6
	v_lshrrev_b32_e32 v6, s2, v6
	s_delay_alu instid0(VALU_DEP_1) | instskip(NEXT) | instid1(VALU_DEP_1)
	v_mul_lo_u32 v6, v6, s0
	v_sub_nc_u32_e32 v5, v5, v6
	s_delay_alu instid0(VALU_DEP_1)
	v_mad_u32 v1, v5, s4, v1
	v_mad_u32 v4, v5, s5, v4
	;; [unrolled: 1-line block ×3, first 2 shown]
	s_branch .LBB74_75
.LBB74_74:
	v_dual_mov_b32 v3, 0 :: v_dual_mov_b32 v4, 0
	v_mov_b32_e32 v1, 0
	s_and_not1_b32 vcc_lo, exec_lo, s2
	s_cbranch_vccz .LBB74_72
.LBB74_75:
	v_cmp_ne_u32_e32 vcc_lo, 1, v8
	v_add_nc_u32_e32 v9, 0x80, v0
	s_cbranch_vccnz .LBB74_81
; %bb.76:
	s_cmp_lg_u32 s28, 0
	s_mov_b32 s2, 0
	s_cbranch_scc0 .LBB74_85
; %bb.77:
	s_min_u32 s3, s29, 15
	v_dual_mov_b32 v5, 0 :: v_dual_mov_b32 v10, v9
	v_dual_mov_b32 v7, 0 :: v_dual_mov_b32 v6, 0
	s_add_co_i32 s4, s3, 1
	s_mov_b64 s[0:1], 0xffffffffffffffe8
	s_and_b32 s4, s4, 30
	s_add_nc_u64 s[0:1], s[16:17], s[0:1]
.LBB74_78:                              ; =>This Inner Loop Header: Depth=1
	s_clause 0x1
	s_load_b128 s[8:11], s[0:1], 0x1c
	s_load_b64 s[6:7], s[0:1], 0x2c
	s_add_co_i32 s4, s4, -2
	s_delay_alu instid0(SALU_CYCLE_1) | instskip(SKIP_2) | instid1(VALU_DEP_1)
	s_cmp_lg_u32 s4, 0
	s_wait_kmcnt 0x0
	v_mul_hi_u32 v11, s9, v10
	v_add_nc_u32_e32 v11, v10, v11
	s_delay_alu instid0(VALU_DEP_1) | instskip(NEXT) | instid1(VALU_DEP_1)
	v_lshrrev_b32_e32 v11, s10, v11
	v_mul_hi_u32 v12, s6, v11
	v_mul_lo_u32 v13, v11, s8
	s_clause 0x1
	s_load_b128 s[12:15], s[0:1], 0xdc
	s_load_b64 s[8:9], s[0:1], 0xec
	s_wait_xcnt 0x0
	s_add_nc_u64 s[0:1], s[0:1], 24
	s_delay_alu instid0(VALU_DEP_1) | instskip(NEXT) | instid1(VALU_DEP_1)
	v_dual_add_nc_u32 v12, v11, v12 :: v_dual_sub_nc_u32 v13, v10, v13
	v_lshrrev_b32_e32 v10, s7, v12
	s_wait_kmcnt 0x0
	s_delay_alu instid0(VALU_DEP_2) | instskip(NEXT) | instid1(VALU_DEP_2)
	v_mad_u32 v5, v13, s12, v5
	v_mul_lo_u32 v12, v10, s11
	v_mad_u32 v6, v13, s14, v6
	v_mad_u32 v7, v13, s13, v7
	s_delay_alu instid0(VALU_DEP_3) | instskip(NEXT) | instid1(VALU_DEP_1)
	v_sub_nc_u32_e32 v11, v11, v12
	v_mad_u32 v5, v11, s15, v5
	s_delay_alu instid0(VALU_DEP_4) | instskip(NEXT) | instid1(VALU_DEP_4)
	v_mad_u32 v6, v11, s9, v6
	v_mad_u32 v7, v11, s8, v7
	s_cbranch_scc1 .LBB74_78
; %bb.79:
	s_bitcmp1_b32 s3, 0
	s_cselect_b32 s3, -1, 0
	s_delay_alu instid0(SALU_CYCLE_1)
	s_and_b32 vcc_lo, exec_lo, s3
	s_cbranch_vccnz .LBB74_82
; %bb.80:
	s_clause 0x1
	s_load_b96 s[4:6], s[0:1], 0x1c
	s_load_b96 s[8:10], s[0:1], 0xdc
	s_wait_kmcnt 0x0
	v_mul_hi_u32 v11, s5, v10
	s_delay_alu instid0(VALU_DEP_1) | instskip(NEXT) | instid1(VALU_DEP_1)
	v_add_nc_u32_e32 v11, v10, v11
	v_lshrrev_b32_e32 v11, s6, v11
	s_delay_alu instid0(VALU_DEP_1) | instskip(NEXT) | instid1(VALU_DEP_1)
	v_mul_lo_u32 v11, v11, s4
	v_sub_nc_u32_e32 v10, v10, v11
	s_delay_alu instid0(VALU_DEP_1)
	v_mad_u32 v5, v10, s8, v5
	v_mad_u32 v7, v10, s9, v7
	;; [unrolled: 1-line block ×3, first 2 shown]
	s_and_not1_b32 vcc_lo, exec_lo, s2
	s_cbranch_vccz .LBB74_83
	s_branch .LBB74_86
.LBB74_81:
	s_mov_b32 s2, -1
                                        ; implicit-def: $vgpr6
                                        ; implicit-def: $vgpr7
                                        ; implicit-def: $vgpr5
.LBB74_82:
	s_delay_alu instid0(SALU_CYCLE_1)
	s_and_not1_b32 vcc_lo, exec_lo, s2
	s_cbranch_vccnz .LBB74_86
.LBB74_83:
	s_clause 0x1
	s_load_b96 s[0:2], s[16:17], 0x4
	s_load_b96 s[4:6], s[16:17], 0xc4
	s_cmp_lt_u32 s28, 2
	s_wait_kmcnt 0x0
	v_mul_hi_u32 v5, s1, v9
	s_delay_alu instid0(VALU_DEP_1) | instskip(NEXT) | instid1(VALU_DEP_1)
	v_add_nc_u32_e32 v5, v9, v5
	v_lshrrev_b32_e32 v10, s2, v5
	s_delay_alu instid0(VALU_DEP_1) | instskip(NEXT) | instid1(VALU_DEP_1)
	v_mul_lo_u32 v5, v10, s0
	v_sub_nc_u32_e32 v7, v9, v5
	s_delay_alu instid0(VALU_DEP_1)
	v_mul_lo_u32 v5, v7, s4
	v_mul_lo_u32 v6, v7, s6
	;; [unrolled: 1-line block ×3, first 2 shown]
	s_cbranch_scc1 .LBB74_86
; %bb.84:
	s_clause 0x1
	s_load_b96 s[0:2], s[16:17], 0x10
	s_load_b96 s[4:6], s[16:17], 0xd0
	s_wait_kmcnt 0x0
	v_mul_hi_u32 v9, s1, v10
	s_delay_alu instid0(VALU_DEP_1) | instskip(NEXT) | instid1(VALU_DEP_1)
	v_add_nc_u32_e32 v9, v10, v9
	v_lshrrev_b32_e32 v9, s2, v9
	s_delay_alu instid0(VALU_DEP_1) | instskip(NEXT) | instid1(VALU_DEP_1)
	v_mul_lo_u32 v9, v9, s0
	v_sub_nc_u32_e32 v9, v10, v9
	s_delay_alu instid0(VALU_DEP_1)
	v_mad_u32 v5, v9, s4, v5
	v_mad_u32 v7, v9, s5, v7
	;; [unrolled: 1-line block ×3, first 2 shown]
	s_branch .LBB74_86
.LBB74_85:
	v_dual_mov_b32 v6, 0 :: v_dual_mov_b32 v7, 0
	v_mov_b32_e32 v5, 0
	s_and_not1_b32 vcc_lo, exec_lo, s2
	s_cbranch_vccz .LBB74_83
.LBB74_86:
	v_cmp_ne_u32_e32 vcc_lo, 1, v8
	v_add_nc_u32_e32 v11, 0x100, v0
	s_cbranch_vccnz .LBB74_92
; %bb.87:
	s_cmp_lg_u32 s28, 0
	s_mov_b32 s2, 0
	s_cbranch_scc0 .LBB74_96
; %bb.88:
	s_min_u32 s3, s29, 15
	v_dual_mov_b32 v0, 0 :: v_dual_mov_b32 v12, v11
	v_dual_mov_b32 v10, 0 :: v_dual_mov_b32 v9, 0
	s_add_co_i32 s4, s3, 1
	s_mov_b64 s[0:1], 0xffffffffffffffe8
	s_and_b32 s4, s4, 30
	s_add_nc_u64 s[0:1], s[16:17], s[0:1]
.LBB74_89:                              ; =>This Inner Loop Header: Depth=1
	s_clause 0x1
	s_load_b128 s[8:11], s[0:1], 0x1c
	s_load_b64 s[6:7], s[0:1], 0x2c
	s_add_co_i32 s4, s4, -2
	s_delay_alu instid0(SALU_CYCLE_1) | instskip(SKIP_2) | instid1(VALU_DEP_1)
	s_cmp_lg_u32 s4, 0
	s_wait_kmcnt 0x0
	v_mul_hi_u32 v13, s9, v12
	v_add_nc_u32_e32 v13, v12, v13
	s_delay_alu instid0(VALU_DEP_1) | instskip(NEXT) | instid1(VALU_DEP_1)
	v_lshrrev_b32_e32 v13, s10, v13
	v_mul_hi_u32 v14, s6, v13
	v_mul_lo_u32 v15, v13, s8
	s_clause 0x1
	s_load_b128 s[12:15], s[0:1], 0xdc
	s_load_b64 s[8:9], s[0:1], 0xec
	s_wait_xcnt 0x0
	s_add_nc_u64 s[0:1], s[0:1], 24
	s_delay_alu instid0(VALU_DEP_1) | instskip(NEXT) | instid1(VALU_DEP_1)
	v_dual_add_nc_u32 v14, v13, v14 :: v_dual_sub_nc_u32 v15, v12, v15
	v_lshrrev_b32_e32 v12, s7, v14
	s_wait_kmcnt 0x0
	s_delay_alu instid0(VALU_DEP_2) | instskip(NEXT) | instid1(VALU_DEP_2)
	v_mad_u32 v0, v15, s12, v0
	v_mul_lo_u32 v14, v12, s11
	v_mad_u32 v9, v15, s14, v9
	v_mad_u32 v10, v15, s13, v10
	s_delay_alu instid0(VALU_DEP_3) | instskip(NEXT) | instid1(VALU_DEP_1)
	v_sub_nc_u32_e32 v13, v13, v14
	v_mad_u32 v0, v13, s15, v0
	s_delay_alu instid0(VALU_DEP_4) | instskip(NEXT) | instid1(VALU_DEP_4)
	v_mad_u32 v9, v13, s9, v9
	v_mad_u32 v10, v13, s8, v10
	s_cbranch_scc1 .LBB74_89
; %bb.90:
	s_bitcmp1_b32 s3, 0
	s_cselect_b32 s3, -1, 0
	s_delay_alu instid0(SALU_CYCLE_1)
	s_and_b32 vcc_lo, exec_lo, s3
	s_cbranch_vccnz .LBB74_93
; %bb.91:
	s_clause 0x1
	s_load_b96 s[4:6], s[0:1], 0x1c
	s_load_b96 s[8:10], s[0:1], 0xdc
	s_wait_kmcnt 0x0
	v_mul_hi_u32 v13, s5, v12
	s_delay_alu instid0(VALU_DEP_1) | instskip(NEXT) | instid1(VALU_DEP_1)
	v_add_nc_u32_e32 v13, v12, v13
	v_lshrrev_b32_e32 v13, s6, v13
	s_delay_alu instid0(VALU_DEP_1) | instskip(NEXT) | instid1(VALU_DEP_1)
	v_mul_lo_u32 v13, v13, s4
	v_sub_nc_u32_e32 v12, v12, v13
	s_delay_alu instid0(VALU_DEP_1)
	v_mad_u32 v0, v12, s8, v0
	v_mad_u32 v10, v12, s9, v10
	;; [unrolled: 1-line block ×3, first 2 shown]
	s_and_not1_b32 vcc_lo, exec_lo, s2
	s_cbranch_vccz .LBB74_94
	s_branch .LBB74_97
.LBB74_92:
	s_mov_b32 s2, -1
                                        ; implicit-def: $vgpr9
                                        ; implicit-def: $vgpr10
                                        ; implicit-def: $vgpr0
.LBB74_93:
	s_delay_alu instid0(SALU_CYCLE_1)
	s_and_not1_b32 vcc_lo, exec_lo, s2
	s_cbranch_vccnz .LBB74_97
.LBB74_94:
	s_clause 0x1
	s_load_b96 s[0:2], s[16:17], 0x4
	s_load_b96 s[4:6], s[16:17], 0xc4
	s_cmp_lt_u32 s28, 2
	s_wait_kmcnt 0x0
	v_mul_hi_u32 v0, s1, v11
	s_delay_alu instid0(VALU_DEP_1) | instskip(NEXT) | instid1(VALU_DEP_1)
	v_add_nc_u32_e32 v0, v11, v0
	v_lshrrev_b32_e32 v12, s2, v0
	s_delay_alu instid0(VALU_DEP_1) | instskip(NEXT) | instid1(VALU_DEP_1)
	v_mul_lo_u32 v0, v12, s0
	v_sub_nc_u32_e32 v10, v11, v0
	s_delay_alu instid0(VALU_DEP_1)
	v_mul_lo_u32 v0, v10, s4
	v_mul_lo_u32 v9, v10, s6
	v_mul_lo_u32 v10, v10, s5
	s_cbranch_scc1 .LBB74_97
; %bb.95:
	s_clause 0x1
	s_load_b96 s[0:2], s[16:17], 0x10
	s_load_b96 s[4:6], s[16:17], 0xd0
	s_wait_kmcnt 0x0
	v_mul_hi_u32 v11, s1, v12
	s_delay_alu instid0(VALU_DEP_1) | instskip(NEXT) | instid1(VALU_DEP_1)
	v_add_nc_u32_e32 v11, v12, v11
	v_lshrrev_b32_e32 v11, s2, v11
	s_delay_alu instid0(VALU_DEP_1) | instskip(NEXT) | instid1(VALU_DEP_1)
	v_mul_lo_u32 v11, v11, s0
	v_sub_nc_u32_e32 v11, v12, v11
	s_delay_alu instid0(VALU_DEP_1)
	v_mad_u32 v0, v11, s4, v0
	v_mad_u32 v10, v11, s5, v10
	;; [unrolled: 1-line block ×3, first 2 shown]
	s_branch .LBB74_97
.LBB74_96:
	v_dual_mov_b32 v9, 0 :: v_dual_mov_b32 v10, 0
	v_mov_b32_e32 v0, 0
	s_and_not1_b32 vcc_lo, exec_lo, s2
	s_cbranch_vccz .LBB74_94
.LBB74_97:
	v_cmp_ne_u32_e32 vcc_lo, 1, v8
	s_cbranch_vccnz .LBB74_103
; %bb.98:
	s_cmp_lg_u32 s28, 0
	s_mov_b32 s2, 0
	s_cbranch_scc0 .LBB74_107
; %bb.99:
	s_min_u32 s3, s29, 15
	v_dual_mov_b32 v8, 0 :: v_dual_mov_b32 v13, v2
	v_dual_mov_b32 v12, 0 :: v_dual_mov_b32 v11, 0
	s_add_co_i32 s4, s3, 1
	s_mov_b64 s[0:1], 0xffffffffffffffe8
	s_and_b32 s4, s4, 30
	s_add_nc_u64 s[0:1], s[16:17], s[0:1]
.LBB74_100:                             ; =>This Inner Loop Header: Depth=1
	s_clause 0x1
	s_load_b128 s[8:11], s[0:1], 0x1c
	s_load_b64 s[6:7], s[0:1], 0x2c
	s_add_co_i32 s4, s4, -2
	s_delay_alu instid0(SALU_CYCLE_1) | instskip(SKIP_2) | instid1(VALU_DEP_1)
	s_cmp_lg_u32 s4, 0
	s_wait_kmcnt 0x0
	v_mul_hi_u32 v14, s9, v13
	v_add_nc_u32_e32 v14, v13, v14
	s_delay_alu instid0(VALU_DEP_1) | instskip(NEXT) | instid1(VALU_DEP_1)
	v_lshrrev_b32_e32 v14, s10, v14
	v_mul_hi_u32 v15, s6, v14
	v_mul_lo_u32 v16, v14, s8
	s_clause 0x1
	s_load_b128 s[12:15], s[0:1], 0xdc
	s_load_b64 s[8:9], s[0:1], 0xec
	s_wait_xcnt 0x0
	s_add_nc_u64 s[0:1], s[0:1], 24
	s_delay_alu instid0(VALU_DEP_1) | instskip(NEXT) | instid1(VALU_DEP_1)
	v_dual_add_nc_u32 v15, v14, v15 :: v_dual_sub_nc_u32 v16, v13, v16
	v_lshrrev_b32_e32 v13, s7, v15
	s_wait_kmcnt 0x0
	s_delay_alu instid0(VALU_DEP_2) | instskip(NEXT) | instid1(VALU_DEP_2)
	v_mad_u32 v8, v16, s12, v8
	v_mul_lo_u32 v15, v13, s11
	v_mad_u32 v11, v16, s14, v11
	v_mad_u32 v12, v16, s13, v12
	s_delay_alu instid0(VALU_DEP_3) | instskip(NEXT) | instid1(VALU_DEP_1)
	v_sub_nc_u32_e32 v14, v14, v15
	v_mad_u32 v8, v14, s15, v8
	s_delay_alu instid0(VALU_DEP_4) | instskip(NEXT) | instid1(VALU_DEP_4)
	v_mad_u32 v11, v14, s9, v11
	v_mad_u32 v12, v14, s8, v12
	s_cbranch_scc1 .LBB74_100
; %bb.101:
	s_bitcmp1_b32 s3, 0
	s_cselect_b32 s3, -1, 0
	s_delay_alu instid0(SALU_CYCLE_1)
	s_and_b32 vcc_lo, exec_lo, s3
	s_cbranch_vccnz .LBB74_104
; %bb.102:
	s_clause 0x1
	s_load_b96 s[4:6], s[0:1], 0x1c
	s_load_b96 s[8:10], s[0:1], 0xdc
	s_wait_kmcnt 0x0
	v_mul_hi_u32 v14, s5, v13
	s_delay_alu instid0(VALU_DEP_1) | instskip(NEXT) | instid1(VALU_DEP_1)
	v_add_nc_u32_e32 v14, v13, v14
	v_lshrrev_b32_e32 v14, s6, v14
	s_delay_alu instid0(VALU_DEP_1) | instskip(NEXT) | instid1(VALU_DEP_1)
	v_mul_lo_u32 v14, v14, s4
	v_sub_nc_u32_e32 v13, v13, v14
	s_delay_alu instid0(VALU_DEP_1)
	v_mad_u32 v8, v13, s8, v8
	v_mad_u32 v12, v13, s9, v12
	;; [unrolled: 1-line block ×3, first 2 shown]
	s_and_not1_b32 vcc_lo, exec_lo, s2
	s_cbranch_vccz .LBB74_105
	s_branch .LBB74_108
.LBB74_103:
	s_mov_b32 s2, -1
                                        ; implicit-def: $vgpr11
                                        ; implicit-def: $vgpr12
                                        ; implicit-def: $vgpr8
.LBB74_104:
	s_delay_alu instid0(SALU_CYCLE_1)
	s_and_not1_b32 vcc_lo, exec_lo, s2
	s_cbranch_vccnz .LBB74_108
.LBB74_105:
	s_clause 0x1
	s_load_b96 s[0:2], s[16:17], 0x4
	s_load_b96 s[4:6], s[16:17], 0xc4
	s_cmp_lt_u32 s28, 2
	s_wait_kmcnt 0x0
	v_mul_hi_u32 v8, s1, v2
	s_delay_alu instid0(VALU_DEP_1) | instskip(NEXT) | instid1(VALU_DEP_1)
	v_add_nc_u32_e32 v8, v2, v8
	v_lshrrev_b32_e32 v13, s2, v8
	s_delay_alu instid0(VALU_DEP_1) | instskip(NEXT) | instid1(VALU_DEP_1)
	v_mul_lo_u32 v8, v13, s0
	v_sub_nc_u32_e32 v2, v2, v8
	s_delay_alu instid0(VALU_DEP_1)
	v_mul_lo_u32 v8, v2, s4
	v_mul_lo_u32 v11, v2, s6
	;; [unrolled: 1-line block ×3, first 2 shown]
	s_cbranch_scc1 .LBB74_108
; %bb.106:
	s_clause 0x1
	s_load_b96 s[0:2], s[16:17], 0x10
	s_load_b96 s[4:6], s[16:17], 0xd0
	s_wait_kmcnt 0x0
	v_mul_hi_u32 v2, s1, v13
	s_delay_alu instid0(VALU_DEP_1) | instskip(NEXT) | instid1(VALU_DEP_1)
	v_add_nc_u32_e32 v2, v13, v2
	v_lshrrev_b32_e32 v2, s2, v2
	s_delay_alu instid0(VALU_DEP_1) | instskip(NEXT) | instid1(VALU_DEP_1)
	v_mul_lo_u32 v2, v2, s0
	v_sub_nc_u32_e32 v2, v13, v2
	s_delay_alu instid0(VALU_DEP_1)
	v_mad_u32 v8, v2, s4, v8
	v_mad_u32 v12, v2, s5, v12
	;; [unrolled: 1-line block ×3, first 2 shown]
	s_branch .LBB74_108
.LBB74_107:
	v_dual_mov_b32 v11, 0 :: v_dual_mov_b32 v12, 0
	v_mov_b32_e32 v8, 0
	s_and_not1_b32 vcc_lo, exec_lo, s2
	s_cbranch_vccz .LBB74_105
.LBB74_108:
	s_load_b256 s[0:7], s[16:17], 0x188
	s_mov_b32 s8, exec_lo
	s_wait_kmcnt 0x0
	global_load_u16 v13, v3, s[4:5]
	global_load_b32 v2, v4, s[2:3]
	s_wait_loadcnt 0x1
	s_wait_xcnt 0x1
	v_cvt_f32_f16_e32 v3, v13
	s_delay_alu instid0(VALU_DEP_1) | instskip(SKIP_1) | instid1(VALU_DEP_1)
	v_mul_f32_e32 v3, s6, v3
	s_wait_xcnt 0x0
	v_cmpx_nlt_f32_e32 s7, v3
	s_cbranch_execz .LBB74_110
; %bb.109:
	v_mul_f32_e32 v4, 0x3fb8aa3b, v3
	v_cmp_ngt_f32_e32 vcc_lo, 0xc2ce8ed0, v3
	s_delay_alu instid0(VALU_DEP_2) | instskip(SKIP_1) | instid1(VALU_DEP_2)
	v_rndne_f32_e32 v13, v4
	v_fma_f32 v14, 0x3fb8aa3b, v3, -v4
	v_sub_f32_e32 v4, v4, v13
	s_delay_alu instid0(VALU_DEP_2) | instskip(SKIP_1) | instid1(VALU_DEP_2)
	v_fmamk_f32 v14, v3, 0x32a5705f, v14
	v_cvt_i32_f32_e32 v13, v13
	v_add_f32_e32 v4, v4, v14
	s_delay_alu instid0(VALU_DEP_1) | instskip(SKIP_1) | instid1(TRANS32_DEP_1)
	v_exp_f32_e32 v4, v4
	v_nop
	v_ldexp_f32 v4, v4, v13
	s_delay_alu instid0(VALU_DEP_1) | instskip(SKIP_1) | instid1(VALU_DEP_2)
	v_cndmask_b32_e32 v4, 0, v4, vcc_lo
	v_cmp_nlt_f32_e32 vcc_lo, 0x42b17218, v3
	v_cndmask_b32_e32 v3, 0x7f800000, v4, vcc_lo
	s_wait_loadcnt 0x0
	s_delay_alu instid0(VALU_DEP_1) | instskip(NEXT) | instid1(VALU_DEP_1)
	v_dual_mul_f32 v2, v2, v3 :: v_dual_add_f32 v3, 1.0, v3
	v_div_scale_f32 v4, null, v3, v3, v2
	s_delay_alu instid0(VALU_DEP_1) | instskip(SKIP_1) | instid1(TRANS32_DEP_1)
	v_rcp_f32_e32 v13, v4
	v_nop
	v_fma_f32 v14, -v4, v13, 1.0
	s_delay_alu instid0(VALU_DEP_1) | instskip(SKIP_1) | instid1(VALU_DEP_1)
	v_fmac_f32_e32 v13, v14, v13
	v_div_scale_f32 v14, vcc_lo, v2, v3, v2
	v_mul_f32_e32 v15, v14, v13
	s_delay_alu instid0(VALU_DEP_1) | instskip(NEXT) | instid1(VALU_DEP_1)
	v_fma_f32 v16, -v4, v15, v14
	v_fmac_f32_e32 v15, v16, v13
	s_delay_alu instid0(VALU_DEP_1) | instskip(NEXT) | instid1(VALU_DEP_1)
	v_fma_f32 v4, -v4, v15, v14
	v_div_fmas_f32 v4, v4, v13, v15
	s_delay_alu instid0(VALU_DEP_1)
	v_div_fixup_f32 v2, v4, v3, v2
.LBB74_110:
	s_or_b32 exec_lo, exec_lo, s8
	global_load_u16 v4, v6, s[4:5]
	global_load_b32 v3, v7, s[2:3]
	s_mov_b32 s8, exec_lo
	s_wait_loadcnt 0x1
	v_cvt_f32_f16_e32 v4, v4
	s_delay_alu instid0(VALU_DEP_1) | instskip(SKIP_1) | instid1(VALU_DEP_1)
	v_mul_f32_e32 v4, s6, v4
	s_wait_xcnt 0x0
	v_cmpx_nlt_f32_e32 s7, v4
	s_cbranch_execz .LBB74_112
; %bb.111:
	v_mul_f32_e32 v6, 0x3fb8aa3b, v4
	v_cmp_ngt_f32_e32 vcc_lo, 0xc2ce8ed0, v4
	s_delay_alu instid0(VALU_DEP_2) | instskip(SKIP_1) | instid1(VALU_DEP_1)
	v_rndne_f32_e32 v7, v6
	v_fma_f32 v13, 0x3fb8aa3b, v4, -v6
	v_dual_sub_f32 v6, v6, v7 :: v_dual_fmamk_f32 v13, v4, 0x32a5705f, v13
	v_cvt_i32_f32_e32 v7, v7
	s_delay_alu instid0(VALU_DEP_2) | instskip(NEXT) | instid1(VALU_DEP_1)
	v_add_f32_e32 v6, v6, v13
	v_exp_f32_e32 v6, v6
	v_nop
	s_delay_alu instid0(TRANS32_DEP_1) | instskip(NEXT) | instid1(VALU_DEP_1)
	v_ldexp_f32 v6, v6, v7
	v_cndmask_b32_e32 v6, 0, v6, vcc_lo
	v_cmp_nlt_f32_e32 vcc_lo, 0x42b17218, v4
	s_delay_alu instid0(VALU_DEP_2) | instskip(SKIP_1) | instid1(VALU_DEP_1)
	v_cndmask_b32_e32 v4, 0x7f800000, v6, vcc_lo
	s_wait_loadcnt 0x0
	v_dual_mul_f32 v3, v3, v4 :: v_dual_add_f32 v4, 1.0, v4
	s_delay_alu instid0(VALU_DEP_1) | instskip(NEXT) | instid1(VALU_DEP_1)
	v_div_scale_f32 v6, null, v4, v4, v3
	v_rcp_f32_e32 v7, v6
	v_nop
	s_delay_alu instid0(TRANS32_DEP_1) | instskip(NEXT) | instid1(VALU_DEP_1)
	v_fma_f32 v13, -v6, v7, 1.0
	v_fmac_f32_e32 v7, v13, v7
	v_div_scale_f32 v13, vcc_lo, v3, v4, v3
	s_delay_alu instid0(VALU_DEP_1) | instskip(NEXT) | instid1(VALU_DEP_1)
	v_mul_f32_e32 v14, v13, v7
	v_fma_f32 v15, -v6, v14, v13
	s_delay_alu instid0(VALU_DEP_1) | instskip(NEXT) | instid1(VALU_DEP_1)
	v_fmac_f32_e32 v14, v15, v7
	v_fma_f32 v6, -v6, v14, v13
	s_delay_alu instid0(VALU_DEP_1) | instskip(NEXT) | instid1(VALU_DEP_1)
	v_div_fmas_f32 v6, v6, v7, v14
	v_div_fixup_f32 v3, v6, v4, v3
.LBB74_112:
	s_or_b32 exec_lo, exec_lo, s8
	global_load_u16 v6, v9, s[4:5]
	global_load_b32 v4, v10, s[2:3]
	s_mov_b32 s8, exec_lo
	s_wait_loadcnt 0x1
	v_cvt_f32_f16_e32 v6, v6
	s_delay_alu instid0(VALU_DEP_1) | instskip(SKIP_1) | instid1(VALU_DEP_1)
	v_mul_f32_e32 v6, s6, v6
	s_wait_xcnt 0x0
	v_cmpx_nlt_f32_e32 s7, v6
	s_cbranch_execz .LBB74_114
; %bb.113:
	v_mul_f32_e32 v7, 0x3fb8aa3b, v6
	v_cmp_ngt_f32_e32 vcc_lo, 0xc2ce8ed0, v6
	s_delay_alu instid0(VALU_DEP_2) | instskip(SKIP_1) | instid1(VALU_DEP_1)
	v_rndne_f32_e32 v9, v7
	v_fma_f32 v10, 0x3fb8aa3b, v6, -v7
	v_dual_sub_f32 v7, v7, v9 :: v_dual_fmamk_f32 v10, v6, 0x32a5705f, v10
	v_cvt_i32_f32_e32 v9, v9
	s_delay_alu instid0(VALU_DEP_2) | instskip(NEXT) | instid1(VALU_DEP_1)
	v_add_f32_e32 v7, v7, v10
	v_exp_f32_e32 v7, v7
	v_nop
	s_delay_alu instid0(TRANS32_DEP_1) | instskip(NEXT) | instid1(VALU_DEP_1)
	v_ldexp_f32 v7, v7, v9
	v_cndmask_b32_e32 v7, 0, v7, vcc_lo
	v_cmp_nlt_f32_e32 vcc_lo, 0x42b17218, v6
	s_delay_alu instid0(VALU_DEP_2) | instskip(SKIP_1) | instid1(VALU_DEP_1)
	v_cndmask_b32_e32 v6, 0x7f800000, v7, vcc_lo
	s_wait_loadcnt 0x0
	v_dual_mul_f32 v4, v4, v6 :: v_dual_add_f32 v6, 1.0, v6
	s_delay_alu instid0(VALU_DEP_1) | instskip(NEXT) | instid1(VALU_DEP_1)
	v_div_scale_f32 v7, null, v6, v6, v4
	v_rcp_f32_e32 v9, v7
	v_nop
	s_delay_alu instid0(TRANS32_DEP_1) | instskip(NEXT) | instid1(VALU_DEP_1)
	v_fma_f32 v10, -v7, v9, 1.0
	v_fmac_f32_e32 v9, v10, v9
	v_div_scale_f32 v10, vcc_lo, v4, v6, v4
	s_delay_alu instid0(VALU_DEP_1) | instskip(NEXT) | instid1(VALU_DEP_1)
	v_mul_f32_e32 v13, v10, v9
	v_fma_f32 v14, -v7, v13, v10
	s_delay_alu instid0(VALU_DEP_1) | instskip(NEXT) | instid1(VALU_DEP_1)
	v_fmac_f32_e32 v13, v14, v9
	v_fma_f32 v7, -v7, v13, v10
	s_delay_alu instid0(VALU_DEP_1) | instskip(NEXT) | instid1(VALU_DEP_1)
	v_div_fmas_f32 v7, v7, v9, v13
	v_div_fixup_f32 v4, v7, v6, v4
.LBB74_114:
	s_or_b32 exec_lo, exec_lo, s8
	global_load_u16 v7, v11, s[4:5]
	global_load_b32 v6, v12, s[2:3]
	s_wait_xcnt 0x0
	s_mov_b32 s2, exec_lo
	s_wait_loadcnt 0x1
	v_cvt_f32_f16_e32 v7, v7
	s_delay_alu instid0(VALU_DEP_1) | instskip(NEXT) | instid1(VALU_DEP_1)
	v_mul_f32_e32 v7, s6, v7
	v_cmpx_nlt_f32_e32 s7, v7
	s_cbranch_execz .LBB74_116
; %bb.115:
	v_mul_f32_e32 v9, 0x3fb8aa3b, v7
	v_cmp_ngt_f32_e32 vcc_lo, 0xc2ce8ed0, v7
	s_delay_alu instid0(VALU_DEP_2) | instskip(SKIP_1) | instid1(VALU_DEP_2)
	v_rndne_f32_e32 v10, v9
	v_fma_f32 v11, 0x3fb8aa3b, v7, -v9
	v_sub_f32_e32 v9, v9, v10
	s_delay_alu instid0(VALU_DEP_2) | instskip(SKIP_1) | instid1(VALU_DEP_2)
	v_fmamk_f32 v11, v7, 0x32a5705f, v11
	v_cvt_i32_f32_e32 v10, v10
	v_add_f32_e32 v9, v9, v11
	s_delay_alu instid0(VALU_DEP_1) | instskip(SKIP_1) | instid1(TRANS32_DEP_1)
	v_exp_f32_e32 v9, v9
	v_nop
	v_ldexp_f32 v9, v9, v10
	s_delay_alu instid0(VALU_DEP_1) | instskip(SKIP_1) | instid1(VALU_DEP_2)
	v_cndmask_b32_e32 v9, 0, v9, vcc_lo
	v_cmp_nlt_f32_e32 vcc_lo, 0x42b17218, v7
	v_cndmask_b32_e32 v7, 0x7f800000, v9, vcc_lo
	s_wait_loadcnt 0x0
	s_delay_alu instid0(VALU_DEP_1) | instskip(NEXT) | instid1(VALU_DEP_1)
	v_dual_mul_f32 v6, v6, v7 :: v_dual_add_f32 v7, 1.0, v7
	v_div_scale_f32 v9, null, v7, v7, v6
	s_delay_alu instid0(VALU_DEP_1) | instskip(SKIP_1) | instid1(TRANS32_DEP_1)
	v_rcp_f32_e32 v10, v9
	v_nop
	v_fma_f32 v11, -v9, v10, 1.0
	s_delay_alu instid0(VALU_DEP_1) | instskip(SKIP_1) | instid1(VALU_DEP_1)
	v_fmac_f32_e32 v10, v11, v10
	v_div_scale_f32 v11, vcc_lo, v6, v7, v6
	v_mul_f32_e32 v12, v11, v10
	s_delay_alu instid0(VALU_DEP_1) | instskip(NEXT) | instid1(VALU_DEP_1)
	v_fma_f32 v13, -v9, v12, v11
	v_fmac_f32_e32 v12, v13, v10
	s_delay_alu instid0(VALU_DEP_1) | instskip(NEXT) | instid1(VALU_DEP_1)
	v_fma_f32 v9, -v9, v12, v11
	v_div_fmas_f32 v9, v9, v10, v12
	s_delay_alu instid0(VALU_DEP_1)
	v_div_fixup_f32 v6, v9, v7, v6
.LBB74_116:
	s_or_b32 exec_lo, exec_lo, s2
	s_clause 0x2
	global_store_b32 v1, v2, s[0:1]
	global_store_b32 v5, v3, s[0:1]
	;; [unrolled: 1-line block ×3, first 2 shown]
	s_wait_loadcnt 0x0
	global_store_b32 v8, v6, s[0:1]
	s_endpgm
	.section	.rodata,"a",@progbits
	.p2align	6, 0x0
	.amdhsa_kernel _ZN2at6native32elementwise_kernel_manual_unrollILi128ELi4EZNS0_12_GLOBAL__N_142type_specialized_broadcast_kernel_launcherILi3EE5applyIZZZNS2_24softplus_backward_kernelERNS_18TensorIteratorBaseERKN3c106ScalarESB_ENKUlvE_clEvENKUlvE0_clEvEUlffE_St5arrayIPcLm3EESF_INS8_10ScalarTypeELm3EE16OffsetCalculatorILi3EjLb0EEEEvlT_T0_T1_T2_EUlibE_EEviSO_
		.amdhsa_group_segment_fixed_size 0
		.amdhsa_private_segment_fixed_size 0
		.amdhsa_kernarg_size 432
		.amdhsa_user_sgpr_count 2
		.amdhsa_user_sgpr_dispatch_ptr 0
		.amdhsa_user_sgpr_queue_ptr 0
		.amdhsa_user_sgpr_kernarg_segment_ptr 1
		.amdhsa_user_sgpr_dispatch_id 0
		.amdhsa_user_sgpr_kernarg_preload_length 0
		.amdhsa_user_sgpr_kernarg_preload_offset 0
		.amdhsa_user_sgpr_private_segment_size 0
		.amdhsa_wavefront_size32 1
		.amdhsa_uses_dynamic_stack 0
		.amdhsa_enable_private_segment 0
		.amdhsa_system_sgpr_workgroup_id_x 1
		.amdhsa_system_sgpr_workgroup_id_y 0
		.amdhsa_system_sgpr_workgroup_id_z 0
		.amdhsa_system_sgpr_workgroup_info 0
		.amdhsa_system_vgpr_workitem_id 0
		.amdhsa_next_free_vgpr 17
		.amdhsa_next_free_sgpr 48
		.amdhsa_named_barrier_count 0
		.amdhsa_reserve_vcc 1
		.amdhsa_float_round_mode_32 0
		.amdhsa_float_round_mode_16_64 0
		.amdhsa_float_denorm_mode_32 3
		.amdhsa_float_denorm_mode_16_64 3
		.amdhsa_fp16_overflow 0
		.amdhsa_memory_ordered 1
		.amdhsa_forward_progress 1
		.amdhsa_inst_pref_size 57
		.amdhsa_round_robin_scheduling 0
		.amdhsa_exception_fp_ieee_invalid_op 0
		.amdhsa_exception_fp_denorm_src 0
		.amdhsa_exception_fp_ieee_div_zero 0
		.amdhsa_exception_fp_ieee_overflow 0
		.amdhsa_exception_fp_ieee_underflow 0
		.amdhsa_exception_fp_ieee_inexact 0
		.amdhsa_exception_int_div_zero 0
	.end_amdhsa_kernel
	.section	.text._ZN2at6native32elementwise_kernel_manual_unrollILi128ELi4EZNS0_12_GLOBAL__N_142type_specialized_broadcast_kernel_launcherILi3EE5applyIZZZNS2_24softplus_backward_kernelERNS_18TensorIteratorBaseERKN3c106ScalarESB_ENKUlvE_clEvENKUlvE0_clEvEUlffE_St5arrayIPcLm3EESF_INS8_10ScalarTypeELm3EE16OffsetCalculatorILi3EjLb0EEEEvlT_T0_T1_T2_EUlibE_EEviSO_,"axG",@progbits,_ZN2at6native32elementwise_kernel_manual_unrollILi128ELi4EZNS0_12_GLOBAL__N_142type_specialized_broadcast_kernel_launcherILi3EE5applyIZZZNS2_24softplus_backward_kernelERNS_18TensorIteratorBaseERKN3c106ScalarESB_ENKUlvE_clEvENKUlvE0_clEvEUlffE_St5arrayIPcLm3EESF_INS8_10ScalarTypeELm3EE16OffsetCalculatorILi3EjLb0EEEEvlT_T0_T1_T2_EUlibE_EEviSO_,comdat
.Lfunc_end74:
	.size	_ZN2at6native32elementwise_kernel_manual_unrollILi128ELi4EZNS0_12_GLOBAL__N_142type_specialized_broadcast_kernel_launcherILi3EE5applyIZZZNS2_24softplus_backward_kernelERNS_18TensorIteratorBaseERKN3c106ScalarESB_ENKUlvE_clEvENKUlvE0_clEvEUlffE_St5arrayIPcLm3EESF_INS8_10ScalarTypeELm3EE16OffsetCalculatorILi3EjLb0EEEEvlT_T0_T1_T2_EUlibE_EEviSO_, .Lfunc_end74-_ZN2at6native32elementwise_kernel_manual_unrollILi128ELi4EZNS0_12_GLOBAL__N_142type_specialized_broadcast_kernel_launcherILi3EE5applyIZZZNS2_24softplus_backward_kernelERNS_18TensorIteratorBaseERKN3c106ScalarESB_ENKUlvE_clEvENKUlvE0_clEvEUlffE_St5arrayIPcLm3EESF_INS8_10ScalarTypeELm3EE16OffsetCalculatorILi3EjLb0EEEEvlT_T0_T1_T2_EUlibE_EEviSO_
                                        ; -- End function
	.set _ZN2at6native32elementwise_kernel_manual_unrollILi128ELi4EZNS0_12_GLOBAL__N_142type_specialized_broadcast_kernel_launcherILi3EE5applyIZZZNS2_24softplus_backward_kernelERNS_18TensorIteratorBaseERKN3c106ScalarESB_ENKUlvE_clEvENKUlvE0_clEvEUlffE_St5arrayIPcLm3EESF_INS8_10ScalarTypeELm3EE16OffsetCalculatorILi3EjLb0EEEEvlT_T0_T1_T2_EUlibE_EEviSO_.num_vgpr, 17
	.set _ZN2at6native32elementwise_kernel_manual_unrollILi128ELi4EZNS0_12_GLOBAL__N_142type_specialized_broadcast_kernel_launcherILi3EE5applyIZZZNS2_24softplus_backward_kernelERNS_18TensorIteratorBaseERKN3c106ScalarESB_ENKUlvE_clEvENKUlvE0_clEvEUlffE_St5arrayIPcLm3EESF_INS8_10ScalarTypeELm3EE16OffsetCalculatorILi3EjLb0EEEEvlT_T0_T1_T2_EUlibE_EEviSO_.num_agpr, 0
	.set _ZN2at6native32elementwise_kernel_manual_unrollILi128ELi4EZNS0_12_GLOBAL__N_142type_specialized_broadcast_kernel_launcherILi3EE5applyIZZZNS2_24softplus_backward_kernelERNS_18TensorIteratorBaseERKN3c106ScalarESB_ENKUlvE_clEvENKUlvE0_clEvEUlffE_St5arrayIPcLm3EESF_INS8_10ScalarTypeELm3EE16OffsetCalculatorILi3EjLb0EEEEvlT_T0_T1_T2_EUlibE_EEviSO_.numbered_sgpr, 48
	.set _ZN2at6native32elementwise_kernel_manual_unrollILi128ELi4EZNS0_12_GLOBAL__N_142type_specialized_broadcast_kernel_launcherILi3EE5applyIZZZNS2_24softplus_backward_kernelERNS_18TensorIteratorBaseERKN3c106ScalarESB_ENKUlvE_clEvENKUlvE0_clEvEUlffE_St5arrayIPcLm3EESF_INS8_10ScalarTypeELm3EE16OffsetCalculatorILi3EjLb0EEEEvlT_T0_T1_T2_EUlibE_EEviSO_.num_named_barrier, 0
	.set _ZN2at6native32elementwise_kernel_manual_unrollILi128ELi4EZNS0_12_GLOBAL__N_142type_specialized_broadcast_kernel_launcherILi3EE5applyIZZZNS2_24softplus_backward_kernelERNS_18TensorIteratorBaseERKN3c106ScalarESB_ENKUlvE_clEvENKUlvE0_clEvEUlffE_St5arrayIPcLm3EESF_INS8_10ScalarTypeELm3EE16OffsetCalculatorILi3EjLb0EEEEvlT_T0_T1_T2_EUlibE_EEviSO_.private_seg_size, 0
	.set _ZN2at6native32elementwise_kernel_manual_unrollILi128ELi4EZNS0_12_GLOBAL__N_142type_specialized_broadcast_kernel_launcherILi3EE5applyIZZZNS2_24softplus_backward_kernelERNS_18TensorIteratorBaseERKN3c106ScalarESB_ENKUlvE_clEvENKUlvE0_clEvEUlffE_St5arrayIPcLm3EESF_INS8_10ScalarTypeELm3EE16OffsetCalculatorILi3EjLb0EEEEvlT_T0_T1_T2_EUlibE_EEviSO_.uses_vcc, 1
	.set _ZN2at6native32elementwise_kernel_manual_unrollILi128ELi4EZNS0_12_GLOBAL__N_142type_specialized_broadcast_kernel_launcherILi3EE5applyIZZZNS2_24softplus_backward_kernelERNS_18TensorIteratorBaseERKN3c106ScalarESB_ENKUlvE_clEvENKUlvE0_clEvEUlffE_St5arrayIPcLm3EESF_INS8_10ScalarTypeELm3EE16OffsetCalculatorILi3EjLb0EEEEvlT_T0_T1_T2_EUlibE_EEviSO_.uses_flat_scratch, 0
	.set _ZN2at6native32elementwise_kernel_manual_unrollILi128ELi4EZNS0_12_GLOBAL__N_142type_specialized_broadcast_kernel_launcherILi3EE5applyIZZZNS2_24softplus_backward_kernelERNS_18TensorIteratorBaseERKN3c106ScalarESB_ENKUlvE_clEvENKUlvE0_clEvEUlffE_St5arrayIPcLm3EESF_INS8_10ScalarTypeELm3EE16OffsetCalculatorILi3EjLb0EEEEvlT_T0_T1_T2_EUlibE_EEviSO_.has_dyn_sized_stack, 0
	.set _ZN2at6native32elementwise_kernel_manual_unrollILi128ELi4EZNS0_12_GLOBAL__N_142type_specialized_broadcast_kernel_launcherILi3EE5applyIZZZNS2_24softplus_backward_kernelERNS_18TensorIteratorBaseERKN3c106ScalarESB_ENKUlvE_clEvENKUlvE0_clEvEUlffE_St5arrayIPcLm3EESF_INS8_10ScalarTypeELm3EE16OffsetCalculatorILi3EjLb0EEEEvlT_T0_T1_T2_EUlibE_EEviSO_.has_recursion, 0
	.set _ZN2at6native32elementwise_kernel_manual_unrollILi128ELi4EZNS0_12_GLOBAL__N_142type_specialized_broadcast_kernel_launcherILi3EE5applyIZZZNS2_24softplus_backward_kernelERNS_18TensorIteratorBaseERKN3c106ScalarESB_ENKUlvE_clEvENKUlvE0_clEvEUlffE_St5arrayIPcLm3EESF_INS8_10ScalarTypeELm3EE16OffsetCalculatorILi3EjLb0EEEEvlT_T0_T1_T2_EUlibE_EEviSO_.has_indirect_call, 0
	.section	.AMDGPU.csdata,"",@progbits
; Kernel info:
; codeLenInByte = 7284
; TotalNumSgprs: 50
; NumVgprs: 17
; ScratchSize: 0
; MemoryBound: 0
; FloatMode: 240
; IeeeMode: 1
; LDSByteSize: 0 bytes/workgroup (compile time only)
; SGPRBlocks: 0
; VGPRBlocks: 1
; NumSGPRsForWavesPerEU: 50
; NumVGPRsForWavesPerEU: 17
; NamedBarCnt: 0
; Occupancy: 16
; WaveLimiterHint : 1
; COMPUTE_PGM_RSRC2:SCRATCH_EN: 0
; COMPUTE_PGM_RSRC2:USER_SGPR: 2
; COMPUTE_PGM_RSRC2:TRAP_HANDLER: 0
; COMPUTE_PGM_RSRC2:TGID_X_EN: 1
; COMPUTE_PGM_RSRC2:TGID_Y_EN: 0
; COMPUTE_PGM_RSRC2:TGID_Z_EN: 0
; COMPUTE_PGM_RSRC2:TIDIG_COMP_CNT: 0
	.section	.text._ZN2at6native32elementwise_kernel_manual_unrollILi128ELi4EZNS0_12_GLOBAL__N_142type_specialized_broadcast_kernel_launcherILi4EE5applyIZZZNS2_24softplus_backward_kernelERNS_18TensorIteratorBaseERKN3c106ScalarESB_ENKUlvE_clEvENKUlvE0_clEvEUlffE_St5arrayIPcLm3EESF_INS8_10ScalarTypeELm3EE16OffsetCalculatorILi3EjLb0EEEEvlT_T0_T1_T2_EUlibE_EEviSO_,"axG",@progbits,_ZN2at6native32elementwise_kernel_manual_unrollILi128ELi4EZNS0_12_GLOBAL__N_142type_specialized_broadcast_kernel_launcherILi4EE5applyIZZZNS2_24softplus_backward_kernelERNS_18TensorIteratorBaseERKN3c106ScalarESB_ENKUlvE_clEvENKUlvE0_clEvEUlffE_St5arrayIPcLm3EESF_INS8_10ScalarTypeELm3EE16OffsetCalculatorILi3EjLb0EEEEvlT_T0_T1_T2_EUlibE_EEviSO_,comdat
	.globl	_ZN2at6native32elementwise_kernel_manual_unrollILi128ELi4EZNS0_12_GLOBAL__N_142type_specialized_broadcast_kernel_launcherILi4EE5applyIZZZNS2_24softplus_backward_kernelERNS_18TensorIteratorBaseERKN3c106ScalarESB_ENKUlvE_clEvENKUlvE0_clEvEUlffE_St5arrayIPcLm3EESF_INS8_10ScalarTypeELm3EE16OffsetCalculatorILi3EjLb0EEEEvlT_T0_T1_T2_EUlibE_EEviSO_ ; -- Begin function _ZN2at6native32elementwise_kernel_manual_unrollILi128ELi4EZNS0_12_GLOBAL__N_142type_specialized_broadcast_kernel_launcherILi4EE5applyIZZZNS2_24softplus_backward_kernelERNS_18TensorIteratorBaseERKN3c106ScalarESB_ENKUlvE_clEvENKUlvE0_clEvEUlffE_St5arrayIPcLm3EESF_INS8_10ScalarTypeELm3EE16OffsetCalculatorILi3EjLb0EEEEvlT_T0_T1_T2_EUlibE_EEviSO_
	.p2align	8
	.type	_ZN2at6native32elementwise_kernel_manual_unrollILi128ELi4EZNS0_12_GLOBAL__N_142type_specialized_broadcast_kernel_launcherILi4EE5applyIZZZNS2_24softplus_backward_kernelERNS_18TensorIteratorBaseERKN3c106ScalarESB_ENKUlvE_clEvENKUlvE0_clEvEUlffE_St5arrayIPcLm3EESF_INS8_10ScalarTypeELm3EE16OffsetCalculatorILi3EjLb0EEEEvlT_T0_T1_T2_EUlibE_EEviSO_,@function
_ZN2at6native32elementwise_kernel_manual_unrollILi128ELi4EZNS0_12_GLOBAL__N_142type_specialized_broadcast_kernel_launcherILi4EE5applyIZZZNS2_24softplus_backward_kernelERNS_18TensorIteratorBaseERKN3c106ScalarESB_ENKUlvE_clEvENKUlvE0_clEvEUlffE_St5arrayIPcLm3EESF_INS8_10ScalarTypeELm3EE16OffsetCalculatorILi3EjLb0EEEEvlT_T0_T1_T2_EUlibE_EEviSO_: ; @_ZN2at6native32elementwise_kernel_manual_unrollILi128ELi4EZNS0_12_GLOBAL__N_142type_specialized_broadcast_kernel_launcherILi4EE5applyIZZZNS2_24softplus_backward_kernelERNS_18TensorIteratorBaseERKN3c106ScalarESB_ENKUlvE_clEvENKUlvE0_clEvEUlffE_St5arrayIPcLm3EESF_INS8_10ScalarTypeELm3EE16OffsetCalculatorILi3EjLb0EEEEvlT_T0_T1_T2_EUlibE_EEviSO_
; %bb.0:
	s_clause 0x1
	s_load_b32 s28, s[0:1], 0x8
	s_load_b32 s35, s[0:1], 0x0
	s_bfe_u32 s2, ttmp6, 0x4000c
	s_and_b32 s3, ttmp6, 15
	s_add_co_i32 s2, s2, 1
	s_getreg_b32 s4, hwreg(HW_REG_IB_STS2, 6, 4)
	s_mul_i32 s2, ttmp9, s2
	s_add_nc_u64 s[16:17], s[0:1], 8
	s_add_co_i32 s3, s3, s2
	s_cmp_eq_u32 s4, 0
	s_mov_b32 s23, 0
	s_cselect_b32 s2, ttmp9, s3
	s_wait_xcnt 0x0
	s_mov_b32 s0, exec_lo
	v_lshl_or_b32 v0, s2, 9, v0
	s_delay_alu instid0(VALU_DEP_1) | instskip(SKIP_2) | instid1(SALU_CYCLE_1)
	v_or_b32_e32 v2, 0x180, v0
	s_wait_kmcnt 0x0
	s_add_co_i32 s29, s28, -1
	s_cmp_gt_u32 s29, 1
	s_cselect_b32 s30, -1, 0
	v_cmpx_le_i32_e64 s35, v2
	s_xor_b32 s31, exec_lo, s0
	s_cbranch_execz .LBB75_62
; %bb.1:
	s_clause 0x4
	s_load_b128 s[8:11], s[16:17], 0x4
	s_load_b64 s[18:19], s[16:17], 0x14
	s_load_b128 s[12:15], s[16:17], 0xc4
	s_load_b64 s[20:21], s[16:17], 0xd4
	s_load_b256 s[0:7], s[16:17], 0x188
	s_cmp_lg_u32 s28, 0
	s_mov_b32 s25, s23
	s_cselect_b32 s36, -1, 0
	s_min_u32 s34, s29, 15
	s_cmp_gt_u32 s28, 1
	s_cselect_b32 s33, -1, 0
	s_wait_kmcnt 0x0
	s_mov_b32 s22, s9
	s_mov_b32 s24, s18
	s_mov_b32 s9, exec_lo
	v_cmpx_gt_i32_e64 s35, v0
	s_cbranch_execnz .LBB75_5
; %bb.2:
	s_or_b32 exec_lo, exec_lo, s9
	s_delay_alu instid0(SALU_CYCLE_1)
	s_mov_b32 s9, exec_lo
	v_cmpx_gt_i32_e64 s35, v0
	s_cbranch_execnz .LBB75_19
.LBB75_3:
	s_or_b32 exec_lo, exec_lo, s9
	s_delay_alu instid0(SALU_CYCLE_1)
	s_mov_b32 s9, exec_lo
	v_cmpx_gt_i32_e64 s35, v0
	s_cbranch_execnz .LBB75_33
.LBB75_4:
	s_or_b32 exec_lo, exec_lo, s9
	s_delay_alu instid0(SALU_CYCLE_1)
	s_mov_b32 s9, exec_lo
	v_cmpx_gt_i32_e64 s35, v0
	s_cbranch_execnz .LBB75_47
	s_branch .LBB75_61
.LBB75_5:
	s_and_not1_b32 vcc_lo, exec_lo, s30
	s_cbranch_vccnz .LBB75_11
; %bb.6:
	s_and_not1_b32 vcc_lo, exec_lo, s36
	s_cbranch_vccnz .LBB75_12
; %bb.7:
	v_dual_mov_b32 v4, 0 :: v_dual_mov_b32 v1, v0
	v_dual_mov_b32 v6, 0 :: v_dual_mov_b32 v5, 0
	s_add_co_i32 s18, s34, 1
	s_mov_b64 s[26:27], 0xffffffffffffffe8
	s_and_b32 s18, s18, 30
	s_add_nc_u64 s[26:27], s[16:17], s[26:27]
.LBB75_8:                               ; =>This Inner Loop Header: Depth=1
	s_clause 0x1
	s_load_b128 s[40:43], s[26:27], 0x1c
	s_load_b64 s[38:39], s[26:27], 0x2c
	s_add_co_i32 s18, s18, -2
	s_delay_alu instid0(SALU_CYCLE_1) | instskip(SKIP_2) | instid1(VALU_DEP_1)
	s_cmp_lg_u32 s18, 0
	s_wait_kmcnt 0x0
	v_mul_hi_u32 v2, s41, v1
	v_add_nc_u32_e32 v2, v1, v2
	s_delay_alu instid0(VALU_DEP_1) | instskip(NEXT) | instid1(VALU_DEP_1)
	v_lshrrev_b32_e32 v2, s42, v2
	v_mul_hi_u32 v3, s38, v2
	v_mul_lo_u32 v7, v2, s40
	s_clause 0x1
	s_load_b128 s[44:47], s[26:27], 0xdc
	s_load_b64 s[40:41], s[26:27], 0xec
	s_wait_xcnt 0x0
	s_add_nc_u64 s[26:27], s[26:27], 24
	s_delay_alu instid0(VALU_DEP_2) | instskip(NEXT) | instid1(VALU_DEP_2)
	v_add_nc_u32_e32 v3, v2, v3
	v_sub_nc_u32_e32 v7, v1, v7
	s_delay_alu instid0(VALU_DEP_2) | instskip(SKIP_1) | instid1(VALU_DEP_2)
	v_lshrrev_b32_e32 v1, s39, v3
	s_wait_kmcnt 0x0
	v_mad_u32 v4, v7, s44, v4
	s_delay_alu instid0(VALU_DEP_2) | instskip(SKIP_2) | instid1(VALU_DEP_3)
	v_mul_lo_u32 v3, v1, s43
	v_mad_u32 v5, v7, s46, v5
	v_mad_u32 v6, v7, s45, v6
	v_sub_nc_u32_e32 v2, v2, v3
	s_delay_alu instid0(VALU_DEP_1) | instskip(NEXT) | instid1(VALU_DEP_4)
	v_mad_u32 v4, v2, s47, v4
	v_mad_u32 v5, v2, s41, v5
	s_delay_alu instid0(VALU_DEP_4)
	v_mad_u32 v6, v2, s40, v6
	s_cbranch_scc1 .LBB75_8
; %bb.9:
	s_bitcmp1_b32 s34, 0
	s_cselect_b32 s18, -1, 0
	s_delay_alu instid0(SALU_CYCLE_1)
	s_and_b32 vcc_lo, exec_lo, s18
	s_cbranch_vccnz .LBB75_13
; %bb.10:
	s_clause 0x1
	s_load_b96 s[40:42], s[26:27], 0x1c
	s_load_b96 s[44:46], s[26:27], 0xdc
	s_wait_kmcnt 0x0
	v_mul_hi_u32 v2, s41, v1
	s_delay_alu instid0(VALU_DEP_1) | instskip(NEXT) | instid1(VALU_DEP_1)
	v_add_nc_u32_e32 v2, v1, v2
	v_lshrrev_b32_e32 v2, s42, v2
	s_delay_alu instid0(VALU_DEP_1) | instskip(NEXT) | instid1(VALU_DEP_1)
	v_mul_lo_u32 v2, v2, s40
	v_sub_nc_u32_e32 v1, v1, v2
	s_delay_alu instid0(VALU_DEP_1)
	v_mad_u32 v4, v1, s44, v4
	v_mad_u32 v6, v1, s45, v6
	;; [unrolled: 1-line block ×3, first 2 shown]
	s_cbranch_execz .LBB75_14
	s_branch .LBB75_16
.LBB75_11:
                                        ; implicit-def: $vgpr5
                                        ; implicit-def: $vgpr6
                                        ; implicit-def: $vgpr4
	s_branch .LBB75_14
.LBB75_12:
	v_dual_mov_b32 v5, 0 :: v_dual_mov_b32 v6, 0
	v_mov_b32_e32 v4, 0
.LBB75_13:
	s_cbranch_execnz .LBB75_16
.LBB75_14:
	v_mov_b32_e32 v1, 0
	s_and_not1_b32 vcc_lo, exec_lo, s33
	s_delay_alu instid0(VALU_DEP_1) | instskip(NEXT) | instid1(VALU_DEP_1)
	v_mul_u64_e32 v[2:3], s[22:23], v[0:1]
	v_add_nc_u32_e32 v2, v0, v3
	s_delay_alu instid0(VALU_DEP_1) | instskip(NEXT) | instid1(VALU_DEP_1)
	v_lshrrev_b32_e32 v2, s10, v2
	v_mul_lo_u32 v3, v2, s8
	s_delay_alu instid0(VALU_DEP_1) | instskip(NEXT) | instid1(VALU_DEP_1)
	v_sub_nc_u32_e32 v3, v0, v3
	v_mul_lo_u32 v4, v3, s12
	v_mul_lo_u32 v5, v3, s14
	;; [unrolled: 1-line block ×3, first 2 shown]
	s_cbranch_vccnz .LBB75_16
; %bb.15:
	v_mov_b32_e32 v3, v1
	s_delay_alu instid0(VALU_DEP_1) | instskip(NEXT) | instid1(VALU_DEP_1)
	v_mul_u64_e32 v[8:9], s[24:25], v[2:3]
	v_add_nc_u32_e32 v1, v2, v9
	s_delay_alu instid0(VALU_DEP_1) | instskip(NEXT) | instid1(VALU_DEP_1)
	v_lshrrev_b32_e32 v1, s19, v1
	v_mul_lo_u32 v1, v1, s11
	s_delay_alu instid0(VALU_DEP_1) | instskip(NEXT) | instid1(VALU_DEP_1)
	v_sub_nc_u32_e32 v1, v2, v1
	v_mad_u32 v4, v1, s15, v4
	v_mad_u32 v6, v1, s20, v6
	;; [unrolled: 1-line block ×3, first 2 shown]
.LBB75_16:
	global_load_b32 v1, v5, s[4:5]
	global_load_u16 v3, v6, s[2:3]
	s_mov_b32 s18, exec_lo
	s_wait_loadcnt 0x1
	v_mul_f32_e32 v2, s6, v1
	s_wait_loadcnt 0x0
	v_cvt_f32_f16_e32 v1, v3
	s_delay_alu instid0(VALU_DEP_2)
	v_cmpx_nlt_f32_e32 s7, v2
	s_cbranch_execz .LBB75_18
; %bb.17:
	v_mul_f32_e32 v3, 0x3fb8aa3b, v2
	v_cmp_ngt_f32_e32 vcc_lo, 0xc2ce8ed0, v2
	s_delay_alu instid0(VALU_DEP_2) | instskip(SKIP_1) | instid1(VALU_DEP_1)
	v_rndne_f32_e32 v5, v3
	v_fma_f32 v6, 0x3fb8aa3b, v2, -v3
	v_dual_sub_f32 v3, v3, v5 :: v_dual_fmamk_f32 v6, v2, 0x32a5705f, v6
	v_cvt_i32_f32_e32 v5, v5
	s_delay_alu instid0(VALU_DEP_2) | instskip(NEXT) | instid1(VALU_DEP_1)
	v_add_f32_e32 v3, v3, v6
	v_exp_f32_e32 v3, v3
	v_nop
	s_delay_alu instid0(TRANS32_DEP_1) | instskip(NEXT) | instid1(VALU_DEP_1)
	v_ldexp_f32 v3, v3, v5
	v_cndmask_b32_e32 v3, 0, v3, vcc_lo
	v_cmp_nlt_f32_e32 vcc_lo, 0x42b17218, v2
	s_delay_alu instid0(VALU_DEP_2) | instskip(NEXT) | instid1(VALU_DEP_1)
	v_cndmask_b32_e32 v2, 0x7f800000, v3, vcc_lo
	v_dual_mul_f32 v1, v2, v1 :: v_dual_add_f32 v2, 1.0, v2
	s_delay_alu instid0(VALU_DEP_1) | instskip(NEXT) | instid1(VALU_DEP_1)
	v_div_scale_f32 v3, null, v2, v2, v1
	v_rcp_f32_e32 v5, v3
	v_nop
	s_delay_alu instid0(TRANS32_DEP_1) | instskip(NEXT) | instid1(VALU_DEP_1)
	v_fma_f32 v6, -v3, v5, 1.0
	v_fmac_f32_e32 v5, v6, v5
	v_div_scale_f32 v6, vcc_lo, v1, v2, v1
	s_delay_alu instid0(VALU_DEP_1) | instskip(NEXT) | instid1(VALU_DEP_1)
	v_mul_f32_e32 v7, v6, v5
	v_fma_f32 v8, -v3, v7, v6
	s_delay_alu instid0(VALU_DEP_1) | instskip(NEXT) | instid1(VALU_DEP_1)
	v_fmac_f32_e32 v7, v8, v5
	v_fma_f32 v3, -v3, v7, v6
	s_delay_alu instid0(VALU_DEP_1) | instskip(NEXT) | instid1(VALU_DEP_1)
	v_div_fmas_f32 v3, v3, v5, v7
	v_div_fixup_f32 v1, v3, v2, v1
.LBB75_18:
	s_or_b32 exec_lo, exec_lo, s18
	v_add_nc_u32_e32 v0, 0x80, v0
	global_store_b32 v4, v1, s[0:1]
	s_wait_xcnt 0x0
	s_or_b32 exec_lo, exec_lo, s9
	s_delay_alu instid0(SALU_CYCLE_1)
	s_mov_b32 s9, exec_lo
	v_cmpx_gt_i32_e64 s35, v0
	s_cbranch_execz .LBB75_3
.LBB75_19:
	s_and_not1_b32 vcc_lo, exec_lo, s30
	s_cbranch_vccnz .LBB75_25
; %bb.20:
	s_and_not1_b32 vcc_lo, exec_lo, s36
	s_cbranch_vccnz .LBB75_26
; %bb.21:
	v_dual_mov_b32 v4, 0 :: v_dual_mov_b32 v1, v0
	v_dual_mov_b32 v6, 0 :: v_dual_mov_b32 v5, 0
	s_add_co_i32 s18, s34, 1
	s_mov_b64 s[26:27], 0xffffffffffffffe8
	s_and_b32 s18, s18, 30
	s_add_nc_u64 s[26:27], s[16:17], s[26:27]
.LBB75_22:                              ; =>This Inner Loop Header: Depth=1
	s_clause 0x1
	s_load_b128 s[40:43], s[26:27], 0x1c
	s_load_b64 s[38:39], s[26:27], 0x2c
	s_add_co_i32 s18, s18, -2
	s_delay_alu instid0(SALU_CYCLE_1) | instskip(SKIP_2) | instid1(VALU_DEP_1)
	s_cmp_eq_u32 s18, 0
	s_wait_kmcnt 0x0
	v_mul_hi_u32 v2, s41, v1
	v_add_nc_u32_e32 v2, v1, v2
	s_delay_alu instid0(VALU_DEP_1) | instskip(NEXT) | instid1(VALU_DEP_1)
	v_lshrrev_b32_e32 v2, s42, v2
	v_mul_hi_u32 v3, s38, v2
	v_mul_lo_u32 v7, v2, s40
	s_clause 0x1
	s_load_b128 s[44:47], s[26:27], 0xdc
	s_load_b64 s[40:41], s[26:27], 0xec
	s_wait_xcnt 0x0
	s_add_nc_u64 s[26:27], s[26:27], 24
	s_delay_alu instid0(VALU_DEP_2) | instskip(NEXT) | instid1(VALU_DEP_2)
	v_add_nc_u32_e32 v3, v2, v3
	v_sub_nc_u32_e32 v7, v1, v7
	s_delay_alu instid0(VALU_DEP_2) | instskip(SKIP_1) | instid1(VALU_DEP_2)
	v_lshrrev_b32_e32 v1, s39, v3
	s_wait_kmcnt 0x0
	v_mad_u32 v4, v7, s44, v4
	s_delay_alu instid0(VALU_DEP_2) | instskip(SKIP_2) | instid1(VALU_DEP_3)
	v_mul_lo_u32 v3, v1, s43
	v_mad_u32 v5, v7, s46, v5
	v_mad_u32 v6, v7, s45, v6
	v_sub_nc_u32_e32 v2, v2, v3
	s_delay_alu instid0(VALU_DEP_1) | instskip(NEXT) | instid1(VALU_DEP_4)
	v_mad_u32 v4, v2, s47, v4
	v_mad_u32 v5, v2, s41, v5
	s_delay_alu instid0(VALU_DEP_4)
	v_mad_u32 v6, v2, s40, v6
	s_cbranch_scc0 .LBB75_22
; %bb.23:
	s_bitcmp1_b32 s34, 0
	s_cselect_b32 s18, -1, 0
	s_delay_alu instid0(SALU_CYCLE_1)
	s_and_b32 vcc_lo, exec_lo, s18
	s_cbranch_vccnz .LBB75_27
; %bb.24:
	s_clause 0x1
	s_load_b96 s[40:42], s[26:27], 0x1c
	s_load_b96 s[44:46], s[26:27], 0xdc
	s_wait_kmcnt 0x0
	v_mul_hi_u32 v2, s41, v1
	s_delay_alu instid0(VALU_DEP_1) | instskip(NEXT) | instid1(VALU_DEP_1)
	v_add_nc_u32_e32 v2, v1, v2
	v_lshrrev_b32_e32 v2, s42, v2
	s_delay_alu instid0(VALU_DEP_1) | instskip(NEXT) | instid1(VALU_DEP_1)
	v_mul_lo_u32 v2, v2, s40
	v_sub_nc_u32_e32 v1, v1, v2
	s_delay_alu instid0(VALU_DEP_1)
	v_mad_u32 v4, v1, s44, v4
	v_mad_u32 v6, v1, s45, v6
	;; [unrolled: 1-line block ×3, first 2 shown]
	s_branch .LBB75_27
.LBB75_25:
                                        ; implicit-def: $vgpr5
                                        ; implicit-def: $vgpr6
                                        ; implicit-def: $vgpr4
	s_branch .LBB75_28
.LBB75_26:
	v_dual_mov_b32 v5, 0 :: v_dual_mov_b32 v6, 0
	v_mov_b32_e32 v4, 0
.LBB75_27:
	s_cbranch_execnz .LBB75_30
.LBB75_28:
	v_mov_b32_e32 v1, 0
	s_and_not1_b32 vcc_lo, exec_lo, s33
	s_delay_alu instid0(VALU_DEP_1) | instskip(NEXT) | instid1(VALU_DEP_1)
	v_mul_u64_e32 v[2:3], s[22:23], v[0:1]
	v_add_nc_u32_e32 v2, v0, v3
	s_delay_alu instid0(VALU_DEP_1) | instskip(NEXT) | instid1(VALU_DEP_1)
	v_lshrrev_b32_e32 v2, s10, v2
	v_mul_lo_u32 v3, v2, s8
	s_delay_alu instid0(VALU_DEP_1) | instskip(NEXT) | instid1(VALU_DEP_1)
	v_sub_nc_u32_e32 v3, v0, v3
	v_mul_lo_u32 v4, v3, s12
	v_mul_lo_u32 v5, v3, s14
	;; [unrolled: 1-line block ×3, first 2 shown]
	s_cbranch_vccnz .LBB75_30
; %bb.29:
	v_mov_b32_e32 v3, v1
	s_delay_alu instid0(VALU_DEP_1) | instskip(NEXT) | instid1(VALU_DEP_1)
	v_mul_u64_e32 v[8:9], s[24:25], v[2:3]
	v_add_nc_u32_e32 v1, v2, v9
	s_delay_alu instid0(VALU_DEP_1) | instskip(NEXT) | instid1(VALU_DEP_1)
	v_lshrrev_b32_e32 v1, s19, v1
	v_mul_lo_u32 v1, v1, s11
	s_delay_alu instid0(VALU_DEP_1) | instskip(NEXT) | instid1(VALU_DEP_1)
	v_sub_nc_u32_e32 v1, v2, v1
	v_mad_u32 v4, v1, s15, v4
	v_mad_u32 v6, v1, s20, v6
	;; [unrolled: 1-line block ×3, first 2 shown]
.LBB75_30:
	global_load_b32 v1, v5, s[4:5]
	global_load_u16 v3, v6, s[2:3]
	s_mov_b32 s18, exec_lo
	s_wait_loadcnt 0x1
	v_mul_f32_e32 v2, s6, v1
	s_wait_loadcnt 0x0
	v_cvt_f32_f16_e32 v1, v3
	s_wait_xcnt 0x0
	s_delay_alu instid0(VALU_DEP_2)
	v_cmpx_nlt_f32_e32 s7, v2
	s_cbranch_execz .LBB75_32
; %bb.31:
	v_mul_f32_e32 v3, 0x3fb8aa3b, v2
	v_cmp_ngt_f32_e32 vcc_lo, 0xc2ce8ed0, v2
	s_delay_alu instid0(VALU_DEP_2) | instskip(SKIP_1) | instid1(VALU_DEP_1)
	v_rndne_f32_e32 v5, v3
	v_fma_f32 v6, 0x3fb8aa3b, v2, -v3
	v_dual_sub_f32 v3, v3, v5 :: v_dual_fmamk_f32 v6, v2, 0x32a5705f, v6
	v_cvt_i32_f32_e32 v5, v5
	s_delay_alu instid0(VALU_DEP_2) | instskip(NEXT) | instid1(VALU_DEP_1)
	v_add_f32_e32 v3, v3, v6
	v_exp_f32_e32 v3, v3
	v_nop
	s_delay_alu instid0(TRANS32_DEP_1) | instskip(NEXT) | instid1(VALU_DEP_1)
	v_ldexp_f32 v3, v3, v5
	v_cndmask_b32_e32 v3, 0, v3, vcc_lo
	v_cmp_nlt_f32_e32 vcc_lo, 0x42b17218, v2
	s_delay_alu instid0(VALU_DEP_2) | instskip(NEXT) | instid1(VALU_DEP_1)
	v_cndmask_b32_e32 v2, 0x7f800000, v3, vcc_lo
	v_dual_mul_f32 v1, v2, v1 :: v_dual_add_f32 v2, 1.0, v2
	s_delay_alu instid0(VALU_DEP_1) | instskip(NEXT) | instid1(VALU_DEP_1)
	v_div_scale_f32 v3, null, v2, v2, v1
	v_rcp_f32_e32 v5, v3
	v_nop
	s_delay_alu instid0(TRANS32_DEP_1) | instskip(NEXT) | instid1(VALU_DEP_1)
	v_fma_f32 v6, -v3, v5, 1.0
	v_fmac_f32_e32 v5, v6, v5
	v_div_scale_f32 v6, vcc_lo, v1, v2, v1
	s_delay_alu instid0(VALU_DEP_1) | instskip(NEXT) | instid1(VALU_DEP_1)
	v_mul_f32_e32 v7, v6, v5
	v_fma_f32 v8, -v3, v7, v6
	s_delay_alu instid0(VALU_DEP_1) | instskip(NEXT) | instid1(VALU_DEP_1)
	v_fmac_f32_e32 v7, v8, v5
	v_fma_f32 v3, -v3, v7, v6
	s_delay_alu instid0(VALU_DEP_1) | instskip(NEXT) | instid1(VALU_DEP_1)
	v_div_fmas_f32 v3, v3, v5, v7
	v_div_fixup_f32 v1, v3, v2, v1
.LBB75_32:
	s_or_b32 exec_lo, exec_lo, s18
	v_add_nc_u32_e32 v0, 0x80, v0
	global_store_b32 v4, v1, s[0:1]
	s_wait_xcnt 0x0
	s_or_b32 exec_lo, exec_lo, s9
	s_delay_alu instid0(SALU_CYCLE_1)
	s_mov_b32 s9, exec_lo
	v_cmpx_gt_i32_e64 s35, v0
	s_cbranch_execz .LBB75_4
.LBB75_33:
	s_and_not1_b32 vcc_lo, exec_lo, s30
	s_cbranch_vccnz .LBB75_39
; %bb.34:
	s_and_not1_b32 vcc_lo, exec_lo, s36
	s_cbranch_vccnz .LBB75_40
; %bb.35:
	v_dual_mov_b32 v4, 0 :: v_dual_mov_b32 v1, v0
	v_dual_mov_b32 v6, 0 :: v_dual_mov_b32 v5, 0
	s_add_co_i32 s18, s34, 1
	s_mov_b64 s[26:27], 0xffffffffffffffe8
	s_and_b32 s18, s18, 30
	s_add_nc_u64 s[26:27], s[16:17], s[26:27]
.LBB75_36:                              ; =>This Inner Loop Header: Depth=1
	s_clause 0x1
	s_load_b128 s[40:43], s[26:27], 0x1c
	s_load_b64 s[38:39], s[26:27], 0x2c
	s_add_co_i32 s18, s18, -2
	s_delay_alu instid0(SALU_CYCLE_1) | instskip(SKIP_2) | instid1(VALU_DEP_1)
	s_cmp_eq_u32 s18, 0
	s_wait_kmcnt 0x0
	v_mul_hi_u32 v2, s41, v1
	v_add_nc_u32_e32 v2, v1, v2
	s_delay_alu instid0(VALU_DEP_1) | instskip(NEXT) | instid1(VALU_DEP_1)
	v_lshrrev_b32_e32 v2, s42, v2
	v_mul_hi_u32 v3, s38, v2
	v_mul_lo_u32 v7, v2, s40
	s_clause 0x1
	s_load_b128 s[44:47], s[26:27], 0xdc
	s_load_b64 s[40:41], s[26:27], 0xec
	s_wait_xcnt 0x0
	s_add_nc_u64 s[26:27], s[26:27], 24
	s_delay_alu instid0(VALU_DEP_2) | instskip(NEXT) | instid1(VALU_DEP_2)
	v_add_nc_u32_e32 v3, v2, v3
	v_sub_nc_u32_e32 v7, v1, v7
	s_delay_alu instid0(VALU_DEP_2) | instskip(SKIP_1) | instid1(VALU_DEP_2)
	v_lshrrev_b32_e32 v1, s39, v3
	s_wait_kmcnt 0x0
	v_mad_u32 v4, v7, s44, v4
	s_delay_alu instid0(VALU_DEP_2) | instskip(SKIP_2) | instid1(VALU_DEP_3)
	v_mul_lo_u32 v3, v1, s43
	v_mad_u32 v5, v7, s46, v5
	v_mad_u32 v6, v7, s45, v6
	v_sub_nc_u32_e32 v2, v2, v3
	s_delay_alu instid0(VALU_DEP_1) | instskip(NEXT) | instid1(VALU_DEP_4)
	v_mad_u32 v4, v2, s47, v4
	v_mad_u32 v5, v2, s41, v5
	s_delay_alu instid0(VALU_DEP_4)
	v_mad_u32 v6, v2, s40, v6
	s_cbranch_scc0 .LBB75_36
; %bb.37:
	s_bitcmp1_b32 s34, 0
	s_cselect_b32 s18, -1, 0
	s_delay_alu instid0(SALU_CYCLE_1)
	s_and_b32 vcc_lo, exec_lo, s18
	s_cbranch_vccnz .LBB75_41
; %bb.38:
	s_clause 0x1
	s_load_b96 s[40:42], s[26:27], 0x1c
	s_load_b96 s[44:46], s[26:27], 0xdc
	s_wait_kmcnt 0x0
	v_mul_hi_u32 v2, s41, v1
	s_delay_alu instid0(VALU_DEP_1) | instskip(NEXT) | instid1(VALU_DEP_1)
	v_add_nc_u32_e32 v2, v1, v2
	v_lshrrev_b32_e32 v2, s42, v2
	s_delay_alu instid0(VALU_DEP_1) | instskip(NEXT) | instid1(VALU_DEP_1)
	v_mul_lo_u32 v2, v2, s40
	v_sub_nc_u32_e32 v1, v1, v2
	s_delay_alu instid0(VALU_DEP_1)
	v_mad_u32 v4, v1, s44, v4
	v_mad_u32 v6, v1, s45, v6
	;; [unrolled: 1-line block ×3, first 2 shown]
	s_branch .LBB75_41
.LBB75_39:
                                        ; implicit-def: $vgpr5
                                        ; implicit-def: $vgpr6
                                        ; implicit-def: $vgpr4
	s_branch .LBB75_42
.LBB75_40:
	v_dual_mov_b32 v5, 0 :: v_dual_mov_b32 v6, 0
	v_mov_b32_e32 v4, 0
.LBB75_41:
	s_cbranch_execnz .LBB75_44
.LBB75_42:
	v_mov_b32_e32 v1, 0
	s_and_not1_b32 vcc_lo, exec_lo, s33
	s_delay_alu instid0(VALU_DEP_1) | instskip(NEXT) | instid1(VALU_DEP_1)
	v_mul_u64_e32 v[2:3], s[22:23], v[0:1]
	v_add_nc_u32_e32 v2, v0, v3
	s_delay_alu instid0(VALU_DEP_1) | instskip(NEXT) | instid1(VALU_DEP_1)
	v_lshrrev_b32_e32 v2, s10, v2
	v_mul_lo_u32 v3, v2, s8
	s_delay_alu instid0(VALU_DEP_1) | instskip(NEXT) | instid1(VALU_DEP_1)
	v_sub_nc_u32_e32 v3, v0, v3
	v_mul_lo_u32 v4, v3, s12
	v_mul_lo_u32 v5, v3, s14
	;; [unrolled: 1-line block ×3, first 2 shown]
	s_cbranch_vccnz .LBB75_44
; %bb.43:
	v_mov_b32_e32 v3, v1
	s_delay_alu instid0(VALU_DEP_1) | instskip(NEXT) | instid1(VALU_DEP_1)
	v_mul_u64_e32 v[8:9], s[24:25], v[2:3]
	v_add_nc_u32_e32 v1, v2, v9
	s_delay_alu instid0(VALU_DEP_1) | instskip(NEXT) | instid1(VALU_DEP_1)
	v_lshrrev_b32_e32 v1, s19, v1
	v_mul_lo_u32 v1, v1, s11
	s_delay_alu instid0(VALU_DEP_1) | instskip(NEXT) | instid1(VALU_DEP_1)
	v_sub_nc_u32_e32 v1, v2, v1
	v_mad_u32 v4, v1, s15, v4
	v_mad_u32 v6, v1, s20, v6
	;; [unrolled: 1-line block ×3, first 2 shown]
.LBB75_44:
	global_load_b32 v1, v5, s[4:5]
	global_load_u16 v3, v6, s[2:3]
	s_mov_b32 s18, exec_lo
	s_wait_loadcnt 0x1
	v_mul_f32_e32 v2, s6, v1
	s_wait_loadcnt 0x0
	v_cvt_f32_f16_e32 v1, v3
	s_wait_xcnt 0x0
	s_delay_alu instid0(VALU_DEP_2)
	v_cmpx_nlt_f32_e32 s7, v2
	s_cbranch_execz .LBB75_46
; %bb.45:
	v_mul_f32_e32 v3, 0x3fb8aa3b, v2
	v_cmp_ngt_f32_e32 vcc_lo, 0xc2ce8ed0, v2
	s_delay_alu instid0(VALU_DEP_2) | instskip(SKIP_1) | instid1(VALU_DEP_1)
	v_rndne_f32_e32 v5, v3
	v_fma_f32 v6, 0x3fb8aa3b, v2, -v3
	v_dual_sub_f32 v3, v3, v5 :: v_dual_fmamk_f32 v6, v2, 0x32a5705f, v6
	v_cvt_i32_f32_e32 v5, v5
	s_delay_alu instid0(VALU_DEP_2) | instskip(NEXT) | instid1(VALU_DEP_1)
	v_add_f32_e32 v3, v3, v6
	v_exp_f32_e32 v3, v3
	v_nop
	s_delay_alu instid0(TRANS32_DEP_1) | instskip(NEXT) | instid1(VALU_DEP_1)
	v_ldexp_f32 v3, v3, v5
	v_cndmask_b32_e32 v3, 0, v3, vcc_lo
	v_cmp_nlt_f32_e32 vcc_lo, 0x42b17218, v2
	s_delay_alu instid0(VALU_DEP_2) | instskip(NEXT) | instid1(VALU_DEP_1)
	v_cndmask_b32_e32 v2, 0x7f800000, v3, vcc_lo
	v_dual_mul_f32 v1, v2, v1 :: v_dual_add_f32 v2, 1.0, v2
	s_delay_alu instid0(VALU_DEP_1) | instskip(NEXT) | instid1(VALU_DEP_1)
	v_div_scale_f32 v3, null, v2, v2, v1
	v_rcp_f32_e32 v5, v3
	v_nop
	s_delay_alu instid0(TRANS32_DEP_1) | instskip(NEXT) | instid1(VALU_DEP_1)
	v_fma_f32 v6, -v3, v5, 1.0
	v_fmac_f32_e32 v5, v6, v5
	v_div_scale_f32 v6, vcc_lo, v1, v2, v1
	s_delay_alu instid0(VALU_DEP_1) | instskip(NEXT) | instid1(VALU_DEP_1)
	v_mul_f32_e32 v7, v6, v5
	v_fma_f32 v8, -v3, v7, v6
	s_delay_alu instid0(VALU_DEP_1) | instskip(NEXT) | instid1(VALU_DEP_1)
	v_fmac_f32_e32 v7, v8, v5
	v_fma_f32 v3, -v3, v7, v6
	s_delay_alu instid0(VALU_DEP_1) | instskip(NEXT) | instid1(VALU_DEP_1)
	v_div_fmas_f32 v3, v3, v5, v7
	v_div_fixup_f32 v1, v3, v2, v1
.LBB75_46:
	s_or_b32 exec_lo, exec_lo, s18
	v_add_nc_u32_e32 v0, 0x80, v0
	global_store_b32 v4, v1, s[0:1]
	s_wait_xcnt 0x0
	s_or_b32 exec_lo, exec_lo, s9
	s_delay_alu instid0(SALU_CYCLE_1)
	s_mov_b32 s9, exec_lo
	v_cmpx_gt_i32_e64 s35, v0
	s_cbranch_execz .LBB75_61
.LBB75_47:
	s_and_not1_b32 vcc_lo, exec_lo, s30
	s_cbranch_vccnz .LBB75_53
; %bb.48:
	s_and_not1_b32 vcc_lo, exec_lo, s36
	s_cbranch_vccnz .LBB75_54
; %bb.49:
	v_dual_mov_b32 v4, 0 :: v_dual_mov_b32 v1, v0
	v_dual_mov_b32 v6, 0 :: v_dual_mov_b32 v5, 0
	s_add_co_i32 s18, s34, 1
	s_mov_b64 s[26:27], 0xffffffffffffffe8
	s_and_b32 s18, s18, 30
	s_add_nc_u64 s[26:27], s[16:17], s[26:27]
.LBB75_50:                              ; =>This Inner Loop Header: Depth=1
	s_clause 0x1
	s_load_b128 s[36:39], s[26:27], 0x1c
	s_load_b64 s[44:45], s[26:27], 0x2c
	s_add_co_i32 s18, s18, -2
	s_delay_alu instid0(SALU_CYCLE_1) | instskip(SKIP_2) | instid1(VALU_DEP_1)
	s_cmp_eq_u32 s18, 0
	s_wait_kmcnt 0x0
	v_mul_hi_u32 v2, s37, v1
	v_add_nc_u32_e32 v2, v1, v2
	s_delay_alu instid0(VALU_DEP_1) | instskip(NEXT) | instid1(VALU_DEP_1)
	v_lshrrev_b32_e32 v2, s38, v2
	v_mul_hi_u32 v3, s44, v2
	v_mul_lo_u32 v7, v2, s36
	s_clause 0x1
	s_load_b128 s[40:43], s[26:27], 0xdc
	s_load_b64 s[36:37], s[26:27], 0xec
	s_wait_xcnt 0x0
	s_add_nc_u64 s[26:27], s[26:27], 24
	s_delay_alu instid0(VALU_DEP_2) | instskip(NEXT) | instid1(VALU_DEP_2)
	v_add_nc_u32_e32 v3, v2, v3
	v_sub_nc_u32_e32 v7, v1, v7
	s_delay_alu instid0(VALU_DEP_2) | instskip(SKIP_1) | instid1(VALU_DEP_2)
	v_lshrrev_b32_e32 v1, s45, v3
	s_wait_kmcnt 0x0
	v_mad_u32 v4, v7, s40, v4
	s_delay_alu instid0(VALU_DEP_2) | instskip(SKIP_2) | instid1(VALU_DEP_3)
	v_mul_lo_u32 v3, v1, s39
	v_mad_u32 v5, v7, s42, v5
	v_mad_u32 v6, v7, s41, v6
	v_sub_nc_u32_e32 v2, v2, v3
	s_delay_alu instid0(VALU_DEP_1) | instskip(NEXT) | instid1(VALU_DEP_4)
	v_mad_u32 v4, v2, s43, v4
	v_mad_u32 v5, v2, s37, v5
	s_delay_alu instid0(VALU_DEP_4)
	v_mad_u32 v6, v2, s36, v6
	s_cbranch_scc0 .LBB75_50
; %bb.51:
	s_bitcmp1_b32 s34, 0
	s_cselect_b32 s18, -1, 0
	s_delay_alu instid0(SALU_CYCLE_1)
	s_and_b32 vcc_lo, exec_lo, s18
	s_cbranch_vccnz .LBB75_55
; %bb.52:
	s_clause 0x1
	s_load_b96 s[36:38], s[26:27], 0x1c
	s_load_b96 s[40:42], s[26:27], 0xdc
	s_wait_kmcnt 0x0
	v_mul_hi_u32 v2, s37, v1
	s_delay_alu instid0(VALU_DEP_1) | instskip(NEXT) | instid1(VALU_DEP_1)
	v_add_nc_u32_e32 v2, v1, v2
	v_lshrrev_b32_e32 v2, s38, v2
	s_delay_alu instid0(VALU_DEP_1) | instskip(NEXT) | instid1(VALU_DEP_1)
	v_mul_lo_u32 v2, v2, s36
	v_sub_nc_u32_e32 v1, v1, v2
	s_delay_alu instid0(VALU_DEP_1)
	v_mad_u32 v4, v1, s40, v4
	v_mad_u32 v6, v1, s41, v6
	;; [unrolled: 1-line block ×3, first 2 shown]
	s_branch .LBB75_55
.LBB75_53:
                                        ; implicit-def: $vgpr5
                                        ; implicit-def: $vgpr6
                                        ; implicit-def: $vgpr4
	s_branch .LBB75_56
.LBB75_54:
	v_dual_mov_b32 v5, 0 :: v_dual_mov_b32 v6, 0
	v_mov_b32_e32 v4, 0
.LBB75_55:
	s_cbranch_execnz .LBB75_58
.LBB75_56:
	v_mov_b32_e32 v1, 0
	s_and_not1_b32 vcc_lo, exec_lo, s33
	s_delay_alu instid0(VALU_DEP_1) | instskip(NEXT) | instid1(VALU_DEP_1)
	v_mul_u64_e32 v[2:3], s[22:23], v[0:1]
	v_add_nc_u32_e32 v2, v0, v3
	s_delay_alu instid0(VALU_DEP_1) | instskip(NEXT) | instid1(VALU_DEP_1)
	v_lshrrev_b32_e32 v2, s10, v2
	v_mul_lo_u32 v3, v2, s8
	s_delay_alu instid0(VALU_DEP_1) | instskip(NEXT) | instid1(VALU_DEP_1)
	v_sub_nc_u32_e32 v0, v0, v3
	v_mul_lo_u32 v4, v0, s12
	v_mul_lo_u32 v5, v0, s14
	;; [unrolled: 1-line block ×3, first 2 shown]
	s_cbranch_vccnz .LBB75_58
; %bb.57:
	v_mov_b32_e32 v3, v1
	s_delay_alu instid0(VALU_DEP_1) | instskip(NEXT) | instid1(VALU_DEP_1)
	v_mul_u64_e32 v[0:1], s[24:25], v[2:3]
	v_add_nc_u32_e32 v0, v2, v1
	s_delay_alu instid0(VALU_DEP_1) | instskip(NEXT) | instid1(VALU_DEP_1)
	v_lshrrev_b32_e32 v0, s19, v0
	v_mul_lo_u32 v0, v0, s11
	s_delay_alu instid0(VALU_DEP_1) | instskip(NEXT) | instid1(VALU_DEP_1)
	v_sub_nc_u32_e32 v0, v2, v0
	v_mad_u32 v4, v0, s15, v4
	v_mad_u32 v6, v0, s20, v6
	;; [unrolled: 1-line block ×3, first 2 shown]
.LBB75_58:
	global_load_b32 v0, v5, s[4:5]
	global_load_u16 v2, v6, s[2:3]
	s_wait_xcnt 0x0
	s_mov_b32 s2, exec_lo
	s_wait_loadcnt 0x1
	v_mul_f32_e32 v1, s6, v0
	s_wait_loadcnt 0x0
	v_cvt_f32_f16_e32 v0, v2
	s_delay_alu instid0(VALU_DEP_2)
	v_cmpx_nlt_f32_e32 s7, v1
	s_cbranch_execz .LBB75_60
; %bb.59:
	v_mul_f32_e32 v2, 0x3fb8aa3b, v1
	v_cmp_ngt_f32_e32 vcc_lo, 0xc2ce8ed0, v1
	s_delay_alu instid0(VALU_DEP_2) | instskip(SKIP_1) | instid1(VALU_DEP_1)
	v_rndne_f32_e32 v3, v2
	v_fma_f32 v5, 0x3fb8aa3b, v1, -v2
	v_dual_sub_f32 v2, v2, v3 :: v_dual_fmamk_f32 v5, v1, 0x32a5705f, v5
	v_cvt_i32_f32_e32 v3, v3
	s_delay_alu instid0(VALU_DEP_2) | instskip(NEXT) | instid1(VALU_DEP_1)
	v_add_f32_e32 v2, v2, v5
	v_exp_f32_e32 v2, v2
	v_nop
	s_delay_alu instid0(TRANS32_DEP_1) | instskip(NEXT) | instid1(VALU_DEP_1)
	v_ldexp_f32 v2, v2, v3
	v_cndmask_b32_e32 v2, 0, v2, vcc_lo
	v_cmp_nlt_f32_e32 vcc_lo, 0x42b17218, v1
	s_delay_alu instid0(VALU_DEP_2) | instskip(NEXT) | instid1(VALU_DEP_1)
	v_cndmask_b32_e32 v1, 0x7f800000, v2, vcc_lo
	v_dual_mul_f32 v0, v1, v0 :: v_dual_add_f32 v1, 1.0, v1
	s_delay_alu instid0(VALU_DEP_1) | instskip(NEXT) | instid1(VALU_DEP_1)
	v_div_scale_f32 v2, null, v1, v1, v0
	v_rcp_f32_e32 v3, v2
	v_nop
	s_delay_alu instid0(TRANS32_DEP_1) | instskip(NEXT) | instid1(VALU_DEP_1)
	v_fma_f32 v5, -v2, v3, 1.0
	v_fmac_f32_e32 v3, v5, v3
	v_div_scale_f32 v5, vcc_lo, v0, v1, v0
	s_delay_alu instid0(VALU_DEP_1) | instskip(NEXT) | instid1(VALU_DEP_1)
	v_mul_f32_e32 v6, v5, v3
	v_fma_f32 v7, -v2, v6, v5
	s_delay_alu instid0(VALU_DEP_1) | instskip(NEXT) | instid1(VALU_DEP_1)
	v_fmac_f32_e32 v6, v7, v3
	v_fma_f32 v2, -v2, v6, v5
	s_delay_alu instid0(VALU_DEP_1) | instskip(NEXT) | instid1(VALU_DEP_1)
	v_div_fmas_f32 v2, v2, v3, v6
	v_div_fixup_f32 v0, v2, v1, v0
.LBB75_60:
	s_or_b32 exec_lo, exec_lo, s2
	global_store_b32 v4, v0, s[0:1]
.LBB75_61:
	s_wait_xcnt 0x0
	s_or_b32 exec_lo, exec_lo, s9
                                        ; implicit-def: $vgpr2
                                        ; implicit-def: $vgpr0
.LBB75_62:
	s_and_not1_saveexec_b32 s0, s31
	s_cbranch_execz .LBB75_69
; %bb.63:
	v_cndmask_b32_e64 v8, 0, 1, s30
	s_and_not1_b32 vcc_lo, exec_lo, s30
	s_cbranch_vccnz .LBB75_70
; %bb.64:
	s_cmp_lg_u32 s28, 0
	s_mov_b32 s2, 0
	s_cbranch_scc0 .LBB75_74
; %bb.65:
	s_min_u32 s3, s29, 15
	v_dual_mov_b32 v1, 0 :: v_dual_mov_b32 v3, v0
	v_dual_mov_b32 v5, 0 :: v_dual_mov_b32 v4, 0
	s_add_co_i32 s4, s3, 1
	s_mov_b64 s[0:1], 0xffffffffffffffe8
	s_and_b32 s4, s4, 30
	s_add_nc_u64 s[0:1], s[16:17], s[0:1]
.LBB75_66:                              ; =>This Inner Loop Header: Depth=1
	s_clause 0x1
	s_load_b128 s[8:11], s[0:1], 0x1c
	s_load_b64 s[6:7], s[0:1], 0x2c
	s_add_co_i32 s4, s4, -2
	s_delay_alu instid0(SALU_CYCLE_1) | instskip(SKIP_2) | instid1(VALU_DEP_1)
	s_cmp_lg_u32 s4, 0
	s_wait_kmcnt 0x0
	v_mul_hi_u32 v6, s9, v3
	v_add_nc_u32_e32 v6, v3, v6
	s_delay_alu instid0(VALU_DEP_1) | instskip(NEXT) | instid1(VALU_DEP_1)
	v_lshrrev_b32_e32 v6, s10, v6
	v_mul_hi_u32 v7, s6, v6
	v_mul_lo_u32 v9, v6, s8
	s_clause 0x1
	s_load_b128 s[12:15], s[0:1], 0xdc
	s_load_b64 s[8:9], s[0:1], 0xec
	s_wait_xcnt 0x0
	s_add_nc_u64 s[0:1], s[0:1], 24
	s_delay_alu instid0(VALU_DEP_1) | instskip(NEXT) | instid1(VALU_DEP_1)
	v_dual_add_nc_u32 v7, v6, v7 :: v_dual_sub_nc_u32 v9, v3, v9
	v_lshrrev_b32_e32 v3, s7, v7
	s_wait_kmcnt 0x0
	s_delay_alu instid0(VALU_DEP_2) | instskip(NEXT) | instid1(VALU_DEP_2)
	v_mad_u32 v1, v9, s12, v1
	v_mul_lo_u32 v7, v3, s11
	v_mad_u32 v4, v9, s14, v4
	v_mad_u32 v5, v9, s13, v5
	s_delay_alu instid0(VALU_DEP_3) | instskip(NEXT) | instid1(VALU_DEP_1)
	v_sub_nc_u32_e32 v6, v6, v7
	v_mad_u32 v1, v6, s15, v1
	s_delay_alu instid0(VALU_DEP_4) | instskip(NEXT) | instid1(VALU_DEP_4)
	v_mad_u32 v4, v6, s9, v4
	v_mad_u32 v5, v6, s8, v5
	s_cbranch_scc1 .LBB75_66
; %bb.67:
	s_bitcmp1_b32 s3, 0
	s_cselect_b32 s3, -1, 0
	s_delay_alu instid0(SALU_CYCLE_1)
	s_and_b32 vcc_lo, exec_lo, s3
	s_cbranch_vccnz .LBB75_71
; %bb.68:
	s_clause 0x1
	s_load_b96 s[4:6], s[0:1], 0x1c
	s_load_b96 s[8:10], s[0:1], 0xdc
	s_wait_kmcnt 0x0
	v_mul_hi_u32 v6, s5, v3
	s_delay_alu instid0(VALU_DEP_1) | instskip(NEXT) | instid1(VALU_DEP_1)
	v_add_nc_u32_e32 v6, v3, v6
	v_lshrrev_b32_e32 v6, s6, v6
	s_delay_alu instid0(VALU_DEP_1) | instskip(NEXT) | instid1(VALU_DEP_1)
	v_mul_lo_u32 v6, v6, s4
	v_sub_nc_u32_e32 v3, v3, v6
	s_delay_alu instid0(VALU_DEP_1)
	v_mad_u32 v1, v3, s8, v1
	v_mad_u32 v5, v3, s9, v5
	;; [unrolled: 1-line block ×3, first 2 shown]
	s_and_not1_b32 vcc_lo, exec_lo, s2
	s_cbranch_vccz .LBB75_72
	s_branch .LBB75_75
.LBB75_69:
	s_endpgm
.LBB75_70:
	s_mov_b32 s2, -1
                                        ; implicit-def: $vgpr4
                                        ; implicit-def: $vgpr5
                                        ; implicit-def: $vgpr1
.LBB75_71:
	s_delay_alu instid0(SALU_CYCLE_1)
	s_and_not1_b32 vcc_lo, exec_lo, s2
	s_cbranch_vccnz .LBB75_75
.LBB75_72:
	s_clause 0x1
	s_load_b96 s[0:2], s[16:17], 0x4
	s_load_b96 s[4:6], s[16:17], 0xc4
	s_cmp_lt_u32 s28, 2
	s_wait_kmcnt 0x0
	v_mul_hi_u32 v1, s1, v0
	s_delay_alu instid0(VALU_DEP_1) | instskip(NEXT) | instid1(VALU_DEP_1)
	v_add_nc_u32_e32 v1, v0, v1
	v_lshrrev_b32_e32 v3, s2, v1
	s_delay_alu instid0(VALU_DEP_1) | instskip(NEXT) | instid1(VALU_DEP_1)
	v_mul_lo_u32 v1, v3, s0
	v_sub_nc_u32_e32 v5, v0, v1
	s_delay_alu instid0(VALU_DEP_1)
	v_mul_lo_u32 v1, v5, s4
	v_mul_lo_u32 v4, v5, s6
	;; [unrolled: 1-line block ×3, first 2 shown]
	s_cbranch_scc1 .LBB75_75
; %bb.73:
	s_clause 0x1
	s_load_b96 s[0:2], s[16:17], 0x10
	s_load_b96 s[4:6], s[16:17], 0xd0
	s_wait_kmcnt 0x0
	v_mul_hi_u32 v6, s1, v3
	s_delay_alu instid0(VALU_DEP_1) | instskip(NEXT) | instid1(VALU_DEP_1)
	v_add_nc_u32_e32 v6, v3, v6
	v_lshrrev_b32_e32 v6, s2, v6
	s_delay_alu instid0(VALU_DEP_1) | instskip(NEXT) | instid1(VALU_DEP_1)
	v_mul_lo_u32 v6, v6, s0
	v_sub_nc_u32_e32 v3, v3, v6
	s_delay_alu instid0(VALU_DEP_1)
	v_mad_u32 v1, v3, s4, v1
	v_mad_u32 v5, v3, s5, v5
	;; [unrolled: 1-line block ×3, first 2 shown]
	s_branch .LBB75_75
.LBB75_74:
	v_dual_mov_b32 v4, 0 :: v_dual_mov_b32 v5, 0
	v_mov_b32_e32 v1, 0
	s_and_not1_b32 vcc_lo, exec_lo, s2
	s_cbranch_vccz .LBB75_72
.LBB75_75:
	v_cmp_ne_u32_e32 vcc_lo, 1, v8
	v_add_nc_u32_e32 v9, 0x80, v0
	s_cbranch_vccnz .LBB75_81
; %bb.76:
	s_cmp_lg_u32 s28, 0
	s_mov_b32 s2, 0
	s_cbranch_scc0 .LBB75_85
; %bb.77:
	s_min_u32 s3, s29, 15
	v_dual_mov_b32 v3, 0 :: v_dual_mov_b32 v10, v9
	v_dual_mov_b32 v7, 0 :: v_dual_mov_b32 v6, 0
	s_add_co_i32 s4, s3, 1
	s_mov_b64 s[0:1], 0xffffffffffffffe8
	s_and_b32 s4, s4, 30
	s_add_nc_u64 s[0:1], s[16:17], s[0:1]
.LBB75_78:                              ; =>This Inner Loop Header: Depth=1
	s_clause 0x1
	s_load_b128 s[8:11], s[0:1], 0x1c
	s_load_b64 s[6:7], s[0:1], 0x2c
	s_add_co_i32 s4, s4, -2
	s_delay_alu instid0(SALU_CYCLE_1) | instskip(SKIP_2) | instid1(VALU_DEP_1)
	s_cmp_lg_u32 s4, 0
	s_wait_kmcnt 0x0
	v_mul_hi_u32 v11, s9, v10
	v_add_nc_u32_e32 v11, v10, v11
	s_delay_alu instid0(VALU_DEP_1) | instskip(NEXT) | instid1(VALU_DEP_1)
	v_lshrrev_b32_e32 v11, s10, v11
	v_mul_hi_u32 v12, s6, v11
	v_mul_lo_u32 v13, v11, s8
	s_clause 0x1
	s_load_b128 s[12:15], s[0:1], 0xdc
	s_load_b64 s[8:9], s[0:1], 0xec
	s_wait_xcnt 0x0
	s_add_nc_u64 s[0:1], s[0:1], 24
	s_delay_alu instid0(VALU_DEP_1) | instskip(NEXT) | instid1(VALU_DEP_1)
	v_dual_add_nc_u32 v12, v11, v12 :: v_dual_sub_nc_u32 v13, v10, v13
	v_lshrrev_b32_e32 v10, s7, v12
	s_wait_kmcnt 0x0
	s_delay_alu instid0(VALU_DEP_2) | instskip(NEXT) | instid1(VALU_DEP_2)
	v_mad_u32 v3, v13, s12, v3
	v_mul_lo_u32 v12, v10, s11
	v_mad_u32 v6, v13, s14, v6
	v_mad_u32 v7, v13, s13, v7
	s_delay_alu instid0(VALU_DEP_3) | instskip(NEXT) | instid1(VALU_DEP_1)
	v_sub_nc_u32_e32 v11, v11, v12
	v_mad_u32 v3, v11, s15, v3
	s_delay_alu instid0(VALU_DEP_4) | instskip(NEXT) | instid1(VALU_DEP_4)
	v_mad_u32 v6, v11, s9, v6
	v_mad_u32 v7, v11, s8, v7
	s_cbranch_scc1 .LBB75_78
; %bb.79:
	s_bitcmp1_b32 s3, 0
	s_cselect_b32 s3, -1, 0
	s_delay_alu instid0(SALU_CYCLE_1)
	s_and_b32 vcc_lo, exec_lo, s3
	s_cbranch_vccnz .LBB75_82
; %bb.80:
	s_clause 0x1
	s_load_b96 s[4:6], s[0:1], 0x1c
	s_load_b96 s[8:10], s[0:1], 0xdc
	s_wait_kmcnt 0x0
	v_mul_hi_u32 v11, s5, v10
	s_delay_alu instid0(VALU_DEP_1) | instskip(NEXT) | instid1(VALU_DEP_1)
	v_add_nc_u32_e32 v11, v10, v11
	v_lshrrev_b32_e32 v11, s6, v11
	s_delay_alu instid0(VALU_DEP_1) | instskip(NEXT) | instid1(VALU_DEP_1)
	v_mul_lo_u32 v11, v11, s4
	v_sub_nc_u32_e32 v10, v10, v11
	s_delay_alu instid0(VALU_DEP_1)
	v_mad_u32 v3, v10, s8, v3
	v_mad_u32 v7, v10, s9, v7
	;; [unrolled: 1-line block ×3, first 2 shown]
	s_and_not1_b32 vcc_lo, exec_lo, s2
	s_cbranch_vccz .LBB75_83
	s_branch .LBB75_86
.LBB75_81:
	s_mov_b32 s2, -1
                                        ; implicit-def: $vgpr6
                                        ; implicit-def: $vgpr7
                                        ; implicit-def: $vgpr3
.LBB75_82:
	s_delay_alu instid0(SALU_CYCLE_1)
	s_and_not1_b32 vcc_lo, exec_lo, s2
	s_cbranch_vccnz .LBB75_86
.LBB75_83:
	s_clause 0x1
	s_load_b96 s[0:2], s[16:17], 0x4
	s_load_b96 s[4:6], s[16:17], 0xc4
	s_cmp_lt_u32 s28, 2
	s_wait_kmcnt 0x0
	v_mul_hi_u32 v3, s1, v9
	s_delay_alu instid0(VALU_DEP_1) | instskip(NEXT) | instid1(VALU_DEP_1)
	v_add_nc_u32_e32 v3, v9, v3
	v_lshrrev_b32_e32 v10, s2, v3
	s_delay_alu instid0(VALU_DEP_1) | instskip(NEXT) | instid1(VALU_DEP_1)
	v_mul_lo_u32 v3, v10, s0
	v_sub_nc_u32_e32 v7, v9, v3
	s_delay_alu instid0(VALU_DEP_1)
	v_mul_lo_u32 v3, v7, s4
	v_mul_lo_u32 v6, v7, s6
	;; [unrolled: 1-line block ×3, first 2 shown]
	s_cbranch_scc1 .LBB75_86
; %bb.84:
	s_clause 0x1
	s_load_b96 s[0:2], s[16:17], 0x10
	s_load_b96 s[4:6], s[16:17], 0xd0
	s_wait_kmcnt 0x0
	v_mul_hi_u32 v9, s1, v10
	s_delay_alu instid0(VALU_DEP_1) | instskip(NEXT) | instid1(VALU_DEP_1)
	v_add_nc_u32_e32 v9, v10, v9
	v_lshrrev_b32_e32 v9, s2, v9
	s_delay_alu instid0(VALU_DEP_1) | instskip(NEXT) | instid1(VALU_DEP_1)
	v_mul_lo_u32 v9, v9, s0
	v_sub_nc_u32_e32 v9, v10, v9
	s_delay_alu instid0(VALU_DEP_1)
	v_mad_u32 v3, v9, s4, v3
	v_mad_u32 v7, v9, s5, v7
	;; [unrolled: 1-line block ×3, first 2 shown]
	s_branch .LBB75_86
.LBB75_85:
	v_dual_mov_b32 v6, 0 :: v_dual_mov_b32 v7, 0
	v_mov_b32_e32 v3, 0
	s_and_not1_b32 vcc_lo, exec_lo, s2
	s_cbranch_vccz .LBB75_83
.LBB75_86:
	v_cmp_ne_u32_e32 vcc_lo, 1, v8
	v_add_nc_u32_e32 v11, 0x100, v0
	s_cbranch_vccnz .LBB75_92
; %bb.87:
	s_cmp_lg_u32 s28, 0
	s_mov_b32 s2, 0
	s_cbranch_scc0 .LBB75_96
; %bb.88:
	s_min_u32 s3, s29, 15
	v_dual_mov_b32 v0, 0 :: v_dual_mov_b32 v12, v11
	v_dual_mov_b32 v10, 0 :: v_dual_mov_b32 v9, 0
	s_add_co_i32 s4, s3, 1
	s_mov_b64 s[0:1], 0xffffffffffffffe8
	s_and_b32 s4, s4, 30
	s_add_nc_u64 s[0:1], s[16:17], s[0:1]
.LBB75_89:                              ; =>This Inner Loop Header: Depth=1
	s_clause 0x1
	s_load_b128 s[8:11], s[0:1], 0x1c
	s_load_b64 s[6:7], s[0:1], 0x2c
	s_add_co_i32 s4, s4, -2
	s_delay_alu instid0(SALU_CYCLE_1) | instskip(SKIP_2) | instid1(VALU_DEP_1)
	s_cmp_lg_u32 s4, 0
	s_wait_kmcnt 0x0
	v_mul_hi_u32 v13, s9, v12
	v_add_nc_u32_e32 v13, v12, v13
	s_delay_alu instid0(VALU_DEP_1) | instskip(NEXT) | instid1(VALU_DEP_1)
	v_lshrrev_b32_e32 v13, s10, v13
	v_mul_hi_u32 v14, s6, v13
	v_mul_lo_u32 v15, v13, s8
	s_clause 0x1
	s_load_b128 s[12:15], s[0:1], 0xdc
	s_load_b64 s[8:9], s[0:1], 0xec
	s_wait_xcnt 0x0
	s_add_nc_u64 s[0:1], s[0:1], 24
	s_delay_alu instid0(VALU_DEP_1) | instskip(NEXT) | instid1(VALU_DEP_1)
	v_dual_add_nc_u32 v14, v13, v14 :: v_dual_sub_nc_u32 v15, v12, v15
	v_lshrrev_b32_e32 v12, s7, v14
	s_wait_kmcnt 0x0
	s_delay_alu instid0(VALU_DEP_2) | instskip(NEXT) | instid1(VALU_DEP_2)
	v_mad_u32 v0, v15, s12, v0
	v_mul_lo_u32 v14, v12, s11
	v_mad_u32 v9, v15, s14, v9
	v_mad_u32 v10, v15, s13, v10
	s_delay_alu instid0(VALU_DEP_3) | instskip(NEXT) | instid1(VALU_DEP_1)
	v_sub_nc_u32_e32 v13, v13, v14
	v_mad_u32 v0, v13, s15, v0
	s_delay_alu instid0(VALU_DEP_4) | instskip(NEXT) | instid1(VALU_DEP_4)
	v_mad_u32 v9, v13, s9, v9
	v_mad_u32 v10, v13, s8, v10
	s_cbranch_scc1 .LBB75_89
; %bb.90:
	s_bitcmp1_b32 s3, 0
	s_cselect_b32 s3, -1, 0
	s_delay_alu instid0(SALU_CYCLE_1)
	s_and_b32 vcc_lo, exec_lo, s3
	s_cbranch_vccnz .LBB75_93
; %bb.91:
	s_clause 0x1
	s_load_b96 s[4:6], s[0:1], 0x1c
	s_load_b96 s[8:10], s[0:1], 0xdc
	s_wait_kmcnt 0x0
	v_mul_hi_u32 v13, s5, v12
	s_delay_alu instid0(VALU_DEP_1) | instskip(NEXT) | instid1(VALU_DEP_1)
	v_add_nc_u32_e32 v13, v12, v13
	v_lshrrev_b32_e32 v13, s6, v13
	s_delay_alu instid0(VALU_DEP_1) | instskip(NEXT) | instid1(VALU_DEP_1)
	v_mul_lo_u32 v13, v13, s4
	v_sub_nc_u32_e32 v12, v12, v13
	s_delay_alu instid0(VALU_DEP_1)
	v_mad_u32 v0, v12, s8, v0
	v_mad_u32 v10, v12, s9, v10
	;; [unrolled: 1-line block ×3, first 2 shown]
	s_and_not1_b32 vcc_lo, exec_lo, s2
	s_cbranch_vccz .LBB75_94
	s_branch .LBB75_97
.LBB75_92:
	s_mov_b32 s2, -1
                                        ; implicit-def: $vgpr9
                                        ; implicit-def: $vgpr10
                                        ; implicit-def: $vgpr0
.LBB75_93:
	s_delay_alu instid0(SALU_CYCLE_1)
	s_and_not1_b32 vcc_lo, exec_lo, s2
	s_cbranch_vccnz .LBB75_97
.LBB75_94:
	s_clause 0x1
	s_load_b96 s[0:2], s[16:17], 0x4
	s_load_b96 s[4:6], s[16:17], 0xc4
	s_cmp_lt_u32 s28, 2
	s_wait_kmcnt 0x0
	v_mul_hi_u32 v0, s1, v11
	s_delay_alu instid0(VALU_DEP_1) | instskip(NEXT) | instid1(VALU_DEP_1)
	v_add_nc_u32_e32 v0, v11, v0
	v_lshrrev_b32_e32 v12, s2, v0
	s_delay_alu instid0(VALU_DEP_1) | instskip(NEXT) | instid1(VALU_DEP_1)
	v_mul_lo_u32 v0, v12, s0
	v_sub_nc_u32_e32 v10, v11, v0
	s_delay_alu instid0(VALU_DEP_1)
	v_mul_lo_u32 v0, v10, s4
	v_mul_lo_u32 v9, v10, s6
	;; [unrolled: 1-line block ×3, first 2 shown]
	s_cbranch_scc1 .LBB75_97
; %bb.95:
	s_clause 0x1
	s_load_b96 s[0:2], s[16:17], 0x10
	s_load_b96 s[4:6], s[16:17], 0xd0
	s_wait_kmcnt 0x0
	v_mul_hi_u32 v11, s1, v12
	s_delay_alu instid0(VALU_DEP_1) | instskip(NEXT) | instid1(VALU_DEP_1)
	v_add_nc_u32_e32 v11, v12, v11
	v_lshrrev_b32_e32 v11, s2, v11
	s_delay_alu instid0(VALU_DEP_1) | instskip(NEXT) | instid1(VALU_DEP_1)
	v_mul_lo_u32 v11, v11, s0
	v_sub_nc_u32_e32 v11, v12, v11
	s_delay_alu instid0(VALU_DEP_1)
	v_mad_u32 v0, v11, s4, v0
	v_mad_u32 v10, v11, s5, v10
	v_mad_u32 v9, v11, s6, v9
	s_branch .LBB75_97
.LBB75_96:
	v_dual_mov_b32 v9, 0 :: v_dual_mov_b32 v10, 0
	v_mov_b32_e32 v0, 0
	s_and_not1_b32 vcc_lo, exec_lo, s2
	s_cbranch_vccz .LBB75_94
.LBB75_97:
	v_cmp_ne_u32_e32 vcc_lo, 1, v8
	s_cbranch_vccnz .LBB75_103
; %bb.98:
	s_cmp_lg_u32 s28, 0
	s_mov_b32 s2, 0
	s_cbranch_scc0 .LBB75_107
; %bb.99:
	s_min_u32 s3, s29, 15
	v_dual_mov_b32 v8, 0 :: v_dual_mov_b32 v13, v2
	v_dual_mov_b32 v12, 0 :: v_dual_mov_b32 v11, 0
	s_add_co_i32 s4, s3, 1
	s_mov_b64 s[0:1], 0xffffffffffffffe8
	s_and_b32 s4, s4, 30
	s_add_nc_u64 s[0:1], s[16:17], s[0:1]
.LBB75_100:                             ; =>This Inner Loop Header: Depth=1
	s_clause 0x1
	s_load_b128 s[8:11], s[0:1], 0x1c
	s_load_b64 s[6:7], s[0:1], 0x2c
	s_add_co_i32 s4, s4, -2
	s_delay_alu instid0(SALU_CYCLE_1) | instskip(SKIP_2) | instid1(VALU_DEP_1)
	s_cmp_lg_u32 s4, 0
	s_wait_kmcnt 0x0
	v_mul_hi_u32 v14, s9, v13
	v_add_nc_u32_e32 v14, v13, v14
	s_delay_alu instid0(VALU_DEP_1) | instskip(NEXT) | instid1(VALU_DEP_1)
	v_lshrrev_b32_e32 v14, s10, v14
	v_mul_hi_u32 v15, s6, v14
	v_mul_lo_u32 v16, v14, s8
	s_clause 0x1
	s_load_b128 s[12:15], s[0:1], 0xdc
	s_load_b64 s[8:9], s[0:1], 0xec
	s_wait_xcnt 0x0
	s_add_nc_u64 s[0:1], s[0:1], 24
	s_delay_alu instid0(VALU_DEP_1) | instskip(NEXT) | instid1(VALU_DEP_1)
	v_dual_add_nc_u32 v15, v14, v15 :: v_dual_sub_nc_u32 v16, v13, v16
	v_lshrrev_b32_e32 v13, s7, v15
	s_wait_kmcnt 0x0
	s_delay_alu instid0(VALU_DEP_2) | instskip(NEXT) | instid1(VALU_DEP_2)
	v_mad_u32 v8, v16, s12, v8
	v_mul_lo_u32 v15, v13, s11
	v_mad_u32 v11, v16, s14, v11
	v_mad_u32 v12, v16, s13, v12
	s_delay_alu instid0(VALU_DEP_3) | instskip(NEXT) | instid1(VALU_DEP_1)
	v_sub_nc_u32_e32 v14, v14, v15
	v_mad_u32 v8, v14, s15, v8
	s_delay_alu instid0(VALU_DEP_4) | instskip(NEXT) | instid1(VALU_DEP_4)
	v_mad_u32 v11, v14, s9, v11
	v_mad_u32 v12, v14, s8, v12
	s_cbranch_scc1 .LBB75_100
; %bb.101:
	s_bitcmp1_b32 s3, 0
	s_cselect_b32 s3, -1, 0
	s_delay_alu instid0(SALU_CYCLE_1)
	s_and_b32 vcc_lo, exec_lo, s3
	s_cbranch_vccnz .LBB75_104
; %bb.102:
	s_clause 0x1
	s_load_b96 s[4:6], s[0:1], 0x1c
	s_load_b96 s[8:10], s[0:1], 0xdc
	s_wait_kmcnt 0x0
	v_mul_hi_u32 v14, s5, v13
	s_delay_alu instid0(VALU_DEP_1) | instskip(NEXT) | instid1(VALU_DEP_1)
	v_add_nc_u32_e32 v14, v13, v14
	v_lshrrev_b32_e32 v14, s6, v14
	s_delay_alu instid0(VALU_DEP_1) | instskip(NEXT) | instid1(VALU_DEP_1)
	v_mul_lo_u32 v14, v14, s4
	v_sub_nc_u32_e32 v13, v13, v14
	s_delay_alu instid0(VALU_DEP_1)
	v_mad_u32 v8, v13, s8, v8
	v_mad_u32 v12, v13, s9, v12
	;; [unrolled: 1-line block ×3, first 2 shown]
	s_and_not1_b32 vcc_lo, exec_lo, s2
	s_cbranch_vccz .LBB75_105
	s_branch .LBB75_108
.LBB75_103:
	s_mov_b32 s2, -1
                                        ; implicit-def: $vgpr11
                                        ; implicit-def: $vgpr12
                                        ; implicit-def: $vgpr8
.LBB75_104:
	s_delay_alu instid0(SALU_CYCLE_1)
	s_and_not1_b32 vcc_lo, exec_lo, s2
	s_cbranch_vccnz .LBB75_108
.LBB75_105:
	s_clause 0x1
	s_load_b96 s[0:2], s[16:17], 0x4
	s_load_b96 s[4:6], s[16:17], 0xc4
	s_cmp_lt_u32 s28, 2
	s_wait_kmcnt 0x0
	v_mul_hi_u32 v8, s1, v2
	s_delay_alu instid0(VALU_DEP_1) | instskip(NEXT) | instid1(VALU_DEP_1)
	v_add_nc_u32_e32 v8, v2, v8
	v_lshrrev_b32_e32 v13, s2, v8
	s_delay_alu instid0(VALU_DEP_1) | instskip(NEXT) | instid1(VALU_DEP_1)
	v_mul_lo_u32 v8, v13, s0
	v_sub_nc_u32_e32 v2, v2, v8
	s_delay_alu instid0(VALU_DEP_1)
	v_mul_lo_u32 v8, v2, s4
	v_mul_lo_u32 v11, v2, s6
	;; [unrolled: 1-line block ×3, first 2 shown]
	s_cbranch_scc1 .LBB75_108
; %bb.106:
	s_clause 0x1
	s_load_b96 s[0:2], s[16:17], 0x10
	s_load_b96 s[4:6], s[16:17], 0xd0
	s_wait_kmcnt 0x0
	v_mul_hi_u32 v2, s1, v13
	s_delay_alu instid0(VALU_DEP_1) | instskip(NEXT) | instid1(VALU_DEP_1)
	v_add_nc_u32_e32 v2, v13, v2
	v_lshrrev_b32_e32 v2, s2, v2
	s_delay_alu instid0(VALU_DEP_1) | instskip(NEXT) | instid1(VALU_DEP_1)
	v_mul_lo_u32 v2, v2, s0
	v_sub_nc_u32_e32 v2, v13, v2
	s_delay_alu instid0(VALU_DEP_1)
	v_mad_u32 v8, v2, s4, v8
	v_mad_u32 v12, v2, s5, v12
	;; [unrolled: 1-line block ×3, first 2 shown]
	s_branch .LBB75_108
.LBB75_107:
	v_dual_mov_b32 v11, 0 :: v_dual_mov_b32 v12, 0
	v_mov_b32_e32 v8, 0
	s_and_not1_b32 vcc_lo, exec_lo, s2
	s_cbranch_vccz .LBB75_105
.LBB75_108:
	s_load_b256 s[0:7], s[16:17], 0x188
	s_mov_b32 s8, exec_lo
	s_wait_kmcnt 0x0
	global_load_b32 v2, v4, s[4:5]
	global_load_u16 v13, v5, s[2:3]
	s_wait_loadcnt 0x1
	s_wait_xcnt 0x1
	v_mul_f32_e32 v4, s6, v2
	s_wait_loadcnt 0x0
	v_cvt_f32_f16_e32 v2, v13
	s_wait_xcnt 0x0
	s_delay_alu instid0(VALU_DEP_2)
	v_cmpx_nlt_f32_e32 s7, v4
	s_cbranch_execz .LBB75_110
; %bb.109:
	v_mul_f32_e32 v5, 0x3fb8aa3b, v4
	v_cmp_ngt_f32_e32 vcc_lo, 0xc2ce8ed0, v4
	s_delay_alu instid0(VALU_DEP_2) | instskip(SKIP_1) | instid1(VALU_DEP_1)
	v_rndne_f32_e32 v13, v5
	v_fma_f32 v14, 0x3fb8aa3b, v4, -v5
	v_dual_sub_f32 v5, v5, v13 :: v_dual_fmamk_f32 v14, v4, 0x32a5705f, v14
	v_cvt_i32_f32_e32 v13, v13
	s_delay_alu instid0(VALU_DEP_2) | instskip(NEXT) | instid1(VALU_DEP_1)
	v_add_f32_e32 v5, v5, v14
	v_exp_f32_e32 v5, v5
	v_nop
	s_delay_alu instid0(TRANS32_DEP_1) | instskip(NEXT) | instid1(VALU_DEP_1)
	v_ldexp_f32 v5, v5, v13
	v_cndmask_b32_e32 v5, 0, v5, vcc_lo
	v_cmp_nlt_f32_e32 vcc_lo, 0x42b17218, v4
	s_delay_alu instid0(VALU_DEP_2) | instskip(NEXT) | instid1(VALU_DEP_1)
	v_cndmask_b32_e32 v4, 0x7f800000, v5, vcc_lo
	v_dual_mul_f32 v2, v4, v2 :: v_dual_add_f32 v4, 1.0, v4
	s_delay_alu instid0(VALU_DEP_1) | instskip(NEXT) | instid1(VALU_DEP_1)
	v_div_scale_f32 v5, null, v4, v4, v2
	v_rcp_f32_e32 v13, v5
	v_nop
	s_delay_alu instid0(TRANS32_DEP_1) | instskip(NEXT) | instid1(VALU_DEP_1)
	v_fma_f32 v14, -v5, v13, 1.0
	v_fmac_f32_e32 v13, v14, v13
	v_div_scale_f32 v14, vcc_lo, v2, v4, v2
	s_delay_alu instid0(VALU_DEP_1) | instskip(NEXT) | instid1(VALU_DEP_1)
	v_mul_f32_e32 v15, v14, v13
	v_fma_f32 v16, -v5, v15, v14
	s_delay_alu instid0(VALU_DEP_1) | instskip(NEXT) | instid1(VALU_DEP_1)
	v_fmac_f32_e32 v15, v16, v13
	v_fma_f32 v5, -v5, v15, v14
	s_delay_alu instid0(VALU_DEP_1) | instskip(NEXT) | instid1(VALU_DEP_1)
	v_div_fmas_f32 v5, v5, v13, v15
	v_div_fixup_f32 v2, v5, v4, v2
.LBB75_110:
	s_or_b32 exec_lo, exec_lo, s8
	global_load_b32 v4, v6, s[4:5]
	global_load_u16 v13, v7, s[2:3]
	s_mov_b32 s8, exec_lo
	s_wait_loadcnt 0x1
	v_mul_f32_e32 v5, s6, v4
	s_wait_loadcnt 0x0
	v_cvt_f32_f16_e32 v4, v13
	s_wait_xcnt 0x0
	s_delay_alu instid0(VALU_DEP_2)
	v_cmpx_nlt_f32_e32 s7, v5
	s_cbranch_execz .LBB75_112
; %bb.111:
	v_mul_f32_e32 v6, 0x3fb8aa3b, v5
	v_cmp_ngt_f32_e32 vcc_lo, 0xc2ce8ed0, v5
	s_delay_alu instid0(VALU_DEP_2) | instskip(SKIP_1) | instid1(VALU_DEP_1)
	v_rndne_f32_e32 v7, v6
	v_fma_f32 v13, 0x3fb8aa3b, v5, -v6
	v_dual_sub_f32 v6, v6, v7 :: v_dual_fmamk_f32 v13, v5, 0x32a5705f, v13
	v_cvt_i32_f32_e32 v7, v7
	s_delay_alu instid0(VALU_DEP_2) | instskip(NEXT) | instid1(VALU_DEP_1)
	v_add_f32_e32 v6, v6, v13
	v_exp_f32_e32 v6, v6
	v_nop
	s_delay_alu instid0(TRANS32_DEP_1) | instskip(NEXT) | instid1(VALU_DEP_1)
	v_ldexp_f32 v6, v6, v7
	v_cndmask_b32_e32 v6, 0, v6, vcc_lo
	v_cmp_nlt_f32_e32 vcc_lo, 0x42b17218, v5
	s_delay_alu instid0(VALU_DEP_2) | instskip(NEXT) | instid1(VALU_DEP_1)
	v_cndmask_b32_e32 v5, 0x7f800000, v6, vcc_lo
	v_dual_mul_f32 v4, v5, v4 :: v_dual_add_f32 v5, 1.0, v5
	s_delay_alu instid0(VALU_DEP_1) | instskip(NEXT) | instid1(VALU_DEP_1)
	v_div_scale_f32 v6, null, v5, v5, v4
	v_rcp_f32_e32 v7, v6
	v_nop
	s_delay_alu instid0(TRANS32_DEP_1) | instskip(NEXT) | instid1(VALU_DEP_1)
	v_fma_f32 v13, -v6, v7, 1.0
	v_fmac_f32_e32 v7, v13, v7
	v_div_scale_f32 v13, vcc_lo, v4, v5, v4
	s_delay_alu instid0(VALU_DEP_1) | instskip(NEXT) | instid1(VALU_DEP_1)
	v_mul_f32_e32 v14, v13, v7
	v_fma_f32 v15, -v6, v14, v13
	s_delay_alu instid0(VALU_DEP_1) | instskip(NEXT) | instid1(VALU_DEP_1)
	v_fmac_f32_e32 v14, v15, v7
	v_fma_f32 v6, -v6, v14, v13
	s_delay_alu instid0(VALU_DEP_1) | instskip(NEXT) | instid1(VALU_DEP_1)
	v_div_fmas_f32 v6, v6, v7, v14
	v_div_fixup_f32 v4, v6, v5, v4
.LBB75_112:
	s_or_b32 exec_lo, exec_lo, s8
	global_load_b32 v5, v9, s[4:5]
	global_load_u16 v7, v10, s[2:3]
	s_mov_b32 s8, exec_lo
	s_wait_loadcnt 0x1
	v_mul_f32_e32 v6, s6, v5
	s_wait_loadcnt 0x0
	v_cvt_f32_f16_e32 v5, v7
	s_wait_xcnt 0x0
	s_delay_alu instid0(VALU_DEP_2)
	v_cmpx_nlt_f32_e32 s7, v6
	s_cbranch_execz .LBB75_114
; %bb.113:
	v_mul_f32_e32 v7, 0x3fb8aa3b, v6
	v_cmp_ngt_f32_e32 vcc_lo, 0xc2ce8ed0, v6
	s_delay_alu instid0(VALU_DEP_2) | instskip(SKIP_1) | instid1(VALU_DEP_1)
	v_rndne_f32_e32 v9, v7
	v_fma_f32 v10, 0x3fb8aa3b, v6, -v7
	v_dual_sub_f32 v7, v7, v9 :: v_dual_fmamk_f32 v10, v6, 0x32a5705f, v10
	v_cvt_i32_f32_e32 v9, v9
	s_delay_alu instid0(VALU_DEP_2) | instskip(NEXT) | instid1(VALU_DEP_1)
	v_add_f32_e32 v7, v7, v10
	v_exp_f32_e32 v7, v7
	v_nop
	s_delay_alu instid0(TRANS32_DEP_1) | instskip(NEXT) | instid1(VALU_DEP_1)
	v_ldexp_f32 v7, v7, v9
	v_cndmask_b32_e32 v7, 0, v7, vcc_lo
	v_cmp_nlt_f32_e32 vcc_lo, 0x42b17218, v6
	s_delay_alu instid0(VALU_DEP_2) | instskip(NEXT) | instid1(VALU_DEP_1)
	v_cndmask_b32_e32 v6, 0x7f800000, v7, vcc_lo
	v_dual_mul_f32 v5, v6, v5 :: v_dual_add_f32 v6, 1.0, v6
	s_delay_alu instid0(VALU_DEP_1) | instskip(NEXT) | instid1(VALU_DEP_1)
	v_div_scale_f32 v7, null, v6, v6, v5
	v_rcp_f32_e32 v9, v7
	v_nop
	s_delay_alu instid0(TRANS32_DEP_1) | instskip(NEXT) | instid1(VALU_DEP_1)
	v_fma_f32 v10, -v7, v9, 1.0
	v_fmac_f32_e32 v9, v10, v9
	v_div_scale_f32 v10, vcc_lo, v5, v6, v5
	s_delay_alu instid0(VALU_DEP_1) | instskip(NEXT) | instid1(VALU_DEP_1)
	v_mul_f32_e32 v13, v10, v9
	v_fma_f32 v14, -v7, v13, v10
	s_delay_alu instid0(VALU_DEP_1) | instskip(NEXT) | instid1(VALU_DEP_1)
	v_fmac_f32_e32 v13, v14, v9
	v_fma_f32 v7, -v7, v13, v10
	s_delay_alu instid0(VALU_DEP_1) | instskip(NEXT) | instid1(VALU_DEP_1)
	v_div_fmas_f32 v7, v7, v9, v13
	v_div_fixup_f32 v5, v7, v6, v5
.LBB75_114:
	s_or_b32 exec_lo, exec_lo, s8
	global_load_b32 v6, v11, s[4:5]
	global_load_u16 v9, v12, s[2:3]
	s_wait_xcnt 0x0
	s_mov_b32 s2, exec_lo
	s_wait_loadcnt 0x1
	v_mul_f32_e32 v7, s6, v6
	s_wait_loadcnt 0x0
	v_cvt_f32_f16_e32 v6, v9
	s_delay_alu instid0(VALU_DEP_2)
	v_cmpx_nlt_f32_e32 s7, v7
	s_cbranch_execz .LBB75_116
; %bb.115:
	v_mul_f32_e32 v9, 0x3fb8aa3b, v7
	v_cmp_ngt_f32_e32 vcc_lo, 0xc2ce8ed0, v7
	s_delay_alu instid0(VALU_DEP_2) | instskip(SKIP_1) | instid1(VALU_DEP_2)
	v_rndne_f32_e32 v10, v9
	v_fma_f32 v11, 0x3fb8aa3b, v7, -v9
	v_sub_f32_e32 v9, v9, v10
	s_delay_alu instid0(VALU_DEP_2) | instskip(SKIP_1) | instid1(VALU_DEP_2)
	v_fmamk_f32 v11, v7, 0x32a5705f, v11
	v_cvt_i32_f32_e32 v10, v10
	v_add_f32_e32 v9, v9, v11
	s_delay_alu instid0(VALU_DEP_1) | instskip(SKIP_1) | instid1(TRANS32_DEP_1)
	v_exp_f32_e32 v9, v9
	v_nop
	v_ldexp_f32 v9, v9, v10
	s_delay_alu instid0(VALU_DEP_1) | instskip(SKIP_1) | instid1(VALU_DEP_2)
	v_cndmask_b32_e32 v9, 0, v9, vcc_lo
	v_cmp_nlt_f32_e32 vcc_lo, 0x42b17218, v7
	v_cndmask_b32_e32 v7, 0x7f800000, v9, vcc_lo
	s_delay_alu instid0(VALU_DEP_1) | instskip(NEXT) | instid1(VALU_DEP_1)
	v_dual_mul_f32 v6, v7, v6 :: v_dual_add_f32 v7, 1.0, v7
	v_div_scale_f32 v9, null, v7, v7, v6
	s_delay_alu instid0(VALU_DEP_1) | instskip(SKIP_1) | instid1(TRANS32_DEP_1)
	v_rcp_f32_e32 v10, v9
	v_nop
	v_fma_f32 v11, -v9, v10, 1.0
	s_delay_alu instid0(VALU_DEP_1) | instskip(SKIP_1) | instid1(VALU_DEP_1)
	v_fmac_f32_e32 v10, v11, v10
	v_div_scale_f32 v11, vcc_lo, v6, v7, v6
	v_mul_f32_e32 v12, v11, v10
	s_delay_alu instid0(VALU_DEP_1) | instskip(NEXT) | instid1(VALU_DEP_1)
	v_fma_f32 v13, -v9, v12, v11
	v_fmac_f32_e32 v12, v13, v10
	s_delay_alu instid0(VALU_DEP_1) | instskip(NEXT) | instid1(VALU_DEP_1)
	v_fma_f32 v9, -v9, v12, v11
	v_div_fmas_f32 v9, v9, v10, v12
	s_delay_alu instid0(VALU_DEP_1)
	v_div_fixup_f32 v6, v9, v7, v6
.LBB75_116:
	s_or_b32 exec_lo, exec_lo, s2
	s_clause 0x3
	global_store_b32 v1, v2, s[0:1]
	global_store_b32 v3, v4, s[0:1]
	;; [unrolled: 1-line block ×4, first 2 shown]
	s_endpgm
	.section	.rodata,"a",@progbits
	.p2align	6, 0x0
	.amdhsa_kernel _ZN2at6native32elementwise_kernel_manual_unrollILi128ELi4EZNS0_12_GLOBAL__N_142type_specialized_broadcast_kernel_launcherILi4EE5applyIZZZNS2_24softplus_backward_kernelERNS_18TensorIteratorBaseERKN3c106ScalarESB_ENKUlvE_clEvENKUlvE0_clEvEUlffE_St5arrayIPcLm3EESF_INS8_10ScalarTypeELm3EE16OffsetCalculatorILi3EjLb0EEEEvlT_T0_T1_T2_EUlibE_EEviSO_
		.amdhsa_group_segment_fixed_size 0
		.amdhsa_private_segment_fixed_size 0
		.amdhsa_kernarg_size 432
		.amdhsa_user_sgpr_count 2
		.amdhsa_user_sgpr_dispatch_ptr 0
		.amdhsa_user_sgpr_queue_ptr 0
		.amdhsa_user_sgpr_kernarg_segment_ptr 1
		.amdhsa_user_sgpr_dispatch_id 0
		.amdhsa_user_sgpr_kernarg_preload_length 0
		.amdhsa_user_sgpr_kernarg_preload_offset 0
		.amdhsa_user_sgpr_private_segment_size 0
		.amdhsa_wavefront_size32 1
		.amdhsa_uses_dynamic_stack 0
		.amdhsa_enable_private_segment 0
		.amdhsa_system_sgpr_workgroup_id_x 1
		.amdhsa_system_sgpr_workgroup_id_y 0
		.amdhsa_system_sgpr_workgroup_id_z 0
		.amdhsa_system_sgpr_workgroup_info 0
		.amdhsa_system_vgpr_workitem_id 0
		.amdhsa_next_free_vgpr 17
		.amdhsa_next_free_sgpr 48
		.amdhsa_named_barrier_count 0
		.amdhsa_reserve_vcc 1
		.amdhsa_float_round_mode_32 0
		.amdhsa_float_round_mode_16_64 0
		.amdhsa_float_denorm_mode_32 3
		.amdhsa_float_denorm_mode_16_64 3
		.amdhsa_fp16_overflow 0
		.amdhsa_memory_ordered 1
		.amdhsa_forward_progress 1
		.amdhsa_inst_pref_size 57
		.amdhsa_round_robin_scheduling 0
		.amdhsa_exception_fp_ieee_invalid_op 0
		.amdhsa_exception_fp_denorm_src 0
		.amdhsa_exception_fp_ieee_div_zero 0
		.amdhsa_exception_fp_ieee_overflow 0
		.amdhsa_exception_fp_ieee_underflow 0
		.amdhsa_exception_fp_ieee_inexact 0
		.amdhsa_exception_int_div_zero 0
	.end_amdhsa_kernel
	.section	.text._ZN2at6native32elementwise_kernel_manual_unrollILi128ELi4EZNS0_12_GLOBAL__N_142type_specialized_broadcast_kernel_launcherILi4EE5applyIZZZNS2_24softplus_backward_kernelERNS_18TensorIteratorBaseERKN3c106ScalarESB_ENKUlvE_clEvENKUlvE0_clEvEUlffE_St5arrayIPcLm3EESF_INS8_10ScalarTypeELm3EE16OffsetCalculatorILi3EjLb0EEEEvlT_T0_T1_T2_EUlibE_EEviSO_,"axG",@progbits,_ZN2at6native32elementwise_kernel_manual_unrollILi128ELi4EZNS0_12_GLOBAL__N_142type_specialized_broadcast_kernel_launcherILi4EE5applyIZZZNS2_24softplus_backward_kernelERNS_18TensorIteratorBaseERKN3c106ScalarESB_ENKUlvE_clEvENKUlvE0_clEvEUlffE_St5arrayIPcLm3EESF_INS8_10ScalarTypeELm3EE16OffsetCalculatorILi3EjLb0EEEEvlT_T0_T1_T2_EUlibE_EEviSO_,comdat
.Lfunc_end75:
	.size	_ZN2at6native32elementwise_kernel_manual_unrollILi128ELi4EZNS0_12_GLOBAL__N_142type_specialized_broadcast_kernel_launcherILi4EE5applyIZZZNS2_24softplus_backward_kernelERNS_18TensorIteratorBaseERKN3c106ScalarESB_ENKUlvE_clEvENKUlvE0_clEvEUlffE_St5arrayIPcLm3EESF_INS8_10ScalarTypeELm3EE16OffsetCalculatorILi3EjLb0EEEEvlT_T0_T1_T2_EUlibE_EEviSO_, .Lfunc_end75-_ZN2at6native32elementwise_kernel_manual_unrollILi128ELi4EZNS0_12_GLOBAL__N_142type_specialized_broadcast_kernel_launcherILi4EE5applyIZZZNS2_24softplus_backward_kernelERNS_18TensorIteratorBaseERKN3c106ScalarESB_ENKUlvE_clEvENKUlvE0_clEvEUlffE_St5arrayIPcLm3EESF_INS8_10ScalarTypeELm3EE16OffsetCalculatorILi3EjLb0EEEEvlT_T0_T1_T2_EUlibE_EEviSO_
                                        ; -- End function
	.set _ZN2at6native32elementwise_kernel_manual_unrollILi128ELi4EZNS0_12_GLOBAL__N_142type_specialized_broadcast_kernel_launcherILi4EE5applyIZZZNS2_24softplus_backward_kernelERNS_18TensorIteratorBaseERKN3c106ScalarESB_ENKUlvE_clEvENKUlvE0_clEvEUlffE_St5arrayIPcLm3EESF_INS8_10ScalarTypeELm3EE16OffsetCalculatorILi3EjLb0EEEEvlT_T0_T1_T2_EUlibE_EEviSO_.num_vgpr, 17
	.set _ZN2at6native32elementwise_kernel_manual_unrollILi128ELi4EZNS0_12_GLOBAL__N_142type_specialized_broadcast_kernel_launcherILi4EE5applyIZZZNS2_24softplus_backward_kernelERNS_18TensorIteratorBaseERKN3c106ScalarESB_ENKUlvE_clEvENKUlvE0_clEvEUlffE_St5arrayIPcLm3EESF_INS8_10ScalarTypeELm3EE16OffsetCalculatorILi3EjLb0EEEEvlT_T0_T1_T2_EUlibE_EEviSO_.num_agpr, 0
	.set _ZN2at6native32elementwise_kernel_manual_unrollILi128ELi4EZNS0_12_GLOBAL__N_142type_specialized_broadcast_kernel_launcherILi4EE5applyIZZZNS2_24softplus_backward_kernelERNS_18TensorIteratorBaseERKN3c106ScalarESB_ENKUlvE_clEvENKUlvE0_clEvEUlffE_St5arrayIPcLm3EESF_INS8_10ScalarTypeELm3EE16OffsetCalculatorILi3EjLb0EEEEvlT_T0_T1_T2_EUlibE_EEviSO_.numbered_sgpr, 48
	.set _ZN2at6native32elementwise_kernel_manual_unrollILi128ELi4EZNS0_12_GLOBAL__N_142type_specialized_broadcast_kernel_launcherILi4EE5applyIZZZNS2_24softplus_backward_kernelERNS_18TensorIteratorBaseERKN3c106ScalarESB_ENKUlvE_clEvENKUlvE0_clEvEUlffE_St5arrayIPcLm3EESF_INS8_10ScalarTypeELm3EE16OffsetCalculatorILi3EjLb0EEEEvlT_T0_T1_T2_EUlibE_EEviSO_.num_named_barrier, 0
	.set _ZN2at6native32elementwise_kernel_manual_unrollILi128ELi4EZNS0_12_GLOBAL__N_142type_specialized_broadcast_kernel_launcherILi4EE5applyIZZZNS2_24softplus_backward_kernelERNS_18TensorIteratorBaseERKN3c106ScalarESB_ENKUlvE_clEvENKUlvE0_clEvEUlffE_St5arrayIPcLm3EESF_INS8_10ScalarTypeELm3EE16OffsetCalculatorILi3EjLb0EEEEvlT_T0_T1_T2_EUlibE_EEviSO_.private_seg_size, 0
	.set _ZN2at6native32elementwise_kernel_manual_unrollILi128ELi4EZNS0_12_GLOBAL__N_142type_specialized_broadcast_kernel_launcherILi4EE5applyIZZZNS2_24softplus_backward_kernelERNS_18TensorIteratorBaseERKN3c106ScalarESB_ENKUlvE_clEvENKUlvE0_clEvEUlffE_St5arrayIPcLm3EESF_INS8_10ScalarTypeELm3EE16OffsetCalculatorILi3EjLb0EEEEvlT_T0_T1_T2_EUlibE_EEviSO_.uses_vcc, 1
	.set _ZN2at6native32elementwise_kernel_manual_unrollILi128ELi4EZNS0_12_GLOBAL__N_142type_specialized_broadcast_kernel_launcherILi4EE5applyIZZZNS2_24softplus_backward_kernelERNS_18TensorIteratorBaseERKN3c106ScalarESB_ENKUlvE_clEvENKUlvE0_clEvEUlffE_St5arrayIPcLm3EESF_INS8_10ScalarTypeELm3EE16OffsetCalculatorILi3EjLb0EEEEvlT_T0_T1_T2_EUlibE_EEviSO_.uses_flat_scratch, 0
	.set _ZN2at6native32elementwise_kernel_manual_unrollILi128ELi4EZNS0_12_GLOBAL__N_142type_specialized_broadcast_kernel_launcherILi4EE5applyIZZZNS2_24softplus_backward_kernelERNS_18TensorIteratorBaseERKN3c106ScalarESB_ENKUlvE_clEvENKUlvE0_clEvEUlffE_St5arrayIPcLm3EESF_INS8_10ScalarTypeELm3EE16OffsetCalculatorILi3EjLb0EEEEvlT_T0_T1_T2_EUlibE_EEviSO_.has_dyn_sized_stack, 0
	.set _ZN2at6native32elementwise_kernel_manual_unrollILi128ELi4EZNS0_12_GLOBAL__N_142type_specialized_broadcast_kernel_launcherILi4EE5applyIZZZNS2_24softplus_backward_kernelERNS_18TensorIteratorBaseERKN3c106ScalarESB_ENKUlvE_clEvENKUlvE0_clEvEUlffE_St5arrayIPcLm3EESF_INS8_10ScalarTypeELm3EE16OffsetCalculatorILi3EjLb0EEEEvlT_T0_T1_T2_EUlibE_EEviSO_.has_recursion, 0
	.set _ZN2at6native32elementwise_kernel_manual_unrollILi128ELi4EZNS0_12_GLOBAL__N_142type_specialized_broadcast_kernel_launcherILi4EE5applyIZZZNS2_24softplus_backward_kernelERNS_18TensorIteratorBaseERKN3c106ScalarESB_ENKUlvE_clEvENKUlvE0_clEvEUlffE_St5arrayIPcLm3EESF_INS8_10ScalarTypeELm3EE16OffsetCalculatorILi3EjLb0EEEEvlT_T0_T1_T2_EUlibE_EEviSO_.has_indirect_call, 0
	.section	.AMDGPU.csdata,"",@progbits
; Kernel info:
; codeLenInByte = 7256
; TotalNumSgprs: 50
; NumVgprs: 17
; ScratchSize: 0
; MemoryBound: 0
; FloatMode: 240
; IeeeMode: 1
; LDSByteSize: 0 bytes/workgroup (compile time only)
; SGPRBlocks: 0
; VGPRBlocks: 1
; NumSGPRsForWavesPerEU: 50
; NumVGPRsForWavesPerEU: 17
; NamedBarCnt: 0
; Occupancy: 16
; WaveLimiterHint : 1
; COMPUTE_PGM_RSRC2:SCRATCH_EN: 0
; COMPUTE_PGM_RSRC2:USER_SGPR: 2
; COMPUTE_PGM_RSRC2:TRAP_HANDLER: 0
; COMPUTE_PGM_RSRC2:TGID_X_EN: 1
; COMPUTE_PGM_RSRC2:TGID_Y_EN: 0
; COMPUTE_PGM_RSRC2:TGID_Z_EN: 0
; COMPUTE_PGM_RSRC2:TIDIG_COMP_CNT: 0
	.section	.text._ZN2at6native32elementwise_kernel_manual_unrollILi128ELi4EZNS0_12_GLOBAL__N_142type_specialized_broadcast_kernel_launcherILi5EE5applyIZZZNS2_24softplus_backward_kernelERNS_18TensorIteratorBaseERKN3c106ScalarESB_ENKUlvE_clEvENKUlvE0_clEvEUlffE_St5arrayIPcLm3EESF_INS8_10ScalarTypeELm3EE16OffsetCalculatorILi3EjLb0EEEEvlT_T0_T1_T2_EUlibE_EEviSO_,"axG",@progbits,_ZN2at6native32elementwise_kernel_manual_unrollILi128ELi4EZNS0_12_GLOBAL__N_142type_specialized_broadcast_kernel_launcherILi5EE5applyIZZZNS2_24softplus_backward_kernelERNS_18TensorIteratorBaseERKN3c106ScalarESB_ENKUlvE_clEvENKUlvE0_clEvEUlffE_St5arrayIPcLm3EESF_INS8_10ScalarTypeELm3EE16OffsetCalculatorILi3EjLb0EEEEvlT_T0_T1_T2_EUlibE_EEviSO_,comdat
	.globl	_ZN2at6native32elementwise_kernel_manual_unrollILi128ELi4EZNS0_12_GLOBAL__N_142type_specialized_broadcast_kernel_launcherILi5EE5applyIZZZNS2_24softplus_backward_kernelERNS_18TensorIteratorBaseERKN3c106ScalarESB_ENKUlvE_clEvENKUlvE0_clEvEUlffE_St5arrayIPcLm3EESF_INS8_10ScalarTypeELm3EE16OffsetCalculatorILi3EjLb0EEEEvlT_T0_T1_T2_EUlibE_EEviSO_ ; -- Begin function _ZN2at6native32elementwise_kernel_manual_unrollILi128ELi4EZNS0_12_GLOBAL__N_142type_specialized_broadcast_kernel_launcherILi5EE5applyIZZZNS2_24softplus_backward_kernelERNS_18TensorIteratorBaseERKN3c106ScalarESB_ENKUlvE_clEvENKUlvE0_clEvEUlffE_St5arrayIPcLm3EESF_INS8_10ScalarTypeELm3EE16OffsetCalculatorILi3EjLb0EEEEvlT_T0_T1_T2_EUlibE_EEviSO_
	.p2align	8
	.type	_ZN2at6native32elementwise_kernel_manual_unrollILi128ELi4EZNS0_12_GLOBAL__N_142type_specialized_broadcast_kernel_launcherILi5EE5applyIZZZNS2_24softplus_backward_kernelERNS_18TensorIteratorBaseERKN3c106ScalarESB_ENKUlvE_clEvENKUlvE0_clEvEUlffE_St5arrayIPcLm3EESF_INS8_10ScalarTypeELm3EE16OffsetCalculatorILi3EjLb0EEEEvlT_T0_T1_T2_EUlibE_EEviSO_,@function
_ZN2at6native32elementwise_kernel_manual_unrollILi128ELi4EZNS0_12_GLOBAL__N_142type_specialized_broadcast_kernel_launcherILi5EE5applyIZZZNS2_24softplus_backward_kernelERNS_18TensorIteratorBaseERKN3c106ScalarESB_ENKUlvE_clEvENKUlvE0_clEvEUlffE_St5arrayIPcLm3EESF_INS8_10ScalarTypeELm3EE16OffsetCalculatorILi3EjLb0EEEEvlT_T0_T1_T2_EUlibE_EEviSO_: ; @_ZN2at6native32elementwise_kernel_manual_unrollILi128ELi4EZNS0_12_GLOBAL__N_142type_specialized_broadcast_kernel_launcherILi5EE5applyIZZZNS2_24softplus_backward_kernelERNS_18TensorIteratorBaseERKN3c106ScalarESB_ENKUlvE_clEvENKUlvE0_clEvEUlffE_St5arrayIPcLm3EESF_INS8_10ScalarTypeELm3EE16OffsetCalculatorILi3EjLb0EEEEvlT_T0_T1_T2_EUlibE_EEviSO_
; %bb.0:
	s_clause 0x1
	s_load_b32 s28, s[0:1], 0x8
	s_load_b32 s35, s[0:1], 0x0
	s_bfe_u32 s2, ttmp6, 0x4000c
	s_and_b32 s3, ttmp6, 15
	s_add_co_i32 s2, s2, 1
	s_getreg_b32 s4, hwreg(HW_REG_IB_STS2, 6, 4)
	s_mul_i32 s2, ttmp9, s2
	s_add_nc_u64 s[16:17], s[0:1], 8
	s_add_co_i32 s3, s3, s2
	s_cmp_eq_u32 s4, 0
	s_mov_b32 s23, 0
	s_cselect_b32 s2, ttmp9, s3
	s_wait_xcnt 0x0
	s_mov_b32 s0, exec_lo
	v_lshl_or_b32 v0, s2, 9, v0
	s_delay_alu instid0(VALU_DEP_1) | instskip(SKIP_2) | instid1(SALU_CYCLE_1)
	v_or_b32_e32 v2, 0x180, v0
	s_wait_kmcnt 0x0
	s_add_co_i32 s29, s28, -1
	s_cmp_gt_u32 s29, 1
	s_cselect_b32 s30, -1, 0
	v_cmpx_le_i32_e64 s35, v2
	s_xor_b32 s31, exec_lo, s0
	s_cbranch_execz .LBB76_62
; %bb.1:
	s_clause 0x4
	s_load_b128 s[8:11], s[16:17], 0x4
	s_load_b64 s[18:19], s[16:17], 0x14
	s_load_b128 s[12:15], s[16:17], 0xc4
	s_load_b64 s[20:21], s[16:17], 0xd4
	s_load_b256 s[0:7], s[16:17], 0x188
	s_cmp_lg_u32 s28, 0
	s_mov_b32 s25, s23
	s_cselect_b32 s36, -1, 0
	s_min_u32 s34, s29, 15
	s_cmp_gt_u32 s28, 1
	s_cselect_b32 s33, -1, 0
	s_wait_kmcnt 0x0
	s_mov_b32 s22, s9
	s_mov_b32 s24, s18
	s_mov_b32 s9, exec_lo
	v_cmpx_gt_i32_e64 s35, v0
	s_cbranch_execnz .LBB76_5
; %bb.2:
	s_or_b32 exec_lo, exec_lo, s9
	s_delay_alu instid0(SALU_CYCLE_1)
	s_mov_b32 s9, exec_lo
	v_cmpx_gt_i32_e64 s35, v0
	s_cbranch_execnz .LBB76_19
.LBB76_3:
	s_or_b32 exec_lo, exec_lo, s9
	s_delay_alu instid0(SALU_CYCLE_1)
	s_mov_b32 s9, exec_lo
	v_cmpx_gt_i32_e64 s35, v0
	s_cbranch_execnz .LBB76_33
.LBB76_4:
	s_or_b32 exec_lo, exec_lo, s9
	s_delay_alu instid0(SALU_CYCLE_1)
	s_mov_b32 s9, exec_lo
	v_cmpx_gt_i32_e64 s35, v0
	s_cbranch_execnz .LBB76_47
	s_branch .LBB76_61
.LBB76_5:
	s_and_not1_b32 vcc_lo, exec_lo, s30
	s_cbranch_vccnz .LBB76_11
; %bb.6:
	s_and_not1_b32 vcc_lo, exec_lo, s36
	s_cbranch_vccnz .LBB76_12
; %bb.7:
	v_dual_mov_b32 v4, 0 :: v_dual_mov_b32 v1, v0
	v_dual_mov_b32 v6, 0 :: v_dual_mov_b32 v5, 0
	s_add_co_i32 s18, s34, 1
	s_mov_b64 s[26:27], 0xffffffffffffffe8
	s_and_b32 s18, s18, 30
	s_add_nc_u64 s[26:27], s[16:17], s[26:27]
.LBB76_8:                               ; =>This Inner Loop Header: Depth=1
	s_clause 0x1
	s_load_b128 s[40:43], s[26:27], 0x1c
	s_load_b64 s[38:39], s[26:27], 0x2c
	s_add_co_i32 s18, s18, -2
	s_delay_alu instid0(SALU_CYCLE_1) | instskip(SKIP_2) | instid1(VALU_DEP_1)
	s_cmp_lg_u32 s18, 0
	s_wait_kmcnt 0x0
	v_mul_hi_u32 v2, s41, v1
	v_add_nc_u32_e32 v2, v1, v2
	s_delay_alu instid0(VALU_DEP_1) | instskip(NEXT) | instid1(VALU_DEP_1)
	v_lshrrev_b32_e32 v2, s42, v2
	v_mul_hi_u32 v3, s38, v2
	v_mul_lo_u32 v7, v2, s40
	s_clause 0x1
	s_load_b128 s[44:47], s[26:27], 0xdc
	s_load_b64 s[40:41], s[26:27], 0xec
	s_wait_xcnt 0x0
	s_add_nc_u64 s[26:27], s[26:27], 24
	s_delay_alu instid0(VALU_DEP_2) | instskip(NEXT) | instid1(VALU_DEP_2)
	v_add_nc_u32_e32 v3, v2, v3
	v_sub_nc_u32_e32 v7, v1, v7
	s_delay_alu instid0(VALU_DEP_2) | instskip(SKIP_1) | instid1(VALU_DEP_2)
	v_lshrrev_b32_e32 v1, s39, v3
	s_wait_kmcnt 0x0
	v_mad_u32 v4, v7, s44, v4
	s_delay_alu instid0(VALU_DEP_2) | instskip(SKIP_2) | instid1(VALU_DEP_3)
	v_mul_lo_u32 v3, v1, s43
	v_mad_u32 v5, v7, s46, v5
	v_mad_u32 v6, v7, s45, v6
	v_sub_nc_u32_e32 v2, v2, v3
	s_delay_alu instid0(VALU_DEP_1) | instskip(NEXT) | instid1(VALU_DEP_4)
	v_mad_u32 v4, v2, s47, v4
	v_mad_u32 v5, v2, s41, v5
	s_delay_alu instid0(VALU_DEP_4)
	v_mad_u32 v6, v2, s40, v6
	s_cbranch_scc1 .LBB76_8
; %bb.9:
	s_bitcmp1_b32 s34, 0
	s_cselect_b32 s18, -1, 0
	s_delay_alu instid0(SALU_CYCLE_1)
	s_and_b32 vcc_lo, exec_lo, s18
	s_cbranch_vccnz .LBB76_13
; %bb.10:
	s_clause 0x1
	s_load_b96 s[40:42], s[26:27], 0x1c
	s_load_b96 s[44:46], s[26:27], 0xdc
	s_wait_kmcnt 0x0
	v_mul_hi_u32 v2, s41, v1
	s_delay_alu instid0(VALU_DEP_1) | instskip(NEXT) | instid1(VALU_DEP_1)
	v_add_nc_u32_e32 v2, v1, v2
	v_lshrrev_b32_e32 v2, s42, v2
	s_delay_alu instid0(VALU_DEP_1) | instskip(NEXT) | instid1(VALU_DEP_1)
	v_mul_lo_u32 v2, v2, s40
	v_sub_nc_u32_e32 v1, v1, v2
	s_delay_alu instid0(VALU_DEP_1)
	v_mad_u32 v4, v1, s44, v4
	v_mad_u32 v6, v1, s45, v6
	;; [unrolled: 1-line block ×3, first 2 shown]
	s_cbranch_execz .LBB76_14
	s_branch .LBB76_16
.LBB76_11:
                                        ; implicit-def: $vgpr5
                                        ; implicit-def: $vgpr6
                                        ; implicit-def: $vgpr4
	s_branch .LBB76_14
.LBB76_12:
	v_dual_mov_b32 v5, 0 :: v_dual_mov_b32 v6, 0
	v_mov_b32_e32 v4, 0
.LBB76_13:
	s_cbranch_execnz .LBB76_16
.LBB76_14:
	v_mov_b32_e32 v1, 0
	s_and_not1_b32 vcc_lo, exec_lo, s33
	s_delay_alu instid0(VALU_DEP_1) | instskip(NEXT) | instid1(VALU_DEP_1)
	v_mul_u64_e32 v[2:3], s[22:23], v[0:1]
	v_add_nc_u32_e32 v2, v0, v3
	s_delay_alu instid0(VALU_DEP_1) | instskip(NEXT) | instid1(VALU_DEP_1)
	v_lshrrev_b32_e32 v2, s10, v2
	v_mul_lo_u32 v3, v2, s8
	s_delay_alu instid0(VALU_DEP_1) | instskip(NEXT) | instid1(VALU_DEP_1)
	v_sub_nc_u32_e32 v3, v0, v3
	v_mul_lo_u32 v4, v3, s12
	v_mul_lo_u32 v5, v3, s14
	;; [unrolled: 1-line block ×3, first 2 shown]
	s_cbranch_vccnz .LBB76_16
; %bb.15:
	v_mov_b32_e32 v3, v1
	s_delay_alu instid0(VALU_DEP_1) | instskip(NEXT) | instid1(VALU_DEP_1)
	v_mul_u64_e32 v[8:9], s[24:25], v[2:3]
	v_add_nc_u32_e32 v1, v2, v9
	s_delay_alu instid0(VALU_DEP_1) | instskip(NEXT) | instid1(VALU_DEP_1)
	v_lshrrev_b32_e32 v1, s19, v1
	v_mul_lo_u32 v1, v1, s11
	s_delay_alu instid0(VALU_DEP_1) | instskip(NEXT) | instid1(VALU_DEP_1)
	v_sub_nc_u32_e32 v1, v2, v1
	v_mad_u32 v4, v1, s15, v4
	v_mad_u32 v6, v1, s20, v6
	;; [unrolled: 1-line block ×3, first 2 shown]
.LBB76_16:
	global_load_b32 v2, v5, s[4:5]
	global_load_u16 v1, v6, s[2:3]
	s_mov_b32 s18, exec_lo
	s_wait_loadcnt 0x1
	v_mul_f32_e32 v2, s6, v2
	s_wait_xcnt 0x0
	s_delay_alu instid0(VALU_DEP_1)
	v_cmpx_nlt_f32_e32 s7, v2
	s_cbranch_execz .LBB76_18
; %bb.17:
	v_mul_f32_e32 v3, 0x3fb8aa3b, v2
	s_wait_loadcnt 0x0
	v_cvt_f32_f16_e32 v1, v1
	v_cmp_ngt_f32_e32 vcc_lo, 0xc2ce8ed0, v2
	s_delay_alu instid0(VALU_DEP_3) | instskip(SKIP_1) | instid1(VALU_DEP_1)
	v_rndne_f32_e32 v5, v3
	v_fma_f32 v6, 0x3fb8aa3b, v2, -v3
	v_dual_sub_f32 v3, v3, v5 :: v_dual_fmamk_f32 v6, v2, 0x32a5705f, v6
	v_cvt_i32_f32_e32 v5, v5
	s_delay_alu instid0(VALU_DEP_2) | instskip(NEXT) | instid1(VALU_DEP_1)
	v_add_f32_e32 v3, v3, v6
	v_exp_f32_e32 v3, v3
	v_nop
	s_delay_alu instid0(TRANS32_DEP_1) | instskip(NEXT) | instid1(VALU_DEP_1)
	v_ldexp_f32 v3, v3, v5
	v_cndmask_b32_e32 v3, 0, v3, vcc_lo
	v_cmp_nlt_f32_e32 vcc_lo, 0x42b17218, v2
	s_delay_alu instid0(VALU_DEP_2) | instskip(NEXT) | instid1(VALU_DEP_1)
	v_cndmask_b32_e32 v2, 0x7f800000, v3, vcc_lo
	v_dual_mul_f32 v1, v2, v1 :: v_dual_add_f32 v2, 1.0, v2
	s_delay_alu instid0(VALU_DEP_1) | instskip(NEXT) | instid1(VALU_DEP_1)
	v_div_scale_f32 v3, null, v2, v2, v1
	v_rcp_f32_e32 v5, v3
	v_nop
	s_delay_alu instid0(TRANS32_DEP_1) | instskip(NEXT) | instid1(VALU_DEP_1)
	v_fma_f32 v6, -v3, v5, 1.0
	v_fmac_f32_e32 v5, v6, v5
	v_div_scale_f32 v6, vcc_lo, v1, v2, v1
	s_delay_alu instid0(VALU_DEP_1) | instskip(NEXT) | instid1(VALU_DEP_1)
	v_mul_f32_e32 v7, v6, v5
	v_fma_f32 v8, -v3, v7, v6
	s_delay_alu instid0(VALU_DEP_1) | instskip(NEXT) | instid1(VALU_DEP_1)
	v_fmac_f32_e32 v7, v8, v5
	v_fma_f32 v3, -v3, v7, v6
	s_delay_alu instid0(VALU_DEP_1) | instskip(NEXT) | instid1(VALU_DEP_1)
	v_div_fmas_f32 v3, v3, v5, v7
	v_div_fixup_f32 v1, v3, v2, v1
	s_delay_alu instid0(VALU_DEP_1)
	v_cvt_f16_f32_e32 v1, v1
.LBB76_18:
	s_or_b32 exec_lo, exec_lo, s18
	v_add_nc_u32_e32 v0, 0x80, v0
	s_wait_loadcnt 0x0
	global_store_b16 v4, v1, s[0:1]
	s_wait_xcnt 0x0
	s_or_b32 exec_lo, exec_lo, s9
	s_delay_alu instid0(SALU_CYCLE_1)
	s_mov_b32 s9, exec_lo
	v_cmpx_gt_i32_e64 s35, v0
	s_cbranch_execz .LBB76_3
.LBB76_19:
	s_and_not1_b32 vcc_lo, exec_lo, s30
	s_cbranch_vccnz .LBB76_25
; %bb.20:
	s_and_not1_b32 vcc_lo, exec_lo, s36
	s_cbranch_vccnz .LBB76_26
; %bb.21:
	v_dual_mov_b32 v4, 0 :: v_dual_mov_b32 v1, v0
	v_dual_mov_b32 v6, 0 :: v_dual_mov_b32 v5, 0
	s_add_co_i32 s18, s34, 1
	s_mov_b64 s[26:27], 0xffffffffffffffe8
	s_and_b32 s18, s18, 30
	s_add_nc_u64 s[26:27], s[16:17], s[26:27]
.LBB76_22:                              ; =>This Inner Loop Header: Depth=1
	s_clause 0x1
	s_load_b128 s[40:43], s[26:27], 0x1c
	s_load_b64 s[38:39], s[26:27], 0x2c
	s_add_co_i32 s18, s18, -2
	s_delay_alu instid0(SALU_CYCLE_1) | instskip(SKIP_2) | instid1(VALU_DEP_1)
	s_cmp_eq_u32 s18, 0
	s_wait_kmcnt 0x0
	v_mul_hi_u32 v2, s41, v1
	v_add_nc_u32_e32 v2, v1, v2
	s_delay_alu instid0(VALU_DEP_1) | instskip(NEXT) | instid1(VALU_DEP_1)
	v_lshrrev_b32_e32 v2, s42, v2
	v_mul_hi_u32 v3, s38, v2
	v_mul_lo_u32 v7, v2, s40
	s_clause 0x1
	s_load_b128 s[44:47], s[26:27], 0xdc
	s_load_b64 s[40:41], s[26:27], 0xec
	s_wait_xcnt 0x0
	s_add_nc_u64 s[26:27], s[26:27], 24
	s_delay_alu instid0(VALU_DEP_2) | instskip(NEXT) | instid1(VALU_DEP_2)
	v_add_nc_u32_e32 v3, v2, v3
	v_sub_nc_u32_e32 v7, v1, v7
	s_delay_alu instid0(VALU_DEP_2) | instskip(SKIP_1) | instid1(VALU_DEP_2)
	v_lshrrev_b32_e32 v1, s39, v3
	s_wait_kmcnt 0x0
	v_mad_u32 v4, v7, s44, v4
	s_delay_alu instid0(VALU_DEP_2) | instskip(SKIP_2) | instid1(VALU_DEP_3)
	v_mul_lo_u32 v3, v1, s43
	v_mad_u32 v5, v7, s46, v5
	v_mad_u32 v6, v7, s45, v6
	v_sub_nc_u32_e32 v2, v2, v3
	s_delay_alu instid0(VALU_DEP_1) | instskip(NEXT) | instid1(VALU_DEP_4)
	v_mad_u32 v4, v2, s47, v4
	v_mad_u32 v5, v2, s41, v5
	s_delay_alu instid0(VALU_DEP_4)
	v_mad_u32 v6, v2, s40, v6
	s_cbranch_scc0 .LBB76_22
; %bb.23:
	s_bitcmp1_b32 s34, 0
	s_cselect_b32 s18, -1, 0
	s_delay_alu instid0(SALU_CYCLE_1)
	s_and_b32 vcc_lo, exec_lo, s18
	s_cbranch_vccnz .LBB76_27
; %bb.24:
	s_clause 0x1
	s_load_b96 s[40:42], s[26:27], 0x1c
	s_load_b96 s[44:46], s[26:27], 0xdc
	s_wait_kmcnt 0x0
	v_mul_hi_u32 v2, s41, v1
	s_delay_alu instid0(VALU_DEP_1) | instskip(NEXT) | instid1(VALU_DEP_1)
	v_add_nc_u32_e32 v2, v1, v2
	v_lshrrev_b32_e32 v2, s42, v2
	s_delay_alu instid0(VALU_DEP_1) | instskip(NEXT) | instid1(VALU_DEP_1)
	v_mul_lo_u32 v2, v2, s40
	v_sub_nc_u32_e32 v1, v1, v2
	s_delay_alu instid0(VALU_DEP_1)
	v_mad_u32 v4, v1, s44, v4
	v_mad_u32 v6, v1, s45, v6
	;; [unrolled: 1-line block ×3, first 2 shown]
	s_branch .LBB76_27
.LBB76_25:
                                        ; implicit-def: $vgpr5
                                        ; implicit-def: $vgpr6
                                        ; implicit-def: $vgpr4
	s_branch .LBB76_28
.LBB76_26:
	v_dual_mov_b32 v5, 0 :: v_dual_mov_b32 v6, 0
	v_mov_b32_e32 v4, 0
.LBB76_27:
	s_cbranch_execnz .LBB76_30
.LBB76_28:
	v_mov_b32_e32 v1, 0
	s_and_not1_b32 vcc_lo, exec_lo, s33
	s_delay_alu instid0(VALU_DEP_1) | instskip(NEXT) | instid1(VALU_DEP_1)
	v_mul_u64_e32 v[2:3], s[22:23], v[0:1]
	v_add_nc_u32_e32 v2, v0, v3
	s_delay_alu instid0(VALU_DEP_1) | instskip(NEXT) | instid1(VALU_DEP_1)
	v_lshrrev_b32_e32 v2, s10, v2
	v_mul_lo_u32 v3, v2, s8
	s_delay_alu instid0(VALU_DEP_1) | instskip(NEXT) | instid1(VALU_DEP_1)
	v_sub_nc_u32_e32 v3, v0, v3
	v_mul_lo_u32 v4, v3, s12
	v_mul_lo_u32 v5, v3, s14
	;; [unrolled: 1-line block ×3, first 2 shown]
	s_cbranch_vccnz .LBB76_30
; %bb.29:
	v_mov_b32_e32 v3, v1
	s_delay_alu instid0(VALU_DEP_1) | instskip(NEXT) | instid1(VALU_DEP_1)
	v_mul_u64_e32 v[8:9], s[24:25], v[2:3]
	v_add_nc_u32_e32 v1, v2, v9
	s_delay_alu instid0(VALU_DEP_1) | instskip(NEXT) | instid1(VALU_DEP_1)
	v_lshrrev_b32_e32 v1, s19, v1
	v_mul_lo_u32 v1, v1, s11
	s_delay_alu instid0(VALU_DEP_1) | instskip(NEXT) | instid1(VALU_DEP_1)
	v_sub_nc_u32_e32 v1, v2, v1
	v_mad_u32 v4, v1, s15, v4
	v_mad_u32 v6, v1, s20, v6
	;; [unrolled: 1-line block ×3, first 2 shown]
.LBB76_30:
	global_load_b32 v2, v5, s[4:5]
	global_load_u16 v1, v6, s[2:3]
	s_mov_b32 s18, exec_lo
	s_wait_loadcnt 0x1
	v_mul_f32_e32 v2, s6, v2
	s_wait_xcnt 0x0
	s_delay_alu instid0(VALU_DEP_1)
	v_cmpx_nlt_f32_e32 s7, v2
	s_cbranch_execz .LBB76_32
; %bb.31:
	v_mul_f32_e32 v3, 0x3fb8aa3b, v2
	s_wait_loadcnt 0x0
	v_cvt_f32_f16_e32 v1, v1
	v_cmp_ngt_f32_e32 vcc_lo, 0xc2ce8ed0, v2
	s_delay_alu instid0(VALU_DEP_3) | instskip(SKIP_1) | instid1(VALU_DEP_1)
	v_rndne_f32_e32 v5, v3
	v_fma_f32 v6, 0x3fb8aa3b, v2, -v3
	v_dual_sub_f32 v3, v3, v5 :: v_dual_fmamk_f32 v6, v2, 0x32a5705f, v6
	v_cvt_i32_f32_e32 v5, v5
	s_delay_alu instid0(VALU_DEP_2) | instskip(NEXT) | instid1(VALU_DEP_1)
	v_add_f32_e32 v3, v3, v6
	v_exp_f32_e32 v3, v3
	v_nop
	s_delay_alu instid0(TRANS32_DEP_1) | instskip(NEXT) | instid1(VALU_DEP_1)
	v_ldexp_f32 v3, v3, v5
	v_cndmask_b32_e32 v3, 0, v3, vcc_lo
	v_cmp_nlt_f32_e32 vcc_lo, 0x42b17218, v2
	s_delay_alu instid0(VALU_DEP_2) | instskip(NEXT) | instid1(VALU_DEP_1)
	v_cndmask_b32_e32 v2, 0x7f800000, v3, vcc_lo
	v_dual_mul_f32 v1, v2, v1 :: v_dual_add_f32 v2, 1.0, v2
	s_delay_alu instid0(VALU_DEP_1) | instskip(NEXT) | instid1(VALU_DEP_1)
	v_div_scale_f32 v3, null, v2, v2, v1
	v_rcp_f32_e32 v5, v3
	v_nop
	s_delay_alu instid0(TRANS32_DEP_1) | instskip(NEXT) | instid1(VALU_DEP_1)
	v_fma_f32 v6, -v3, v5, 1.0
	v_fmac_f32_e32 v5, v6, v5
	v_div_scale_f32 v6, vcc_lo, v1, v2, v1
	s_delay_alu instid0(VALU_DEP_1) | instskip(NEXT) | instid1(VALU_DEP_1)
	v_mul_f32_e32 v7, v6, v5
	v_fma_f32 v8, -v3, v7, v6
	s_delay_alu instid0(VALU_DEP_1) | instskip(NEXT) | instid1(VALU_DEP_1)
	v_fmac_f32_e32 v7, v8, v5
	v_fma_f32 v3, -v3, v7, v6
	s_delay_alu instid0(VALU_DEP_1) | instskip(NEXT) | instid1(VALU_DEP_1)
	v_div_fmas_f32 v3, v3, v5, v7
	v_div_fixup_f32 v1, v3, v2, v1
	s_delay_alu instid0(VALU_DEP_1)
	v_cvt_f16_f32_e32 v1, v1
.LBB76_32:
	s_or_b32 exec_lo, exec_lo, s18
	v_add_nc_u32_e32 v0, 0x80, v0
	s_wait_loadcnt 0x0
	global_store_b16 v4, v1, s[0:1]
	s_wait_xcnt 0x0
	s_or_b32 exec_lo, exec_lo, s9
	s_delay_alu instid0(SALU_CYCLE_1)
	s_mov_b32 s9, exec_lo
	v_cmpx_gt_i32_e64 s35, v0
	s_cbranch_execz .LBB76_4
.LBB76_33:
	s_and_not1_b32 vcc_lo, exec_lo, s30
	s_cbranch_vccnz .LBB76_39
; %bb.34:
	s_and_not1_b32 vcc_lo, exec_lo, s36
	s_cbranch_vccnz .LBB76_40
; %bb.35:
	v_dual_mov_b32 v4, 0 :: v_dual_mov_b32 v1, v0
	v_dual_mov_b32 v6, 0 :: v_dual_mov_b32 v5, 0
	s_add_co_i32 s18, s34, 1
	s_mov_b64 s[26:27], 0xffffffffffffffe8
	s_and_b32 s18, s18, 30
	s_add_nc_u64 s[26:27], s[16:17], s[26:27]
.LBB76_36:                              ; =>This Inner Loop Header: Depth=1
	s_clause 0x1
	s_load_b128 s[40:43], s[26:27], 0x1c
	s_load_b64 s[38:39], s[26:27], 0x2c
	s_add_co_i32 s18, s18, -2
	s_delay_alu instid0(SALU_CYCLE_1) | instskip(SKIP_2) | instid1(VALU_DEP_1)
	s_cmp_eq_u32 s18, 0
	s_wait_kmcnt 0x0
	v_mul_hi_u32 v2, s41, v1
	v_add_nc_u32_e32 v2, v1, v2
	s_delay_alu instid0(VALU_DEP_1) | instskip(NEXT) | instid1(VALU_DEP_1)
	v_lshrrev_b32_e32 v2, s42, v2
	v_mul_hi_u32 v3, s38, v2
	v_mul_lo_u32 v7, v2, s40
	s_clause 0x1
	s_load_b128 s[44:47], s[26:27], 0xdc
	s_load_b64 s[40:41], s[26:27], 0xec
	s_wait_xcnt 0x0
	s_add_nc_u64 s[26:27], s[26:27], 24
	s_delay_alu instid0(VALU_DEP_2) | instskip(NEXT) | instid1(VALU_DEP_2)
	v_add_nc_u32_e32 v3, v2, v3
	v_sub_nc_u32_e32 v7, v1, v7
	s_delay_alu instid0(VALU_DEP_2) | instskip(SKIP_1) | instid1(VALU_DEP_2)
	v_lshrrev_b32_e32 v1, s39, v3
	s_wait_kmcnt 0x0
	v_mad_u32 v4, v7, s44, v4
	s_delay_alu instid0(VALU_DEP_2) | instskip(SKIP_2) | instid1(VALU_DEP_3)
	v_mul_lo_u32 v3, v1, s43
	v_mad_u32 v5, v7, s46, v5
	v_mad_u32 v6, v7, s45, v6
	v_sub_nc_u32_e32 v2, v2, v3
	s_delay_alu instid0(VALU_DEP_1) | instskip(NEXT) | instid1(VALU_DEP_4)
	v_mad_u32 v4, v2, s47, v4
	v_mad_u32 v5, v2, s41, v5
	s_delay_alu instid0(VALU_DEP_4)
	v_mad_u32 v6, v2, s40, v6
	s_cbranch_scc0 .LBB76_36
; %bb.37:
	s_bitcmp1_b32 s34, 0
	s_cselect_b32 s18, -1, 0
	s_delay_alu instid0(SALU_CYCLE_1)
	s_and_b32 vcc_lo, exec_lo, s18
	s_cbranch_vccnz .LBB76_41
; %bb.38:
	s_clause 0x1
	s_load_b96 s[40:42], s[26:27], 0x1c
	s_load_b96 s[44:46], s[26:27], 0xdc
	s_wait_kmcnt 0x0
	v_mul_hi_u32 v2, s41, v1
	s_delay_alu instid0(VALU_DEP_1) | instskip(NEXT) | instid1(VALU_DEP_1)
	v_add_nc_u32_e32 v2, v1, v2
	v_lshrrev_b32_e32 v2, s42, v2
	s_delay_alu instid0(VALU_DEP_1) | instskip(NEXT) | instid1(VALU_DEP_1)
	v_mul_lo_u32 v2, v2, s40
	v_sub_nc_u32_e32 v1, v1, v2
	s_delay_alu instid0(VALU_DEP_1)
	v_mad_u32 v4, v1, s44, v4
	v_mad_u32 v6, v1, s45, v6
	v_mad_u32 v5, v1, s46, v5
	s_branch .LBB76_41
.LBB76_39:
                                        ; implicit-def: $vgpr5
                                        ; implicit-def: $vgpr6
                                        ; implicit-def: $vgpr4
	s_branch .LBB76_42
.LBB76_40:
	v_dual_mov_b32 v5, 0 :: v_dual_mov_b32 v6, 0
	v_mov_b32_e32 v4, 0
.LBB76_41:
	s_cbranch_execnz .LBB76_44
.LBB76_42:
	v_mov_b32_e32 v1, 0
	s_and_not1_b32 vcc_lo, exec_lo, s33
	s_delay_alu instid0(VALU_DEP_1) | instskip(NEXT) | instid1(VALU_DEP_1)
	v_mul_u64_e32 v[2:3], s[22:23], v[0:1]
	v_add_nc_u32_e32 v2, v0, v3
	s_delay_alu instid0(VALU_DEP_1) | instskip(NEXT) | instid1(VALU_DEP_1)
	v_lshrrev_b32_e32 v2, s10, v2
	v_mul_lo_u32 v3, v2, s8
	s_delay_alu instid0(VALU_DEP_1) | instskip(NEXT) | instid1(VALU_DEP_1)
	v_sub_nc_u32_e32 v3, v0, v3
	v_mul_lo_u32 v4, v3, s12
	v_mul_lo_u32 v5, v3, s14
	;; [unrolled: 1-line block ×3, first 2 shown]
	s_cbranch_vccnz .LBB76_44
; %bb.43:
	v_mov_b32_e32 v3, v1
	s_delay_alu instid0(VALU_DEP_1) | instskip(NEXT) | instid1(VALU_DEP_1)
	v_mul_u64_e32 v[8:9], s[24:25], v[2:3]
	v_add_nc_u32_e32 v1, v2, v9
	s_delay_alu instid0(VALU_DEP_1) | instskip(NEXT) | instid1(VALU_DEP_1)
	v_lshrrev_b32_e32 v1, s19, v1
	v_mul_lo_u32 v1, v1, s11
	s_delay_alu instid0(VALU_DEP_1) | instskip(NEXT) | instid1(VALU_DEP_1)
	v_sub_nc_u32_e32 v1, v2, v1
	v_mad_u32 v4, v1, s15, v4
	v_mad_u32 v6, v1, s20, v6
	;; [unrolled: 1-line block ×3, first 2 shown]
.LBB76_44:
	global_load_b32 v2, v5, s[4:5]
	global_load_u16 v1, v6, s[2:3]
	s_mov_b32 s18, exec_lo
	s_wait_loadcnt 0x1
	v_mul_f32_e32 v2, s6, v2
	s_wait_xcnt 0x0
	s_delay_alu instid0(VALU_DEP_1)
	v_cmpx_nlt_f32_e32 s7, v2
	s_cbranch_execz .LBB76_46
; %bb.45:
	v_mul_f32_e32 v3, 0x3fb8aa3b, v2
	s_wait_loadcnt 0x0
	v_cvt_f32_f16_e32 v1, v1
	v_cmp_ngt_f32_e32 vcc_lo, 0xc2ce8ed0, v2
	s_delay_alu instid0(VALU_DEP_3) | instskip(SKIP_1) | instid1(VALU_DEP_1)
	v_rndne_f32_e32 v5, v3
	v_fma_f32 v6, 0x3fb8aa3b, v2, -v3
	v_dual_sub_f32 v3, v3, v5 :: v_dual_fmamk_f32 v6, v2, 0x32a5705f, v6
	v_cvt_i32_f32_e32 v5, v5
	s_delay_alu instid0(VALU_DEP_2) | instskip(NEXT) | instid1(VALU_DEP_1)
	v_add_f32_e32 v3, v3, v6
	v_exp_f32_e32 v3, v3
	v_nop
	s_delay_alu instid0(TRANS32_DEP_1) | instskip(NEXT) | instid1(VALU_DEP_1)
	v_ldexp_f32 v3, v3, v5
	v_cndmask_b32_e32 v3, 0, v3, vcc_lo
	v_cmp_nlt_f32_e32 vcc_lo, 0x42b17218, v2
	s_delay_alu instid0(VALU_DEP_2) | instskip(NEXT) | instid1(VALU_DEP_1)
	v_cndmask_b32_e32 v2, 0x7f800000, v3, vcc_lo
	v_dual_mul_f32 v1, v2, v1 :: v_dual_add_f32 v2, 1.0, v2
	s_delay_alu instid0(VALU_DEP_1) | instskip(NEXT) | instid1(VALU_DEP_1)
	v_div_scale_f32 v3, null, v2, v2, v1
	v_rcp_f32_e32 v5, v3
	v_nop
	s_delay_alu instid0(TRANS32_DEP_1) | instskip(NEXT) | instid1(VALU_DEP_1)
	v_fma_f32 v6, -v3, v5, 1.0
	v_fmac_f32_e32 v5, v6, v5
	v_div_scale_f32 v6, vcc_lo, v1, v2, v1
	s_delay_alu instid0(VALU_DEP_1) | instskip(NEXT) | instid1(VALU_DEP_1)
	v_mul_f32_e32 v7, v6, v5
	v_fma_f32 v8, -v3, v7, v6
	s_delay_alu instid0(VALU_DEP_1) | instskip(NEXT) | instid1(VALU_DEP_1)
	v_fmac_f32_e32 v7, v8, v5
	v_fma_f32 v3, -v3, v7, v6
	s_delay_alu instid0(VALU_DEP_1) | instskip(NEXT) | instid1(VALU_DEP_1)
	v_div_fmas_f32 v3, v3, v5, v7
	v_div_fixup_f32 v1, v3, v2, v1
	s_delay_alu instid0(VALU_DEP_1)
	v_cvt_f16_f32_e32 v1, v1
.LBB76_46:
	s_or_b32 exec_lo, exec_lo, s18
	v_add_nc_u32_e32 v0, 0x80, v0
	s_wait_loadcnt 0x0
	global_store_b16 v4, v1, s[0:1]
	s_wait_xcnt 0x0
	s_or_b32 exec_lo, exec_lo, s9
	s_delay_alu instid0(SALU_CYCLE_1)
	s_mov_b32 s9, exec_lo
	v_cmpx_gt_i32_e64 s35, v0
	s_cbranch_execz .LBB76_61
.LBB76_47:
	s_and_not1_b32 vcc_lo, exec_lo, s30
	s_cbranch_vccnz .LBB76_53
; %bb.48:
	s_and_not1_b32 vcc_lo, exec_lo, s36
	s_cbranch_vccnz .LBB76_54
; %bb.49:
	v_dual_mov_b32 v4, 0 :: v_dual_mov_b32 v1, v0
	v_dual_mov_b32 v6, 0 :: v_dual_mov_b32 v5, 0
	s_add_co_i32 s18, s34, 1
	s_mov_b64 s[26:27], 0xffffffffffffffe8
	s_and_b32 s18, s18, 30
	s_add_nc_u64 s[26:27], s[16:17], s[26:27]
.LBB76_50:                              ; =>This Inner Loop Header: Depth=1
	s_clause 0x1
	s_load_b128 s[36:39], s[26:27], 0x1c
	s_load_b64 s[44:45], s[26:27], 0x2c
	s_add_co_i32 s18, s18, -2
	s_delay_alu instid0(SALU_CYCLE_1) | instskip(SKIP_2) | instid1(VALU_DEP_1)
	s_cmp_eq_u32 s18, 0
	s_wait_kmcnt 0x0
	v_mul_hi_u32 v2, s37, v1
	v_add_nc_u32_e32 v2, v1, v2
	s_delay_alu instid0(VALU_DEP_1) | instskip(NEXT) | instid1(VALU_DEP_1)
	v_lshrrev_b32_e32 v2, s38, v2
	v_mul_hi_u32 v3, s44, v2
	v_mul_lo_u32 v7, v2, s36
	s_clause 0x1
	s_load_b128 s[40:43], s[26:27], 0xdc
	s_load_b64 s[36:37], s[26:27], 0xec
	s_wait_xcnt 0x0
	s_add_nc_u64 s[26:27], s[26:27], 24
	s_delay_alu instid0(VALU_DEP_2) | instskip(NEXT) | instid1(VALU_DEP_2)
	v_add_nc_u32_e32 v3, v2, v3
	v_sub_nc_u32_e32 v7, v1, v7
	s_delay_alu instid0(VALU_DEP_2) | instskip(SKIP_1) | instid1(VALU_DEP_2)
	v_lshrrev_b32_e32 v1, s45, v3
	s_wait_kmcnt 0x0
	v_mad_u32 v4, v7, s40, v4
	s_delay_alu instid0(VALU_DEP_2) | instskip(SKIP_2) | instid1(VALU_DEP_3)
	v_mul_lo_u32 v3, v1, s39
	v_mad_u32 v5, v7, s42, v5
	v_mad_u32 v6, v7, s41, v6
	v_sub_nc_u32_e32 v2, v2, v3
	s_delay_alu instid0(VALU_DEP_1) | instskip(NEXT) | instid1(VALU_DEP_4)
	v_mad_u32 v4, v2, s43, v4
	v_mad_u32 v5, v2, s37, v5
	s_delay_alu instid0(VALU_DEP_4)
	v_mad_u32 v6, v2, s36, v6
	s_cbranch_scc0 .LBB76_50
; %bb.51:
	s_bitcmp1_b32 s34, 0
	s_cselect_b32 s18, -1, 0
	s_delay_alu instid0(SALU_CYCLE_1)
	s_and_b32 vcc_lo, exec_lo, s18
	s_cbranch_vccnz .LBB76_55
; %bb.52:
	s_clause 0x1
	s_load_b96 s[36:38], s[26:27], 0x1c
	s_load_b96 s[40:42], s[26:27], 0xdc
	s_wait_kmcnt 0x0
	v_mul_hi_u32 v2, s37, v1
	s_delay_alu instid0(VALU_DEP_1) | instskip(NEXT) | instid1(VALU_DEP_1)
	v_add_nc_u32_e32 v2, v1, v2
	v_lshrrev_b32_e32 v2, s38, v2
	s_delay_alu instid0(VALU_DEP_1) | instskip(NEXT) | instid1(VALU_DEP_1)
	v_mul_lo_u32 v2, v2, s36
	v_sub_nc_u32_e32 v1, v1, v2
	s_delay_alu instid0(VALU_DEP_1)
	v_mad_u32 v4, v1, s40, v4
	v_mad_u32 v6, v1, s41, v6
	;; [unrolled: 1-line block ×3, first 2 shown]
	s_branch .LBB76_55
.LBB76_53:
                                        ; implicit-def: $vgpr5
                                        ; implicit-def: $vgpr6
                                        ; implicit-def: $vgpr4
	s_branch .LBB76_56
.LBB76_54:
	v_dual_mov_b32 v5, 0 :: v_dual_mov_b32 v6, 0
	v_mov_b32_e32 v4, 0
.LBB76_55:
	s_cbranch_execnz .LBB76_58
.LBB76_56:
	v_mov_b32_e32 v1, 0
	s_and_not1_b32 vcc_lo, exec_lo, s33
	s_delay_alu instid0(VALU_DEP_1) | instskip(NEXT) | instid1(VALU_DEP_1)
	v_mul_u64_e32 v[2:3], s[22:23], v[0:1]
	v_add_nc_u32_e32 v2, v0, v3
	s_delay_alu instid0(VALU_DEP_1) | instskip(NEXT) | instid1(VALU_DEP_1)
	v_lshrrev_b32_e32 v2, s10, v2
	v_mul_lo_u32 v3, v2, s8
	s_delay_alu instid0(VALU_DEP_1) | instskip(NEXT) | instid1(VALU_DEP_1)
	v_sub_nc_u32_e32 v0, v0, v3
	v_mul_lo_u32 v4, v0, s12
	v_mul_lo_u32 v5, v0, s14
	;; [unrolled: 1-line block ×3, first 2 shown]
	s_cbranch_vccnz .LBB76_58
; %bb.57:
	v_mov_b32_e32 v3, v1
	s_delay_alu instid0(VALU_DEP_1) | instskip(NEXT) | instid1(VALU_DEP_1)
	v_mul_u64_e32 v[0:1], s[24:25], v[2:3]
	v_add_nc_u32_e32 v0, v2, v1
	s_delay_alu instid0(VALU_DEP_1) | instskip(NEXT) | instid1(VALU_DEP_1)
	v_lshrrev_b32_e32 v0, s19, v0
	v_mul_lo_u32 v0, v0, s11
	s_delay_alu instid0(VALU_DEP_1) | instskip(NEXT) | instid1(VALU_DEP_1)
	v_sub_nc_u32_e32 v0, v2, v0
	v_mad_u32 v4, v0, s15, v4
	v_mad_u32 v6, v0, s20, v6
	;; [unrolled: 1-line block ×3, first 2 shown]
.LBB76_58:
	global_load_b32 v1, v5, s[4:5]
	global_load_u16 v0, v6, s[2:3]
	s_wait_xcnt 0x0
	s_mov_b32 s2, exec_lo
	s_wait_loadcnt 0x1
	v_mul_f32_e32 v1, s6, v1
	s_delay_alu instid0(VALU_DEP_1)
	v_cmpx_nlt_f32_e32 s7, v1
	s_cbranch_execz .LBB76_60
; %bb.59:
	v_mul_f32_e32 v2, 0x3fb8aa3b, v1
	s_wait_loadcnt 0x0
	v_cvt_f32_f16_e32 v0, v0
	v_cmp_ngt_f32_e32 vcc_lo, 0xc2ce8ed0, v1
	s_delay_alu instid0(VALU_DEP_3) | instskip(SKIP_1) | instid1(VALU_DEP_1)
	v_rndne_f32_e32 v3, v2
	v_fma_f32 v5, 0x3fb8aa3b, v1, -v2
	v_dual_sub_f32 v2, v2, v3 :: v_dual_fmamk_f32 v5, v1, 0x32a5705f, v5
	v_cvt_i32_f32_e32 v3, v3
	s_delay_alu instid0(VALU_DEP_2) | instskip(NEXT) | instid1(VALU_DEP_1)
	v_add_f32_e32 v2, v2, v5
	v_exp_f32_e32 v2, v2
	v_nop
	s_delay_alu instid0(TRANS32_DEP_1) | instskip(NEXT) | instid1(VALU_DEP_1)
	v_ldexp_f32 v2, v2, v3
	v_cndmask_b32_e32 v2, 0, v2, vcc_lo
	v_cmp_nlt_f32_e32 vcc_lo, 0x42b17218, v1
	s_delay_alu instid0(VALU_DEP_2) | instskip(NEXT) | instid1(VALU_DEP_1)
	v_cndmask_b32_e32 v1, 0x7f800000, v2, vcc_lo
	v_dual_mul_f32 v0, v1, v0 :: v_dual_add_f32 v1, 1.0, v1
	s_delay_alu instid0(VALU_DEP_1) | instskip(NEXT) | instid1(VALU_DEP_1)
	v_div_scale_f32 v2, null, v1, v1, v0
	v_rcp_f32_e32 v3, v2
	v_nop
	s_delay_alu instid0(TRANS32_DEP_1) | instskip(NEXT) | instid1(VALU_DEP_1)
	v_fma_f32 v5, -v2, v3, 1.0
	v_fmac_f32_e32 v3, v5, v3
	v_div_scale_f32 v5, vcc_lo, v0, v1, v0
	s_delay_alu instid0(VALU_DEP_1) | instskip(NEXT) | instid1(VALU_DEP_1)
	v_mul_f32_e32 v6, v5, v3
	v_fma_f32 v7, -v2, v6, v5
	s_delay_alu instid0(VALU_DEP_1) | instskip(NEXT) | instid1(VALU_DEP_1)
	v_fmac_f32_e32 v6, v7, v3
	v_fma_f32 v2, -v2, v6, v5
	s_delay_alu instid0(VALU_DEP_1) | instskip(NEXT) | instid1(VALU_DEP_1)
	v_div_fmas_f32 v2, v2, v3, v6
	v_div_fixup_f32 v0, v2, v1, v0
	s_delay_alu instid0(VALU_DEP_1)
	v_cvt_f16_f32_e32 v0, v0
.LBB76_60:
	s_or_b32 exec_lo, exec_lo, s2
	s_wait_loadcnt 0x0
	global_store_b16 v4, v0, s[0:1]
.LBB76_61:
	s_wait_xcnt 0x0
	s_or_b32 exec_lo, exec_lo, s9
                                        ; implicit-def: $vgpr2
                                        ; implicit-def: $vgpr0
.LBB76_62:
	s_and_not1_saveexec_b32 s0, s31
	s_cbranch_execz .LBB76_69
; %bb.63:
	v_cndmask_b32_e64 v8, 0, 1, s30
	s_and_not1_b32 vcc_lo, exec_lo, s30
	s_cbranch_vccnz .LBB76_70
; %bb.64:
	s_cmp_lg_u32 s28, 0
	s_mov_b32 s2, 0
	s_cbranch_scc0 .LBB76_74
; %bb.65:
	s_min_u32 s3, s29, 15
	v_dual_mov_b32 v1, 0 :: v_dual_mov_b32 v3, v0
	v_dual_mov_b32 v5, 0 :: v_dual_mov_b32 v4, 0
	s_add_co_i32 s4, s3, 1
	s_mov_b64 s[0:1], 0xffffffffffffffe8
	s_and_b32 s4, s4, 30
	s_add_nc_u64 s[0:1], s[16:17], s[0:1]
.LBB76_66:                              ; =>This Inner Loop Header: Depth=1
	s_clause 0x1
	s_load_b128 s[8:11], s[0:1], 0x1c
	s_load_b64 s[6:7], s[0:1], 0x2c
	s_add_co_i32 s4, s4, -2
	s_delay_alu instid0(SALU_CYCLE_1) | instskip(SKIP_2) | instid1(VALU_DEP_1)
	s_cmp_lg_u32 s4, 0
	s_wait_kmcnt 0x0
	v_mul_hi_u32 v6, s9, v3
	v_add_nc_u32_e32 v6, v3, v6
	s_delay_alu instid0(VALU_DEP_1) | instskip(NEXT) | instid1(VALU_DEP_1)
	v_lshrrev_b32_e32 v6, s10, v6
	v_mul_hi_u32 v7, s6, v6
	v_mul_lo_u32 v9, v6, s8
	s_clause 0x1
	s_load_b128 s[12:15], s[0:1], 0xdc
	s_load_b64 s[8:9], s[0:1], 0xec
	s_wait_xcnt 0x0
	s_add_nc_u64 s[0:1], s[0:1], 24
	s_delay_alu instid0(VALU_DEP_1) | instskip(NEXT) | instid1(VALU_DEP_1)
	v_dual_add_nc_u32 v7, v6, v7 :: v_dual_sub_nc_u32 v9, v3, v9
	v_lshrrev_b32_e32 v3, s7, v7
	s_wait_kmcnt 0x0
	s_delay_alu instid0(VALU_DEP_2) | instskip(NEXT) | instid1(VALU_DEP_2)
	v_mad_u32 v1, v9, s12, v1
	v_mul_lo_u32 v7, v3, s11
	v_mad_u32 v4, v9, s14, v4
	v_mad_u32 v5, v9, s13, v5
	s_delay_alu instid0(VALU_DEP_3) | instskip(NEXT) | instid1(VALU_DEP_1)
	v_sub_nc_u32_e32 v6, v6, v7
	v_mad_u32 v1, v6, s15, v1
	s_delay_alu instid0(VALU_DEP_4) | instskip(NEXT) | instid1(VALU_DEP_4)
	v_mad_u32 v4, v6, s9, v4
	v_mad_u32 v5, v6, s8, v5
	s_cbranch_scc1 .LBB76_66
; %bb.67:
	s_bitcmp1_b32 s3, 0
	s_cselect_b32 s3, -1, 0
	s_delay_alu instid0(SALU_CYCLE_1)
	s_and_b32 vcc_lo, exec_lo, s3
	s_cbranch_vccnz .LBB76_71
; %bb.68:
	s_clause 0x1
	s_load_b96 s[4:6], s[0:1], 0x1c
	s_load_b96 s[8:10], s[0:1], 0xdc
	s_wait_kmcnt 0x0
	v_mul_hi_u32 v6, s5, v3
	s_delay_alu instid0(VALU_DEP_1) | instskip(NEXT) | instid1(VALU_DEP_1)
	v_add_nc_u32_e32 v6, v3, v6
	v_lshrrev_b32_e32 v6, s6, v6
	s_delay_alu instid0(VALU_DEP_1) | instskip(NEXT) | instid1(VALU_DEP_1)
	v_mul_lo_u32 v6, v6, s4
	v_sub_nc_u32_e32 v3, v3, v6
	s_delay_alu instid0(VALU_DEP_1)
	v_mad_u32 v1, v3, s8, v1
	v_mad_u32 v5, v3, s9, v5
	;; [unrolled: 1-line block ×3, first 2 shown]
	s_and_not1_b32 vcc_lo, exec_lo, s2
	s_cbranch_vccz .LBB76_72
	s_branch .LBB76_75
.LBB76_69:
	s_endpgm
.LBB76_70:
	s_mov_b32 s2, -1
                                        ; implicit-def: $vgpr4
                                        ; implicit-def: $vgpr5
                                        ; implicit-def: $vgpr1
.LBB76_71:
	s_delay_alu instid0(SALU_CYCLE_1)
	s_and_not1_b32 vcc_lo, exec_lo, s2
	s_cbranch_vccnz .LBB76_75
.LBB76_72:
	s_clause 0x1
	s_load_b96 s[0:2], s[16:17], 0x4
	s_load_b96 s[4:6], s[16:17], 0xc4
	s_cmp_lt_u32 s28, 2
	s_wait_kmcnt 0x0
	v_mul_hi_u32 v1, s1, v0
	s_delay_alu instid0(VALU_DEP_1) | instskip(NEXT) | instid1(VALU_DEP_1)
	v_add_nc_u32_e32 v1, v0, v1
	v_lshrrev_b32_e32 v3, s2, v1
	s_delay_alu instid0(VALU_DEP_1) | instskip(NEXT) | instid1(VALU_DEP_1)
	v_mul_lo_u32 v1, v3, s0
	v_sub_nc_u32_e32 v5, v0, v1
	s_delay_alu instid0(VALU_DEP_1)
	v_mul_lo_u32 v1, v5, s4
	v_mul_lo_u32 v4, v5, s6
	;; [unrolled: 1-line block ×3, first 2 shown]
	s_cbranch_scc1 .LBB76_75
; %bb.73:
	s_clause 0x1
	s_load_b96 s[0:2], s[16:17], 0x10
	s_load_b96 s[4:6], s[16:17], 0xd0
	s_wait_kmcnt 0x0
	v_mul_hi_u32 v6, s1, v3
	s_delay_alu instid0(VALU_DEP_1) | instskip(NEXT) | instid1(VALU_DEP_1)
	v_add_nc_u32_e32 v6, v3, v6
	v_lshrrev_b32_e32 v6, s2, v6
	s_delay_alu instid0(VALU_DEP_1) | instskip(NEXT) | instid1(VALU_DEP_1)
	v_mul_lo_u32 v6, v6, s0
	v_sub_nc_u32_e32 v3, v3, v6
	s_delay_alu instid0(VALU_DEP_1)
	v_mad_u32 v1, v3, s4, v1
	v_mad_u32 v5, v3, s5, v5
	;; [unrolled: 1-line block ×3, first 2 shown]
	s_branch .LBB76_75
.LBB76_74:
	v_dual_mov_b32 v4, 0 :: v_dual_mov_b32 v5, 0
	v_mov_b32_e32 v1, 0
	s_and_not1_b32 vcc_lo, exec_lo, s2
	s_cbranch_vccz .LBB76_72
.LBB76_75:
	v_cmp_ne_u32_e32 vcc_lo, 1, v8
	v_add_nc_u32_e32 v9, 0x80, v0
	s_cbranch_vccnz .LBB76_81
; %bb.76:
	s_cmp_lg_u32 s28, 0
	s_mov_b32 s2, 0
	s_cbranch_scc0 .LBB76_85
; %bb.77:
	s_min_u32 s3, s29, 15
	v_dual_mov_b32 v3, 0 :: v_dual_mov_b32 v10, v9
	v_dual_mov_b32 v7, 0 :: v_dual_mov_b32 v6, 0
	s_add_co_i32 s4, s3, 1
	s_mov_b64 s[0:1], 0xffffffffffffffe8
	s_and_b32 s4, s4, 30
	s_add_nc_u64 s[0:1], s[16:17], s[0:1]
.LBB76_78:                              ; =>This Inner Loop Header: Depth=1
	s_clause 0x1
	s_load_b128 s[8:11], s[0:1], 0x1c
	s_load_b64 s[6:7], s[0:1], 0x2c
	s_add_co_i32 s4, s4, -2
	s_delay_alu instid0(SALU_CYCLE_1) | instskip(SKIP_2) | instid1(VALU_DEP_1)
	s_cmp_lg_u32 s4, 0
	s_wait_kmcnt 0x0
	v_mul_hi_u32 v11, s9, v10
	v_add_nc_u32_e32 v11, v10, v11
	s_delay_alu instid0(VALU_DEP_1) | instskip(NEXT) | instid1(VALU_DEP_1)
	v_lshrrev_b32_e32 v11, s10, v11
	v_mul_hi_u32 v12, s6, v11
	v_mul_lo_u32 v13, v11, s8
	s_clause 0x1
	s_load_b128 s[12:15], s[0:1], 0xdc
	s_load_b64 s[8:9], s[0:1], 0xec
	s_wait_xcnt 0x0
	s_add_nc_u64 s[0:1], s[0:1], 24
	s_delay_alu instid0(VALU_DEP_1) | instskip(NEXT) | instid1(VALU_DEP_1)
	v_dual_add_nc_u32 v12, v11, v12 :: v_dual_sub_nc_u32 v13, v10, v13
	v_lshrrev_b32_e32 v10, s7, v12
	s_wait_kmcnt 0x0
	s_delay_alu instid0(VALU_DEP_2) | instskip(NEXT) | instid1(VALU_DEP_2)
	v_mad_u32 v3, v13, s12, v3
	v_mul_lo_u32 v12, v10, s11
	v_mad_u32 v6, v13, s14, v6
	v_mad_u32 v7, v13, s13, v7
	s_delay_alu instid0(VALU_DEP_3) | instskip(NEXT) | instid1(VALU_DEP_1)
	v_sub_nc_u32_e32 v11, v11, v12
	v_mad_u32 v3, v11, s15, v3
	s_delay_alu instid0(VALU_DEP_4) | instskip(NEXT) | instid1(VALU_DEP_4)
	v_mad_u32 v6, v11, s9, v6
	v_mad_u32 v7, v11, s8, v7
	s_cbranch_scc1 .LBB76_78
; %bb.79:
	s_bitcmp1_b32 s3, 0
	s_cselect_b32 s3, -1, 0
	s_delay_alu instid0(SALU_CYCLE_1)
	s_and_b32 vcc_lo, exec_lo, s3
	s_cbranch_vccnz .LBB76_82
; %bb.80:
	s_clause 0x1
	s_load_b96 s[4:6], s[0:1], 0x1c
	s_load_b96 s[8:10], s[0:1], 0xdc
	s_wait_kmcnt 0x0
	v_mul_hi_u32 v11, s5, v10
	s_delay_alu instid0(VALU_DEP_1) | instskip(NEXT) | instid1(VALU_DEP_1)
	v_add_nc_u32_e32 v11, v10, v11
	v_lshrrev_b32_e32 v11, s6, v11
	s_delay_alu instid0(VALU_DEP_1) | instskip(NEXT) | instid1(VALU_DEP_1)
	v_mul_lo_u32 v11, v11, s4
	v_sub_nc_u32_e32 v10, v10, v11
	s_delay_alu instid0(VALU_DEP_1)
	v_mad_u32 v3, v10, s8, v3
	v_mad_u32 v7, v10, s9, v7
	;; [unrolled: 1-line block ×3, first 2 shown]
	s_and_not1_b32 vcc_lo, exec_lo, s2
	s_cbranch_vccz .LBB76_83
	s_branch .LBB76_86
.LBB76_81:
	s_mov_b32 s2, -1
                                        ; implicit-def: $vgpr6
                                        ; implicit-def: $vgpr7
                                        ; implicit-def: $vgpr3
.LBB76_82:
	s_delay_alu instid0(SALU_CYCLE_1)
	s_and_not1_b32 vcc_lo, exec_lo, s2
	s_cbranch_vccnz .LBB76_86
.LBB76_83:
	s_clause 0x1
	s_load_b96 s[0:2], s[16:17], 0x4
	s_load_b96 s[4:6], s[16:17], 0xc4
	s_cmp_lt_u32 s28, 2
	s_wait_kmcnt 0x0
	v_mul_hi_u32 v3, s1, v9
	s_delay_alu instid0(VALU_DEP_1) | instskip(NEXT) | instid1(VALU_DEP_1)
	v_add_nc_u32_e32 v3, v9, v3
	v_lshrrev_b32_e32 v10, s2, v3
	s_delay_alu instid0(VALU_DEP_1) | instskip(NEXT) | instid1(VALU_DEP_1)
	v_mul_lo_u32 v3, v10, s0
	v_sub_nc_u32_e32 v7, v9, v3
	s_delay_alu instid0(VALU_DEP_1)
	v_mul_lo_u32 v3, v7, s4
	v_mul_lo_u32 v6, v7, s6
	;; [unrolled: 1-line block ×3, first 2 shown]
	s_cbranch_scc1 .LBB76_86
; %bb.84:
	s_clause 0x1
	s_load_b96 s[0:2], s[16:17], 0x10
	s_load_b96 s[4:6], s[16:17], 0xd0
	s_wait_kmcnt 0x0
	v_mul_hi_u32 v9, s1, v10
	s_delay_alu instid0(VALU_DEP_1) | instskip(NEXT) | instid1(VALU_DEP_1)
	v_add_nc_u32_e32 v9, v10, v9
	v_lshrrev_b32_e32 v9, s2, v9
	s_delay_alu instid0(VALU_DEP_1) | instskip(NEXT) | instid1(VALU_DEP_1)
	v_mul_lo_u32 v9, v9, s0
	v_sub_nc_u32_e32 v9, v10, v9
	s_delay_alu instid0(VALU_DEP_1)
	v_mad_u32 v3, v9, s4, v3
	v_mad_u32 v7, v9, s5, v7
	;; [unrolled: 1-line block ×3, first 2 shown]
	s_branch .LBB76_86
.LBB76_85:
	v_dual_mov_b32 v6, 0 :: v_dual_mov_b32 v7, 0
	v_mov_b32_e32 v3, 0
	s_and_not1_b32 vcc_lo, exec_lo, s2
	s_cbranch_vccz .LBB76_83
.LBB76_86:
	v_cmp_ne_u32_e32 vcc_lo, 1, v8
	v_add_nc_u32_e32 v11, 0x100, v0
	s_cbranch_vccnz .LBB76_92
; %bb.87:
	s_cmp_lg_u32 s28, 0
	s_mov_b32 s2, 0
	s_cbranch_scc0 .LBB76_96
; %bb.88:
	s_min_u32 s3, s29, 15
	v_dual_mov_b32 v0, 0 :: v_dual_mov_b32 v12, v11
	v_dual_mov_b32 v10, 0 :: v_dual_mov_b32 v9, 0
	s_add_co_i32 s4, s3, 1
	s_mov_b64 s[0:1], 0xffffffffffffffe8
	s_and_b32 s4, s4, 30
	s_add_nc_u64 s[0:1], s[16:17], s[0:1]
.LBB76_89:                              ; =>This Inner Loop Header: Depth=1
	s_clause 0x1
	s_load_b128 s[8:11], s[0:1], 0x1c
	s_load_b64 s[6:7], s[0:1], 0x2c
	s_add_co_i32 s4, s4, -2
	s_delay_alu instid0(SALU_CYCLE_1) | instskip(SKIP_2) | instid1(VALU_DEP_1)
	s_cmp_lg_u32 s4, 0
	s_wait_kmcnt 0x0
	v_mul_hi_u32 v13, s9, v12
	v_add_nc_u32_e32 v13, v12, v13
	s_delay_alu instid0(VALU_DEP_1) | instskip(NEXT) | instid1(VALU_DEP_1)
	v_lshrrev_b32_e32 v13, s10, v13
	v_mul_hi_u32 v14, s6, v13
	v_mul_lo_u32 v15, v13, s8
	s_clause 0x1
	s_load_b128 s[12:15], s[0:1], 0xdc
	s_load_b64 s[8:9], s[0:1], 0xec
	s_wait_xcnt 0x0
	s_add_nc_u64 s[0:1], s[0:1], 24
	s_delay_alu instid0(VALU_DEP_1) | instskip(NEXT) | instid1(VALU_DEP_1)
	v_dual_add_nc_u32 v14, v13, v14 :: v_dual_sub_nc_u32 v15, v12, v15
	v_lshrrev_b32_e32 v12, s7, v14
	s_wait_kmcnt 0x0
	s_delay_alu instid0(VALU_DEP_2) | instskip(NEXT) | instid1(VALU_DEP_2)
	v_mad_u32 v0, v15, s12, v0
	v_mul_lo_u32 v14, v12, s11
	v_mad_u32 v9, v15, s14, v9
	v_mad_u32 v10, v15, s13, v10
	s_delay_alu instid0(VALU_DEP_3) | instskip(NEXT) | instid1(VALU_DEP_1)
	v_sub_nc_u32_e32 v13, v13, v14
	v_mad_u32 v0, v13, s15, v0
	s_delay_alu instid0(VALU_DEP_4) | instskip(NEXT) | instid1(VALU_DEP_4)
	v_mad_u32 v9, v13, s9, v9
	v_mad_u32 v10, v13, s8, v10
	s_cbranch_scc1 .LBB76_89
; %bb.90:
	s_bitcmp1_b32 s3, 0
	s_cselect_b32 s3, -1, 0
	s_delay_alu instid0(SALU_CYCLE_1)
	s_and_b32 vcc_lo, exec_lo, s3
	s_cbranch_vccnz .LBB76_93
; %bb.91:
	s_clause 0x1
	s_load_b96 s[4:6], s[0:1], 0x1c
	s_load_b96 s[8:10], s[0:1], 0xdc
	s_wait_kmcnt 0x0
	v_mul_hi_u32 v13, s5, v12
	s_delay_alu instid0(VALU_DEP_1) | instskip(NEXT) | instid1(VALU_DEP_1)
	v_add_nc_u32_e32 v13, v12, v13
	v_lshrrev_b32_e32 v13, s6, v13
	s_delay_alu instid0(VALU_DEP_1) | instskip(NEXT) | instid1(VALU_DEP_1)
	v_mul_lo_u32 v13, v13, s4
	v_sub_nc_u32_e32 v12, v12, v13
	s_delay_alu instid0(VALU_DEP_1)
	v_mad_u32 v0, v12, s8, v0
	v_mad_u32 v10, v12, s9, v10
	;; [unrolled: 1-line block ×3, first 2 shown]
	s_and_not1_b32 vcc_lo, exec_lo, s2
	s_cbranch_vccz .LBB76_94
	s_branch .LBB76_97
.LBB76_92:
	s_mov_b32 s2, -1
                                        ; implicit-def: $vgpr9
                                        ; implicit-def: $vgpr10
                                        ; implicit-def: $vgpr0
.LBB76_93:
	s_delay_alu instid0(SALU_CYCLE_1)
	s_and_not1_b32 vcc_lo, exec_lo, s2
	s_cbranch_vccnz .LBB76_97
.LBB76_94:
	s_clause 0x1
	s_load_b96 s[0:2], s[16:17], 0x4
	s_load_b96 s[4:6], s[16:17], 0xc4
	s_cmp_lt_u32 s28, 2
	s_wait_kmcnt 0x0
	v_mul_hi_u32 v0, s1, v11
	s_delay_alu instid0(VALU_DEP_1) | instskip(NEXT) | instid1(VALU_DEP_1)
	v_add_nc_u32_e32 v0, v11, v0
	v_lshrrev_b32_e32 v12, s2, v0
	s_delay_alu instid0(VALU_DEP_1) | instskip(NEXT) | instid1(VALU_DEP_1)
	v_mul_lo_u32 v0, v12, s0
	v_sub_nc_u32_e32 v10, v11, v0
	s_delay_alu instid0(VALU_DEP_1)
	v_mul_lo_u32 v0, v10, s4
	v_mul_lo_u32 v9, v10, s6
	;; [unrolled: 1-line block ×3, first 2 shown]
	s_cbranch_scc1 .LBB76_97
; %bb.95:
	s_clause 0x1
	s_load_b96 s[0:2], s[16:17], 0x10
	s_load_b96 s[4:6], s[16:17], 0xd0
	s_wait_kmcnt 0x0
	v_mul_hi_u32 v11, s1, v12
	s_delay_alu instid0(VALU_DEP_1) | instskip(NEXT) | instid1(VALU_DEP_1)
	v_add_nc_u32_e32 v11, v12, v11
	v_lshrrev_b32_e32 v11, s2, v11
	s_delay_alu instid0(VALU_DEP_1) | instskip(NEXT) | instid1(VALU_DEP_1)
	v_mul_lo_u32 v11, v11, s0
	v_sub_nc_u32_e32 v11, v12, v11
	s_delay_alu instid0(VALU_DEP_1)
	v_mad_u32 v0, v11, s4, v0
	v_mad_u32 v10, v11, s5, v10
	;; [unrolled: 1-line block ×3, first 2 shown]
	s_branch .LBB76_97
.LBB76_96:
	v_dual_mov_b32 v9, 0 :: v_dual_mov_b32 v10, 0
	v_mov_b32_e32 v0, 0
	s_and_not1_b32 vcc_lo, exec_lo, s2
	s_cbranch_vccz .LBB76_94
.LBB76_97:
	v_cmp_ne_u32_e32 vcc_lo, 1, v8
	s_cbranch_vccnz .LBB76_103
; %bb.98:
	s_cmp_lg_u32 s28, 0
	s_mov_b32 s2, 0
	s_cbranch_scc0 .LBB76_107
; %bb.99:
	s_min_u32 s3, s29, 15
	v_dual_mov_b32 v8, 0 :: v_dual_mov_b32 v13, v2
	v_dual_mov_b32 v12, 0 :: v_dual_mov_b32 v11, 0
	s_add_co_i32 s4, s3, 1
	s_mov_b64 s[0:1], 0xffffffffffffffe8
	s_and_b32 s4, s4, 30
	s_add_nc_u64 s[0:1], s[16:17], s[0:1]
.LBB76_100:                             ; =>This Inner Loop Header: Depth=1
	s_clause 0x1
	s_load_b128 s[8:11], s[0:1], 0x1c
	s_load_b64 s[6:7], s[0:1], 0x2c
	s_add_co_i32 s4, s4, -2
	s_delay_alu instid0(SALU_CYCLE_1) | instskip(SKIP_2) | instid1(VALU_DEP_1)
	s_cmp_lg_u32 s4, 0
	s_wait_kmcnt 0x0
	v_mul_hi_u32 v14, s9, v13
	v_add_nc_u32_e32 v14, v13, v14
	s_delay_alu instid0(VALU_DEP_1) | instskip(NEXT) | instid1(VALU_DEP_1)
	v_lshrrev_b32_e32 v14, s10, v14
	v_mul_hi_u32 v15, s6, v14
	v_mul_lo_u32 v16, v14, s8
	s_clause 0x1
	s_load_b128 s[12:15], s[0:1], 0xdc
	s_load_b64 s[8:9], s[0:1], 0xec
	s_wait_xcnt 0x0
	s_add_nc_u64 s[0:1], s[0:1], 24
	s_delay_alu instid0(VALU_DEP_1) | instskip(NEXT) | instid1(VALU_DEP_1)
	v_dual_add_nc_u32 v15, v14, v15 :: v_dual_sub_nc_u32 v16, v13, v16
	v_lshrrev_b32_e32 v13, s7, v15
	s_wait_kmcnt 0x0
	s_delay_alu instid0(VALU_DEP_2) | instskip(NEXT) | instid1(VALU_DEP_2)
	v_mad_u32 v8, v16, s12, v8
	v_mul_lo_u32 v15, v13, s11
	v_mad_u32 v11, v16, s14, v11
	v_mad_u32 v12, v16, s13, v12
	s_delay_alu instid0(VALU_DEP_3) | instskip(NEXT) | instid1(VALU_DEP_1)
	v_sub_nc_u32_e32 v14, v14, v15
	v_mad_u32 v8, v14, s15, v8
	s_delay_alu instid0(VALU_DEP_4) | instskip(NEXT) | instid1(VALU_DEP_4)
	v_mad_u32 v11, v14, s9, v11
	v_mad_u32 v12, v14, s8, v12
	s_cbranch_scc1 .LBB76_100
; %bb.101:
	s_bitcmp1_b32 s3, 0
	s_cselect_b32 s3, -1, 0
	s_delay_alu instid0(SALU_CYCLE_1)
	s_and_b32 vcc_lo, exec_lo, s3
	s_cbranch_vccnz .LBB76_104
; %bb.102:
	s_clause 0x1
	s_load_b96 s[4:6], s[0:1], 0x1c
	s_load_b96 s[8:10], s[0:1], 0xdc
	s_wait_kmcnt 0x0
	v_mul_hi_u32 v14, s5, v13
	s_delay_alu instid0(VALU_DEP_1) | instskip(NEXT) | instid1(VALU_DEP_1)
	v_add_nc_u32_e32 v14, v13, v14
	v_lshrrev_b32_e32 v14, s6, v14
	s_delay_alu instid0(VALU_DEP_1) | instskip(NEXT) | instid1(VALU_DEP_1)
	v_mul_lo_u32 v14, v14, s4
	v_sub_nc_u32_e32 v13, v13, v14
	s_delay_alu instid0(VALU_DEP_1)
	v_mad_u32 v8, v13, s8, v8
	v_mad_u32 v12, v13, s9, v12
	;; [unrolled: 1-line block ×3, first 2 shown]
	s_and_not1_b32 vcc_lo, exec_lo, s2
	s_cbranch_vccz .LBB76_105
	s_branch .LBB76_108
.LBB76_103:
	s_mov_b32 s2, -1
                                        ; implicit-def: $vgpr11
                                        ; implicit-def: $vgpr12
                                        ; implicit-def: $vgpr8
.LBB76_104:
	s_delay_alu instid0(SALU_CYCLE_1)
	s_and_not1_b32 vcc_lo, exec_lo, s2
	s_cbranch_vccnz .LBB76_108
.LBB76_105:
	s_clause 0x1
	s_load_b96 s[0:2], s[16:17], 0x4
	s_load_b96 s[4:6], s[16:17], 0xc4
	s_cmp_lt_u32 s28, 2
	s_wait_kmcnt 0x0
	v_mul_hi_u32 v8, s1, v2
	s_delay_alu instid0(VALU_DEP_1) | instskip(NEXT) | instid1(VALU_DEP_1)
	v_add_nc_u32_e32 v8, v2, v8
	v_lshrrev_b32_e32 v13, s2, v8
	s_delay_alu instid0(VALU_DEP_1) | instskip(NEXT) | instid1(VALU_DEP_1)
	v_mul_lo_u32 v8, v13, s0
	v_sub_nc_u32_e32 v2, v2, v8
	s_delay_alu instid0(VALU_DEP_1)
	v_mul_lo_u32 v8, v2, s4
	v_mul_lo_u32 v11, v2, s6
	;; [unrolled: 1-line block ×3, first 2 shown]
	s_cbranch_scc1 .LBB76_108
; %bb.106:
	s_clause 0x1
	s_load_b96 s[0:2], s[16:17], 0x10
	s_load_b96 s[4:6], s[16:17], 0xd0
	s_wait_kmcnt 0x0
	v_mul_hi_u32 v2, s1, v13
	s_delay_alu instid0(VALU_DEP_1) | instskip(NEXT) | instid1(VALU_DEP_1)
	v_add_nc_u32_e32 v2, v13, v2
	v_lshrrev_b32_e32 v2, s2, v2
	s_delay_alu instid0(VALU_DEP_1) | instskip(NEXT) | instid1(VALU_DEP_1)
	v_mul_lo_u32 v2, v2, s0
	v_sub_nc_u32_e32 v2, v13, v2
	s_delay_alu instid0(VALU_DEP_1)
	v_mad_u32 v8, v2, s4, v8
	v_mad_u32 v12, v2, s5, v12
	;; [unrolled: 1-line block ×3, first 2 shown]
	s_branch .LBB76_108
.LBB76_107:
	v_dual_mov_b32 v11, 0 :: v_dual_mov_b32 v12, 0
	v_mov_b32_e32 v8, 0
	s_and_not1_b32 vcc_lo, exec_lo, s2
	s_cbranch_vccz .LBB76_105
.LBB76_108:
	s_load_b256 s[0:7], s[16:17], 0x188
	s_mov_b32 s8, exec_lo
	s_wait_kmcnt 0x0
	global_load_b32 v13, v4, s[4:5]
	global_load_u16 v2, v5, s[2:3]
	s_wait_loadcnt 0x1
	s_wait_xcnt 0x1
	v_mul_f32_e32 v4, s6, v13
	s_wait_xcnt 0x0
	s_delay_alu instid0(VALU_DEP_1)
	v_cmpx_nlt_f32_e32 s7, v4
	s_cbranch_execz .LBB76_110
; %bb.109:
	s_wait_loadcnt 0x0
	v_cvt_f32_f16_e32 v2, v2
	v_mul_f32_e32 v5, 0x3fb8aa3b, v4
	v_cmp_ngt_f32_e32 vcc_lo, 0xc2ce8ed0, v4
	s_delay_alu instid0(VALU_DEP_2) | instskip(SKIP_1) | instid1(VALU_DEP_1)
	v_rndne_f32_e32 v13, v5
	v_fma_f32 v14, 0x3fb8aa3b, v4, -v5
	v_dual_sub_f32 v5, v5, v13 :: v_dual_fmamk_f32 v14, v4, 0x32a5705f, v14
	v_cvt_i32_f32_e32 v13, v13
	s_delay_alu instid0(VALU_DEP_2) | instskip(NEXT) | instid1(VALU_DEP_1)
	v_add_f32_e32 v5, v5, v14
	v_exp_f32_e32 v5, v5
	v_nop
	s_delay_alu instid0(TRANS32_DEP_1) | instskip(NEXT) | instid1(VALU_DEP_1)
	v_ldexp_f32 v5, v5, v13
	v_cndmask_b32_e32 v5, 0, v5, vcc_lo
	v_cmp_nlt_f32_e32 vcc_lo, 0x42b17218, v4
	s_delay_alu instid0(VALU_DEP_2) | instskip(NEXT) | instid1(VALU_DEP_1)
	v_cndmask_b32_e32 v4, 0x7f800000, v5, vcc_lo
	v_dual_mul_f32 v2, v4, v2 :: v_dual_add_f32 v4, 1.0, v4
	s_delay_alu instid0(VALU_DEP_1) | instskip(NEXT) | instid1(VALU_DEP_1)
	v_div_scale_f32 v5, null, v4, v4, v2
	v_rcp_f32_e32 v13, v5
	v_nop
	s_delay_alu instid0(TRANS32_DEP_1) | instskip(NEXT) | instid1(VALU_DEP_1)
	v_fma_f32 v14, -v5, v13, 1.0
	v_fmac_f32_e32 v13, v14, v13
	v_div_scale_f32 v14, vcc_lo, v2, v4, v2
	s_delay_alu instid0(VALU_DEP_1) | instskip(NEXT) | instid1(VALU_DEP_1)
	v_mul_f32_e32 v15, v14, v13
	v_fma_f32 v16, -v5, v15, v14
	s_delay_alu instid0(VALU_DEP_1) | instskip(NEXT) | instid1(VALU_DEP_1)
	v_fmac_f32_e32 v15, v16, v13
	v_fma_f32 v5, -v5, v15, v14
	s_delay_alu instid0(VALU_DEP_1) | instskip(NEXT) | instid1(VALU_DEP_1)
	v_div_fmas_f32 v5, v5, v13, v15
	v_div_fixup_f32 v2, v5, v4, v2
	s_delay_alu instid0(VALU_DEP_1)
	v_cvt_f16_f32_e32 v2, v2
.LBB76_110:
	s_or_b32 exec_lo, exec_lo, s8
	global_load_b32 v5, v6, s[4:5]
	global_load_u16 v4, v7, s[2:3]
	s_mov_b32 s8, exec_lo
	s_wait_loadcnt 0x1
	v_mul_f32_e32 v5, s6, v5
	s_wait_xcnt 0x0
	s_delay_alu instid0(VALU_DEP_1)
	v_cmpx_nlt_f32_e32 s7, v5
	s_cbranch_execz .LBB76_112
; %bb.111:
	v_mul_f32_e32 v6, 0x3fb8aa3b, v5
	s_wait_loadcnt 0x0
	v_cvt_f32_f16_e32 v4, v4
	v_cmp_ngt_f32_e32 vcc_lo, 0xc2ce8ed0, v5
	s_delay_alu instid0(VALU_DEP_3) | instskip(SKIP_1) | instid1(VALU_DEP_1)
	v_rndne_f32_e32 v7, v6
	v_fma_f32 v13, 0x3fb8aa3b, v5, -v6
	v_dual_sub_f32 v6, v6, v7 :: v_dual_fmamk_f32 v13, v5, 0x32a5705f, v13
	v_cvt_i32_f32_e32 v7, v7
	s_delay_alu instid0(VALU_DEP_2) | instskip(NEXT) | instid1(VALU_DEP_1)
	v_add_f32_e32 v6, v6, v13
	v_exp_f32_e32 v6, v6
	v_nop
	s_delay_alu instid0(TRANS32_DEP_1) | instskip(NEXT) | instid1(VALU_DEP_1)
	v_ldexp_f32 v6, v6, v7
	v_cndmask_b32_e32 v6, 0, v6, vcc_lo
	v_cmp_nlt_f32_e32 vcc_lo, 0x42b17218, v5
	s_delay_alu instid0(VALU_DEP_2) | instskip(NEXT) | instid1(VALU_DEP_1)
	v_cndmask_b32_e32 v5, 0x7f800000, v6, vcc_lo
	v_dual_mul_f32 v4, v5, v4 :: v_dual_add_f32 v5, 1.0, v5
	s_delay_alu instid0(VALU_DEP_1) | instskip(NEXT) | instid1(VALU_DEP_1)
	v_div_scale_f32 v6, null, v5, v5, v4
	v_rcp_f32_e32 v7, v6
	v_nop
	s_delay_alu instid0(TRANS32_DEP_1) | instskip(NEXT) | instid1(VALU_DEP_1)
	v_fma_f32 v13, -v6, v7, 1.0
	v_fmac_f32_e32 v7, v13, v7
	v_div_scale_f32 v13, vcc_lo, v4, v5, v4
	s_delay_alu instid0(VALU_DEP_1) | instskip(NEXT) | instid1(VALU_DEP_1)
	v_mul_f32_e32 v14, v13, v7
	v_fma_f32 v15, -v6, v14, v13
	s_delay_alu instid0(VALU_DEP_1) | instskip(NEXT) | instid1(VALU_DEP_1)
	v_fmac_f32_e32 v14, v15, v7
	v_fma_f32 v6, -v6, v14, v13
	s_delay_alu instid0(VALU_DEP_1) | instskip(NEXT) | instid1(VALU_DEP_1)
	v_div_fmas_f32 v6, v6, v7, v14
	v_div_fixup_f32 v4, v6, v5, v4
	s_delay_alu instid0(VALU_DEP_1)
	v_cvt_f16_f32_e32 v4, v4
.LBB76_112:
	s_or_b32 exec_lo, exec_lo, s8
	global_load_b32 v6, v9, s[4:5]
	global_load_u16 v5, v10, s[2:3]
	s_mov_b32 s8, exec_lo
	s_wait_loadcnt 0x1
	v_mul_f32_e32 v6, s6, v6
	s_wait_xcnt 0x0
	s_delay_alu instid0(VALU_DEP_1)
	v_cmpx_nlt_f32_e32 s7, v6
	s_cbranch_execz .LBB76_114
; %bb.113:
	v_mul_f32_e32 v7, 0x3fb8aa3b, v6
	s_wait_loadcnt 0x0
	v_cvt_f32_f16_e32 v5, v5
	v_cmp_ngt_f32_e32 vcc_lo, 0xc2ce8ed0, v6
	s_delay_alu instid0(VALU_DEP_3) | instskip(SKIP_1) | instid1(VALU_DEP_1)
	v_rndne_f32_e32 v9, v7
	v_fma_f32 v10, 0x3fb8aa3b, v6, -v7
	v_dual_sub_f32 v7, v7, v9 :: v_dual_fmamk_f32 v10, v6, 0x32a5705f, v10
	v_cvt_i32_f32_e32 v9, v9
	s_delay_alu instid0(VALU_DEP_2) | instskip(NEXT) | instid1(VALU_DEP_1)
	v_add_f32_e32 v7, v7, v10
	v_exp_f32_e32 v7, v7
	v_nop
	s_delay_alu instid0(TRANS32_DEP_1) | instskip(NEXT) | instid1(VALU_DEP_1)
	v_ldexp_f32 v7, v7, v9
	v_cndmask_b32_e32 v7, 0, v7, vcc_lo
	v_cmp_nlt_f32_e32 vcc_lo, 0x42b17218, v6
	s_delay_alu instid0(VALU_DEP_2) | instskip(NEXT) | instid1(VALU_DEP_1)
	v_cndmask_b32_e32 v6, 0x7f800000, v7, vcc_lo
	v_dual_mul_f32 v5, v6, v5 :: v_dual_add_f32 v6, 1.0, v6
	s_delay_alu instid0(VALU_DEP_1) | instskip(NEXT) | instid1(VALU_DEP_1)
	v_div_scale_f32 v7, null, v6, v6, v5
	v_rcp_f32_e32 v9, v7
	v_nop
	s_delay_alu instid0(TRANS32_DEP_1) | instskip(NEXT) | instid1(VALU_DEP_1)
	v_fma_f32 v10, -v7, v9, 1.0
	v_fmac_f32_e32 v9, v10, v9
	v_div_scale_f32 v10, vcc_lo, v5, v6, v5
	s_delay_alu instid0(VALU_DEP_1) | instskip(NEXT) | instid1(VALU_DEP_1)
	v_mul_f32_e32 v13, v10, v9
	v_fma_f32 v14, -v7, v13, v10
	s_delay_alu instid0(VALU_DEP_1) | instskip(NEXT) | instid1(VALU_DEP_1)
	v_fmac_f32_e32 v13, v14, v9
	v_fma_f32 v7, -v7, v13, v10
	s_delay_alu instid0(VALU_DEP_1) | instskip(NEXT) | instid1(VALU_DEP_1)
	v_div_fmas_f32 v7, v7, v9, v13
	v_div_fixup_f32 v5, v7, v6, v5
	s_delay_alu instid0(VALU_DEP_1)
	v_cvt_f16_f32_e32 v5, v5
.LBB76_114:
	s_or_b32 exec_lo, exec_lo, s8
	global_load_b32 v7, v11, s[4:5]
	global_load_u16 v6, v12, s[2:3]
	s_wait_xcnt 0x0
	s_mov_b32 s2, exec_lo
	s_wait_loadcnt 0x1
	v_mul_f32_e32 v7, s6, v7
	s_delay_alu instid0(VALU_DEP_1)
	v_cmpx_nlt_f32_e32 s7, v7
	s_cbranch_execz .LBB76_116
; %bb.115:
	s_wait_loadcnt 0x0
	v_cvt_f32_f16_e32 v6, v6
	v_mul_f32_e32 v9, 0x3fb8aa3b, v7
	v_cmp_ngt_f32_e32 vcc_lo, 0xc2ce8ed0, v7
	s_delay_alu instid0(VALU_DEP_2) | instskip(SKIP_1) | instid1(VALU_DEP_2)
	v_rndne_f32_e32 v10, v9
	v_fma_f32 v11, 0x3fb8aa3b, v7, -v9
	v_sub_f32_e32 v9, v9, v10
	s_delay_alu instid0(VALU_DEP_2) | instskip(SKIP_1) | instid1(VALU_DEP_2)
	v_fmamk_f32 v11, v7, 0x32a5705f, v11
	v_cvt_i32_f32_e32 v10, v10
	v_add_f32_e32 v9, v9, v11
	s_delay_alu instid0(VALU_DEP_1) | instskip(SKIP_1) | instid1(TRANS32_DEP_1)
	v_exp_f32_e32 v9, v9
	v_nop
	v_ldexp_f32 v9, v9, v10
	s_delay_alu instid0(VALU_DEP_1) | instskip(SKIP_1) | instid1(VALU_DEP_2)
	v_cndmask_b32_e32 v9, 0, v9, vcc_lo
	v_cmp_nlt_f32_e32 vcc_lo, 0x42b17218, v7
	v_cndmask_b32_e32 v7, 0x7f800000, v9, vcc_lo
	s_delay_alu instid0(VALU_DEP_1) | instskip(NEXT) | instid1(VALU_DEP_1)
	v_dual_mul_f32 v6, v7, v6 :: v_dual_add_f32 v7, 1.0, v7
	v_div_scale_f32 v9, null, v7, v7, v6
	s_delay_alu instid0(VALU_DEP_1) | instskip(SKIP_1) | instid1(TRANS32_DEP_1)
	v_rcp_f32_e32 v10, v9
	v_nop
	v_fma_f32 v11, -v9, v10, 1.0
	s_delay_alu instid0(VALU_DEP_1) | instskip(SKIP_1) | instid1(VALU_DEP_1)
	v_fmac_f32_e32 v10, v11, v10
	v_div_scale_f32 v11, vcc_lo, v6, v7, v6
	v_mul_f32_e32 v12, v11, v10
	s_delay_alu instid0(VALU_DEP_1) | instskip(NEXT) | instid1(VALU_DEP_1)
	v_fma_f32 v13, -v9, v12, v11
	v_fmac_f32_e32 v12, v13, v10
	s_delay_alu instid0(VALU_DEP_1) | instskip(NEXT) | instid1(VALU_DEP_1)
	v_fma_f32 v9, -v9, v12, v11
	v_div_fmas_f32 v9, v9, v10, v12
	s_delay_alu instid0(VALU_DEP_1) | instskip(NEXT) | instid1(VALU_DEP_1)
	v_div_fixup_f32 v6, v9, v7, v6
	v_cvt_f16_f32_e32 v6, v6
.LBB76_116:
	s_or_b32 exec_lo, exec_lo, s2
	s_clause 0x2
	global_store_b16 v1, v2, s[0:1]
	global_store_b16 v3, v4, s[0:1]
	;; [unrolled: 1-line block ×3, first 2 shown]
	s_wait_loadcnt 0x0
	global_store_b16 v8, v6, s[0:1]
	s_endpgm
	.section	.rodata,"a",@progbits
	.p2align	6, 0x0
	.amdhsa_kernel _ZN2at6native32elementwise_kernel_manual_unrollILi128ELi4EZNS0_12_GLOBAL__N_142type_specialized_broadcast_kernel_launcherILi5EE5applyIZZZNS2_24softplus_backward_kernelERNS_18TensorIteratorBaseERKN3c106ScalarESB_ENKUlvE_clEvENKUlvE0_clEvEUlffE_St5arrayIPcLm3EESF_INS8_10ScalarTypeELm3EE16OffsetCalculatorILi3EjLb0EEEEvlT_T0_T1_T2_EUlibE_EEviSO_
		.amdhsa_group_segment_fixed_size 0
		.amdhsa_private_segment_fixed_size 0
		.amdhsa_kernarg_size 432
		.amdhsa_user_sgpr_count 2
		.amdhsa_user_sgpr_dispatch_ptr 0
		.amdhsa_user_sgpr_queue_ptr 0
		.amdhsa_user_sgpr_kernarg_segment_ptr 1
		.amdhsa_user_sgpr_dispatch_id 0
		.amdhsa_user_sgpr_kernarg_preload_length 0
		.amdhsa_user_sgpr_kernarg_preload_offset 0
		.amdhsa_user_sgpr_private_segment_size 0
		.amdhsa_wavefront_size32 1
		.amdhsa_uses_dynamic_stack 0
		.amdhsa_enable_private_segment 0
		.amdhsa_system_sgpr_workgroup_id_x 1
		.amdhsa_system_sgpr_workgroup_id_y 0
		.amdhsa_system_sgpr_workgroup_id_z 0
		.amdhsa_system_sgpr_workgroup_info 0
		.amdhsa_system_vgpr_workitem_id 0
		.amdhsa_next_free_vgpr 17
		.amdhsa_next_free_sgpr 48
		.amdhsa_named_barrier_count 0
		.amdhsa_reserve_vcc 1
		.amdhsa_float_round_mode_32 0
		.amdhsa_float_round_mode_16_64 0
		.amdhsa_float_denorm_mode_32 3
		.amdhsa_float_denorm_mode_16_64 3
		.amdhsa_fp16_overflow 0
		.amdhsa_memory_ordered 1
		.amdhsa_forward_progress 1
		.amdhsa_inst_pref_size 58
		.amdhsa_round_robin_scheduling 0
		.amdhsa_exception_fp_ieee_invalid_op 0
		.amdhsa_exception_fp_denorm_src 0
		.amdhsa_exception_fp_ieee_div_zero 0
		.amdhsa_exception_fp_ieee_overflow 0
		.amdhsa_exception_fp_ieee_underflow 0
		.amdhsa_exception_fp_ieee_inexact 0
		.amdhsa_exception_int_div_zero 0
	.end_amdhsa_kernel
	.section	.text._ZN2at6native32elementwise_kernel_manual_unrollILi128ELi4EZNS0_12_GLOBAL__N_142type_specialized_broadcast_kernel_launcherILi5EE5applyIZZZNS2_24softplus_backward_kernelERNS_18TensorIteratorBaseERKN3c106ScalarESB_ENKUlvE_clEvENKUlvE0_clEvEUlffE_St5arrayIPcLm3EESF_INS8_10ScalarTypeELm3EE16OffsetCalculatorILi3EjLb0EEEEvlT_T0_T1_T2_EUlibE_EEviSO_,"axG",@progbits,_ZN2at6native32elementwise_kernel_manual_unrollILi128ELi4EZNS0_12_GLOBAL__N_142type_specialized_broadcast_kernel_launcherILi5EE5applyIZZZNS2_24softplus_backward_kernelERNS_18TensorIteratorBaseERKN3c106ScalarESB_ENKUlvE_clEvENKUlvE0_clEvEUlffE_St5arrayIPcLm3EESF_INS8_10ScalarTypeELm3EE16OffsetCalculatorILi3EjLb0EEEEvlT_T0_T1_T2_EUlibE_EEviSO_,comdat
.Lfunc_end76:
	.size	_ZN2at6native32elementwise_kernel_manual_unrollILi128ELi4EZNS0_12_GLOBAL__N_142type_specialized_broadcast_kernel_launcherILi5EE5applyIZZZNS2_24softplus_backward_kernelERNS_18TensorIteratorBaseERKN3c106ScalarESB_ENKUlvE_clEvENKUlvE0_clEvEUlffE_St5arrayIPcLm3EESF_INS8_10ScalarTypeELm3EE16OffsetCalculatorILi3EjLb0EEEEvlT_T0_T1_T2_EUlibE_EEviSO_, .Lfunc_end76-_ZN2at6native32elementwise_kernel_manual_unrollILi128ELi4EZNS0_12_GLOBAL__N_142type_specialized_broadcast_kernel_launcherILi5EE5applyIZZZNS2_24softplus_backward_kernelERNS_18TensorIteratorBaseERKN3c106ScalarESB_ENKUlvE_clEvENKUlvE0_clEvEUlffE_St5arrayIPcLm3EESF_INS8_10ScalarTypeELm3EE16OffsetCalculatorILi3EjLb0EEEEvlT_T0_T1_T2_EUlibE_EEviSO_
                                        ; -- End function
	.set _ZN2at6native32elementwise_kernel_manual_unrollILi128ELi4EZNS0_12_GLOBAL__N_142type_specialized_broadcast_kernel_launcherILi5EE5applyIZZZNS2_24softplus_backward_kernelERNS_18TensorIteratorBaseERKN3c106ScalarESB_ENKUlvE_clEvENKUlvE0_clEvEUlffE_St5arrayIPcLm3EESF_INS8_10ScalarTypeELm3EE16OffsetCalculatorILi3EjLb0EEEEvlT_T0_T1_T2_EUlibE_EEviSO_.num_vgpr, 17
	.set _ZN2at6native32elementwise_kernel_manual_unrollILi128ELi4EZNS0_12_GLOBAL__N_142type_specialized_broadcast_kernel_launcherILi5EE5applyIZZZNS2_24softplus_backward_kernelERNS_18TensorIteratorBaseERKN3c106ScalarESB_ENKUlvE_clEvENKUlvE0_clEvEUlffE_St5arrayIPcLm3EESF_INS8_10ScalarTypeELm3EE16OffsetCalculatorILi3EjLb0EEEEvlT_T0_T1_T2_EUlibE_EEviSO_.num_agpr, 0
	.set _ZN2at6native32elementwise_kernel_manual_unrollILi128ELi4EZNS0_12_GLOBAL__N_142type_specialized_broadcast_kernel_launcherILi5EE5applyIZZZNS2_24softplus_backward_kernelERNS_18TensorIteratorBaseERKN3c106ScalarESB_ENKUlvE_clEvENKUlvE0_clEvEUlffE_St5arrayIPcLm3EESF_INS8_10ScalarTypeELm3EE16OffsetCalculatorILi3EjLb0EEEEvlT_T0_T1_T2_EUlibE_EEviSO_.numbered_sgpr, 48
	.set _ZN2at6native32elementwise_kernel_manual_unrollILi128ELi4EZNS0_12_GLOBAL__N_142type_specialized_broadcast_kernel_launcherILi5EE5applyIZZZNS2_24softplus_backward_kernelERNS_18TensorIteratorBaseERKN3c106ScalarESB_ENKUlvE_clEvENKUlvE0_clEvEUlffE_St5arrayIPcLm3EESF_INS8_10ScalarTypeELm3EE16OffsetCalculatorILi3EjLb0EEEEvlT_T0_T1_T2_EUlibE_EEviSO_.num_named_barrier, 0
	.set _ZN2at6native32elementwise_kernel_manual_unrollILi128ELi4EZNS0_12_GLOBAL__N_142type_specialized_broadcast_kernel_launcherILi5EE5applyIZZZNS2_24softplus_backward_kernelERNS_18TensorIteratorBaseERKN3c106ScalarESB_ENKUlvE_clEvENKUlvE0_clEvEUlffE_St5arrayIPcLm3EESF_INS8_10ScalarTypeELm3EE16OffsetCalculatorILi3EjLb0EEEEvlT_T0_T1_T2_EUlibE_EEviSO_.private_seg_size, 0
	.set _ZN2at6native32elementwise_kernel_manual_unrollILi128ELi4EZNS0_12_GLOBAL__N_142type_specialized_broadcast_kernel_launcherILi5EE5applyIZZZNS2_24softplus_backward_kernelERNS_18TensorIteratorBaseERKN3c106ScalarESB_ENKUlvE_clEvENKUlvE0_clEvEUlffE_St5arrayIPcLm3EESF_INS8_10ScalarTypeELm3EE16OffsetCalculatorILi3EjLb0EEEEvlT_T0_T1_T2_EUlibE_EEviSO_.uses_vcc, 1
	.set _ZN2at6native32elementwise_kernel_manual_unrollILi128ELi4EZNS0_12_GLOBAL__N_142type_specialized_broadcast_kernel_launcherILi5EE5applyIZZZNS2_24softplus_backward_kernelERNS_18TensorIteratorBaseERKN3c106ScalarESB_ENKUlvE_clEvENKUlvE0_clEvEUlffE_St5arrayIPcLm3EESF_INS8_10ScalarTypeELm3EE16OffsetCalculatorILi3EjLb0EEEEvlT_T0_T1_T2_EUlibE_EEviSO_.uses_flat_scratch, 0
	.set _ZN2at6native32elementwise_kernel_manual_unrollILi128ELi4EZNS0_12_GLOBAL__N_142type_specialized_broadcast_kernel_launcherILi5EE5applyIZZZNS2_24softplus_backward_kernelERNS_18TensorIteratorBaseERKN3c106ScalarESB_ENKUlvE_clEvENKUlvE0_clEvEUlffE_St5arrayIPcLm3EESF_INS8_10ScalarTypeELm3EE16OffsetCalculatorILi3EjLb0EEEEvlT_T0_T1_T2_EUlibE_EEviSO_.has_dyn_sized_stack, 0
	.set _ZN2at6native32elementwise_kernel_manual_unrollILi128ELi4EZNS0_12_GLOBAL__N_142type_specialized_broadcast_kernel_launcherILi5EE5applyIZZZNS2_24softplus_backward_kernelERNS_18TensorIteratorBaseERKN3c106ScalarESB_ENKUlvE_clEvENKUlvE0_clEvEUlffE_St5arrayIPcLm3EESF_INS8_10ScalarTypeELm3EE16OffsetCalculatorILi3EjLb0EEEEvlT_T0_T1_T2_EUlibE_EEviSO_.has_recursion, 0
	.set _ZN2at6native32elementwise_kernel_manual_unrollILi128ELi4EZNS0_12_GLOBAL__N_142type_specialized_broadcast_kernel_launcherILi5EE5applyIZZZNS2_24softplus_backward_kernelERNS_18TensorIteratorBaseERKN3c106ScalarESB_ENKUlvE_clEvENKUlvE0_clEvEUlffE_St5arrayIPcLm3EESF_INS8_10ScalarTypeELm3EE16OffsetCalculatorILi3EjLb0EEEEvlT_T0_T1_T2_EUlibE_EEviSO_.has_indirect_call, 0
	.section	.AMDGPU.csdata,"",@progbits
; Kernel info:
; codeLenInByte = 7340
; TotalNumSgprs: 50
; NumVgprs: 17
; ScratchSize: 0
; MemoryBound: 0
; FloatMode: 240
; IeeeMode: 1
; LDSByteSize: 0 bytes/workgroup (compile time only)
; SGPRBlocks: 0
; VGPRBlocks: 1
; NumSGPRsForWavesPerEU: 50
; NumVGPRsForWavesPerEU: 17
; NamedBarCnt: 0
; Occupancy: 16
; WaveLimiterHint : 1
; COMPUTE_PGM_RSRC2:SCRATCH_EN: 0
; COMPUTE_PGM_RSRC2:USER_SGPR: 2
; COMPUTE_PGM_RSRC2:TRAP_HANDLER: 0
; COMPUTE_PGM_RSRC2:TGID_X_EN: 1
; COMPUTE_PGM_RSRC2:TGID_Y_EN: 0
; COMPUTE_PGM_RSRC2:TGID_Z_EN: 0
; COMPUTE_PGM_RSRC2:TIDIG_COMP_CNT: 0
	.section	.text._ZN2at6native32elementwise_kernel_manual_unrollILi128ELi4EZNS0_15gpu_kernel_implIZZZNS0_12_GLOBAL__N_124softplus_backward_kernelERNS_18TensorIteratorBaseERKN3c106ScalarES9_ENKUlvE_clEvENKUlvE0_clEvEUlffE_EEvS5_RKT_EUlibE0_EEviT1_,"axG",@progbits,_ZN2at6native32elementwise_kernel_manual_unrollILi128ELi4EZNS0_15gpu_kernel_implIZZZNS0_12_GLOBAL__N_124softplus_backward_kernelERNS_18TensorIteratorBaseERKN3c106ScalarES9_ENKUlvE_clEvENKUlvE0_clEvEUlffE_EEvS5_RKT_EUlibE0_EEviT1_,comdat
	.globl	_ZN2at6native32elementwise_kernel_manual_unrollILi128ELi4EZNS0_15gpu_kernel_implIZZZNS0_12_GLOBAL__N_124softplus_backward_kernelERNS_18TensorIteratorBaseERKN3c106ScalarES9_ENKUlvE_clEvENKUlvE0_clEvEUlffE_EEvS5_RKT_EUlibE0_EEviT1_ ; -- Begin function _ZN2at6native32elementwise_kernel_manual_unrollILi128ELi4EZNS0_15gpu_kernel_implIZZZNS0_12_GLOBAL__N_124softplus_backward_kernelERNS_18TensorIteratorBaseERKN3c106ScalarES9_ENKUlvE_clEvENKUlvE0_clEvEUlffE_EEvS5_RKT_EUlibE0_EEviT1_
	.p2align	8
	.type	_ZN2at6native32elementwise_kernel_manual_unrollILi128ELi4EZNS0_15gpu_kernel_implIZZZNS0_12_GLOBAL__N_124softplus_backward_kernelERNS_18TensorIteratorBaseERKN3c106ScalarES9_ENKUlvE_clEvENKUlvE0_clEvEUlffE_EEvS5_RKT_EUlibE0_EEviT1_,@function
_ZN2at6native32elementwise_kernel_manual_unrollILi128ELi4EZNS0_15gpu_kernel_implIZZZNS0_12_GLOBAL__N_124softplus_backward_kernelERNS_18TensorIteratorBaseERKN3c106ScalarES9_ENKUlvE_clEvENKUlvE0_clEvEUlffE_EEvS5_RKT_EUlibE0_EEviT1_: ; @_ZN2at6native32elementwise_kernel_manual_unrollILi128ELi4EZNS0_15gpu_kernel_implIZZZNS0_12_GLOBAL__N_124softplus_backward_kernelERNS_18TensorIteratorBaseERKN3c106ScalarES9_ENKUlvE_clEvENKUlvE0_clEvEUlffE_EEvS5_RKT_EUlibE0_EEviT1_
; %bb.0:
	s_clause 0x1
	s_load_b32 s28, s[0:1], 0x8
	s_load_b32 s38, s[0:1], 0x0
	s_bfe_u32 s2, ttmp6, 0x4000c
	s_and_b32 s3, ttmp6, 15
	s_add_co_i32 s2, s2, 1
	s_getreg_b32 s4, hwreg(HW_REG_IB_STS2, 6, 4)
	s_mul_i32 s2, ttmp9, s2
	s_mov_b32 s30, 0
	s_add_co_i32 s3, s3, s2
	s_cmp_eq_u32 s4, 0
	s_mov_b32 s27, -1
	s_cselect_b32 s2, ttmp9, s3
	s_mov_b32 s10, 0
	v_lshl_or_b32 v0, s2, 9, v0
	s_add_nc_u64 s[2:3], s[0:1], 8
	s_wait_xcnt 0x0
	s_mov_b32 s0, exec_lo
	s_delay_alu instid0(VALU_DEP_1) | instskip(SKIP_2) | instid1(SALU_CYCLE_1)
	v_or_b32_e32 v1, 0x180, v0
	s_wait_kmcnt 0x0
	s_add_co_i32 s29, s28, -1
	s_cmp_gt_u32 s29, 1
	s_cselect_b32 s31, -1, 0
	v_cmpx_le_i32_e64 s38, v1
	s_xor_b32 s33, exec_lo, s0
	s_cbranch_execz .LBB77_1601
; %bb.1:
	s_clause 0x5
	s_load_b128 s[12:15], s[2:3], 0x4
	s_load_b64 s[0:1], s[2:3], 0x14
	s_load_b32 s34, s[2:3], 0x1a8
	s_load_b128 s[16:19], s[2:3], 0xc4
	s_load_b64 s[22:23], s[2:3], 0xd4
	s_load_b256 s[4:11], s[2:3], 0x188
	s_cmp_lg_u32 s28, 0
	s_mov_b32 s21, 0
	s_cselect_b32 s39, -1, 0
	s_min_u32 s37, s29, 15
	s_cmp_gt_u32 s28, 1
	s_mov_b32 s25, s21
	s_mov_b32 s42, s21
	s_mov_b32 s41, s21
	s_cselect_b32 s36, -1, 0
	s_mov_b32 s40, s21
	s_mov_b32 s43, exec_lo
	s_wait_kmcnt 0x0
	s_mov_b32 s20, s13
	s_mov_b32 s24, s0
	s_lshr_b32 s35, s34, 8
	s_lshr_b32 s13, s34, 16
	v_cmpx_gt_i32_e64 s38, v0
	s_cbranch_execz .LBB77_395
; %bb.2:
	s_and_not1_b32 vcc_lo, exec_lo, s31
	s_cbranch_vccnz .LBB77_8
; %bb.3:
	s_and_not1_b32 vcc_lo, exec_lo, s39
	s_cbranch_vccnz .LBB77_9
; %bb.4:
	v_dual_mov_b32 v4, 0 :: v_dual_mov_b32 v1, v0
	v_dual_mov_b32 v2, 0 :: v_dual_mov_b32 v6, 0
	s_add_co_i32 s0, s37, 1
	s_mov_b64 s[26:27], 0xffffffffffffffe8
	s_and_b32 s0, s0, 30
	s_add_nc_u64 s[26:27], s[2:3], s[26:27]
.LBB77_5:                               ; =>This Inner Loop Header: Depth=1
	s_clause 0x1
	s_load_b128 s[44:47], s[26:27], 0x1c
	s_load_b64 s[40:41], s[26:27], 0x2c
	s_add_co_i32 s0, s0, -2
	s_delay_alu instid0(SALU_CYCLE_1) | instskip(SKIP_2) | instid1(VALU_DEP_1)
	s_cmp_lg_u32 s0, 0
	s_wait_kmcnt 0x0
	v_mul_hi_u32 v3, s45, v1
	v_add_nc_u32_e32 v3, v1, v3
	s_delay_alu instid0(VALU_DEP_1) | instskip(NEXT) | instid1(VALU_DEP_1)
	v_lshrrev_b32_e32 v3, s46, v3
	v_mul_hi_u32 v5, s40, v3
	v_mul_lo_u32 v7, v3, s44
	s_clause 0x1
	s_load_b128 s[48:51], s[26:27], 0xdc
	s_load_b64 s[44:45], s[26:27], 0xec
	s_wait_xcnt 0x0
	s_add_nc_u64 s[26:27], s[26:27], 24
	s_delay_alu instid0(VALU_DEP_1) | instskip(NEXT) | instid1(VALU_DEP_1)
	v_dual_add_nc_u32 v5, v3, v5 :: v_dual_sub_nc_u32 v7, v1, v7
	v_lshrrev_b32_e32 v1, s41, v5
	s_wait_kmcnt 0x0
	s_delay_alu instid0(VALU_DEP_2) | instskip(NEXT) | instid1(VALU_DEP_2)
	v_mad_u32 v4, v7, s48, v4
	v_mul_lo_u32 v5, v1, s47
	v_mad_u32 v6, v7, s50, v6
	v_mad_u32 v2, v7, s49, v2
	s_delay_alu instid0(VALU_DEP_3) | instskip(NEXT) | instid1(VALU_DEP_1)
	v_sub_nc_u32_e32 v3, v3, v5
	v_mad_u32 v4, v3, s51, v4
	s_delay_alu instid0(VALU_DEP_4) | instskip(NEXT) | instid1(VALU_DEP_4)
	v_mad_u32 v6, v3, s45, v6
	v_mad_u32 v2, v3, s44, v2
	s_cbranch_scc1 .LBB77_5
; %bb.6:
	s_bitcmp1_b32 s37, 0
	s_cselect_b32 s0, -1, 0
	s_delay_alu instid0(SALU_CYCLE_1)
	s_and_b32 vcc_lo, exec_lo, s0
	s_cbranch_vccnz .LBB77_10
; %bb.7:
	s_clause 0x1
	s_load_b96 s[40:42], s[26:27], 0x1c
	s_load_b96 s[44:46], s[26:27], 0xdc
	s_wait_kmcnt 0x0
	v_mul_hi_u32 v3, s41, v1
	s_delay_alu instid0(VALU_DEP_1) | instskip(NEXT) | instid1(VALU_DEP_1)
	v_add_nc_u32_e32 v3, v1, v3
	v_lshrrev_b32_e32 v3, s42, v3
	s_delay_alu instid0(VALU_DEP_1) | instskip(NEXT) | instid1(VALU_DEP_1)
	v_mul_lo_u32 v3, v3, s40
	v_sub_nc_u32_e32 v1, v1, v3
	s_delay_alu instid0(VALU_DEP_1)
	v_mad_u32 v4, v1, s44, v4
	v_mad_u32 v2, v1, s45, v2
	;; [unrolled: 1-line block ×3, first 2 shown]
	s_cbranch_execz .LBB77_11
	s_branch .LBB77_13
.LBB77_8:
                                        ; implicit-def: $vgpr6
                                        ; implicit-def: $vgpr2
                                        ; implicit-def: $vgpr4
	s_branch .LBB77_11
.LBB77_9:
	v_dual_mov_b32 v6, 0 :: v_dual_mov_b32 v2, 0
	v_mov_b32_e32 v4, 0
.LBB77_10:
	s_cbranch_execnz .LBB77_13
.LBB77_11:
	v_mov_b32_e32 v1, 0
	s_and_not1_b32 vcc_lo, exec_lo, s36
	s_delay_alu instid0(VALU_DEP_1) | instskip(NEXT) | instid1(VALU_DEP_1)
	v_mul_u64_e32 v[2:3], s[20:21], v[0:1]
	v_add_nc_u32_e32 v2, v0, v3
	s_delay_alu instid0(VALU_DEP_1) | instskip(NEXT) | instid1(VALU_DEP_1)
	v_lshrrev_b32_e32 v8, s14, v2
	v_mul_lo_u32 v2, v8, s12
	s_delay_alu instid0(VALU_DEP_1) | instskip(NEXT) | instid1(VALU_DEP_1)
	v_sub_nc_u32_e32 v2, v0, v2
	v_mul_lo_u32 v4, v2, s16
	v_mul_lo_u32 v6, v2, s18
	;; [unrolled: 1-line block ×3, first 2 shown]
	s_cbranch_vccnz .LBB77_13
; %bb.12:
	v_mov_b32_e32 v9, v1
	s_delay_alu instid0(VALU_DEP_1) | instskip(NEXT) | instid1(VALU_DEP_1)
	v_mul_u64_e32 v[10:11], s[24:25], v[8:9]
	v_add_nc_u32_e32 v1, v8, v11
	s_delay_alu instid0(VALU_DEP_1) | instskip(NEXT) | instid1(VALU_DEP_1)
	v_lshrrev_b32_e32 v1, s1, v1
	v_mul_lo_u32 v1, v1, s15
	s_delay_alu instid0(VALU_DEP_1) | instskip(NEXT) | instid1(VALU_DEP_1)
	v_sub_nc_u32_e32 v1, v8, v1
	v_mad_u32 v4, v1, s19, v4
	v_mad_u32 v2, v1, s22, v2
	;; [unrolled: 1-line block ×3, first 2 shown]
.LBB77_13:
	v_mov_b32_e32 v3, 0
	s_and_b32 s0, s35, 0xff
	s_delay_alu instid0(SALU_CYCLE_1) | instskip(NEXT) | instid1(VALU_DEP_1)
	s_cmp_lt_i32 s0, 11
	v_add_nc_u64_e32 v[8:9], s[6:7], v[2:3]
	s_cbranch_scc1 .LBB77_20
; %bb.14:
	s_and_b32 s27, 0xffff, s0
	s_delay_alu instid0(SALU_CYCLE_1)
	s_cmp_gt_i32 s27, 25
	s_cbranch_scc0 .LBB77_29
; %bb.15:
	s_cmp_gt_i32 s27, 28
	s_cbranch_scc0 .LBB77_41
; %bb.16:
	s_cmp_gt_i32 s27, 43
	s_cbranch_scc0 .LBB77_44
; %bb.17:
	s_cmp_gt_i32 s27, 45
	s_cbranch_scc0 .LBB77_47
; %bb.18:
	s_cmp_eq_u32 s27, 46
	s_mov_b32 s41, 0
	s_cbranch_scc0 .LBB77_50
; %bb.19:
	global_load_b32 v1, v[8:9], off
	s_mov_b32 s40, -1
	s_mov_b32 s26, 0
	s_wait_loadcnt 0x0
	v_lshlrev_b32_e32 v2, 16, v1
	s_branch .LBB77_52
.LBB77_20:
	s_mov_b32 s26, 0
	s_mov_b32 s40, 0
                                        ; implicit-def: $vgpr2
	s_cbranch_execnz .LBB77_118
.LBB77_21:
	s_and_not1_b32 vcc_lo, exec_lo, s40
	s_cbranch_vccnz .LBB77_165
.LBB77_22:
	v_mov_b32_e32 v7, 0
	s_and_b32 s0, s13, 0xff
	s_delay_alu instid0(SALU_CYCLE_1) | instskip(NEXT) | instid1(VALU_DEP_1)
	s_cmp_lt_i32 s0, 11
	v_add_nc_u64_e32 v[6:7], s[8:9], v[6:7]
	s_cbranch_scc1 .LBB77_30
; %bb.23:
	s_and_b32 s40, 0xffff, s0
	s_delay_alu instid0(SALU_CYCLE_1)
	s_cmp_gt_i32 s40, 25
	s_cbranch_scc0 .LBB77_42
; %bb.24:
	s_cmp_gt_i32 s40, 28
	s_cbranch_scc0 .LBB77_45
; %bb.25:
	s_cmp_gt_i32 s40, 43
	s_cbranch_scc0 .LBB77_48
; %bb.26:
	s_cmp_gt_i32 s40, 45
	s_cbranch_scc0 .LBB77_55
; %bb.27:
	s_cmp_eq_u32 s40, 46
	s_mov_b32 s42, 0
	s_cbranch_scc0 .LBB77_166
; %bb.28:
	global_load_b32 v1, v[6:7], off
	s_mov_b32 s41, -1
	s_mov_b32 s27, 0
	s_wait_loadcnt 0x0
	v_lshlrev_b32_e32 v1, 16, v1
	s_branch .LBB77_168
.LBB77_29:
	s_mov_b32 s26, 0
	s_mov_b32 s40, 0
                                        ; implicit-def: $vgpr2
	s_cbranch_execnz .LBB77_83
	s_branch .LBB77_117
.LBB77_30:
	s_mov_b32 s27, 0
	s_mov_b32 s41, 0
                                        ; implicit-def: $vgpr1
	s_cbranch_execnz .LBB77_344
.LBB77_31:
	s_and_not1_b32 vcc_lo, exec_lo, s41
	s_cbranch_vccnz .LBB77_392
.LBB77_32:
	s_wait_loadcnt 0x0
	s_delay_alu instid0(VALU_DEP_1) | instskip(SKIP_1) | instid1(VALU_DEP_1)
	v_mul_f32_e32 v1, s10, v1
	s_mov_b32 s0, exec_lo
	v_cmpx_nlt_f32_e32 s11, v1
	s_cbranch_execz .LBB77_34
; %bb.33:
	v_mul_f32_e32 v3, 0x3fb8aa3b, v1
	v_cmp_ngt_f32_e32 vcc_lo, 0xc2ce8ed0, v1
	s_delay_alu instid0(VALU_DEP_2) | instskip(SKIP_1) | instid1(VALU_DEP_1)
	v_rndne_f32_e32 v5, v3
	v_fma_f32 v6, 0x3fb8aa3b, v1, -v3
	v_dual_sub_f32 v3, v3, v5 :: v_dual_fmamk_f32 v6, v1, 0x32a5705f, v6
	v_cvt_i32_f32_e32 v5, v5
	s_delay_alu instid0(VALU_DEP_2) | instskip(NEXT) | instid1(VALU_DEP_1)
	v_add_f32_e32 v3, v3, v6
	v_exp_f32_e32 v3, v3
	v_nop
	s_delay_alu instid0(TRANS32_DEP_1) | instskip(NEXT) | instid1(VALU_DEP_1)
	v_ldexp_f32 v3, v3, v5
	v_cndmask_b32_e32 v3, 0, v3, vcc_lo
	v_cmp_nlt_f32_e32 vcc_lo, 0x42b17218, v1
	s_delay_alu instid0(VALU_DEP_2) | instskip(NEXT) | instid1(VALU_DEP_1)
	v_cndmask_b32_e32 v1, 0x7f800000, v3, vcc_lo
	v_dual_mul_f32 v2, v2, v1 :: v_dual_add_f32 v1, 1.0, v1
	s_delay_alu instid0(VALU_DEP_1) | instskip(NEXT) | instid1(VALU_DEP_1)
	v_div_scale_f32 v3, null, v1, v1, v2
	v_rcp_f32_e32 v5, v3
	v_nop
	s_delay_alu instid0(TRANS32_DEP_1) | instskip(NEXT) | instid1(VALU_DEP_1)
	v_fma_f32 v6, -v3, v5, 1.0
	v_fmac_f32_e32 v5, v6, v5
	v_div_scale_f32 v6, vcc_lo, v2, v1, v2
	s_delay_alu instid0(VALU_DEP_1) | instskip(NEXT) | instid1(VALU_DEP_1)
	v_mul_f32_e32 v7, v6, v5
	v_fma_f32 v8, -v3, v7, v6
	s_delay_alu instid0(VALU_DEP_1) | instskip(NEXT) | instid1(VALU_DEP_1)
	v_fmac_f32_e32 v7, v8, v5
	v_fma_f32 v3, -v3, v7, v6
	s_delay_alu instid0(VALU_DEP_1) | instskip(NEXT) | instid1(VALU_DEP_1)
	v_div_fmas_f32 v3, v3, v5, v7
	v_div_fixup_f32 v2, v3, v1, v2
.LBB77_34:
	s_or_b32 exec_lo, exec_lo, s0
	v_mov_b32_e32 v5, 0
	s_and_b32 s40, s34, 0xff
	s_delay_alu instid0(SALU_CYCLE_1) | instskip(NEXT) | instid1(VALU_DEP_1)
	s_cmp_lt_i32 s40, 11
	v_add_nc_u64_e32 v[4:5], s[4:5], v[4:5]
	s_cbranch_scc1 .LBB77_43
; %bb.35:
	s_and_b32 s41, 0xffff, s40
	s_delay_alu instid0(SALU_CYCLE_1)
	s_cmp_gt_i32 s41, 25
	s_cbranch_scc0 .LBB77_46
; %bb.36:
	s_cmp_gt_i32 s41, 28
	s_cbranch_scc0 .LBB77_49
; %bb.37:
	s_cmp_gt_i32 s41, 43
	s_cbranch_scc0 .LBB77_56
; %bb.38:
	s_cmp_gt_i32 s41, 45
	s_cbranch_scc0 .LBB77_171
; %bb.39:
	s_mov_b32 s44, 0
	s_mov_b32 s0, -1
	s_cmp_eq_u32 s41, 46
	s_mov_b32 s42, 0
	s_cbranch_scc0 .LBB77_172
; %bb.40:
	v_bfe_u32 v1, v2, 16, 1
	v_cmp_o_f32_e32 vcc_lo, v2, v2
	s_mov_b32 s42, -1
	s_mov_b32 s0, 0
	s_delay_alu instid0(VALU_DEP_2) | instskip(NEXT) | instid1(VALU_DEP_1)
	v_add3_u32 v1, v2, v1, 0x7fff
	v_lshrrev_b32_e32 v1, 16, v1
	s_delay_alu instid0(VALU_DEP_1)
	v_cndmask_b32_e32 v1, 0x7fc0, v1, vcc_lo
	global_store_b32 v[4:5], v1, off
	s_branch .LBB77_172
.LBB77_41:
	s_mov_b32 s41, -1
	s_mov_b32 s26, 0
	s_mov_b32 s40, 0
                                        ; implicit-def: $vgpr2
	s_branch .LBB77_64
.LBB77_42:
	s_mov_b32 s42, -1
	s_mov_b32 s27, 0
	s_mov_b32 s41, 0
                                        ; implicit-def: $vgpr1
	s_branch .LBB77_308
.LBB77_43:
	s_mov_b32 s41, -1
	s_mov_b32 s0, 0
	s_mov_b32 s42, 0
	s_branch .LBB77_241
.LBB77_44:
	s_mov_b32 s41, -1
	s_mov_b32 s26, 0
	s_mov_b32 s40, 0
                                        ; implicit-def: $vgpr2
	s_branch .LBB77_59
.LBB77_45:
	s_mov_b32 s42, -1
	s_mov_b32 s27, 0
	s_mov_b32 s41, 0
                                        ; implicit-def: $vgpr1
	s_branch .LBB77_289
.LBB77_46:
	s_mov_b32 s44, -1
	s_mov_b32 s0, 0
	s_mov_b32 s42, 0
	s_branch .LBB77_199
.LBB77_47:
	s_mov_b32 s41, -1
	s_mov_b32 s26, 0
	s_branch .LBB77_51
.LBB77_48:
	s_mov_b32 s42, -1
	s_mov_b32 s27, 0
	s_mov_b32 s41, 0
                                        ; implicit-def: $vgpr1
	s_branch .LBB77_284
.LBB77_49:
	s_mov_b32 s44, -1
	s_mov_b32 s0, 0
	s_mov_b32 s42, 0
	s_branch .LBB77_182
.LBB77_50:
	s_mov_b32 s26, -1
.LBB77_51:
	s_mov_b32 s40, 0
                                        ; implicit-def: $vgpr2
.LBB77_52:
	s_and_b32 vcc_lo, exec_lo, s41
	s_cbranch_vccz .LBB77_58
; %bb.53:
	s_cmp_eq_u32 s27, 44
	s_cbranch_scc0 .LBB77_57
; %bb.54:
	global_load_u8 v1, v[8:9], off
	s_mov_b32 s26, 0
	s_mov_b32 s40, -1
	s_wait_loadcnt 0x0
	v_lshlrev_b32_e32 v2, 23, v1
	v_cmp_ne_u32_e32 vcc_lo, 0xff, v1
	s_delay_alu instid0(VALU_DEP_2) | instskip(SKIP_1) | instid1(VALU_DEP_2)
	v_cndmask_b32_e32 v2, 0x7f800001, v2, vcc_lo
	v_cmp_ne_u32_e32 vcc_lo, 0, v1
	v_cndmask_b32_e32 v2, 0x400000, v2, vcc_lo
	s_branch .LBB77_58
.LBB77_55:
	s_mov_b32 s42, -1
	s_mov_b32 s27, 0
	s_branch .LBB77_167
.LBB77_56:
	s_mov_b32 s44, -1
	s_mov_b32 s0, 0
	s_mov_b32 s42, 0
	s_branch .LBB77_178
.LBB77_57:
	s_mov_b32 s26, -1
                                        ; implicit-def: $vgpr2
.LBB77_58:
	s_mov_b32 s41, 0
.LBB77_59:
	s_delay_alu instid0(SALU_CYCLE_1)
	s_and_b32 vcc_lo, exec_lo, s41
	s_cbranch_vccz .LBB77_63
; %bb.60:
	s_cmp_eq_u32 s27, 29
	s_cbranch_scc0 .LBB77_62
; %bb.61:
	global_load_b64 v[2:3], v[8:9], off
	s_mov_b32 s40, -1
	s_mov_b32 s26, 0
	s_mov_b32 s41, 0
	s_wait_loadcnt 0x0
	v_clz_i32_u32_e32 v1, v3
	s_delay_alu instid0(VALU_DEP_1) | instskip(NEXT) | instid1(VALU_DEP_1)
	v_min_u32_e32 v1, 32, v1
	v_lshlrev_b64_e32 v[2:3], v1, v[2:3]
	v_sub_nc_u32_e32 v1, 32, v1
	s_delay_alu instid0(VALU_DEP_2) | instskip(NEXT) | instid1(VALU_DEP_1)
	v_min_u32_e32 v2, 1, v2
	v_or_b32_e32 v2, v3, v2
	s_delay_alu instid0(VALU_DEP_1) | instskip(NEXT) | instid1(VALU_DEP_1)
	v_cvt_f32_u32_e32 v2, v2
	v_ldexp_f32 v2, v2, v1
	s_branch .LBB77_64
.LBB77_62:
	s_mov_b32 s26, -1
                                        ; implicit-def: $vgpr2
.LBB77_63:
	s_mov_b32 s41, 0
.LBB77_64:
	s_delay_alu instid0(SALU_CYCLE_1)
	s_and_b32 vcc_lo, exec_lo, s41
	s_cbranch_vccz .LBB77_82
; %bb.65:
	s_cmp_lt_i32 s27, 27
	s_cbranch_scc1 .LBB77_68
; %bb.66:
	s_cmp_gt_i32 s27, 27
	s_cbranch_scc0 .LBB77_69
; %bb.67:
	global_load_b32 v1, v[8:9], off
	s_mov_b32 s40, 0
	s_wait_loadcnt 0x0
	v_cvt_f32_u32_e32 v2, v1
	s_branch .LBB77_70
.LBB77_68:
	s_mov_b32 s40, -1
                                        ; implicit-def: $vgpr2
	s_branch .LBB77_73
.LBB77_69:
	s_mov_b32 s40, -1
                                        ; implicit-def: $vgpr2
.LBB77_70:
	s_delay_alu instid0(SALU_CYCLE_1)
	s_and_not1_b32 vcc_lo, exec_lo, s40
	s_cbranch_vccnz .LBB77_72
; %bb.71:
	global_load_u16 v1, v[8:9], off
	s_wait_loadcnt 0x0
	v_cvt_f32_u32_e32 v2, v1
.LBB77_72:
	s_mov_b32 s40, 0
.LBB77_73:
	s_delay_alu instid0(SALU_CYCLE_1)
	s_and_not1_b32 vcc_lo, exec_lo, s40
	s_cbranch_vccnz .LBB77_81
; %bb.74:
	global_load_u8 v1, v[8:9], off
	s_mov_b32 s40, 0
	s_mov_b32 s41, exec_lo
	s_wait_loadcnt 0x0
	v_cmpx_lt_i16_e32 0x7f, v1
	s_xor_b32 s41, exec_lo, s41
	s_cbranch_execz .LBB77_94
; %bb.75:
	s_mov_b32 s40, -1
	s_mov_b32 s42, exec_lo
	v_cmpx_eq_u16_e32 0x80, v1
; %bb.76:
	s_xor_b32 s40, exec_lo, -1
; %bb.77:
	s_or_b32 exec_lo, exec_lo, s42
	s_delay_alu instid0(SALU_CYCLE_1)
	s_and_b32 s40, s40, exec_lo
	s_or_saveexec_b32 s41, s41
	v_mov_b32_e32 v2, 0x7f800001
	s_xor_b32 exec_lo, exec_lo, s41
	s_cbranch_execnz .LBB77_95
.LBB77_78:
	s_or_b32 exec_lo, exec_lo, s41
	s_and_saveexec_b32 s41, s40
	s_cbranch_execz .LBB77_80
.LBB77_79:
	v_and_b32_e32 v2, 0xffff, v1
	s_delay_alu instid0(VALU_DEP_1) | instskip(SKIP_1) | instid1(VALU_DEP_2)
	v_and_b32_e32 v3, 7, v2
	v_bfe_u32 v10, v2, 3, 4
	v_clz_i32_u32_e32 v5, v3
	s_delay_alu instid0(VALU_DEP_2) | instskip(NEXT) | instid1(VALU_DEP_2)
	v_cmp_eq_u32_e32 vcc_lo, 0, v10
	v_min_u32_e32 v5, 32, v5
	s_delay_alu instid0(VALU_DEP_1) | instskip(NEXT) | instid1(VALU_DEP_1)
	v_subrev_nc_u32_e32 v7, 28, v5
	v_dual_lshlrev_b32 v2, v7, v2 :: v_dual_sub_nc_u32 v5, 29, v5
	s_delay_alu instid0(VALU_DEP_1) | instskip(NEXT) | instid1(VALU_DEP_1)
	v_dual_lshlrev_b32 v1, 24, v1 :: v_dual_bitop2_b32 v2, 7, v2 bitop3:0x40
	v_dual_cndmask_b32 v2, v3, v2 :: v_dual_cndmask_b32 v5, v10, v5
	s_delay_alu instid0(VALU_DEP_2) | instskip(NEXT) | instid1(VALU_DEP_2)
	v_and_b32_e32 v1, 0x80000000, v1
	v_lshlrev_b32_e32 v2, 20, v2
	s_delay_alu instid0(VALU_DEP_3) | instskip(NEXT) | instid1(VALU_DEP_1)
	v_lshl_add_u32 v3, v5, 23, 0x3b800000
	v_or3_b32 v2, v1, v3, v2
.LBB77_80:
	s_or_b32 exec_lo, exec_lo, s41
.LBB77_81:
	s_mov_b32 s40, -1
.LBB77_82:
	s_branch .LBB77_117
.LBB77_83:
	s_cmp_gt_i32 s27, 22
	s_cbranch_scc0 .LBB77_93
; %bb.84:
	s_cmp_lt_i32 s27, 24
	s_cbranch_scc1 .LBB77_96
; %bb.85:
	s_cmp_gt_i32 s27, 24
	s_cbranch_scc0 .LBB77_97
; %bb.86:
	global_load_u8 v1, v[8:9], off
	s_mov_b32 s40, 0
	s_mov_b32 s41, exec_lo
	s_wait_loadcnt 0x0
	v_cmpx_lt_i16_e32 0x7f, v1
	s_xor_b32 s41, exec_lo, s41
	s_cbranch_execz .LBB77_109
; %bb.87:
	s_mov_b32 s40, -1
	s_mov_b32 s42, exec_lo
	v_cmpx_eq_u16_e32 0x80, v1
; %bb.88:
	s_xor_b32 s40, exec_lo, -1
; %bb.89:
	s_or_b32 exec_lo, exec_lo, s42
	s_delay_alu instid0(SALU_CYCLE_1)
	s_and_b32 s40, s40, exec_lo
	s_or_saveexec_b32 s41, s41
	v_mov_b32_e32 v2, 0x7f800001
	s_xor_b32 exec_lo, exec_lo, s41
	s_cbranch_execnz .LBB77_110
.LBB77_90:
	s_or_b32 exec_lo, exec_lo, s41
	s_and_saveexec_b32 s41, s40
	s_cbranch_execz .LBB77_92
.LBB77_91:
	v_and_b32_e32 v2, 0xffff, v1
	s_delay_alu instid0(VALU_DEP_1) | instskip(SKIP_1) | instid1(VALU_DEP_2)
	v_and_b32_e32 v3, 3, v2
	v_bfe_u32 v10, v2, 2, 5
	v_clz_i32_u32_e32 v5, v3
	s_delay_alu instid0(VALU_DEP_2) | instskip(NEXT) | instid1(VALU_DEP_2)
	v_cmp_eq_u32_e32 vcc_lo, 0, v10
	v_min_u32_e32 v5, 32, v5
	s_delay_alu instid0(VALU_DEP_1) | instskip(NEXT) | instid1(VALU_DEP_1)
	v_subrev_nc_u32_e32 v7, 29, v5
	v_dual_lshlrev_b32 v2, v7, v2 :: v_dual_sub_nc_u32 v5, 30, v5
	s_delay_alu instid0(VALU_DEP_1) | instskip(NEXT) | instid1(VALU_DEP_1)
	v_dual_lshlrev_b32 v1, 24, v1 :: v_dual_bitop2_b32 v2, 3, v2 bitop3:0x40
	v_dual_cndmask_b32 v2, v3, v2 :: v_dual_cndmask_b32 v5, v10, v5
	s_delay_alu instid0(VALU_DEP_2) | instskip(NEXT) | instid1(VALU_DEP_2)
	v_and_b32_e32 v1, 0x80000000, v1
	v_lshlrev_b32_e32 v2, 21, v2
	s_delay_alu instid0(VALU_DEP_3) | instskip(NEXT) | instid1(VALU_DEP_1)
	v_lshl_add_u32 v3, v5, 23, 0x37800000
	v_or3_b32 v2, v1, v3, v2
.LBB77_92:
	s_or_b32 exec_lo, exec_lo, s41
	s_mov_b32 s40, 0
	s_branch .LBB77_98
.LBB77_93:
	s_mov_b32 s41, -1
                                        ; implicit-def: $vgpr2
	s_branch .LBB77_104
.LBB77_94:
	s_or_saveexec_b32 s41, s41
	v_mov_b32_e32 v2, 0x7f800001
	s_xor_b32 exec_lo, exec_lo, s41
	s_cbranch_execz .LBB77_78
.LBB77_95:
	v_cmp_ne_u16_e32 vcc_lo, 0, v1
	v_mov_b32_e32 v2, 0
	s_and_not1_b32 s40, s40, exec_lo
	s_and_b32 s42, vcc_lo, exec_lo
	s_delay_alu instid0(SALU_CYCLE_1)
	s_or_b32 s40, s40, s42
	s_or_b32 exec_lo, exec_lo, s41
	s_and_saveexec_b32 s41, s40
	s_cbranch_execnz .LBB77_79
	s_branch .LBB77_80
.LBB77_96:
	s_mov_b32 s40, -1
                                        ; implicit-def: $vgpr2
	s_branch .LBB77_101
.LBB77_97:
	s_mov_b32 s40, -1
                                        ; implicit-def: $vgpr2
.LBB77_98:
	s_delay_alu instid0(SALU_CYCLE_1)
	s_and_b32 vcc_lo, exec_lo, s40
	s_cbranch_vccz .LBB77_100
; %bb.99:
	global_load_u8 v1, v[8:9], off
	s_wait_loadcnt 0x0
	v_lshlrev_b32_e32 v1, 24, v1
	s_delay_alu instid0(VALU_DEP_1) | instskip(NEXT) | instid1(VALU_DEP_1)
	v_and_b32_e32 v2, 0x7f000000, v1
	v_clz_i32_u32_e32 v3, v2
	v_cmp_ne_u32_e32 vcc_lo, 0, v2
	v_add_nc_u32_e32 v7, 0x1000000, v2
	s_delay_alu instid0(VALU_DEP_3) | instskip(NEXT) | instid1(VALU_DEP_1)
	v_min_u32_e32 v3, 32, v3
	v_sub_nc_u32_e64 v3, v3, 4 clamp
	s_delay_alu instid0(VALU_DEP_1) | instskip(NEXT) | instid1(VALU_DEP_1)
	v_dual_lshlrev_b32 v5, v3, v2 :: v_dual_lshlrev_b32 v3, 23, v3
	v_lshrrev_b32_e32 v5, 4, v5
	s_delay_alu instid0(VALU_DEP_1) | instskip(SKIP_1) | instid1(VALU_DEP_2)
	v_sub_nc_u32_e32 v3, v5, v3
	v_ashrrev_i32_e32 v5, 8, v7
	v_add_nc_u32_e32 v3, 0x3c000000, v3
	s_delay_alu instid0(VALU_DEP_1) | instskip(NEXT) | instid1(VALU_DEP_1)
	v_and_or_b32 v3, 0x7f800000, v5, v3
	v_cndmask_b32_e32 v2, 0, v3, vcc_lo
	s_delay_alu instid0(VALU_DEP_1)
	v_and_or_b32 v2, 0x80000000, v1, v2
.LBB77_100:
	s_mov_b32 s40, 0
.LBB77_101:
	s_delay_alu instid0(SALU_CYCLE_1)
	s_and_not1_b32 vcc_lo, exec_lo, s40
	s_cbranch_vccnz .LBB77_103
; %bb.102:
	global_load_u8 v1, v[8:9], off
	s_wait_loadcnt 0x0
	v_lshlrev_b32_e32 v2, 25, v1
	v_lshlrev_b16 v1, 8, v1
	s_delay_alu instid0(VALU_DEP_1) | instskip(NEXT) | instid1(VALU_DEP_3)
	v_and_or_b32 v5, 0x7f00, v1, 0.5
	v_lshrrev_b32_e32 v3, 4, v2
	v_bfe_i32 v1, v1, 0, 16
	s_delay_alu instid0(VALU_DEP_3) | instskip(NEXT) | instid1(VALU_DEP_3)
	v_add_f32_e32 v5, -0.5, v5
	v_or_b32_e32 v3, 0x70000000, v3
	s_delay_alu instid0(VALU_DEP_1) | instskip(SKIP_1) | instid1(VALU_DEP_2)
	v_mul_f32_e32 v3, 0x7800000, v3
	v_cmp_gt_u32_e32 vcc_lo, 0x8000000, v2
	v_cndmask_b32_e32 v2, v3, v5, vcc_lo
	s_delay_alu instid0(VALU_DEP_1)
	v_and_or_b32 v2, 0x80000000, v1, v2
.LBB77_103:
	s_mov_b32 s41, 0
	s_mov_b32 s40, -1
.LBB77_104:
	s_and_not1_b32 vcc_lo, exec_lo, s41
	s_cbranch_vccnz .LBB77_117
; %bb.105:
	s_cmp_gt_i32 s27, 14
	s_cbranch_scc0 .LBB77_108
; %bb.106:
	s_cmp_eq_u32 s27, 15
	s_cbranch_scc0 .LBB77_111
; %bb.107:
	global_load_u16 v1, v[8:9], off
	s_mov_b32 s40, -1
	s_mov_b32 s26, 0
	s_wait_loadcnt 0x0
	v_lshlrev_b32_e32 v2, 16, v1
	s_branch .LBB77_112
.LBB77_108:
	s_mov_b32 s41, -1
                                        ; implicit-def: $vgpr2
	s_branch .LBB77_113
.LBB77_109:
	s_or_saveexec_b32 s41, s41
	v_mov_b32_e32 v2, 0x7f800001
	s_xor_b32 exec_lo, exec_lo, s41
	s_cbranch_execz .LBB77_90
.LBB77_110:
	v_cmp_ne_u16_e32 vcc_lo, 0, v1
	v_mov_b32_e32 v2, 0
	s_and_not1_b32 s40, s40, exec_lo
	s_and_b32 s42, vcc_lo, exec_lo
	s_delay_alu instid0(SALU_CYCLE_1)
	s_or_b32 s40, s40, s42
	s_or_b32 exec_lo, exec_lo, s41
	s_and_saveexec_b32 s41, s40
	s_cbranch_execnz .LBB77_91
	s_branch .LBB77_92
.LBB77_111:
	s_mov_b32 s26, -1
                                        ; implicit-def: $vgpr2
.LBB77_112:
	s_mov_b32 s41, 0
.LBB77_113:
	s_delay_alu instid0(SALU_CYCLE_1)
	s_and_b32 vcc_lo, exec_lo, s41
	s_cbranch_vccz .LBB77_117
; %bb.114:
	s_cmp_eq_u32 s27, 11
	s_cbranch_scc0 .LBB77_116
; %bb.115:
	global_load_u8 v1, v[8:9], off
	s_mov_b32 s26, 0
	s_mov_b32 s40, -1
	s_wait_loadcnt 0x0
	v_cmp_ne_u16_e32 vcc_lo, 0, v1
	v_cndmask_b32_e64 v2, 0, 1.0, vcc_lo
	s_branch .LBB77_117
.LBB77_116:
	s_mov_b32 s26, -1
                                        ; implicit-def: $vgpr2
.LBB77_117:
	s_branch .LBB77_21
.LBB77_118:
	s_and_b32 s0, 0xffff, s0
	s_delay_alu instid0(SALU_CYCLE_1)
	s_cmp_lt_i32 s0, 5
	s_cbranch_scc1 .LBB77_123
; %bb.119:
	s_cmp_lt_i32 s0, 8
	s_cbranch_scc1 .LBB77_124
; %bb.120:
	;; [unrolled: 3-line block ×3, first 2 shown]
	s_cmp_gt_i32 s0, 9
	s_cbranch_scc0 .LBB77_126
; %bb.122:
	global_load_b64 v[2:3], v[8:9], off
	s_mov_b32 s27, 0
	s_wait_loadcnt 0x0
	v_cvt_f32_f64_e32 v2, v[2:3]
	s_branch .LBB77_127
.LBB77_123:
                                        ; implicit-def: $vgpr2
	s_branch .LBB77_145
.LBB77_124:
	s_mov_b32 s27, -1
                                        ; implicit-def: $vgpr2
	s_branch .LBB77_133
.LBB77_125:
	s_mov_b32 s27, -1
                                        ; implicit-def: $vgpr2
	s_branch .LBB77_130
.LBB77_126:
	s_mov_b32 s27, -1
                                        ; implicit-def: $vgpr2
.LBB77_127:
	s_delay_alu instid0(SALU_CYCLE_1)
	s_and_not1_b32 vcc_lo, exec_lo, s27
	s_cbranch_vccnz .LBB77_129
; %bb.128:
	global_load_b32 v2, v[8:9], off
.LBB77_129:
	s_mov_b32 s27, 0
.LBB77_130:
	s_delay_alu instid0(SALU_CYCLE_1)
	s_and_not1_b32 vcc_lo, exec_lo, s27
	s_cbranch_vccnz .LBB77_132
; %bb.131:
	global_load_b32 v1, v[8:9], off
	s_wait_loadcnt 0x0
	v_cvt_f32_f16_e32 v2, v1
.LBB77_132:
	s_mov_b32 s27, 0
.LBB77_133:
	s_delay_alu instid0(SALU_CYCLE_1)
	s_and_not1_b32 vcc_lo, exec_lo, s27
	s_cbranch_vccnz .LBB77_144
; %bb.134:
	s_cmp_lt_i32 s0, 6
	s_cbranch_scc1 .LBB77_137
; %bb.135:
	s_cmp_gt_i32 s0, 6
	s_cbranch_scc0 .LBB77_138
; %bb.136:
	s_wait_loadcnt 0x0
	global_load_b64 v[2:3], v[8:9], off
	s_mov_b32 s27, 0
	s_wait_loadcnt 0x0
	v_cvt_f32_f64_e32 v2, v[2:3]
	s_branch .LBB77_139
.LBB77_137:
	s_mov_b32 s27, -1
                                        ; implicit-def: $vgpr2
	s_branch .LBB77_142
.LBB77_138:
	s_mov_b32 s27, -1
                                        ; implicit-def: $vgpr2
.LBB77_139:
	s_delay_alu instid0(SALU_CYCLE_1)
	s_and_not1_b32 vcc_lo, exec_lo, s27
	s_cbranch_vccnz .LBB77_141
; %bb.140:
	s_wait_loadcnt 0x0
	global_load_b32 v2, v[8:9], off
.LBB77_141:
	s_mov_b32 s27, 0
.LBB77_142:
	s_delay_alu instid0(SALU_CYCLE_1)
	s_and_not1_b32 vcc_lo, exec_lo, s27
	s_cbranch_vccnz .LBB77_144
; %bb.143:
	global_load_u16 v1, v[8:9], off
	s_wait_loadcnt 0x0
	v_cvt_f32_f16_e32 v2, v1
.LBB77_144:
	s_cbranch_execnz .LBB77_164
.LBB77_145:
	s_cmp_lt_i32 s0, 2
	s_cbranch_scc1 .LBB77_149
; %bb.146:
	s_cmp_lt_i32 s0, 3
	s_cbranch_scc1 .LBB77_150
; %bb.147:
	s_cmp_gt_i32 s0, 3
	s_cbranch_scc0 .LBB77_151
; %bb.148:
	s_wait_loadcnt 0x0
	global_load_b64 v[2:3], v[8:9], off
	s_mov_b32 s27, 0
	s_wait_loadcnt 0x0
	v_xor_b32_e32 v1, v2, v3
	v_cls_i32_e32 v5, v3
	s_delay_alu instid0(VALU_DEP_2) | instskip(NEXT) | instid1(VALU_DEP_1)
	v_ashrrev_i32_e32 v1, 31, v1
	v_add_nc_u32_e32 v1, 32, v1
	s_delay_alu instid0(VALU_DEP_1) | instskip(NEXT) | instid1(VALU_DEP_1)
	v_add_min_u32_e64 v1, v5, -1, v1
	v_lshlrev_b64_e32 v[2:3], v1, v[2:3]
	v_sub_nc_u32_e32 v1, 32, v1
	s_delay_alu instid0(VALU_DEP_2) | instskip(NEXT) | instid1(VALU_DEP_1)
	v_min_u32_e32 v2, 1, v2
	v_or_b32_e32 v2, v3, v2
	s_delay_alu instid0(VALU_DEP_1) | instskip(NEXT) | instid1(VALU_DEP_1)
	v_cvt_f32_i32_e32 v2, v2
	v_ldexp_f32 v2, v2, v1
	s_branch .LBB77_152
.LBB77_149:
	s_mov_b32 s27, -1
                                        ; implicit-def: $vgpr2
	s_branch .LBB77_158
.LBB77_150:
	s_mov_b32 s27, -1
                                        ; implicit-def: $vgpr2
	s_branch .LBB77_155
.LBB77_151:
	s_mov_b32 s27, -1
                                        ; implicit-def: $vgpr2
.LBB77_152:
	s_delay_alu instid0(SALU_CYCLE_1)
	s_and_not1_b32 vcc_lo, exec_lo, s27
	s_cbranch_vccnz .LBB77_154
; %bb.153:
	global_load_b32 v1, v[8:9], off
	s_wait_loadcnt 0x0
	v_cvt_f32_i32_e32 v2, v1
.LBB77_154:
	s_mov_b32 s27, 0
.LBB77_155:
	s_delay_alu instid0(SALU_CYCLE_1)
	s_and_not1_b32 vcc_lo, exec_lo, s27
	s_cbranch_vccnz .LBB77_157
; %bb.156:
	global_load_i16 v1, v[8:9], off
	s_wait_loadcnt 0x0
	v_cvt_f32_i32_e32 v2, v1
.LBB77_157:
	s_mov_b32 s27, 0
.LBB77_158:
	s_delay_alu instid0(SALU_CYCLE_1)
	s_and_not1_b32 vcc_lo, exec_lo, s27
	s_cbranch_vccnz .LBB77_164
; %bb.159:
	s_cmp_gt_i32 s0, 0
	s_mov_b32 s0, 0
	s_cbranch_scc0 .LBB77_161
; %bb.160:
	global_load_i8 v1, v[8:9], off
	s_wait_loadcnt 0x0
	v_cvt_f32_i32_e32 v2, v1
	s_branch .LBB77_162
.LBB77_161:
	s_mov_b32 s0, -1
                                        ; implicit-def: $vgpr2
.LBB77_162:
	s_delay_alu instid0(SALU_CYCLE_1)
	s_and_not1_b32 vcc_lo, exec_lo, s0
	s_cbranch_vccnz .LBB77_164
; %bb.163:
	global_load_u8 v1, v[8:9], off
	s_wait_loadcnt 0x0
	v_cvt_f32_ubyte0_e32 v2, v1
.LBB77_164:
	s_branch .LBB77_22
.LBB77_165:
	s_mov_b32 s0, 0
	s_mov_b32 s27, 0
	s_branch .LBB77_393
.LBB77_166:
	s_mov_b32 s27, -1
.LBB77_167:
	s_mov_b32 s41, 0
                                        ; implicit-def: $vgpr1
.LBB77_168:
	s_and_b32 vcc_lo, exec_lo, s42
	s_cbranch_vccz .LBB77_283
; %bb.169:
	s_cmp_eq_u32 s40, 44
	s_cbranch_scc0 .LBB77_282
; %bb.170:
	global_load_u8 v1, v[6:7], off
	s_mov_b32 s27, 0
	s_mov_b32 s41, -1
	s_wait_loadcnt 0x0
	v_lshlrev_b32_e32 v3, 23, v1
	v_cmp_ne_u32_e32 vcc_lo, 0xff, v1
	s_delay_alu instid0(VALU_DEP_2) | instskip(SKIP_1) | instid1(VALU_DEP_2)
	v_cndmask_b32_e32 v3, 0x7f800001, v3, vcc_lo
	v_cmp_ne_u32_e32 vcc_lo, 0, v1
	v_cndmask_b32_e32 v1, 0x400000, v3, vcc_lo
	s_branch .LBB77_283
.LBB77_171:
	s_mov_b32 s44, -1
	s_mov_b32 s0, 0
	s_mov_b32 s42, 0
.LBB77_172:
	s_and_b32 vcc_lo, exec_lo, s44
	s_cbranch_vccz .LBB77_177
; %bb.173:
	s_cmp_eq_u32 s41, 44
	s_mov_b32 s0, -1
	s_cbranch_scc0 .LBB77_177
; %bb.174:
	v_bfe_u32 v3, v2, 23, 8
	s_wait_xcnt 0x0
	v_mov_b32_e32 v1, 0xff
	s_mov_b32 s42, exec_lo
	s_delay_alu instid0(VALU_DEP_2)
	v_cmpx_ne_u32_e32 0xff, v3
	s_cbranch_execz .LBB77_176
; %bb.175:
	v_and_b32_e32 v1, 0x400000, v2
	v_and_or_b32 v3, 0x3fffff, v2, v3
	s_delay_alu instid0(VALU_DEP_2) | instskip(NEXT) | instid1(VALU_DEP_2)
	v_cmp_ne_u32_e32 vcc_lo, 0, v1
	v_cmp_ne_u32_e64 s0, 0, v3
	v_lshrrev_b32_e32 v1, 23, v2
	s_and_b32 s0, vcc_lo, s0
	s_delay_alu instid0(SALU_CYCLE_1) | instskip(NEXT) | instid1(VALU_DEP_1)
	v_cndmask_b32_e64 v3, 0, 1, s0
	v_add_nc_u32_e32 v1, v1, v3
.LBB77_176:
	s_or_b32 exec_lo, exec_lo, s42
	s_mov_b32 s42, -1
	s_mov_b32 s0, 0
	global_store_b8 v[4:5], v1, off
.LBB77_177:
	s_mov_b32 s44, 0
.LBB77_178:
	s_delay_alu instid0(SALU_CYCLE_1)
	s_and_b32 vcc_lo, exec_lo, s44
	s_cbranch_vccz .LBB77_181
; %bb.179:
	s_cmp_eq_u32 s41, 29
	s_mov_b32 s0, -1
	s_cbranch_scc0 .LBB77_181
; %bb.180:
	s_wait_xcnt 0x0
	v_trunc_f32_e32 v1, v2
	s_mov_b32 s42, -1
	s_mov_b32 s0, 0
	s_mov_b32 s44, 0
	s_delay_alu instid0(VALU_DEP_1) | instskip(NEXT) | instid1(VALU_DEP_1)
	v_mul_f32_e32 v3, 0x2f800000, v1
	v_floor_f32_e32 v3, v3
	s_delay_alu instid0(VALU_DEP_1) | instskip(SKIP_1) | instid1(VALU_DEP_2)
	v_fmamk_f32 v1, v3, 0xcf800000, v1
	v_cvt_u32_f32_e32 v7, v3
	v_cvt_u32_f32_e32 v6, v1
	global_store_b64 v[4:5], v[6:7], off
	s_branch .LBB77_182
.LBB77_181:
	s_mov_b32 s44, 0
.LBB77_182:
	s_delay_alu instid0(SALU_CYCLE_1)
	s_and_b32 vcc_lo, exec_lo, s44
	s_cbranch_vccz .LBB77_198
; %bb.183:
	s_cmp_lt_i32 s41, 27
	s_mov_b32 s42, -1
	s_cbranch_scc1 .LBB77_189
; %bb.184:
	s_wait_xcnt 0x0
	v_cvt_u32_f32_e32 v1, v2
	s_cmp_gt_i32 s41, 27
	s_cbranch_scc0 .LBB77_186
; %bb.185:
	s_mov_b32 s42, 0
	global_store_b32 v[4:5], v1, off
.LBB77_186:
	s_and_not1_b32 vcc_lo, exec_lo, s42
	s_cbranch_vccnz .LBB77_188
; %bb.187:
	global_store_b16 v[4:5], v1, off
.LBB77_188:
	s_mov_b32 s42, 0
.LBB77_189:
	s_delay_alu instid0(SALU_CYCLE_1)
	s_and_not1_b32 vcc_lo, exec_lo, s42
	s_cbranch_vccnz .LBB77_197
; %bb.190:
	s_wait_xcnt 0x0
	v_and_b32_e32 v1, 0x7fffffff, v2
	v_mov_b32_e32 v3, 0x80
	s_mov_b32 s42, exec_lo
	s_delay_alu instid0(VALU_DEP_2)
	v_cmpx_gt_u32_e32 0x43800000, v1
	s_cbranch_execz .LBB77_196
; %bb.191:
	v_cmp_lt_u32_e32 vcc_lo, 0x3bffffff, v1
	s_mov_b32 s44, 0
                                        ; implicit-def: $vgpr1
	s_and_saveexec_b32 s45, vcc_lo
	s_delay_alu instid0(SALU_CYCLE_1)
	s_xor_b32 s45, exec_lo, s45
	s_cbranch_execz .LBB77_435
; %bb.192:
	v_bfe_u32 v1, v2, 20, 1
	s_mov_b32 s44, exec_lo
	s_delay_alu instid0(VALU_DEP_1) | instskip(NEXT) | instid1(VALU_DEP_1)
	v_add3_u32 v1, v2, v1, 0x487ffff
	v_lshrrev_b32_e32 v1, 20, v1
	s_and_not1_saveexec_b32 s45, s45
	s_cbranch_execnz .LBB77_436
.LBB77_193:
	s_or_b32 exec_lo, exec_lo, s45
	v_mov_b32_e32 v3, 0
	s_and_saveexec_b32 s45, s44
.LBB77_194:
	v_lshrrev_b32_e32 v3, 24, v2
	s_delay_alu instid0(VALU_DEP_1)
	v_and_or_b32 v3, 0x80, v3, v1
.LBB77_195:
	s_or_b32 exec_lo, exec_lo, s45
.LBB77_196:
	s_delay_alu instid0(SALU_CYCLE_1)
	s_or_b32 exec_lo, exec_lo, s42
	global_store_b8 v[4:5], v3, off
.LBB77_197:
	s_mov_b32 s42, -1
.LBB77_198:
	s_mov_b32 s44, 0
.LBB77_199:
	s_delay_alu instid0(SALU_CYCLE_1)
	s_and_b32 vcc_lo, exec_lo, s44
	s_cbranch_vccz .LBB77_240
; %bb.200:
	s_cmp_gt_i32 s41, 22
	s_mov_b32 s44, -1
	s_cbranch_scc0 .LBB77_232
; %bb.201:
	s_cmp_lt_i32 s41, 24
	s_mov_b32 s42, -1
	s_cbranch_scc1 .LBB77_221
; %bb.202:
	s_cmp_gt_i32 s41, 24
	s_cbranch_scc0 .LBB77_210
; %bb.203:
	s_wait_xcnt 0x0
	v_and_b32_e32 v1, 0x7fffffff, v2
	v_mov_b32_e32 v3, 0x80
	s_mov_b32 s42, exec_lo
	s_delay_alu instid0(VALU_DEP_2)
	v_cmpx_gt_u32_e32 0x47800000, v1
	s_cbranch_execz .LBB77_209
; %bb.204:
	v_cmp_lt_u32_e32 vcc_lo, 0x37ffffff, v1
	s_mov_b32 s44, 0
                                        ; implicit-def: $vgpr1
	s_and_saveexec_b32 s45, vcc_lo
	s_delay_alu instid0(SALU_CYCLE_1)
	s_xor_b32 s45, exec_lo, s45
	s_cbranch_execz .LBB77_554
; %bb.205:
	v_bfe_u32 v1, v2, 21, 1
	s_mov_b32 s44, exec_lo
	s_delay_alu instid0(VALU_DEP_1) | instskip(NEXT) | instid1(VALU_DEP_1)
	v_add3_u32 v1, v2, v1, 0x88fffff
	v_lshrrev_b32_e32 v1, 21, v1
	s_and_not1_saveexec_b32 s45, s45
	s_cbranch_execnz .LBB77_555
.LBB77_206:
	s_or_b32 exec_lo, exec_lo, s45
	v_mov_b32_e32 v3, 0
	s_and_saveexec_b32 s45, s44
.LBB77_207:
	v_lshrrev_b32_e32 v3, 24, v2
	s_delay_alu instid0(VALU_DEP_1)
	v_and_or_b32 v3, 0x80, v3, v1
.LBB77_208:
	s_or_b32 exec_lo, exec_lo, s45
.LBB77_209:
	s_delay_alu instid0(SALU_CYCLE_1)
	s_or_b32 exec_lo, exec_lo, s42
	s_mov_b32 s42, 0
	global_store_b8 v[4:5], v3, off
.LBB77_210:
	s_and_b32 vcc_lo, exec_lo, s42
	s_cbranch_vccz .LBB77_220
; %bb.211:
	s_wait_xcnt 0x0
	v_and_b32_e32 v3, 0x7fffffff, v2
	s_mov_b32 s42, exec_lo
                                        ; implicit-def: $vgpr1
	s_delay_alu instid0(VALU_DEP_1)
	v_cmpx_gt_u32_e32 0x43f00000, v3
	s_xor_b32 s42, exec_lo, s42
	s_cbranch_execz .LBB77_217
; %bb.212:
	s_mov_b32 s44, exec_lo
                                        ; implicit-def: $vgpr1
	v_cmpx_lt_u32_e32 0x3c7fffff, v3
	s_xor_b32 s44, exec_lo, s44
; %bb.213:
	v_bfe_u32 v1, v2, 20, 1
	s_delay_alu instid0(VALU_DEP_1) | instskip(NEXT) | instid1(VALU_DEP_1)
	v_add3_u32 v1, v2, v1, 0x407ffff
	v_and_b32_e32 v3, 0xff00000, v1
	v_lshrrev_b32_e32 v1, 20, v1
	s_delay_alu instid0(VALU_DEP_2) | instskip(NEXT) | instid1(VALU_DEP_2)
	v_cmp_ne_u32_e32 vcc_lo, 0x7f00000, v3
	v_cndmask_b32_e32 v1, 0x7e, v1, vcc_lo
; %bb.214:
	s_and_not1_saveexec_b32 s44, s44
; %bb.215:
	v_add_f32_e64 v1, 0x46800000, |v2|
; %bb.216:
	s_or_b32 exec_lo, exec_lo, s44
                                        ; implicit-def: $vgpr3
.LBB77_217:
	s_and_not1_saveexec_b32 s42, s42
; %bb.218:
	v_mov_b32_e32 v1, 0x7f
	v_cmp_lt_u32_e32 vcc_lo, 0x7f800000, v3
	s_delay_alu instid0(VALU_DEP_2)
	v_cndmask_b32_e32 v1, 0x7e, v1, vcc_lo
; %bb.219:
	s_or_b32 exec_lo, exec_lo, s42
	v_lshrrev_b32_e32 v3, 24, v2
	s_delay_alu instid0(VALU_DEP_1)
	v_and_or_b32 v1, 0x80, v3, v1
	global_store_b8 v[4:5], v1, off
.LBB77_220:
	s_mov_b32 s42, 0
.LBB77_221:
	s_delay_alu instid0(SALU_CYCLE_1)
	s_and_not1_b32 vcc_lo, exec_lo, s42
	s_cbranch_vccnz .LBB77_231
; %bb.222:
	s_wait_xcnt 0x0
	v_and_b32_e32 v3, 0x7fffffff, v2
	s_mov_b32 s42, exec_lo
                                        ; implicit-def: $vgpr1
	s_delay_alu instid0(VALU_DEP_1)
	v_cmpx_gt_u32_e32 0x47800000, v3
	s_xor_b32 s42, exec_lo, s42
	s_cbranch_execz .LBB77_228
; %bb.223:
	s_mov_b32 s44, exec_lo
                                        ; implicit-def: $vgpr1
	v_cmpx_lt_u32_e32 0x387fffff, v3
	s_xor_b32 s44, exec_lo, s44
; %bb.224:
	v_bfe_u32 v1, v2, 21, 1
	s_delay_alu instid0(VALU_DEP_1) | instskip(NEXT) | instid1(VALU_DEP_1)
	v_add3_u32 v1, v2, v1, 0x80fffff
	v_lshrrev_b32_e32 v1, 21, v1
; %bb.225:
	s_and_not1_saveexec_b32 s44, s44
; %bb.226:
	v_add_f32_e64 v1, 0x43000000, |v2|
; %bb.227:
	s_or_b32 exec_lo, exec_lo, s44
                                        ; implicit-def: $vgpr3
.LBB77_228:
	s_and_not1_saveexec_b32 s42, s42
; %bb.229:
	v_mov_b32_e32 v1, 0x7f
	v_cmp_lt_u32_e32 vcc_lo, 0x7f800000, v3
	s_delay_alu instid0(VALU_DEP_2)
	v_cndmask_b32_e32 v1, 0x7c, v1, vcc_lo
; %bb.230:
	s_or_b32 exec_lo, exec_lo, s42
	v_lshrrev_b32_e32 v3, 24, v2
	s_delay_alu instid0(VALU_DEP_1)
	v_and_or_b32 v1, 0x80, v3, v1
	global_store_b8 v[4:5], v1, off
.LBB77_231:
	s_mov_b32 s44, 0
	s_mov_b32 s42, -1
.LBB77_232:
	s_and_not1_b32 vcc_lo, exec_lo, s44
	s_cbranch_vccnz .LBB77_240
; %bb.233:
	s_cmp_gt_i32 s41, 14
	s_mov_b32 s44, -1
	s_cbranch_scc0 .LBB77_237
; %bb.234:
	s_cmp_eq_u32 s41, 15
	s_mov_b32 s0, -1
	s_cbranch_scc0 .LBB77_236
; %bb.235:
	s_wait_xcnt 0x0
	v_bfe_u32 v1, v2, 16, 1
	v_cmp_o_f32_e32 vcc_lo, v2, v2
	s_mov_b32 s42, -1
	s_mov_b32 s0, 0
	s_delay_alu instid0(VALU_DEP_2) | instskip(NEXT) | instid1(VALU_DEP_1)
	v_add3_u32 v1, v2, v1, 0x7fff
	v_lshrrev_b32_e32 v1, 16, v1
	s_delay_alu instid0(VALU_DEP_1)
	v_cndmask_b32_e32 v1, 0x7fc0, v1, vcc_lo
	global_store_b16 v[4:5], v1, off
.LBB77_236:
	s_mov_b32 s44, 0
.LBB77_237:
	s_delay_alu instid0(SALU_CYCLE_1)
	s_and_b32 vcc_lo, exec_lo, s44
	s_cbranch_vccz .LBB77_240
; %bb.238:
	s_cmp_eq_u32 s41, 11
	s_mov_b32 s0, -1
	s_cbranch_scc0 .LBB77_240
; %bb.239:
	v_cmp_neq_f32_e32 vcc_lo, 0, v2
	s_mov_b32 s0, 0
	s_mov_b32 s42, -1
	s_wait_xcnt 0x0
	v_cndmask_b32_e64 v1, 0, 1, vcc_lo
	global_store_b8 v[4:5], v1, off
.LBB77_240:
	s_mov_b32 s41, 0
.LBB77_241:
	s_delay_alu instid0(SALU_CYCLE_1)
	s_and_b32 vcc_lo, exec_lo, s41
	s_cbranch_vccz .LBB77_280
; %bb.242:
	s_and_b32 s40, 0xffff, s40
	s_mov_b32 s41, -1
	s_cmp_lt_i32 s40, 5
	s_cbranch_scc1 .LBB77_263
; %bb.243:
	s_cmp_lt_i32 s40, 8
	s_cbranch_scc1 .LBB77_253
; %bb.244:
	;; [unrolled: 3-line block ×3, first 2 shown]
	s_cmp_gt_i32 s40, 9
	s_cbranch_scc0 .LBB77_247
; %bb.246:
	s_wait_xcnt 0x0
	v_cvt_f64_f32_e32 v[6:7], v2
	v_mov_b32_e32 v8, 0
	s_mov_b32 s41, 0
	s_delay_alu instid0(VALU_DEP_1)
	v_mov_b32_e32 v9, v8
	global_store_b128 v[4:5], v[6:9], off
.LBB77_247:
	s_and_not1_b32 vcc_lo, exec_lo, s41
	s_cbranch_vccnz .LBB77_249
; %bb.248:
	s_wait_xcnt 0x0
	v_mov_b32_e32 v3, 0
	global_store_b64 v[4:5], v[2:3], off
.LBB77_249:
	s_mov_b32 s41, 0
.LBB77_250:
	s_delay_alu instid0(SALU_CYCLE_1)
	s_and_not1_b32 vcc_lo, exec_lo, s41
	s_cbranch_vccnz .LBB77_252
; %bb.251:
	s_wait_xcnt 0x0
	v_cvt_f16_f32_e32 v1, v2
	s_delay_alu instid0(VALU_DEP_1)
	v_and_b32_e32 v1, 0xffff, v1
	global_store_b32 v[4:5], v1, off
.LBB77_252:
	s_mov_b32 s41, 0
.LBB77_253:
	s_delay_alu instid0(SALU_CYCLE_1)
	s_and_not1_b32 vcc_lo, exec_lo, s41
	s_cbranch_vccnz .LBB77_262
; %bb.254:
	s_cmp_lt_i32 s40, 6
	s_mov_b32 s41, -1
	s_cbranch_scc1 .LBB77_260
; %bb.255:
	s_cmp_gt_i32 s40, 6
	s_cbranch_scc0 .LBB77_257
; %bb.256:
	s_wait_xcnt 0x0
	v_cvt_f64_f32_e32 v[6:7], v2
	s_mov_b32 s41, 0
	global_store_b64 v[4:5], v[6:7], off
.LBB77_257:
	s_and_not1_b32 vcc_lo, exec_lo, s41
	s_cbranch_vccnz .LBB77_259
; %bb.258:
	global_store_b32 v[4:5], v2, off
.LBB77_259:
	s_mov_b32 s41, 0
.LBB77_260:
	s_delay_alu instid0(SALU_CYCLE_1)
	s_and_not1_b32 vcc_lo, exec_lo, s41
	s_cbranch_vccnz .LBB77_262
; %bb.261:
	s_wait_xcnt 0x0
	v_cvt_f16_f32_e32 v1, v2
	global_store_b16 v[4:5], v1, off
.LBB77_262:
	s_mov_b32 s41, 0
.LBB77_263:
	s_delay_alu instid0(SALU_CYCLE_1)
	s_and_not1_b32 vcc_lo, exec_lo, s41
	s_cbranch_vccnz .LBB77_279
; %bb.264:
	s_cmp_lt_i32 s40, 2
	s_mov_b32 s41, -1
	s_cbranch_scc1 .LBB77_274
; %bb.265:
	s_cmp_lt_i32 s40, 3
	s_cbranch_scc1 .LBB77_271
; %bb.266:
	s_cmp_gt_i32 s40, 3
	s_cbranch_scc0 .LBB77_268
; %bb.267:
	s_wait_xcnt 0x0
	v_trunc_f32_e32 v1, v2
	s_mov_b32 s41, 0
	s_delay_alu instid0(VALU_DEP_1) | instskip(SKIP_1) | instid1(VALU_DEP_2)
	v_mul_f32_e64 v3, 0x2f800000, |v1|
	v_ashrrev_i32_e32 v6, 31, v1
	v_floor_f32_e32 v3, v3
	s_delay_alu instid0(VALU_DEP_1) | instskip(SKIP_1) | instid1(VALU_DEP_2)
	v_fma_f32 v7, 0xcf800000, v3, |v1|
	v_cvt_u32_f32_e32 v1, v3
	v_cvt_u32_f32_e32 v3, v7
	s_delay_alu instid0(VALU_DEP_2) | instskip(NEXT) | instid1(VALU_DEP_2)
	v_dual_mov_b32 v7, v6 :: v_dual_bitop2_b32 v9, v1, v6 bitop3:0x14
	v_xor_b32_e32 v8, v3, v6
	s_delay_alu instid0(VALU_DEP_1)
	v_sub_nc_u64_e32 v[6:7], v[8:9], v[6:7]
	global_store_b64 v[4:5], v[6:7], off
.LBB77_268:
	s_and_not1_b32 vcc_lo, exec_lo, s41
	s_cbranch_vccnz .LBB77_270
; %bb.269:
	s_wait_xcnt 0x0
	v_cvt_i32_f32_e32 v1, v2
	global_store_b32 v[4:5], v1, off
.LBB77_270:
	s_mov_b32 s41, 0
.LBB77_271:
	s_delay_alu instid0(SALU_CYCLE_1)
	s_and_not1_b32 vcc_lo, exec_lo, s41
	s_cbranch_vccnz .LBB77_273
; %bb.272:
	s_wait_xcnt 0x0
	v_cvt_i32_f32_e32 v1, v2
	global_store_b16 v[4:5], v1, off
.LBB77_273:
	s_mov_b32 s41, 0
.LBB77_274:
	s_delay_alu instid0(SALU_CYCLE_1)
	s_and_not1_b32 vcc_lo, exec_lo, s41
	s_cbranch_vccnz .LBB77_279
; %bb.275:
	s_cmp_gt_i32 s40, 0
	s_mov_b32 s40, -1
	s_cbranch_scc0 .LBB77_277
; %bb.276:
	s_wait_xcnt 0x0
	v_cvt_i32_f32_e32 v1, v2
	s_mov_b32 s40, 0
	global_store_b8 v[4:5], v1, off
.LBB77_277:
	s_and_not1_b32 vcc_lo, exec_lo, s40
	s_cbranch_vccnz .LBB77_279
; %bb.278:
	s_wait_xcnt 0x0
	v_trunc_f32_e32 v1, v2
	s_delay_alu instid0(VALU_DEP_1) | instskip(NEXT) | instid1(VALU_DEP_1)
	v_mul_f32_e64 v2, 0x2f800000, |v1|
	v_floor_f32_e32 v2, v2
	s_delay_alu instid0(VALU_DEP_1) | instskip(SKIP_1) | instid1(VALU_DEP_2)
	v_fma_f32 v2, 0xcf800000, v2, |v1|
	v_ashrrev_i32_e32 v1, 31, v1
	v_cvt_u32_f32_e32 v2, v2
	s_delay_alu instid0(VALU_DEP_1) | instskip(NEXT) | instid1(VALU_DEP_1)
	v_xor_b32_e32 v2, v2, v1
	v_sub_nc_u32_e32 v1, v2, v1
	global_store_b8 v[4:5], v1, off
.LBB77_279:
	s_mov_b32 s42, -1
.LBB77_280:
	s_delay_alu instid0(SALU_CYCLE_1)
	s_and_not1_b32 vcc_lo, exec_lo, s42
	s_cbranch_vccnz .LBB77_393
; %bb.281:
	v_add_nc_u32_e32 v0, 0x80, v0
	s_mov_b32 s44, -1
	s_branch .LBB77_394
.LBB77_282:
	s_mov_b32 s27, -1
                                        ; implicit-def: $vgpr1
.LBB77_283:
	s_mov_b32 s42, 0
.LBB77_284:
	s_delay_alu instid0(SALU_CYCLE_1)
	s_and_b32 vcc_lo, exec_lo, s42
	s_cbranch_vccz .LBB77_288
; %bb.285:
	s_cmp_eq_u32 s40, 29
	s_cbranch_scc0 .LBB77_287
; %bb.286:
	global_load_b64 v[8:9], v[6:7], off
	s_mov_b32 s41, -1
	s_mov_b32 s27, 0
	s_mov_b32 s42, 0
	s_wait_loadcnt 0x0
	v_clz_i32_u32_e32 v1, v9
	s_delay_alu instid0(VALU_DEP_1) | instskip(NEXT) | instid1(VALU_DEP_1)
	v_min_u32_e32 v1, 32, v1
	v_lshlrev_b64_e32 v[8:9], v1, v[8:9]
	v_sub_nc_u32_e32 v1, 32, v1
	s_delay_alu instid0(VALU_DEP_2) | instskip(NEXT) | instid1(VALU_DEP_1)
	v_min_u32_e32 v3, 1, v8
	v_or_b32_e32 v3, v9, v3
	s_delay_alu instid0(VALU_DEP_1) | instskip(NEXT) | instid1(VALU_DEP_1)
	v_cvt_f32_u32_e32 v3, v3
	v_ldexp_f32 v1, v3, v1
	s_branch .LBB77_289
.LBB77_287:
	s_mov_b32 s27, -1
                                        ; implicit-def: $vgpr1
.LBB77_288:
	s_mov_b32 s42, 0
.LBB77_289:
	s_delay_alu instid0(SALU_CYCLE_1)
	s_and_b32 vcc_lo, exec_lo, s42
	s_cbranch_vccz .LBB77_307
; %bb.290:
	s_cmp_lt_i32 s40, 27
	s_cbranch_scc1 .LBB77_293
; %bb.291:
	s_cmp_gt_i32 s40, 27
	s_cbranch_scc0 .LBB77_294
; %bb.292:
	global_load_b32 v1, v[6:7], off
	s_mov_b32 s41, 0
	s_wait_loadcnt 0x0
	v_cvt_f32_u32_e32 v1, v1
	s_branch .LBB77_295
.LBB77_293:
	s_mov_b32 s41, -1
                                        ; implicit-def: $vgpr1
	s_branch .LBB77_298
.LBB77_294:
	s_mov_b32 s41, -1
                                        ; implicit-def: $vgpr1
.LBB77_295:
	s_delay_alu instid0(SALU_CYCLE_1)
	s_and_not1_b32 vcc_lo, exec_lo, s41
	s_cbranch_vccnz .LBB77_297
; %bb.296:
	global_load_u16 v1, v[6:7], off
	s_wait_loadcnt 0x0
	v_cvt_f32_u32_e32 v1, v1
.LBB77_297:
	s_mov_b32 s41, 0
.LBB77_298:
	s_delay_alu instid0(SALU_CYCLE_1)
	s_and_not1_b32 vcc_lo, exec_lo, s41
	s_cbranch_vccnz .LBB77_306
; %bb.299:
	global_load_u8 v3, v[6:7], off
	s_mov_b32 s41, 0
	s_mov_b32 s42, exec_lo
	s_wait_loadcnt 0x0
	v_cmpx_lt_i16_e32 0x7f, v3
	s_xor_b32 s42, exec_lo, s42
	s_cbranch_execz .LBB77_320
; %bb.300:
	s_mov_b32 s41, -1
	s_mov_b32 s44, exec_lo
	v_cmpx_eq_u16_e32 0x80, v3
; %bb.301:
	s_xor_b32 s41, exec_lo, -1
; %bb.302:
	s_or_b32 exec_lo, exec_lo, s44
	s_delay_alu instid0(SALU_CYCLE_1)
	s_and_b32 s41, s41, exec_lo
	s_or_saveexec_b32 s42, s42
	v_mov_b32_e32 v1, 0x7f800001
	s_xor_b32 exec_lo, exec_lo, s42
	s_cbranch_execnz .LBB77_321
.LBB77_303:
	s_or_b32 exec_lo, exec_lo, s42
	s_and_saveexec_b32 s42, s41
	s_cbranch_execz .LBB77_305
.LBB77_304:
	v_and_b32_e32 v1, 0xffff, v3
	s_delay_alu instid0(VALU_DEP_1) | instskip(SKIP_1) | instid1(VALU_DEP_2)
	v_and_b32_e32 v5, 7, v1
	v_bfe_u32 v10, v1, 3, 4
	v_clz_i32_u32_e32 v8, v5
	s_delay_alu instid0(VALU_DEP_2) | instskip(NEXT) | instid1(VALU_DEP_2)
	v_cmp_eq_u32_e32 vcc_lo, 0, v10
	v_min_u32_e32 v8, 32, v8
	s_delay_alu instid0(VALU_DEP_1) | instskip(NEXT) | instid1(VALU_DEP_1)
	v_subrev_nc_u32_e32 v9, 28, v8
	v_dual_lshlrev_b32 v1, v9, v1 :: v_dual_sub_nc_u32 v8, 29, v8
	s_delay_alu instid0(VALU_DEP_1) | instskip(NEXT) | instid1(VALU_DEP_1)
	v_dual_lshlrev_b32 v3, 24, v3 :: v_dual_bitop2_b32 v1, 7, v1 bitop3:0x40
	v_dual_cndmask_b32 v8, v10, v8 :: v_dual_cndmask_b32 v1, v5, v1
	s_delay_alu instid0(VALU_DEP_2) | instskip(NEXT) | instid1(VALU_DEP_2)
	v_and_b32_e32 v3, 0x80000000, v3
	v_lshl_add_u32 v5, v8, 23, 0x3b800000
	s_delay_alu instid0(VALU_DEP_3) | instskip(NEXT) | instid1(VALU_DEP_1)
	v_lshlrev_b32_e32 v1, 20, v1
	v_or3_b32 v1, v3, v5, v1
.LBB77_305:
	s_or_b32 exec_lo, exec_lo, s42
.LBB77_306:
	s_mov_b32 s41, -1
.LBB77_307:
	s_mov_b32 s42, 0
.LBB77_308:
	s_delay_alu instid0(SALU_CYCLE_1)
	s_and_b32 vcc_lo, exec_lo, s42
	s_cbranch_vccz .LBB77_343
; %bb.309:
	s_cmp_gt_i32 s40, 22
	s_cbranch_scc0 .LBB77_319
; %bb.310:
	s_cmp_lt_i32 s40, 24
	s_cbranch_scc1 .LBB77_322
; %bb.311:
	s_cmp_gt_i32 s40, 24
	s_cbranch_scc0 .LBB77_323
; %bb.312:
	global_load_u8 v3, v[6:7], off
	s_mov_b32 s41, 0
	s_mov_b32 s42, exec_lo
	s_wait_loadcnt 0x0
	v_cmpx_lt_i16_e32 0x7f, v3
	s_xor_b32 s42, exec_lo, s42
	s_cbranch_execz .LBB77_335
; %bb.313:
	s_mov_b32 s41, -1
	s_mov_b32 s44, exec_lo
	v_cmpx_eq_u16_e32 0x80, v3
; %bb.314:
	s_xor_b32 s41, exec_lo, -1
; %bb.315:
	s_or_b32 exec_lo, exec_lo, s44
	s_delay_alu instid0(SALU_CYCLE_1)
	s_and_b32 s41, s41, exec_lo
	s_or_saveexec_b32 s42, s42
	v_mov_b32_e32 v1, 0x7f800001
	s_xor_b32 exec_lo, exec_lo, s42
	s_cbranch_execnz .LBB77_336
.LBB77_316:
	s_or_b32 exec_lo, exec_lo, s42
	s_and_saveexec_b32 s42, s41
	s_cbranch_execz .LBB77_318
.LBB77_317:
	v_and_b32_e32 v1, 0xffff, v3
	s_delay_alu instid0(VALU_DEP_1) | instskip(SKIP_1) | instid1(VALU_DEP_2)
	v_and_b32_e32 v5, 3, v1
	v_bfe_u32 v10, v1, 2, 5
	v_clz_i32_u32_e32 v8, v5
	s_delay_alu instid0(VALU_DEP_2) | instskip(NEXT) | instid1(VALU_DEP_2)
	v_cmp_eq_u32_e32 vcc_lo, 0, v10
	v_min_u32_e32 v8, 32, v8
	s_delay_alu instid0(VALU_DEP_1) | instskip(NEXT) | instid1(VALU_DEP_1)
	v_subrev_nc_u32_e32 v9, 29, v8
	v_dual_lshlrev_b32 v1, v9, v1 :: v_dual_sub_nc_u32 v8, 30, v8
	s_delay_alu instid0(VALU_DEP_1) | instskip(NEXT) | instid1(VALU_DEP_1)
	v_dual_lshlrev_b32 v3, 24, v3 :: v_dual_bitop2_b32 v1, 3, v1 bitop3:0x40
	v_dual_cndmask_b32 v8, v10, v8 :: v_dual_cndmask_b32 v1, v5, v1
	s_delay_alu instid0(VALU_DEP_2) | instskip(NEXT) | instid1(VALU_DEP_2)
	v_and_b32_e32 v3, 0x80000000, v3
	v_lshl_add_u32 v5, v8, 23, 0x37800000
	s_delay_alu instid0(VALU_DEP_3) | instskip(NEXT) | instid1(VALU_DEP_1)
	v_lshlrev_b32_e32 v1, 21, v1
	v_or3_b32 v1, v3, v5, v1
.LBB77_318:
	s_or_b32 exec_lo, exec_lo, s42
	s_mov_b32 s41, 0
	s_branch .LBB77_324
.LBB77_319:
	s_mov_b32 s42, -1
                                        ; implicit-def: $vgpr1
	s_branch .LBB77_330
.LBB77_320:
	s_or_saveexec_b32 s42, s42
	v_mov_b32_e32 v1, 0x7f800001
	s_xor_b32 exec_lo, exec_lo, s42
	s_cbranch_execz .LBB77_303
.LBB77_321:
	v_cmp_ne_u16_e32 vcc_lo, 0, v3
	v_mov_b32_e32 v1, 0
	s_and_not1_b32 s41, s41, exec_lo
	s_and_b32 s44, vcc_lo, exec_lo
	s_delay_alu instid0(SALU_CYCLE_1)
	s_or_b32 s41, s41, s44
	s_or_b32 exec_lo, exec_lo, s42
	s_and_saveexec_b32 s42, s41
	s_cbranch_execnz .LBB77_304
	s_branch .LBB77_305
.LBB77_322:
	s_mov_b32 s41, -1
                                        ; implicit-def: $vgpr1
	s_branch .LBB77_327
.LBB77_323:
	s_mov_b32 s41, -1
                                        ; implicit-def: $vgpr1
.LBB77_324:
	s_delay_alu instid0(SALU_CYCLE_1)
	s_and_b32 vcc_lo, exec_lo, s41
	s_cbranch_vccz .LBB77_326
; %bb.325:
	global_load_u8 v1, v[6:7], off
	s_wait_loadcnt 0x0
	v_lshlrev_b32_e32 v1, 24, v1
	s_delay_alu instid0(VALU_DEP_1) | instskip(NEXT) | instid1(VALU_DEP_1)
	v_and_b32_e32 v3, 0x7f000000, v1
	v_clz_i32_u32_e32 v5, v3
	v_add_nc_u32_e32 v9, 0x1000000, v3
	v_cmp_ne_u32_e32 vcc_lo, 0, v3
	s_delay_alu instid0(VALU_DEP_3) | instskip(NEXT) | instid1(VALU_DEP_1)
	v_min_u32_e32 v5, 32, v5
	v_sub_nc_u32_e64 v5, v5, 4 clamp
	s_delay_alu instid0(VALU_DEP_1) | instskip(NEXT) | instid1(VALU_DEP_1)
	v_dual_lshlrev_b32 v8, v5, v3 :: v_dual_lshlrev_b32 v5, 23, v5
	v_lshrrev_b32_e32 v8, 4, v8
	s_delay_alu instid0(VALU_DEP_1) | instskip(SKIP_1) | instid1(VALU_DEP_2)
	v_sub_nc_u32_e32 v5, v8, v5
	v_ashrrev_i32_e32 v8, 8, v9
	v_add_nc_u32_e32 v5, 0x3c000000, v5
	s_delay_alu instid0(VALU_DEP_1) | instskip(NEXT) | instid1(VALU_DEP_1)
	v_and_or_b32 v5, 0x7f800000, v8, v5
	v_cndmask_b32_e32 v3, 0, v5, vcc_lo
	s_delay_alu instid0(VALU_DEP_1)
	v_and_or_b32 v1, 0x80000000, v1, v3
.LBB77_326:
	s_mov_b32 s41, 0
.LBB77_327:
	s_delay_alu instid0(SALU_CYCLE_1)
	s_and_not1_b32 vcc_lo, exec_lo, s41
	s_cbranch_vccnz .LBB77_329
; %bb.328:
	global_load_u8 v1, v[6:7], off
	s_wait_loadcnt 0x0
	v_lshlrev_b32_e32 v3, 25, v1
	v_lshlrev_b16 v1, 8, v1
	s_delay_alu instid0(VALU_DEP_1) | instskip(SKIP_1) | instid1(VALU_DEP_2)
	v_and_or_b32 v8, 0x7f00, v1, 0.5
	v_bfe_i32 v1, v1, 0, 16
	v_dual_add_f32 v8, -0.5, v8 :: v_dual_lshrrev_b32 v5, 4, v3
	v_cmp_gt_u32_e32 vcc_lo, 0x8000000, v3
	s_delay_alu instid0(VALU_DEP_2) | instskip(NEXT) | instid1(VALU_DEP_1)
	v_or_b32_e32 v5, 0x70000000, v5
	v_mul_f32_e32 v5, 0x7800000, v5
	s_delay_alu instid0(VALU_DEP_1) | instskip(NEXT) | instid1(VALU_DEP_1)
	v_cndmask_b32_e32 v3, v5, v8, vcc_lo
	v_and_or_b32 v1, 0x80000000, v1, v3
.LBB77_329:
	s_mov_b32 s42, 0
	s_mov_b32 s41, -1
.LBB77_330:
	s_and_not1_b32 vcc_lo, exec_lo, s42
	s_cbranch_vccnz .LBB77_343
; %bb.331:
	s_cmp_gt_i32 s40, 14
	s_cbranch_scc0 .LBB77_334
; %bb.332:
	s_cmp_eq_u32 s40, 15
	s_cbranch_scc0 .LBB77_337
; %bb.333:
	global_load_u16 v1, v[6:7], off
	s_mov_b32 s41, -1
	s_mov_b32 s27, 0
	s_wait_loadcnt 0x0
	v_lshlrev_b32_e32 v1, 16, v1
	s_branch .LBB77_338
.LBB77_334:
	s_mov_b32 s42, -1
                                        ; implicit-def: $vgpr1
	s_branch .LBB77_339
.LBB77_335:
	s_or_saveexec_b32 s42, s42
	v_mov_b32_e32 v1, 0x7f800001
	s_xor_b32 exec_lo, exec_lo, s42
	s_cbranch_execz .LBB77_316
.LBB77_336:
	v_cmp_ne_u16_e32 vcc_lo, 0, v3
	v_mov_b32_e32 v1, 0
	s_and_not1_b32 s41, s41, exec_lo
	s_and_b32 s44, vcc_lo, exec_lo
	s_delay_alu instid0(SALU_CYCLE_1)
	s_or_b32 s41, s41, s44
	s_or_b32 exec_lo, exec_lo, s42
	s_and_saveexec_b32 s42, s41
	s_cbranch_execnz .LBB77_317
	s_branch .LBB77_318
.LBB77_337:
	s_mov_b32 s27, -1
                                        ; implicit-def: $vgpr1
.LBB77_338:
	s_mov_b32 s42, 0
.LBB77_339:
	s_delay_alu instid0(SALU_CYCLE_1)
	s_and_b32 vcc_lo, exec_lo, s42
	s_cbranch_vccz .LBB77_343
; %bb.340:
	s_cmp_eq_u32 s40, 11
	s_cbranch_scc0 .LBB77_342
; %bb.341:
	global_load_u8 v1, v[6:7], off
	s_mov_b32 s27, 0
	s_mov_b32 s41, -1
	s_wait_loadcnt 0x0
	v_cmp_ne_u16_e32 vcc_lo, 0, v1
	v_cndmask_b32_e64 v1, 0, 1.0, vcc_lo
	s_branch .LBB77_343
.LBB77_342:
	s_mov_b32 s27, -1
                                        ; implicit-def: $vgpr1
.LBB77_343:
	s_branch .LBB77_31
.LBB77_344:
	s_and_b32 s0, 0xffff, s0
	s_delay_alu instid0(SALU_CYCLE_1)
	s_cmp_lt_i32 s0, 5
	s_cbranch_scc1 .LBB77_349
; %bb.345:
	s_cmp_lt_i32 s0, 8
	s_cbranch_scc1 .LBB77_350
; %bb.346:
	;; [unrolled: 3-line block ×3, first 2 shown]
	s_cmp_gt_i32 s0, 9
	s_cbranch_scc0 .LBB77_352
; %bb.348:
	global_load_b64 v[8:9], v[6:7], off
	s_mov_b32 s40, 0
	s_wait_loadcnt 0x0
	v_cvt_f32_f64_e32 v1, v[8:9]
	s_branch .LBB77_353
.LBB77_349:
	s_mov_b32 s40, -1
                                        ; implicit-def: $vgpr1
	s_branch .LBB77_371
.LBB77_350:
	s_mov_b32 s40, -1
                                        ; implicit-def: $vgpr1
	s_branch .LBB77_359
.LBB77_351:
	s_mov_b32 s40, -1
                                        ; implicit-def: $vgpr1
	s_branch .LBB77_356
.LBB77_352:
	s_mov_b32 s40, -1
                                        ; implicit-def: $vgpr1
.LBB77_353:
	s_delay_alu instid0(SALU_CYCLE_1)
	s_and_not1_b32 vcc_lo, exec_lo, s40
	s_cbranch_vccnz .LBB77_355
; %bb.354:
	global_load_b32 v1, v[6:7], off
.LBB77_355:
	s_mov_b32 s40, 0
.LBB77_356:
	s_delay_alu instid0(SALU_CYCLE_1)
	s_and_not1_b32 vcc_lo, exec_lo, s40
	s_cbranch_vccnz .LBB77_358
; %bb.357:
	s_wait_loadcnt 0x0
	global_load_b32 v1, v[6:7], off
	s_wait_loadcnt 0x0
	v_cvt_f32_f16_e32 v1, v1
.LBB77_358:
	s_mov_b32 s40, 0
.LBB77_359:
	s_delay_alu instid0(SALU_CYCLE_1)
	s_and_not1_b32 vcc_lo, exec_lo, s40
	s_cbranch_vccnz .LBB77_370
; %bb.360:
	s_cmp_lt_i32 s0, 6
	s_cbranch_scc1 .LBB77_363
; %bb.361:
	s_cmp_gt_i32 s0, 6
	s_cbranch_scc0 .LBB77_364
; %bb.362:
	global_load_b64 v[8:9], v[6:7], off
	s_mov_b32 s40, 0
	s_wait_loadcnt 0x0
	v_cvt_f32_f64_e32 v1, v[8:9]
	s_branch .LBB77_365
.LBB77_363:
	s_mov_b32 s40, -1
                                        ; implicit-def: $vgpr1
	s_branch .LBB77_368
.LBB77_364:
	s_mov_b32 s40, -1
                                        ; implicit-def: $vgpr1
.LBB77_365:
	s_delay_alu instid0(SALU_CYCLE_1)
	s_and_not1_b32 vcc_lo, exec_lo, s40
	s_cbranch_vccnz .LBB77_367
; %bb.366:
	s_wait_loadcnt 0x0
	global_load_b32 v1, v[6:7], off
.LBB77_367:
	s_mov_b32 s40, 0
.LBB77_368:
	s_delay_alu instid0(SALU_CYCLE_1)
	s_and_not1_b32 vcc_lo, exec_lo, s40
	s_cbranch_vccnz .LBB77_370
; %bb.369:
	s_wait_loadcnt 0x0
	global_load_u16 v1, v[6:7], off
	s_wait_loadcnt 0x0
	v_cvt_f32_f16_e32 v1, v1
.LBB77_370:
	s_mov_b32 s40, 0
.LBB77_371:
	s_delay_alu instid0(SALU_CYCLE_1)
	s_and_not1_b32 vcc_lo, exec_lo, s40
	s_cbranch_vccnz .LBB77_391
; %bb.372:
	s_cmp_lt_i32 s0, 2
	s_cbranch_scc1 .LBB77_376
; %bb.373:
	s_cmp_lt_i32 s0, 3
	s_cbranch_scc1 .LBB77_377
; %bb.374:
	s_cmp_gt_i32 s0, 3
	s_cbranch_scc0 .LBB77_378
; %bb.375:
	global_load_b64 v[8:9], v[6:7], off
	s_mov_b32 s40, 0
	s_wait_loadcnt 0x0
	v_xor_b32_e32 v1, v8, v9
	v_cls_i32_e32 v3, v9
	s_delay_alu instid0(VALU_DEP_2) | instskip(NEXT) | instid1(VALU_DEP_1)
	v_ashrrev_i32_e32 v1, 31, v1
	v_add_nc_u32_e32 v1, 32, v1
	s_delay_alu instid0(VALU_DEP_1) | instskip(NEXT) | instid1(VALU_DEP_1)
	v_add_min_u32_e64 v1, v3, -1, v1
	v_lshlrev_b64_e32 v[8:9], v1, v[8:9]
	v_sub_nc_u32_e32 v1, 32, v1
	s_delay_alu instid0(VALU_DEP_2) | instskip(NEXT) | instid1(VALU_DEP_1)
	v_min_u32_e32 v3, 1, v8
	v_or_b32_e32 v3, v9, v3
	s_delay_alu instid0(VALU_DEP_1) | instskip(NEXT) | instid1(VALU_DEP_1)
	v_cvt_f32_i32_e32 v3, v3
	v_ldexp_f32 v1, v3, v1
	s_branch .LBB77_379
.LBB77_376:
	s_mov_b32 s40, -1
                                        ; implicit-def: $vgpr1
	s_branch .LBB77_385
.LBB77_377:
	s_mov_b32 s40, -1
                                        ; implicit-def: $vgpr1
	s_branch .LBB77_382
.LBB77_378:
	s_mov_b32 s40, -1
                                        ; implicit-def: $vgpr1
.LBB77_379:
	s_delay_alu instid0(SALU_CYCLE_1)
	s_and_not1_b32 vcc_lo, exec_lo, s40
	s_cbranch_vccnz .LBB77_381
; %bb.380:
	s_wait_loadcnt 0x0
	global_load_b32 v1, v[6:7], off
	s_wait_loadcnt 0x0
	v_cvt_f32_i32_e32 v1, v1
.LBB77_381:
	s_mov_b32 s40, 0
.LBB77_382:
	s_delay_alu instid0(SALU_CYCLE_1)
	s_and_not1_b32 vcc_lo, exec_lo, s40
	s_cbranch_vccnz .LBB77_384
; %bb.383:
	s_wait_loadcnt 0x0
	global_load_i16 v1, v[6:7], off
	s_wait_loadcnt 0x0
	v_cvt_f32_i32_e32 v1, v1
.LBB77_384:
	s_mov_b32 s40, 0
.LBB77_385:
	s_delay_alu instid0(SALU_CYCLE_1)
	s_and_not1_b32 vcc_lo, exec_lo, s40
	s_cbranch_vccnz .LBB77_391
; %bb.386:
	s_cmp_gt_i32 s0, 0
	s_mov_b32 s0, 0
	s_cbranch_scc0 .LBB77_388
; %bb.387:
	s_wait_loadcnt 0x0
	global_load_i8 v1, v[6:7], off
	s_wait_loadcnt 0x0
	v_cvt_f32_i32_e32 v1, v1
	s_branch .LBB77_389
.LBB77_388:
	s_mov_b32 s0, -1
                                        ; implicit-def: $vgpr1
.LBB77_389:
	s_delay_alu instid0(SALU_CYCLE_1)
	s_and_not1_b32 vcc_lo, exec_lo, s0
	s_cbranch_vccnz .LBB77_391
; %bb.390:
	s_wait_loadcnt 0x0
	global_load_u8 v1, v[6:7], off
	s_wait_loadcnt 0x0
	v_cvt_f32_ubyte0_e32 v1, v1
.LBB77_391:
	s_branch .LBB77_32
.LBB77_392:
	s_mov_b32 s0, 0
.LBB77_393:
	s_mov_b32 s44, 0
                                        ; implicit-def: $vgpr0
.LBB77_394:
	s_and_b32 s40, s0, exec_lo
	s_and_b32 s41, s27, exec_lo
	;; [unrolled: 1-line block ×3, first 2 shown]
	s_or_not1_b32 s27, s44, exec_lo
.LBB77_395:
	s_wait_xcnt 0x0
	s_or_b32 exec_lo, exec_lo, s43
	s_mov_b32 s45, 0
	s_mov_b32 s26, 0
                                        ; implicit-def: $sgpr0
                                        ; implicit-def: $vgpr8_vgpr9
                                        ; implicit-def: $vgpr6
                                        ; implicit-def: $vgpr4
                                        ; implicit-def: $vgpr2
	s_and_saveexec_b32 s43, s27
	s_cbranch_execz .LBB77_403
; %bb.396:
	s_mov_b32 s49, -1
	s_mov_b32 s44, s42
	s_mov_b32 s46, s41
	;; [unrolled: 1-line block ×3, first 2 shown]
	s_mov_b32 s47, exec_lo
	v_cmpx_gt_i32_e64 s38, v0
	s_cbranch_execz .LBB77_801
; %bb.397:
	s_and_not1_b32 vcc_lo, exec_lo, s31
	s_cbranch_vccnz .LBB77_406
; %bb.398:
	s_and_not1_b32 vcc_lo, exec_lo, s39
	s_cbranch_vccnz .LBB77_407
; %bb.399:
	s_wait_loadcnt 0x0
	v_dual_mov_b32 v4, 0 :: v_dual_mov_b32 v1, v0
	v_dual_mov_b32 v2, 0 :: v_dual_mov_b32 v6, 0
	s_add_co_i32 s0, s37, 1
	s_mov_b64 s[26:27], 0xffffffffffffffe8
	s_and_b32 s0, s0, 30
	s_add_nc_u64 s[26:27], s[2:3], s[26:27]
.LBB77_400:                             ; =>This Inner Loop Header: Depth=1
	s_clause 0x1
	s_load_b128 s[48:51], s[26:27], 0x1c
	s_load_b64 s[44:45], s[26:27], 0x2c
	s_add_co_i32 s0, s0, -2
	s_delay_alu instid0(SALU_CYCLE_1) | instskip(SKIP_2) | instid1(VALU_DEP_1)
	s_cmp_eq_u32 s0, 0
	s_wait_kmcnt 0x0
	v_mul_hi_u32 v3, s49, v1
	v_add_nc_u32_e32 v3, v1, v3
	s_delay_alu instid0(VALU_DEP_1) | instskip(NEXT) | instid1(VALU_DEP_1)
	v_lshrrev_b32_e32 v3, s50, v3
	v_mul_hi_u32 v5, s44, v3
	v_mul_lo_u32 v7, v3, s48
	s_clause 0x1
	s_load_b128 s[52:55], s[26:27], 0xdc
	s_load_b64 s[48:49], s[26:27], 0xec
	s_wait_xcnt 0x0
	s_add_nc_u64 s[26:27], s[26:27], 24
	s_delay_alu instid0(VALU_DEP_1) | instskip(NEXT) | instid1(VALU_DEP_1)
	v_dual_add_nc_u32 v5, v3, v5 :: v_dual_sub_nc_u32 v7, v1, v7
	v_lshrrev_b32_e32 v1, s45, v5
	s_wait_kmcnt 0x0
	s_delay_alu instid0(VALU_DEP_2) | instskip(NEXT) | instid1(VALU_DEP_2)
	v_mad_u32 v4, v7, s52, v4
	v_mul_lo_u32 v5, v1, s51
	v_mad_u32 v6, v7, s54, v6
	v_mad_u32 v2, v7, s53, v2
	s_delay_alu instid0(VALU_DEP_3) | instskip(NEXT) | instid1(VALU_DEP_1)
	v_sub_nc_u32_e32 v3, v3, v5
	v_mad_u32 v4, v3, s55, v4
	s_delay_alu instid0(VALU_DEP_4) | instskip(NEXT) | instid1(VALU_DEP_4)
	v_mad_u32 v6, v3, s49, v6
	v_mad_u32 v2, v3, s48, v2
	s_cbranch_scc0 .LBB77_400
; %bb.401:
	s_bitcmp1_b32 s37, 0
	s_cselect_b32 s0, -1, 0
	s_delay_alu instid0(SALU_CYCLE_1)
	s_and_b32 vcc_lo, exec_lo, s0
	s_cbranch_vccnz .LBB77_408
; %bb.402:
	s_clause 0x1
	s_load_b96 s[44:46], s[26:27], 0x1c
	s_load_b96 s[48:50], s[26:27], 0xdc
	s_wait_kmcnt 0x0
	v_mul_hi_u32 v3, s45, v1
	s_delay_alu instid0(VALU_DEP_1) | instskip(NEXT) | instid1(VALU_DEP_1)
	v_add_nc_u32_e32 v3, v1, v3
	v_lshrrev_b32_e32 v3, s46, v3
	s_delay_alu instid0(VALU_DEP_1) | instskip(NEXT) | instid1(VALU_DEP_1)
	v_mul_lo_u32 v3, v3, s44
	v_sub_nc_u32_e32 v1, v1, v3
	s_delay_alu instid0(VALU_DEP_1)
	v_mad_u32 v4, v1, s48, v4
	v_mad_u32 v2, v1, s49, v2
	;; [unrolled: 1-line block ×3, first 2 shown]
	s_branch .LBB77_408
.LBB77_403:
	s_or_b32 exec_lo, exec_lo, s43
	s_mov_b32 s1, 0
	s_and_saveexec_b32 s6, s42
	s_cbranch_execnz .LBB77_1303
.LBB77_404:
	s_or_b32 exec_lo, exec_lo, s6
	s_and_saveexec_b32 s6, s21
	s_delay_alu instid0(SALU_CYCLE_1)
	s_xor_b32 s6, exec_lo, s6
	s_cbranch_execz .LBB77_1304
.LBB77_405:
	global_load_u8 v0, v[8:9], off
	s_or_b32 s26, s26, exec_lo
	s_wait_loadcnt 0x0
	v_cmp_ne_u16_e32 vcc_lo, 0, v0
	v_cndmask_b32_e64 v2, 0, 1.0, vcc_lo
	s_wait_xcnt 0x0
	s_or_b32 exec_lo, exec_lo, s6
	s_and_saveexec_b32 s6, s45
	s_cbranch_execz .LBB77_1350
	s_branch .LBB77_1305
.LBB77_406:
                                        ; implicit-def: $vgpr6
                                        ; implicit-def: $vgpr2
                                        ; implicit-def: $vgpr4
	s_branch .LBB77_409
.LBB77_407:
	s_wait_loadcnt 0x0
	v_dual_mov_b32 v6, 0 :: v_dual_mov_b32 v2, 0
	v_mov_b32_e32 v4, 0
.LBB77_408:
	s_cbranch_execnz .LBB77_411
.LBB77_409:
	s_wait_loadcnt 0x0
	v_mov_b32_e32 v1, 0
	s_and_not1_b32 vcc_lo, exec_lo, s36
	s_delay_alu instid0(VALU_DEP_1) | instskip(NEXT) | instid1(VALU_DEP_1)
	v_mul_u64_e32 v[2:3], s[20:21], v[0:1]
	v_add_nc_u32_e32 v2, v0, v3
	s_delay_alu instid0(VALU_DEP_1) | instskip(NEXT) | instid1(VALU_DEP_1)
	v_lshrrev_b32_e32 v8, s14, v2
	v_mul_lo_u32 v2, v8, s12
	s_delay_alu instid0(VALU_DEP_1) | instskip(NEXT) | instid1(VALU_DEP_1)
	v_sub_nc_u32_e32 v2, v0, v2
	v_mul_lo_u32 v4, v2, s16
	v_mul_lo_u32 v6, v2, s18
	;; [unrolled: 1-line block ×3, first 2 shown]
	s_cbranch_vccnz .LBB77_411
; %bb.410:
	v_mov_b32_e32 v9, v1
	s_delay_alu instid0(VALU_DEP_1) | instskip(NEXT) | instid1(VALU_DEP_1)
	v_mul_u64_e32 v[10:11], s[24:25], v[8:9]
	v_add_nc_u32_e32 v1, v8, v11
	s_delay_alu instid0(VALU_DEP_1) | instskip(NEXT) | instid1(VALU_DEP_1)
	v_lshrrev_b32_e32 v1, s1, v1
	v_mul_lo_u32 v1, v1, s15
	s_delay_alu instid0(VALU_DEP_1) | instskip(NEXT) | instid1(VALU_DEP_1)
	v_sub_nc_u32_e32 v1, v8, v1
	v_mad_u32 v4, v1, s19, v4
	v_mad_u32 v2, v1, s22, v2
	;; [unrolled: 1-line block ×3, first 2 shown]
.LBB77_411:
	v_mov_b32_e32 v3, 0
	s_and_b32 s0, s35, 0xff
	s_delay_alu instid0(SALU_CYCLE_1) | instskip(SKIP_1) | instid1(VALU_DEP_1)
	s_cmp_lt_i32 s0, 11
	s_wait_loadcnt 0x0
	v_add_nc_u64_e32 v[8:9], s[6:7], v[2:3]
	s_cbranch_scc1 .LBB77_418
; %bb.412:
	s_and_b32 s27, 0xffff, s0
	s_delay_alu instid0(SALU_CYCLE_1)
	s_cmp_gt_i32 s27, 25
	s_cbranch_scc0 .LBB77_427
; %bb.413:
	s_cmp_gt_i32 s27, 28
	s_cbranch_scc0 .LBB77_429
; %bb.414:
	;; [unrolled: 3-line block ×4, first 2 shown]
	s_cmp_eq_u32 s27, 46
	s_mov_b32 s45, 0
	s_cbranch_scc0 .LBB77_437
; %bb.417:
	global_load_b32 v1, v[8:9], off
	s_mov_b32 s44, -1
	s_mov_b32 s26, 0
	s_wait_loadcnt 0x0
	v_lshlrev_b32_e32 v2, 16, v1
	s_branch .LBB77_439
.LBB77_418:
	s_mov_b32 s44, 0
	s_mov_b32 s26, s42
                                        ; implicit-def: $vgpr2
	s_cbranch_execnz .LBB77_505
.LBB77_419:
	s_and_not1_b32 vcc_lo, exec_lo, s44
	s_cbranch_vccnz .LBB77_553
.LBB77_420:
	v_mov_b32_e32 v7, 0
	s_and_b32 s0, s13, 0xff
	s_delay_alu instid0(SALU_CYCLE_1) | instskip(NEXT) | instid1(VALU_DEP_1)
	s_cmp_lt_i32 s0, 11
	v_add_nc_u64_e32 v[6:7], s[8:9], v[6:7]
	s_cbranch_scc1 .LBB77_428
; %bb.421:
	s_and_b32 s44, 0xffff, s0
	s_delay_alu instid0(SALU_CYCLE_1)
	s_cmp_gt_i32 s44, 25
	s_cbranch_scc0 .LBB77_430
; %bb.422:
	s_cmp_gt_i32 s44, 28
	s_cbranch_scc0 .LBB77_432
; %bb.423:
	s_cmp_gt_i32 s44, 43
	s_cbranch_scc0 .LBB77_434
; %bb.424:
	s_cmp_gt_i32 s44, 45
	s_cbranch_scc0 .LBB77_442
; %bb.425:
	s_cmp_eq_u32 s44, 46
	s_mov_b32 s46, 0
	s_cbranch_scc0 .LBB77_556
; %bb.426:
	global_load_b32 v1, v[6:7], off
	s_mov_b32 s45, -1
	s_mov_b32 s27, 0
	s_wait_loadcnt 0x0
	v_lshlrev_b32_e32 v1, 16, v1
	s_branch .LBB77_558
.LBB77_427:
	s_mov_b32 s45, -1
	s_mov_b32 s44, 0
	s_mov_b32 s26, s42
                                        ; implicit-def: $vgpr2
	s_branch .LBB77_469
.LBB77_428:
	s_mov_b32 s44, -1
	s_mov_b32 s45, 0
	s_mov_b32 s27, s41
                                        ; implicit-def: $vgpr1
	s_branch .LBB77_623
.LBB77_429:
	s_mov_b32 s45, -1
	s_mov_b32 s44, 0
	s_mov_b32 s26, s42
                                        ; implicit-def: $vgpr2
	s_branch .LBB77_450
.LBB77_430:
	s_mov_b32 s46, -1
	s_mov_b32 s45, 0
	s_mov_b32 s27, s41
                                        ; implicit-def: $vgpr1
	s_branch .LBB77_587
.LBB77_431:
	s_mov_b32 s45, -1
	s_mov_b32 s44, 0
	s_mov_b32 s26, s42
                                        ; implicit-def: $vgpr2
	s_branch .LBB77_445
.LBB77_432:
	s_mov_b32 s46, -1
	s_mov_b32 s45, 0
	s_mov_b32 s27, s41
                                        ; implicit-def: $vgpr1
	s_branch .LBB77_568
.LBB77_433:
	s_mov_b32 s45, -1
	s_mov_b32 s44, 0
	s_mov_b32 s26, s42
	s_branch .LBB77_438
.LBB77_434:
	s_mov_b32 s46, -1
	s_mov_b32 s45, 0
	s_mov_b32 s27, s41
                                        ; implicit-def: $vgpr1
	s_branch .LBB77_563
.LBB77_435:
	s_and_not1_saveexec_b32 s45, s45
	s_cbranch_execz .LBB77_193
.LBB77_436:
	v_add_f32_e64 v1, 0x46000000, |v2|
	s_and_not1_b32 s44, s44, exec_lo
	s_delay_alu instid0(VALU_DEP_1) | instskip(NEXT) | instid1(VALU_DEP_1)
	v_and_b32_e32 v1, 0xff, v1
	v_cmp_ne_u32_e32 vcc_lo, 0, v1
	s_and_b32 s46, vcc_lo, exec_lo
	s_delay_alu instid0(SALU_CYCLE_1)
	s_or_b32 s44, s44, s46
	s_or_b32 exec_lo, exec_lo, s45
	v_mov_b32_e32 v3, 0
	s_and_saveexec_b32 s45, s44
	s_cbranch_execnz .LBB77_194
	s_branch .LBB77_195
.LBB77_437:
	s_mov_b32 s26, -1
	s_mov_b32 s44, 0
.LBB77_438:
                                        ; implicit-def: $vgpr2
.LBB77_439:
	s_and_b32 vcc_lo, exec_lo, s45
	s_cbranch_vccz .LBB77_444
; %bb.440:
	s_cmp_eq_u32 s27, 44
	s_cbranch_scc0 .LBB77_443
; %bb.441:
	global_load_u8 v1, v[8:9], off
	s_mov_b32 s26, 0
	s_mov_b32 s44, -1
	s_wait_loadcnt 0x0
	v_lshlrev_b32_e32 v2, 23, v1
	v_cmp_ne_u32_e32 vcc_lo, 0xff, v1
	s_delay_alu instid0(VALU_DEP_2) | instskip(SKIP_1) | instid1(VALU_DEP_2)
	v_cndmask_b32_e32 v2, 0x7f800001, v2, vcc_lo
	v_cmp_ne_u32_e32 vcc_lo, 0, v1
	v_cndmask_b32_e32 v2, 0x400000, v2, vcc_lo
	s_branch .LBB77_444
.LBB77_442:
	s_mov_b32 s46, -1
	s_mov_b32 s45, 0
	s_mov_b32 s27, s41
	s_branch .LBB77_557
.LBB77_443:
	s_mov_b32 s26, -1
                                        ; implicit-def: $vgpr2
.LBB77_444:
	s_mov_b32 s45, 0
.LBB77_445:
	s_delay_alu instid0(SALU_CYCLE_1)
	s_and_b32 vcc_lo, exec_lo, s45
	s_cbranch_vccz .LBB77_449
; %bb.446:
	s_cmp_eq_u32 s27, 29
	s_cbranch_scc0 .LBB77_448
; %bb.447:
	global_load_b64 v[2:3], v[8:9], off
	s_mov_b32 s44, -1
	s_mov_b32 s26, 0
	s_mov_b32 s45, 0
	s_wait_loadcnt 0x0
	v_clz_i32_u32_e32 v1, v3
	s_delay_alu instid0(VALU_DEP_1) | instskip(NEXT) | instid1(VALU_DEP_1)
	v_min_u32_e32 v1, 32, v1
	v_lshlrev_b64_e32 v[2:3], v1, v[2:3]
	v_sub_nc_u32_e32 v1, 32, v1
	s_delay_alu instid0(VALU_DEP_2) | instskip(NEXT) | instid1(VALU_DEP_1)
	v_min_u32_e32 v2, 1, v2
	v_or_b32_e32 v2, v3, v2
	s_delay_alu instid0(VALU_DEP_1) | instskip(NEXT) | instid1(VALU_DEP_1)
	v_cvt_f32_u32_e32 v2, v2
	v_ldexp_f32 v2, v2, v1
	s_branch .LBB77_450
.LBB77_448:
	s_mov_b32 s26, -1
                                        ; implicit-def: $vgpr2
.LBB77_449:
	s_mov_b32 s45, 0
.LBB77_450:
	s_delay_alu instid0(SALU_CYCLE_1)
	s_and_b32 vcc_lo, exec_lo, s45
	s_cbranch_vccz .LBB77_468
; %bb.451:
	s_cmp_lt_i32 s27, 27
	s_cbranch_scc1 .LBB77_454
; %bb.452:
	s_cmp_gt_i32 s27, 27
	s_cbranch_scc0 .LBB77_455
; %bb.453:
	global_load_b32 v1, v[8:9], off
	s_mov_b32 s44, 0
	s_wait_loadcnt 0x0
	v_cvt_f32_u32_e32 v2, v1
	s_branch .LBB77_456
.LBB77_454:
	s_mov_b32 s44, -1
                                        ; implicit-def: $vgpr2
	s_branch .LBB77_459
.LBB77_455:
	s_mov_b32 s44, -1
                                        ; implicit-def: $vgpr2
.LBB77_456:
	s_delay_alu instid0(SALU_CYCLE_1)
	s_and_not1_b32 vcc_lo, exec_lo, s44
	s_cbranch_vccnz .LBB77_458
; %bb.457:
	global_load_u16 v1, v[8:9], off
	s_wait_loadcnt 0x0
	v_cvt_f32_u32_e32 v2, v1
.LBB77_458:
	s_mov_b32 s44, 0
.LBB77_459:
	s_delay_alu instid0(SALU_CYCLE_1)
	s_and_not1_b32 vcc_lo, exec_lo, s44
	s_cbranch_vccnz .LBB77_467
; %bb.460:
	global_load_u8 v1, v[8:9], off
	s_mov_b32 s44, 0
	s_mov_b32 s45, exec_lo
	s_wait_loadcnt 0x0
	v_cmpx_lt_i16_e32 0x7f, v1
	s_xor_b32 s45, exec_lo, s45
	s_cbranch_execz .LBB77_481
; %bb.461:
	s_mov_b32 s44, -1
	s_mov_b32 s46, exec_lo
	v_cmpx_eq_u16_e32 0x80, v1
; %bb.462:
	s_xor_b32 s44, exec_lo, -1
; %bb.463:
	s_or_b32 exec_lo, exec_lo, s46
	s_delay_alu instid0(SALU_CYCLE_1)
	s_and_b32 s44, s44, exec_lo
	s_or_saveexec_b32 s45, s45
	v_mov_b32_e32 v2, 0x7f800001
	s_xor_b32 exec_lo, exec_lo, s45
	s_cbranch_execnz .LBB77_482
.LBB77_464:
	s_or_b32 exec_lo, exec_lo, s45
	s_and_saveexec_b32 s45, s44
	s_cbranch_execz .LBB77_466
.LBB77_465:
	v_and_b32_e32 v2, 0xffff, v1
	s_delay_alu instid0(VALU_DEP_1) | instskip(SKIP_1) | instid1(VALU_DEP_2)
	v_and_b32_e32 v3, 7, v2
	v_bfe_u32 v10, v2, 3, 4
	v_clz_i32_u32_e32 v5, v3
	s_delay_alu instid0(VALU_DEP_2) | instskip(NEXT) | instid1(VALU_DEP_2)
	v_cmp_eq_u32_e32 vcc_lo, 0, v10
	v_min_u32_e32 v5, 32, v5
	s_delay_alu instid0(VALU_DEP_1) | instskip(NEXT) | instid1(VALU_DEP_1)
	v_subrev_nc_u32_e32 v7, 28, v5
	v_dual_lshlrev_b32 v2, v7, v2 :: v_dual_sub_nc_u32 v5, 29, v5
	s_delay_alu instid0(VALU_DEP_1) | instskip(NEXT) | instid1(VALU_DEP_1)
	v_dual_lshlrev_b32 v1, 24, v1 :: v_dual_bitop2_b32 v2, 7, v2 bitop3:0x40
	v_dual_cndmask_b32 v2, v3, v2 :: v_dual_cndmask_b32 v5, v10, v5
	s_delay_alu instid0(VALU_DEP_2) | instskip(NEXT) | instid1(VALU_DEP_2)
	v_and_b32_e32 v1, 0x80000000, v1
	v_lshlrev_b32_e32 v2, 20, v2
	s_delay_alu instid0(VALU_DEP_3) | instskip(NEXT) | instid1(VALU_DEP_1)
	v_lshl_add_u32 v3, v5, 23, 0x3b800000
	v_or3_b32 v2, v1, v3, v2
.LBB77_466:
	s_or_b32 exec_lo, exec_lo, s45
.LBB77_467:
	s_mov_b32 s44, -1
.LBB77_468:
	s_mov_b32 s45, 0
.LBB77_469:
	s_delay_alu instid0(SALU_CYCLE_1)
	s_and_b32 vcc_lo, exec_lo, s45
	s_cbranch_vccz .LBB77_504
; %bb.470:
	s_cmp_gt_i32 s27, 22
	s_cbranch_scc0 .LBB77_480
; %bb.471:
	s_cmp_lt_i32 s27, 24
	s_cbranch_scc1 .LBB77_483
; %bb.472:
	s_cmp_gt_i32 s27, 24
	s_cbranch_scc0 .LBB77_484
; %bb.473:
	global_load_u8 v1, v[8:9], off
	s_mov_b32 s44, 0
	s_mov_b32 s45, exec_lo
	s_wait_loadcnt 0x0
	v_cmpx_lt_i16_e32 0x7f, v1
	s_xor_b32 s45, exec_lo, s45
	s_cbranch_execz .LBB77_496
; %bb.474:
	s_mov_b32 s44, -1
	s_mov_b32 s46, exec_lo
	v_cmpx_eq_u16_e32 0x80, v1
; %bb.475:
	s_xor_b32 s44, exec_lo, -1
; %bb.476:
	s_or_b32 exec_lo, exec_lo, s46
	s_delay_alu instid0(SALU_CYCLE_1)
	s_and_b32 s44, s44, exec_lo
	s_or_saveexec_b32 s45, s45
	v_mov_b32_e32 v2, 0x7f800001
	s_xor_b32 exec_lo, exec_lo, s45
	s_cbranch_execnz .LBB77_497
.LBB77_477:
	s_or_b32 exec_lo, exec_lo, s45
	s_and_saveexec_b32 s45, s44
	s_cbranch_execz .LBB77_479
.LBB77_478:
	v_and_b32_e32 v2, 0xffff, v1
	s_delay_alu instid0(VALU_DEP_1) | instskip(SKIP_1) | instid1(VALU_DEP_2)
	v_and_b32_e32 v3, 3, v2
	v_bfe_u32 v10, v2, 2, 5
	v_clz_i32_u32_e32 v5, v3
	s_delay_alu instid0(VALU_DEP_2) | instskip(NEXT) | instid1(VALU_DEP_2)
	v_cmp_eq_u32_e32 vcc_lo, 0, v10
	v_min_u32_e32 v5, 32, v5
	s_delay_alu instid0(VALU_DEP_1) | instskip(NEXT) | instid1(VALU_DEP_1)
	v_subrev_nc_u32_e32 v7, 29, v5
	v_dual_lshlrev_b32 v2, v7, v2 :: v_dual_sub_nc_u32 v5, 30, v5
	s_delay_alu instid0(VALU_DEP_1) | instskip(NEXT) | instid1(VALU_DEP_1)
	v_dual_lshlrev_b32 v1, 24, v1 :: v_dual_bitop2_b32 v2, 3, v2 bitop3:0x40
	v_dual_cndmask_b32 v2, v3, v2 :: v_dual_cndmask_b32 v5, v10, v5
	s_delay_alu instid0(VALU_DEP_2) | instskip(NEXT) | instid1(VALU_DEP_2)
	v_and_b32_e32 v1, 0x80000000, v1
	v_lshlrev_b32_e32 v2, 21, v2
	s_delay_alu instid0(VALU_DEP_3) | instskip(NEXT) | instid1(VALU_DEP_1)
	v_lshl_add_u32 v3, v5, 23, 0x37800000
	v_or3_b32 v2, v1, v3, v2
.LBB77_479:
	s_or_b32 exec_lo, exec_lo, s45
	s_mov_b32 s44, 0
	s_branch .LBB77_485
.LBB77_480:
	s_mov_b32 s45, -1
                                        ; implicit-def: $vgpr2
	s_branch .LBB77_491
.LBB77_481:
	s_or_saveexec_b32 s45, s45
	v_mov_b32_e32 v2, 0x7f800001
	s_xor_b32 exec_lo, exec_lo, s45
	s_cbranch_execz .LBB77_464
.LBB77_482:
	v_cmp_ne_u16_e32 vcc_lo, 0, v1
	v_mov_b32_e32 v2, 0
	s_and_not1_b32 s44, s44, exec_lo
	s_and_b32 s46, vcc_lo, exec_lo
	s_delay_alu instid0(SALU_CYCLE_1)
	s_or_b32 s44, s44, s46
	s_or_b32 exec_lo, exec_lo, s45
	s_and_saveexec_b32 s45, s44
	s_cbranch_execnz .LBB77_465
	s_branch .LBB77_466
.LBB77_483:
	s_mov_b32 s44, -1
                                        ; implicit-def: $vgpr2
	s_branch .LBB77_488
.LBB77_484:
	s_mov_b32 s44, -1
                                        ; implicit-def: $vgpr2
.LBB77_485:
	s_delay_alu instid0(SALU_CYCLE_1)
	s_and_b32 vcc_lo, exec_lo, s44
	s_cbranch_vccz .LBB77_487
; %bb.486:
	global_load_u8 v1, v[8:9], off
	s_wait_loadcnt 0x0
	v_lshlrev_b32_e32 v1, 24, v1
	s_delay_alu instid0(VALU_DEP_1) | instskip(NEXT) | instid1(VALU_DEP_1)
	v_and_b32_e32 v2, 0x7f000000, v1
	v_clz_i32_u32_e32 v3, v2
	v_cmp_ne_u32_e32 vcc_lo, 0, v2
	v_add_nc_u32_e32 v7, 0x1000000, v2
	s_delay_alu instid0(VALU_DEP_3) | instskip(NEXT) | instid1(VALU_DEP_1)
	v_min_u32_e32 v3, 32, v3
	v_sub_nc_u32_e64 v3, v3, 4 clamp
	s_delay_alu instid0(VALU_DEP_1) | instskip(NEXT) | instid1(VALU_DEP_1)
	v_dual_lshlrev_b32 v5, v3, v2 :: v_dual_lshlrev_b32 v3, 23, v3
	v_lshrrev_b32_e32 v5, 4, v5
	s_delay_alu instid0(VALU_DEP_1) | instskip(SKIP_1) | instid1(VALU_DEP_2)
	v_sub_nc_u32_e32 v3, v5, v3
	v_ashrrev_i32_e32 v5, 8, v7
	v_add_nc_u32_e32 v3, 0x3c000000, v3
	s_delay_alu instid0(VALU_DEP_1) | instskip(NEXT) | instid1(VALU_DEP_1)
	v_and_or_b32 v3, 0x7f800000, v5, v3
	v_cndmask_b32_e32 v2, 0, v3, vcc_lo
	s_delay_alu instid0(VALU_DEP_1)
	v_and_or_b32 v2, 0x80000000, v1, v2
.LBB77_487:
	s_mov_b32 s44, 0
.LBB77_488:
	s_delay_alu instid0(SALU_CYCLE_1)
	s_and_not1_b32 vcc_lo, exec_lo, s44
	s_cbranch_vccnz .LBB77_490
; %bb.489:
	global_load_u8 v1, v[8:9], off
	s_wait_loadcnt 0x0
	v_lshlrev_b32_e32 v2, 25, v1
	v_lshlrev_b16 v1, 8, v1
	s_delay_alu instid0(VALU_DEP_1) | instskip(NEXT) | instid1(VALU_DEP_3)
	v_and_or_b32 v5, 0x7f00, v1, 0.5
	v_lshrrev_b32_e32 v3, 4, v2
	v_bfe_i32 v1, v1, 0, 16
	s_delay_alu instid0(VALU_DEP_3) | instskip(NEXT) | instid1(VALU_DEP_3)
	v_add_f32_e32 v5, -0.5, v5
	v_or_b32_e32 v3, 0x70000000, v3
	s_delay_alu instid0(VALU_DEP_1) | instskip(SKIP_1) | instid1(VALU_DEP_2)
	v_mul_f32_e32 v3, 0x7800000, v3
	v_cmp_gt_u32_e32 vcc_lo, 0x8000000, v2
	v_cndmask_b32_e32 v2, v3, v5, vcc_lo
	s_delay_alu instid0(VALU_DEP_1)
	v_and_or_b32 v2, 0x80000000, v1, v2
.LBB77_490:
	s_mov_b32 s45, 0
	s_mov_b32 s44, -1
.LBB77_491:
	s_and_not1_b32 vcc_lo, exec_lo, s45
	s_cbranch_vccnz .LBB77_504
; %bb.492:
	s_cmp_gt_i32 s27, 14
	s_cbranch_scc0 .LBB77_495
; %bb.493:
	s_cmp_eq_u32 s27, 15
	s_cbranch_scc0 .LBB77_498
; %bb.494:
	global_load_u16 v1, v[8:9], off
	s_mov_b32 s44, -1
	s_mov_b32 s26, 0
	s_wait_loadcnt 0x0
	v_lshlrev_b32_e32 v2, 16, v1
	s_branch .LBB77_499
.LBB77_495:
	s_mov_b32 s45, -1
                                        ; implicit-def: $vgpr2
	s_branch .LBB77_500
.LBB77_496:
	s_or_saveexec_b32 s45, s45
	v_mov_b32_e32 v2, 0x7f800001
	s_xor_b32 exec_lo, exec_lo, s45
	s_cbranch_execz .LBB77_477
.LBB77_497:
	v_cmp_ne_u16_e32 vcc_lo, 0, v1
	v_mov_b32_e32 v2, 0
	s_and_not1_b32 s44, s44, exec_lo
	s_and_b32 s46, vcc_lo, exec_lo
	s_delay_alu instid0(SALU_CYCLE_1)
	s_or_b32 s44, s44, s46
	s_or_b32 exec_lo, exec_lo, s45
	s_and_saveexec_b32 s45, s44
	s_cbranch_execnz .LBB77_478
	s_branch .LBB77_479
.LBB77_498:
	s_mov_b32 s26, -1
                                        ; implicit-def: $vgpr2
.LBB77_499:
	s_mov_b32 s45, 0
.LBB77_500:
	s_delay_alu instid0(SALU_CYCLE_1)
	s_and_b32 vcc_lo, exec_lo, s45
	s_cbranch_vccz .LBB77_504
; %bb.501:
	s_cmp_eq_u32 s27, 11
	s_cbranch_scc0 .LBB77_503
; %bb.502:
	global_load_u8 v1, v[8:9], off
	s_mov_b32 s26, 0
	s_mov_b32 s44, -1
	s_wait_loadcnt 0x0
	v_cmp_ne_u16_e32 vcc_lo, 0, v1
	v_cndmask_b32_e64 v2, 0, 1.0, vcc_lo
	s_branch .LBB77_504
.LBB77_503:
	s_mov_b32 s26, -1
                                        ; implicit-def: $vgpr2
.LBB77_504:
	s_branch .LBB77_419
.LBB77_505:
	s_and_b32 s0, 0xffff, s0
	s_delay_alu instid0(SALU_CYCLE_1)
	s_cmp_lt_i32 s0, 5
	s_cbranch_scc1 .LBB77_510
; %bb.506:
	s_cmp_lt_i32 s0, 8
	s_cbranch_scc1 .LBB77_511
; %bb.507:
	;; [unrolled: 3-line block ×3, first 2 shown]
	s_cmp_gt_i32 s0, 9
	s_cbranch_scc0 .LBB77_513
; %bb.509:
	global_load_b64 v[2:3], v[8:9], off
	s_mov_b32 s27, 0
	s_wait_loadcnt 0x0
	v_cvt_f32_f64_e32 v2, v[2:3]
	s_branch .LBB77_514
.LBB77_510:
	s_mov_b32 s27, -1
                                        ; implicit-def: $vgpr2
	s_branch .LBB77_532
.LBB77_511:
	s_mov_b32 s27, -1
                                        ; implicit-def: $vgpr2
	s_branch .LBB77_520
.LBB77_512:
	s_mov_b32 s27, -1
                                        ; implicit-def: $vgpr2
	s_branch .LBB77_517
.LBB77_513:
	s_mov_b32 s27, -1
                                        ; implicit-def: $vgpr2
.LBB77_514:
	s_delay_alu instid0(SALU_CYCLE_1)
	s_and_not1_b32 vcc_lo, exec_lo, s27
	s_cbranch_vccnz .LBB77_516
; %bb.515:
	global_load_b32 v2, v[8:9], off
.LBB77_516:
	s_mov_b32 s27, 0
.LBB77_517:
	s_delay_alu instid0(SALU_CYCLE_1)
	s_and_not1_b32 vcc_lo, exec_lo, s27
	s_cbranch_vccnz .LBB77_519
; %bb.518:
	global_load_b32 v1, v[8:9], off
	s_wait_loadcnt 0x0
	v_cvt_f32_f16_e32 v2, v1
.LBB77_519:
	s_mov_b32 s27, 0
.LBB77_520:
	s_delay_alu instid0(SALU_CYCLE_1)
	s_and_not1_b32 vcc_lo, exec_lo, s27
	s_cbranch_vccnz .LBB77_531
; %bb.521:
	s_cmp_lt_i32 s0, 6
	s_cbranch_scc1 .LBB77_524
; %bb.522:
	s_cmp_gt_i32 s0, 6
	s_cbranch_scc0 .LBB77_525
; %bb.523:
	s_wait_loadcnt 0x0
	global_load_b64 v[2:3], v[8:9], off
	s_mov_b32 s27, 0
	s_wait_loadcnt 0x0
	v_cvt_f32_f64_e32 v2, v[2:3]
	s_branch .LBB77_526
.LBB77_524:
	s_mov_b32 s27, -1
                                        ; implicit-def: $vgpr2
	s_branch .LBB77_529
.LBB77_525:
	s_mov_b32 s27, -1
                                        ; implicit-def: $vgpr2
.LBB77_526:
	s_delay_alu instid0(SALU_CYCLE_1)
	s_and_not1_b32 vcc_lo, exec_lo, s27
	s_cbranch_vccnz .LBB77_528
; %bb.527:
	s_wait_loadcnt 0x0
	global_load_b32 v2, v[8:9], off
.LBB77_528:
	s_mov_b32 s27, 0
.LBB77_529:
	s_delay_alu instid0(SALU_CYCLE_1)
	s_and_not1_b32 vcc_lo, exec_lo, s27
	s_cbranch_vccnz .LBB77_531
; %bb.530:
	global_load_u16 v1, v[8:9], off
	s_wait_loadcnt 0x0
	v_cvt_f32_f16_e32 v2, v1
.LBB77_531:
	s_mov_b32 s27, 0
.LBB77_532:
	s_delay_alu instid0(SALU_CYCLE_1)
	s_and_not1_b32 vcc_lo, exec_lo, s27
	s_cbranch_vccnz .LBB77_552
; %bb.533:
	s_cmp_lt_i32 s0, 2
	s_cbranch_scc1 .LBB77_537
; %bb.534:
	s_cmp_lt_i32 s0, 3
	s_cbranch_scc1 .LBB77_538
; %bb.535:
	s_cmp_gt_i32 s0, 3
	s_cbranch_scc0 .LBB77_539
; %bb.536:
	s_wait_loadcnt 0x0
	global_load_b64 v[2:3], v[8:9], off
	s_mov_b32 s27, 0
	s_wait_loadcnt 0x0
	v_xor_b32_e32 v1, v2, v3
	v_cls_i32_e32 v5, v3
	s_delay_alu instid0(VALU_DEP_2) | instskip(NEXT) | instid1(VALU_DEP_1)
	v_ashrrev_i32_e32 v1, 31, v1
	v_add_nc_u32_e32 v1, 32, v1
	s_delay_alu instid0(VALU_DEP_1) | instskip(NEXT) | instid1(VALU_DEP_1)
	v_add_min_u32_e64 v1, v5, -1, v1
	v_lshlrev_b64_e32 v[2:3], v1, v[2:3]
	v_sub_nc_u32_e32 v1, 32, v1
	s_delay_alu instid0(VALU_DEP_2) | instskip(NEXT) | instid1(VALU_DEP_1)
	v_min_u32_e32 v2, 1, v2
	v_or_b32_e32 v2, v3, v2
	s_delay_alu instid0(VALU_DEP_1) | instskip(NEXT) | instid1(VALU_DEP_1)
	v_cvt_f32_i32_e32 v2, v2
	v_ldexp_f32 v2, v2, v1
	s_branch .LBB77_540
.LBB77_537:
	s_mov_b32 s27, -1
                                        ; implicit-def: $vgpr2
	s_branch .LBB77_546
.LBB77_538:
	s_mov_b32 s27, -1
                                        ; implicit-def: $vgpr2
	s_branch .LBB77_543
.LBB77_539:
	s_mov_b32 s27, -1
                                        ; implicit-def: $vgpr2
.LBB77_540:
	s_delay_alu instid0(SALU_CYCLE_1)
	s_and_not1_b32 vcc_lo, exec_lo, s27
	s_cbranch_vccnz .LBB77_542
; %bb.541:
	global_load_b32 v1, v[8:9], off
	s_wait_loadcnt 0x0
	v_cvt_f32_i32_e32 v2, v1
.LBB77_542:
	s_mov_b32 s27, 0
.LBB77_543:
	s_delay_alu instid0(SALU_CYCLE_1)
	s_and_not1_b32 vcc_lo, exec_lo, s27
	s_cbranch_vccnz .LBB77_545
; %bb.544:
	global_load_i16 v1, v[8:9], off
	s_wait_loadcnt 0x0
	v_cvt_f32_i32_e32 v2, v1
.LBB77_545:
	s_mov_b32 s27, 0
.LBB77_546:
	s_delay_alu instid0(SALU_CYCLE_1)
	s_and_not1_b32 vcc_lo, exec_lo, s27
	s_cbranch_vccnz .LBB77_552
; %bb.547:
	s_cmp_gt_i32 s0, 0
	s_mov_b32 s0, 0
	s_cbranch_scc0 .LBB77_549
; %bb.548:
	global_load_i8 v1, v[8:9], off
	s_wait_loadcnt 0x0
	v_cvt_f32_i32_e32 v2, v1
	s_branch .LBB77_550
.LBB77_549:
	s_mov_b32 s0, -1
                                        ; implicit-def: $vgpr2
.LBB77_550:
	s_delay_alu instid0(SALU_CYCLE_1)
	s_and_not1_b32 vcc_lo, exec_lo, s0
	s_cbranch_vccnz .LBB77_552
; %bb.551:
	global_load_u8 v1, v[8:9], off
	s_wait_loadcnt 0x0
	v_cvt_f32_ubyte0_e32 v2, v1
.LBB77_552:
	s_branch .LBB77_420
.LBB77_553:
	s_mov_b32 s48, 0
	s_mov_b32 s0, s40
	;; [unrolled: 1-line block ×3, first 2 shown]
	s_branch .LBB77_799
.LBB77_554:
	s_and_not1_saveexec_b32 s45, s45
	s_cbranch_execz .LBB77_206
.LBB77_555:
	v_add_f32_e64 v1, 0x42800000, |v2|
	s_and_not1_b32 s44, s44, exec_lo
	s_delay_alu instid0(VALU_DEP_1) | instskip(NEXT) | instid1(VALU_DEP_1)
	v_and_b32_e32 v1, 0xff, v1
	v_cmp_ne_u32_e32 vcc_lo, 0, v1
	s_and_b32 s46, vcc_lo, exec_lo
	s_delay_alu instid0(SALU_CYCLE_1)
	s_or_b32 s44, s44, s46
	s_or_b32 exec_lo, exec_lo, s45
	v_mov_b32_e32 v3, 0
	s_and_saveexec_b32 s45, s44
	s_cbranch_execnz .LBB77_207
	s_branch .LBB77_208
.LBB77_556:
	s_mov_b32 s27, -1
	s_mov_b32 s45, 0
.LBB77_557:
                                        ; implicit-def: $vgpr1
.LBB77_558:
	s_and_b32 vcc_lo, exec_lo, s46
	s_cbranch_vccz .LBB77_562
; %bb.559:
	s_cmp_eq_u32 s44, 44
	s_cbranch_scc0 .LBB77_561
; %bb.560:
	global_load_u8 v1, v[6:7], off
	s_mov_b32 s27, 0
	s_mov_b32 s45, -1
	s_wait_loadcnt 0x0
	v_lshlrev_b32_e32 v3, 23, v1
	v_cmp_ne_u32_e32 vcc_lo, 0xff, v1
	s_delay_alu instid0(VALU_DEP_2) | instskip(SKIP_1) | instid1(VALU_DEP_2)
	v_cndmask_b32_e32 v3, 0x7f800001, v3, vcc_lo
	v_cmp_ne_u32_e32 vcc_lo, 0, v1
	v_cndmask_b32_e32 v1, 0x400000, v3, vcc_lo
	s_branch .LBB77_562
.LBB77_561:
	s_mov_b32 s27, -1
                                        ; implicit-def: $vgpr1
.LBB77_562:
	s_mov_b32 s46, 0
.LBB77_563:
	s_delay_alu instid0(SALU_CYCLE_1)
	s_and_b32 vcc_lo, exec_lo, s46
	s_cbranch_vccz .LBB77_567
; %bb.564:
	s_cmp_eq_u32 s44, 29
	s_cbranch_scc0 .LBB77_566
; %bb.565:
	global_load_b64 v[8:9], v[6:7], off
	s_mov_b32 s45, -1
	s_mov_b32 s27, 0
	s_mov_b32 s46, 0
	s_wait_loadcnt 0x0
	v_clz_i32_u32_e32 v1, v9
	s_delay_alu instid0(VALU_DEP_1) | instskip(NEXT) | instid1(VALU_DEP_1)
	v_min_u32_e32 v1, 32, v1
	v_lshlrev_b64_e32 v[8:9], v1, v[8:9]
	v_sub_nc_u32_e32 v1, 32, v1
	s_delay_alu instid0(VALU_DEP_2) | instskip(NEXT) | instid1(VALU_DEP_1)
	v_min_u32_e32 v3, 1, v8
	v_or_b32_e32 v3, v9, v3
	s_delay_alu instid0(VALU_DEP_1) | instskip(NEXT) | instid1(VALU_DEP_1)
	v_cvt_f32_u32_e32 v3, v3
	v_ldexp_f32 v1, v3, v1
	s_branch .LBB77_568
.LBB77_566:
	s_mov_b32 s27, -1
                                        ; implicit-def: $vgpr1
.LBB77_567:
	s_mov_b32 s46, 0
.LBB77_568:
	s_delay_alu instid0(SALU_CYCLE_1)
	s_and_b32 vcc_lo, exec_lo, s46
	s_cbranch_vccz .LBB77_586
; %bb.569:
	s_cmp_lt_i32 s44, 27
	s_cbranch_scc1 .LBB77_572
; %bb.570:
	s_cmp_gt_i32 s44, 27
	s_cbranch_scc0 .LBB77_573
; %bb.571:
	global_load_b32 v1, v[6:7], off
	s_mov_b32 s45, 0
	s_wait_loadcnt 0x0
	v_cvt_f32_u32_e32 v1, v1
	s_branch .LBB77_574
.LBB77_572:
	s_mov_b32 s45, -1
                                        ; implicit-def: $vgpr1
	s_branch .LBB77_577
.LBB77_573:
	s_mov_b32 s45, -1
                                        ; implicit-def: $vgpr1
.LBB77_574:
	s_delay_alu instid0(SALU_CYCLE_1)
	s_and_not1_b32 vcc_lo, exec_lo, s45
	s_cbranch_vccnz .LBB77_576
; %bb.575:
	global_load_u16 v1, v[6:7], off
	s_wait_loadcnt 0x0
	v_cvt_f32_u32_e32 v1, v1
.LBB77_576:
	s_mov_b32 s45, 0
.LBB77_577:
	s_delay_alu instid0(SALU_CYCLE_1)
	s_and_not1_b32 vcc_lo, exec_lo, s45
	s_cbranch_vccnz .LBB77_585
; %bb.578:
	global_load_u8 v3, v[6:7], off
	s_mov_b32 s45, 0
	s_mov_b32 s46, exec_lo
	s_wait_loadcnt 0x0
	v_cmpx_lt_i16_e32 0x7f, v3
	s_xor_b32 s46, exec_lo, s46
	s_cbranch_execz .LBB77_599
; %bb.579:
	s_mov_b32 s45, -1
	s_mov_b32 s48, exec_lo
	v_cmpx_eq_u16_e32 0x80, v3
; %bb.580:
	s_xor_b32 s45, exec_lo, -1
; %bb.581:
	s_or_b32 exec_lo, exec_lo, s48
	s_delay_alu instid0(SALU_CYCLE_1)
	s_and_b32 s45, s45, exec_lo
	s_or_saveexec_b32 s46, s46
	v_mov_b32_e32 v1, 0x7f800001
	s_xor_b32 exec_lo, exec_lo, s46
	s_cbranch_execnz .LBB77_600
.LBB77_582:
	s_or_b32 exec_lo, exec_lo, s46
	s_and_saveexec_b32 s46, s45
	s_cbranch_execz .LBB77_584
.LBB77_583:
	v_and_b32_e32 v1, 0xffff, v3
	s_delay_alu instid0(VALU_DEP_1) | instskip(SKIP_1) | instid1(VALU_DEP_2)
	v_and_b32_e32 v5, 7, v1
	v_bfe_u32 v10, v1, 3, 4
	v_clz_i32_u32_e32 v8, v5
	s_delay_alu instid0(VALU_DEP_2) | instskip(NEXT) | instid1(VALU_DEP_2)
	v_cmp_eq_u32_e32 vcc_lo, 0, v10
	v_min_u32_e32 v8, 32, v8
	s_delay_alu instid0(VALU_DEP_1) | instskip(NEXT) | instid1(VALU_DEP_1)
	v_subrev_nc_u32_e32 v9, 28, v8
	v_dual_lshlrev_b32 v1, v9, v1 :: v_dual_sub_nc_u32 v8, 29, v8
	s_delay_alu instid0(VALU_DEP_1) | instskip(NEXT) | instid1(VALU_DEP_1)
	v_dual_lshlrev_b32 v3, 24, v3 :: v_dual_bitop2_b32 v1, 7, v1 bitop3:0x40
	v_dual_cndmask_b32 v8, v10, v8 :: v_dual_cndmask_b32 v1, v5, v1
	s_delay_alu instid0(VALU_DEP_2) | instskip(NEXT) | instid1(VALU_DEP_2)
	v_and_b32_e32 v3, 0x80000000, v3
	v_lshl_add_u32 v5, v8, 23, 0x3b800000
	s_delay_alu instid0(VALU_DEP_3) | instskip(NEXT) | instid1(VALU_DEP_1)
	v_lshlrev_b32_e32 v1, 20, v1
	v_or3_b32 v1, v3, v5, v1
.LBB77_584:
	s_or_b32 exec_lo, exec_lo, s46
.LBB77_585:
	s_mov_b32 s45, -1
.LBB77_586:
	s_mov_b32 s46, 0
.LBB77_587:
	s_delay_alu instid0(SALU_CYCLE_1)
	s_and_b32 vcc_lo, exec_lo, s46
	s_cbranch_vccz .LBB77_622
; %bb.588:
	s_cmp_gt_i32 s44, 22
	s_cbranch_scc0 .LBB77_598
; %bb.589:
	s_cmp_lt_i32 s44, 24
	s_cbranch_scc1 .LBB77_601
; %bb.590:
	s_cmp_gt_i32 s44, 24
	s_cbranch_scc0 .LBB77_602
; %bb.591:
	global_load_u8 v3, v[6:7], off
	s_mov_b32 s45, 0
	s_mov_b32 s46, exec_lo
	s_wait_loadcnt 0x0
	v_cmpx_lt_i16_e32 0x7f, v3
	s_xor_b32 s46, exec_lo, s46
	s_cbranch_execz .LBB77_614
; %bb.592:
	s_mov_b32 s45, -1
	s_mov_b32 s48, exec_lo
	v_cmpx_eq_u16_e32 0x80, v3
; %bb.593:
	s_xor_b32 s45, exec_lo, -1
; %bb.594:
	s_or_b32 exec_lo, exec_lo, s48
	s_delay_alu instid0(SALU_CYCLE_1)
	s_and_b32 s45, s45, exec_lo
	s_or_saveexec_b32 s46, s46
	v_mov_b32_e32 v1, 0x7f800001
	s_xor_b32 exec_lo, exec_lo, s46
	s_cbranch_execnz .LBB77_615
.LBB77_595:
	s_or_b32 exec_lo, exec_lo, s46
	s_and_saveexec_b32 s46, s45
	s_cbranch_execz .LBB77_597
.LBB77_596:
	v_and_b32_e32 v1, 0xffff, v3
	s_delay_alu instid0(VALU_DEP_1) | instskip(SKIP_1) | instid1(VALU_DEP_2)
	v_and_b32_e32 v5, 3, v1
	v_bfe_u32 v10, v1, 2, 5
	v_clz_i32_u32_e32 v8, v5
	s_delay_alu instid0(VALU_DEP_2) | instskip(NEXT) | instid1(VALU_DEP_2)
	v_cmp_eq_u32_e32 vcc_lo, 0, v10
	v_min_u32_e32 v8, 32, v8
	s_delay_alu instid0(VALU_DEP_1) | instskip(NEXT) | instid1(VALU_DEP_1)
	v_subrev_nc_u32_e32 v9, 29, v8
	v_dual_lshlrev_b32 v1, v9, v1 :: v_dual_sub_nc_u32 v8, 30, v8
	s_delay_alu instid0(VALU_DEP_1) | instskip(NEXT) | instid1(VALU_DEP_1)
	v_dual_lshlrev_b32 v3, 24, v3 :: v_dual_bitop2_b32 v1, 3, v1 bitop3:0x40
	v_dual_cndmask_b32 v8, v10, v8 :: v_dual_cndmask_b32 v1, v5, v1
	s_delay_alu instid0(VALU_DEP_2) | instskip(NEXT) | instid1(VALU_DEP_2)
	v_and_b32_e32 v3, 0x80000000, v3
	v_lshl_add_u32 v5, v8, 23, 0x37800000
	s_delay_alu instid0(VALU_DEP_3) | instskip(NEXT) | instid1(VALU_DEP_1)
	v_lshlrev_b32_e32 v1, 21, v1
	v_or3_b32 v1, v3, v5, v1
.LBB77_597:
	s_or_b32 exec_lo, exec_lo, s46
	s_mov_b32 s45, 0
	s_branch .LBB77_603
.LBB77_598:
	s_mov_b32 s46, -1
                                        ; implicit-def: $vgpr1
	s_branch .LBB77_609
.LBB77_599:
	s_or_saveexec_b32 s46, s46
	v_mov_b32_e32 v1, 0x7f800001
	s_xor_b32 exec_lo, exec_lo, s46
	s_cbranch_execz .LBB77_582
.LBB77_600:
	v_cmp_ne_u16_e32 vcc_lo, 0, v3
	v_mov_b32_e32 v1, 0
	s_and_not1_b32 s45, s45, exec_lo
	s_and_b32 s48, vcc_lo, exec_lo
	s_delay_alu instid0(SALU_CYCLE_1)
	s_or_b32 s45, s45, s48
	s_or_b32 exec_lo, exec_lo, s46
	s_and_saveexec_b32 s46, s45
	s_cbranch_execnz .LBB77_583
	s_branch .LBB77_584
.LBB77_601:
	s_mov_b32 s45, -1
                                        ; implicit-def: $vgpr1
	s_branch .LBB77_606
.LBB77_602:
	s_mov_b32 s45, -1
                                        ; implicit-def: $vgpr1
.LBB77_603:
	s_delay_alu instid0(SALU_CYCLE_1)
	s_and_b32 vcc_lo, exec_lo, s45
	s_cbranch_vccz .LBB77_605
; %bb.604:
	global_load_u8 v1, v[6:7], off
	s_wait_loadcnt 0x0
	v_lshlrev_b32_e32 v1, 24, v1
	s_delay_alu instid0(VALU_DEP_1) | instskip(NEXT) | instid1(VALU_DEP_1)
	v_and_b32_e32 v3, 0x7f000000, v1
	v_clz_i32_u32_e32 v5, v3
	s_wait_xcnt 0x1
	v_add_nc_u32_e32 v9, 0x1000000, v3
	v_cmp_ne_u32_e32 vcc_lo, 0, v3
	s_delay_alu instid0(VALU_DEP_3) | instskip(NEXT) | instid1(VALU_DEP_1)
	v_min_u32_e32 v5, 32, v5
	v_sub_nc_u32_e64 v5, v5, 4 clamp
	s_delay_alu instid0(VALU_DEP_1) | instskip(NEXT) | instid1(VALU_DEP_1)
	v_dual_lshlrev_b32 v8, v5, v3 :: v_dual_lshlrev_b32 v5, 23, v5
	v_lshrrev_b32_e32 v8, 4, v8
	s_delay_alu instid0(VALU_DEP_1) | instskip(SKIP_1) | instid1(VALU_DEP_2)
	v_sub_nc_u32_e32 v5, v8, v5
	v_ashrrev_i32_e32 v8, 8, v9
	v_add_nc_u32_e32 v5, 0x3c000000, v5
	s_delay_alu instid0(VALU_DEP_1) | instskip(NEXT) | instid1(VALU_DEP_1)
	v_and_or_b32 v5, 0x7f800000, v8, v5
	v_cndmask_b32_e32 v3, 0, v5, vcc_lo
	s_delay_alu instid0(VALU_DEP_1)
	v_and_or_b32 v1, 0x80000000, v1, v3
.LBB77_605:
	s_mov_b32 s45, 0
.LBB77_606:
	s_delay_alu instid0(SALU_CYCLE_1)
	s_and_not1_b32 vcc_lo, exec_lo, s45
	s_cbranch_vccnz .LBB77_608
; %bb.607:
	global_load_u8 v1, v[6:7], off
	s_wait_loadcnt 0x0
	v_lshlrev_b32_e32 v3, 25, v1
	v_lshlrev_b16 v1, 8, v1
	s_wait_xcnt 0x1
	s_delay_alu instid0(VALU_DEP_1) | instskip(SKIP_1) | instid1(VALU_DEP_2)
	v_and_or_b32 v8, 0x7f00, v1, 0.5
	v_bfe_i32 v1, v1, 0, 16
	v_dual_add_f32 v8, -0.5, v8 :: v_dual_lshrrev_b32 v5, 4, v3
	v_cmp_gt_u32_e32 vcc_lo, 0x8000000, v3
	s_delay_alu instid0(VALU_DEP_2) | instskip(NEXT) | instid1(VALU_DEP_1)
	v_or_b32_e32 v5, 0x70000000, v5
	v_mul_f32_e32 v5, 0x7800000, v5
	s_delay_alu instid0(VALU_DEP_1) | instskip(NEXT) | instid1(VALU_DEP_1)
	v_cndmask_b32_e32 v3, v5, v8, vcc_lo
	v_and_or_b32 v1, 0x80000000, v1, v3
.LBB77_608:
	s_mov_b32 s46, 0
	s_mov_b32 s45, -1
.LBB77_609:
	s_and_not1_b32 vcc_lo, exec_lo, s46
	s_cbranch_vccnz .LBB77_622
; %bb.610:
	s_cmp_gt_i32 s44, 14
	s_cbranch_scc0 .LBB77_613
; %bb.611:
	s_cmp_eq_u32 s44, 15
	s_cbranch_scc0 .LBB77_616
; %bb.612:
	global_load_u16 v1, v[6:7], off
	s_mov_b32 s45, -1
	s_mov_b32 s27, 0
	s_wait_loadcnt 0x0
	v_lshlrev_b32_e32 v1, 16, v1
	s_branch .LBB77_617
.LBB77_613:
	s_mov_b32 s46, -1
                                        ; implicit-def: $vgpr1
	s_branch .LBB77_618
.LBB77_614:
	s_or_saveexec_b32 s46, s46
	v_mov_b32_e32 v1, 0x7f800001
	s_xor_b32 exec_lo, exec_lo, s46
	s_cbranch_execz .LBB77_595
.LBB77_615:
	v_cmp_ne_u16_e32 vcc_lo, 0, v3
	v_mov_b32_e32 v1, 0
	s_and_not1_b32 s45, s45, exec_lo
	s_and_b32 s48, vcc_lo, exec_lo
	s_delay_alu instid0(SALU_CYCLE_1)
	s_or_b32 s45, s45, s48
	s_or_b32 exec_lo, exec_lo, s46
	s_and_saveexec_b32 s46, s45
	s_cbranch_execnz .LBB77_596
	s_branch .LBB77_597
.LBB77_616:
	s_mov_b32 s27, -1
                                        ; implicit-def: $vgpr1
.LBB77_617:
	s_mov_b32 s46, 0
.LBB77_618:
	s_delay_alu instid0(SALU_CYCLE_1)
	s_and_b32 vcc_lo, exec_lo, s46
	s_cbranch_vccz .LBB77_622
; %bb.619:
	s_cmp_eq_u32 s44, 11
	s_cbranch_scc0 .LBB77_621
; %bb.620:
	global_load_u8 v1, v[6:7], off
	s_mov_b32 s27, 0
	s_mov_b32 s45, -1
	s_wait_loadcnt 0x0
	v_cmp_ne_u16_e32 vcc_lo, 0, v1
	v_cndmask_b32_e64 v1, 0, 1.0, vcc_lo
	s_branch .LBB77_622
.LBB77_621:
	s_mov_b32 s27, -1
                                        ; implicit-def: $vgpr1
.LBB77_622:
	s_mov_b32 s44, 0
.LBB77_623:
	s_delay_alu instid0(SALU_CYCLE_1)
	s_and_b32 vcc_lo, exec_lo, s44
	s_cbranch_vccz .LBB77_672
; %bb.624:
	s_and_b32 s0, 0xffff, s0
	s_delay_alu instid0(SALU_CYCLE_1)
	s_cmp_lt_i32 s0, 5
	s_cbranch_scc1 .LBB77_629
; %bb.625:
	s_cmp_lt_i32 s0, 8
	s_cbranch_scc1 .LBB77_630
; %bb.626:
	s_cmp_lt_i32 s0, 9
	s_cbranch_scc1 .LBB77_631
; %bb.627:
	s_cmp_gt_i32 s0, 9
	s_cbranch_scc0 .LBB77_632
; %bb.628:
	global_load_b64 v[8:9], v[6:7], off
	s_mov_b32 s44, 0
	s_wait_loadcnt 0x0
	v_cvt_f32_f64_e32 v1, v[8:9]
	s_branch .LBB77_633
.LBB77_629:
	s_mov_b32 s44, -1
                                        ; implicit-def: $vgpr1
	s_branch .LBB77_651
.LBB77_630:
	s_mov_b32 s44, -1
                                        ; implicit-def: $vgpr1
	s_branch .LBB77_639
.LBB77_631:
	s_mov_b32 s44, -1
                                        ; implicit-def: $vgpr1
	s_branch .LBB77_636
.LBB77_632:
	s_mov_b32 s44, -1
                                        ; implicit-def: $vgpr1
.LBB77_633:
	s_delay_alu instid0(SALU_CYCLE_1)
	s_and_not1_b32 vcc_lo, exec_lo, s44
	s_cbranch_vccnz .LBB77_635
; %bb.634:
	global_load_b32 v1, v[6:7], off
.LBB77_635:
	s_mov_b32 s44, 0
.LBB77_636:
	s_delay_alu instid0(SALU_CYCLE_1)
	s_and_not1_b32 vcc_lo, exec_lo, s44
	s_cbranch_vccnz .LBB77_638
; %bb.637:
	s_wait_loadcnt 0x0
	global_load_b32 v1, v[6:7], off
	s_wait_loadcnt 0x0
	v_cvt_f32_f16_e32 v1, v1
.LBB77_638:
	s_mov_b32 s44, 0
.LBB77_639:
	s_delay_alu instid0(SALU_CYCLE_1)
	s_and_not1_b32 vcc_lo, exec_lo, s44
	s_cbranch_vccnz .LBB77_650
; %bb.640:
	s_cmp_lt_i32 s0, 6
	s_cbranch_scc1 .LBB77_643
; %bb.641:
	s_cmp_gt_i32 s0, 6
	s_cbranch_scc0 .LBB77_644
; %bb.642:
	global_load_b64 v[8:9], v[6:7], off
	s_mov_b32 s44, 0
	s_wait_loadcnt 0x0
	v_cvt_f32_f64_e32 v1, v[8:9]
	s_branch .LBB77_645
.LBB77_643:
	s_mov_b32 s44, -1
                                        ; implicit-def: $vgpr1
	s_branch .LBB77_648
.LBB77_644:
	s_mov_b32 s44, -1
                                        ; implicit-def: $vgpr1
.LBB77_645:
	s_delay_alu instid0(SALU_CYCLE_1)
	s_and_not1_b32 vcc_lo, exec_lo, s44
	s_cbranch_vccnz .LBB77_647
; %bb.646:
	s_wait_loadcnt 0x0
	global_load_b32 v1, v[6:7], off
.LBB77_647:
	s_mov_b32 s44, 0
.LBB77_648:
	s_delay_alu instid0(SALU_CYCLE_1)
	s_and_not1_b32 vcc_lo, exec_lo, s44
	s_cbranch_vccnz .LBB77_650
; %bb.649:
	s_wait_loadcnt 0x0
	global_load_u16 v1, v[6:7], off
	s_wait_loadcnt 0x0
	v_cvt_f32_f16_e32 v1, v1
.LBB77_650:
	s_mov_b32 s44, 0
.LBB77_651:
	s_delay_alu instid0(SALU_CYCLE_1)
	s_and_not1_b32 vcc_lo, exec_lo, s44
	s_cbranch_vccnz .LBB77_671
; %bb.652:
	s_cmp_lt_i32 s0, 2
	s_cbranch_scc1 .LBB77_656
; %bb.653:
	s_cmp_lt_i32 s0, 3
	s_cbranch_scc1 .LBB77_657
; %bb.654:
	s_cmp_gt_i32 s0, 3
	s_cbranch_scc0 .LBB77_658
; %bb.655:
	global_load_b64 v[8:9], v[6:7], off
	s_mov_b32 s44, 0
	s_wait_loadcnt 0x0
	v_xor_b32_e32 v1, v8, v9
	v_cls_i32_e32 v3, v9
	s_delay_alu instid0(VALU_DEP_2) | instskip(NEXT) | instid1(VALU_DEP_1)
	v_ashrrev_i32_e32 v1, 31, v1
	v_add_nc_u32_e32 v1, 32, v1
	s_delay_alu instid0(VALU_DEP_1) | instskip(NEXT) | instid1(VALU_DEP_1)
	v_add_min_u32_e64 v1, v3, -1, v1
	v_lshlrev_b64_e32 v[8:9], v1, v[8:9]
	v_sub_nc_u32_e32 v1, 32, v1
	s_delay_alu instid0(VALU_DEP_2) | instskip(NEXT) | instid1(VALU_DEP_1)
	v_min_u32_e32 v3, 1, v8
	v_or_b32_e32 v3, v9, v3
	s_delay_alu instid0(VALU_DEP_1) | instskip(NEXT) | instid1(VALU_DEP_1)
	v_cvt_f32_i32_e32 v3, v3
	v_ldexp_f32 v1, v3, v1
	s_branch .LBB77_659
.LBB77_656:
	s_mov_b32 s44, -1
                                        ; implicit-def: $vgpr1
	s_branch .LBB77_665
.LBB77_657:
	s_mov_b32 s44, -1
                                        ; implicit-def: $vgpr1
	s_branch .LBB77_662
.LBB77_658:
	s_mov_b32 s44, -1
                                        ; implicit-def: $vgpr1
.LBB77_659:
	s_delay_alu instid0(SALU_CYCLE_1)
	s_and_not1_b32 vcc_lo, exec_lo, s44
	s_cbranch_vccnz .LBB77_661
; %bb.660:
	s_wait_loadcnt 0x0
	global_load_b32 v1, v[6:7], off
	s_wait_loadcnt 0x0
	v_cvt_f32_i32_e32 v1, v1
.LBB77_661:
	s_mov_b32 s44, 0
.LBB77_662:
	s_delay_alu instid0(SALU_CYCLE_1)
	s_and_not1_b32 vcc_lo, exec_lo, s44
	s_cbranch_vccnz .LBB77_664
; %bb.663:
	s_wait_loadcnt 0x0
	global_load_i16 v1, v[6:7], off
	s_wait_loadcnt 0x0
	v_cvt_f32_i32_e32 v1, v1
.LBB77_664:
	s_mov_b32 s44, 0
.LBB77_665:
	s_delay_alu instid0(SALU_CYCLE_1)
	s_and_not1_b32 vcc_lo, exec_lo, s44
	s_cbranch_vccnz .LBB77_671
; %bb.666:
	s_cmp_gt_i32 s0, 0
	s_mov_b32 s0, 0
	s_cbranch_scc0 .LBB77_668
; %bb.667:
	s_wait_loadcnt 0x0
	global_load_i8 v1, v[6:7], off
	s_wait_loadcnt 0x0
	v_cvt_f32_i32_e32 v1, v1
	s_branch .LBB77_669
.LBB77_668:
	s_mov_b32 s0, -1
                                        ; implicit-def: $vgpr1
.LBB77_669:
	s_delay_alu instid0(SALU_CYCLE_1)
	s_and_not1_b32 vcc_lo, exec_lo, s0
	s_cbranch_vccnz .LBB77_671
; %bb.670:
	s_wait_loadcnt 0x0
	global_load_u8 v1, v[6:7], off
	s_wait_loadcnt 0x0
	v_cvt_f32_ubyte0_e32 v1, v1
.LBB77_671:
	s_mov_b32 s45, -1
.LBB77_672:
	s_delay_alu instid0(SALU_CYCLE_1)
	s_and_not1_b32 vcc_lo, exec_lo, s45
	s_cbranch_vccnz .LBB77_682
; %bb.673:
	s_wait_loadcnt 0x0
	s_delay_alu instid0(VALU_DEP_1) | instskip(SKIP_2) | instid1(VALU_DEP_1)
	v_mul_f32_e32 v1, s10, v1
	s_mov_b32 s0, exec_lo
	s_wait_xcnt 0x0
	v_cmpx_nlt_f32_e32 s11, v1
	s_cbranch_execz .LBB77_675
; %bb.674:
	v_mul_f32_e32 v3, 0x3fb8aa3b, v1
	v_cmp_ngt_f32_e32 vcc_lo, 0xc2ce8ed0, v1
	s_delay_alu instid0(VALU_DEP_2) | instskip(SKIP_1) | instid1(VALU_DEP_1)
	v_rndne_f32_e32 v5, v3
	v_fma_f32 v6, 0x3fb8aa3b, v1, -v3
	v_dual_sub_f32 v3, v3, v5 :: v_dual_fmamk_f32 v6, v1, 0x32a5705f, v6
	v_cvt_i32_f32_e32 v5, v5
	s_delay_alu instid0(VALU_DEP_2) | instskip(NEXT) | instid1(VALU_DEP_1)
	v_add_f32_e32 v3, v3, v6
	v_exp_f32_e32 v3, v3
	v_nop
	s_delay_alu instid0(TRANS32_DEP_1) | instskip(NEXT) | instid1(VALU_DEP_1)
	v_ldexp_f32 v3, v3, v5
	v_cndmask_b32_e32 v3, 0, v3, vcc_lo
	v_cmp_nlt_f32_e32 vcc_lo, 0x42b17218, v1
	s_delay_alu instid0(VALU_DEP_2) | instskip(NEXT) | instid1(VALU_DEP_1)
	v_cndmask_b32_e32 v1, 0x7f800000, v3, vcc_lo
	v_dual_mul_f32 v2, v2, v1 :: v_dual_add_f32 v1, 1.0, v1
	s_delay_alu instid0(VALU_DEP_1) | instskip(NEXT) | instid1(VALU_DEP_1)
	v_div_scale_f32 v3, null, v1, v1, v2
	v_rcp_f32_e32 v5, v3
	v_nop
	s_delay_alu instid0(TRANS32_DEP_1) | instskip(NEXT) | instid1(VALU_DEP_1)
	v_fma_f32 v6, -v3, v5, 1.0
	v_fmac_f32_e32 v5, v6, v5
	v_div_scale_f32 v6, vcc_lo, v2, v1, v2
	s_delay_alu instid0(VALU_DEP_1) | instskip(NEXT) | instid1(VALU_DEP_1)
	v_mul_f32_e32 v7, v6, v5
	v_fma_f32 v8, -v3, v7, v6
	s_delay_alu instid0(VALU_DEP_1) | instskip(NEXT) | instid1(VALU_DEP_1)
	v_fmac_f32_e32 v7, v8, v5
	v_fma_f32 v3, -v3, v7, v6
	s_delay_alu instid0(VALU_DEP_1) | instskip(NEXT) | instid1(VALU_DEP_1)
	v_div_fmas_f32 v3, v3, v5, v7
	v_div_fixup_f32 v2, v3, v1, v2
.LBB77_675:
	s_or_b32 exec_lo, exec_lo, s0
	v_mov_b32_e32 v5, 0
	s_and_b32 s44, s34, 0xff
	s_delay_alu instid0(SALU_CYCLE_1) | instskip(NEXT) | instid1(VALU_DEP_1)
	s_cmp_lt_i32 s44, 11
	v_add_nc_u64_e32 v[4:5], s[4:5], v[4:5]
	s_cbranch_scc1 .LBB77_683
; %bb.676:
	s_and_b32 s45, 0xffff, s44
	s_delay_alu instid0(SALU_CYCLE_1)
	s_cmp_gt_i32 s45, 25
	s_cbranch_scc0 .LBB77_684
; %bb.677:
	s_cmp_gt_i32 s45, 28
	s_cbranch_scc0 .LBB77_685
; %bb.678:
	;; [unrolled: 3-line block ×4, first 2 shown]
	s_mov_b32 s48, 0
	s_mov_b32 s0, -1
	s_cmp_eq_u32 s45, 46
	s_mov_b32 s46, 0
	s_cbranch_scc0 .LBB77_688
; %bb.681:
	v_bfe_u32 v1, v2, 16, 1
	v_cmp_o_f32_e32 vcc_lo, v2, v2
	s_mov_b32 s46, -1
	s_mov_b32 s0, 0
	s_delay_alu instid0(VALU_DEP_2) | instskip(NEXT) | instid1(VALU_DEP_1)
	v_add3_u32 v1, v2, v1, 0x7fff
	v_lshrrev_b32_e32 v1, 16, v1
	s_delay_alu instid0(VALU_DEP_1)
	v_cndmask_b32_e32 v1, 0x7fc0, v1, vcc_lo
	global_store_b32 v[4:5], v1, off
	s_branch .LBB77_688
.LBB77_682:
	s_mov_b32 s48, 0
	s_mov_b32 s0, s40
	s_branch .LBB77_799
.LBB77_683:
	s_mov_b32 s45, -1
	s_mov_b32 s46, 0
	s_mov_b32 s0, s40
	s_branch .LBB77_757
.LBB77_684:
	s_mov_b32 s48, -1
	s_mov_b32 s46, 0
	s_mov_b32 s0, s40
	s_branch .LBB77_715
.LBB77_685:
	s_mov_b32 s48, -1
	s_mov_b32 s46, 0
	s_mov_b32 s0, s40
	s_branch .LBB77_698
.LBB77_686:
	s_mov_b32 s48, -1
	s_mov_b32 s46, 0
	s_mov_b32 s0, s40
	s_branch .LBB77_694
.LBB77_687:
	s_mov_b32 s48, -1
	s_mov_b32 s46, 0
	s_mov_b32 s0, s40
.LBB77_688:
	s_and_b32 vcc_lo, exec_lo, s48
	s_cbranch_vccz .LBB77_693
; %bb.689:
	s_cmp_eq_u32 s45, 44
	s_mov_b32 s0, -1
	s_cbranch_scc0 .LBB77_693
; %bb.690:
	v_bfe_u32 v3, v2, 23, 8
	s_wait_xcnt 0x0
	v_mov_b32_e32 v1, 0xff
	s_mov_b32 s46, exec_lo
	s_delay_alu instid0(VALU_DEP_2)
	v_cmpx_ne_u32_e32 0xff, v3
	s_cbranch_execz .LBB77_692
; %bb.691:
	v_and_b32_e32 v1, 0x400000, v2
	v_and_or_b32 v3, 0x3fffff, v2, v3
	s_delay_alu instid0(VALU_DEP_2) | instskip(NEXT) | instid1(VALU_DEP_2)
	v_cmp_ne_u32_e32 vcc_lo, 0, v1
	v_cmp_ne_u32_e64 s0, 0, v3
	v_lshrrev_b32_e32 v1, 23, v2
	s_and_b32 s0, vcc_lo, s0
	s_delay_alu instid0(SALU_CYCLE_1) | instskip(NEXT) | instid1(VALU_DEP_1)
	v_cndmask_b32_e64 v3, 0, 1, s0
	v_add_nc_u32_e32 v1, v1, v3
.LBB77_692:
	s_or_b32 exec_lo, exec_lo, s46
	s_mov_b32 s46, -1
	s_mov_b32 s0, 0
	global_store_b8 v[4:5], v1, off
.LBB77_693:
	s_mov_b32 s48, 0
.LBB77_694:
	s_delay_alu instid0(SALU_CYCLE_1)
	s_and_b32 vcc_lo, exec_lo, s48
	s_cbranch_vccz .LBB77_697
; %bb.695:
	s_cmp_eq_u32 s45, 29
	s_mov_b32 s0, -1
	s_cbranch_scc0 .LBB77_697
; %bb.696:
	s_wait_xcnt 0x0
	v_trunc_f32_e32 v1, v2
	s_mov_b32 s46, -1
	s_mov_b32 s0, 0
	s_mov_b32 s48, 0
	s_delay_alu instid0(VALU_DEP_1) | instskip(NEXT) | instid1(VALU_DEP_1)
	v_mul_f32_e32 v3, 0x2f800000, v1
	v_floor_f32_e32 v3, v3
	s_delay_alu instid0(VALU_DEP_1) | instskip(SKIP_1) | instid1(VALU_DEP_2)
	v_fmamk_f32 v1, v3, 0xcf800000, v1
	v_cvt_u32_f32_e32 v7, v3
	v_cvt_u32_f32_e32 v6, v1
	global_store_b64 v[4:5], v[6:7], off
	s_branch .LBB77_698
.LBB77_697:
	s_mov_b32 s48, 0
.LBB77_698:
	s_delay_alu instid0(SALU_CYCLE_1)
	s_and_b32 vcc_lo, exec_lo, s48
	s_cbranch_vccz .LBB77_714
; %bb.699:
	s_cmp_lt_i32 s45, 27
	s_mov_b32 s46, -1
	s_cbranch_scc1 .LBB77_705
; %bb.700:
	s_wait_xcnt 0x0
	v_cvt_u32_f32_e32 v1, v2
	s_cmp_gt_i32 s45, 27
	s_cbranch_scc0 .LBB77_702
; %bb.701:
	s_mov_b32 s46, 0
	global_store_b32 v[4:5], v1, off
.LBB77_702:
	s_and_not1_b32 vcc_lo, exec_lo, s46
	s_cbranch_vccnz .LBB77_704
; %bb.703:
	global_store_b16 v[4:5], v1, off
.LBB77_704:
	s_mov_b32 s46, 0
.LBB77_705:
	s_delay_alu instid0(SALU_CYCLE_1)
	s_and_not1_b32 vcc_lo, exec_lo, s46
	s_cbranch_vccnz .LBB77_713
; %bb.706:
	s_wait_xcnt 0x0
	v_and_b32_e32 v1, 0x7fffffff, v2
	v_mov_b32_e32 v3, 0x80
	s_mov_b32 s46, exec_lo
	s_delay_alu instid0(VALU_DEP_2)
	v_cmpx_gt_u32_e32 0x43800000, v1
	s_cbranch_execz .LBB77_712
; %bb.707:
	v_cmp_lt_u32_e32 vcc_lo, 0x3bffffff, v1
	s_mov_b32 s48, 0
                                        ; implicit-def: $vgpr1
	s_and_saveexec_b32 s49, vcc_lo
	s_delay_alu instid0(SALU_CYCLE_1)
	s_xor_b32 s49, exec_lo, s49
	s_cbranch_execz .LBB77_827
; %bb.708:
	v_bfe_u32 v1, v2, 20, 1
	s_mov_b32 s48, exec_lo
	s_delay_alu instid0(VALU_DEP_1) | instskip(NEXT) | instid1(VALU_DEP_1)
	v_add3_u32 v1, v2, v1, 0x487ffff
	v_lshrrev_b32_e32 v1, 20, v1
	s_and_not1_saveexec_b32 s49, s49
	s_cbranch_execnz .LBB77_828
.LBB77_709:
	s_or_b32 exec_lo, exec_lo, s49
	v_mov_b32_e32 v3, 0
	s_and_saveexec_b32 s49, s48
.LBB77_710:
	v_lshrrev_b32_e32 v3, 24, v2
	s_delay_alu instid0(VALU_DEP_1)
	v_and_or_b32 v3, 0x80, v3, v1
.LBB77_711:
	s_or_b32 exec_lo, exec_lo, s49
.LBB77_712:
	s_delay_alu instid0(SALU_CYCLE_1)
	s_or_b32 exec_lo, exec_lo, s46
	global_store_b8 v[4:5], v3, off
.LBB77_713:
	s_mov_b32 s46, -1
.LBB77_714:
	s_mov_b32 s48, 0
.LBB77_715:
	s_delay_alu instid0(SALU_CYCLE_1)
	s_and_b32 vcc_lo, exec_lo, s48
	s_cbranch_vccz .LBB77_756
; %bb.716:
	s_cmp_gt_i32 s45, 22
	s_mov_b32 s48, -1
	s_cbranch_scc0 .LBB77_748
; %bb.717:
	s_cmp_lt_i32 s45, 24
	s_mov_b32 s46, -1
	s_cbranch_scc1 .LBB77_737
; %bb.718:
	s_cmp_gt_i32 s45, 24
	s_cbranch_scc0 .LBB77_726
; %bb.719:
	s_wait_xcnt 0x0
	v_and_b32_e32 v1, 0x7fffffff, v2
	v_mov_b32_e32 v3, 0x80
	s_mov_b32 s46, exec_lo
	s_delay_alu instid0(VALU_DEP_2)
	v_cmpx_gt_u32_e32 0x47800000, v1
	s_cbranch_execz .LBB77_725
; %bb.720:
	v_cmp_lt_u32_e32 vcc_lo, 0x37ffffff, v1
	s_mov_b32 s48, 0
                                        ; implicit-def: $vgpr1
	s_and_saveexec_b32 s49, vcc_lo
	s_delay_alu instid0(SALU_CYCLE_1)
	s_xor_b32 s49, exec_lo, s49
	s_cbranch_execz .LBB77_959
; %bb.721:
	v_bfe_u32 v1, v2, 21, 1
	s_mov_b32 s48, exec_lo
	s_delay_alu instid0(VALU_DEP_1) | instskip(NEXT) | instid1(VALU_DEP_1)
	v_add3_u32 v1, v2, v1, 0x88fffff
	v_lshrrev_b32_e32 v1, 21, v1
	s_and_not1_saveexec_b32 s49, s49
	s_cbranch_execnz .LBB77_960
.LBB77_722:
	s_or_b32 exec_lo, exec_lo, s49
	v_mov_b32_e32 v3, 0
	s_and_saveexec_b32 s49, s48
.LBB77_723:
	v_lshrrev_b32_e32 v3, 24, v2
	s_delay_alu instid0(VALU_DEP_1)
	v_and_or_b32 v3, 0x80, v3, v1
.LBB77_724:
	s_or_b32 exec_lo, exec_lo, s49
.LBB77_725:
	s_delay_alu instid0(SALU_CYCLE_1)
	s_or_b32 exec_lo, exec_lo, s46
	s_mov_b32 s46, 0
	global_store_b8 v[4:5], v3, off
.LBB77_726:
	s_and_b32 vcc_lo, exec_lo, s46
	s_cbranch_vccz .LBB77_736
; %bb.727:
	s_wait_xcnt 0x0
	v_and_b32_e32 v3, 0x7fffffff, v2
	s_mov_b32 s46, exec_lo
                                        ; implicit-def: $vgpr1
	s_delay_alu instid0(VALU_DEP_1)
	v_cmpx_gt_u32_e32 0x43f00000, v3
	s_xor_b32 s46, exec_lo, s46
	s_cbranch_execz .LBB77_733
; %bb.728:
	s_mov_b32 s48, exec_lo
                                        ; implicit-def: $vgpr1
	v_cmpx_lt_u32_e32 0x3c7fffff, v3
	s_xor_b32 s48, exec_lo, s48
; %bb.729:
	v_bfe_u32 v1, v2, 20, 1
	s_delay_alu instid0(VALU_DEP_1) | instskip(NEXT) | instid1(VALU_DEP_1)
	v_add3_u32 v1, v2, v1, 0x407ffff
	v_and_b32_e32 v3, 0xff00000, v1
	v_lshrrev_b32_e32 v1, 20, v1
	s_delay_alu instid0(VALU_DEP_2) | instskip(NEXT) | instid1(VALU_DEP_2)
	v_cmp_ne_u32_e32 vcc_lo, 0x7f00000, v3
	v_cndmask_b32_e32 v1, 0x7e, v1, vcc_lo
; %bb.730:
	s_and_not1_saveexec_b32 s48, s48
; %bb.731:
	v_add_f32_e64 v1, 0x46800000, |v2|
; %bb.732:
	s_or_b32 exec_lo, exec_lo, s48
                                        ; implicit-def: $vgpr3
.LBB77_733:
	s_and_not1_saveexec_b32 s46, s46
; %bb.734:
	v_mov_b32_e32 v1, 0x7f
	v_cmp_lt_u32_e32 vcc_lo, 0x7f800000, v3
	s_delay_alu instid0(VALU_DEP_2)
	v_cndmask_b32_e32 v1, 0x7e, v1, vcc_lo
; %bb.735:
	s_or_b32 exec_lo, exec_lo, s46
	v_lshrrev_b32_e32 v3, 24, v2
	s_delay_alu instid0(VALU_DEP_1)
	v_and_or_b32 v1, 0x80, v3, v1
	global_store_b8 v[4:5], v1, off
.LBB77_736:
	s_mov_b32 s46, 0
.LBB77_737:
	s_delay_alu instid0(SALU_CYCLE_1)
	s_and_not1_b32 vcc_lo, exec_lo, s46
	s_cbranch_vccnz .LBB77_747
; %bb.738:
	s_wait_xcnt 0x0
	v_and_b32_e32 v3, 0x7fffffff, v2
	s_mov_b32 s46, exec_lo
                                        ; implicit-def: $vgpr1
	s_delay_alu instid0(VALU_DEP_1)
	v_cmpx_gt_u32_e32 0x47800000, v3
	s_xor_b32 s46, exec_lo, s46
	s_cbranch_execz .LBB77_744
; %bb.739:
	s_mov_b32 s48, exec_lo
                                        ; implicit-def: $vgpr1
	v_cmpx_lt_u32_e32 0x387fffff, v3
	s_xor_b32 s48, exec_lo, s48
; %bb.740:
	v_bfe_u32 v1, v2, 21, 1
	s_delay_alu instid0(VALU_DEP_1) | instskip(NEXT) | instid1(VALU_DEP_1)
	v_add3_u32 v1, v2, v1, 0x80fffff
	v_lshrrev_b32_e32 v1, 21, v1
; %bb.741:
	s_and_not1_saveexec_b32 s48, s48
; %bb.742:
	v_add_f32_e64 v1, 0x43000000, |v2|
; %bb.743:
	s_or_b32 exec_lo, exec_lo, s48
                                        ; implicit-def: $vgpr3
.LBB77_744:
	s_and_not1_saveexec_b32 s46, s46
; %bb.745:
	v_mov_b32_e32 v1, 0x7f
	v_cmp_lt_u32_e32 vcc_lo, 0x7f800000, v3
	s_delay_alu instid0(VALU_DEP_2)
	v_cndmask_b32_e32 v1, 0x7c, v1, vcc_lo
; %bb.746:
	s_or_b32 exec_lo, exec_lo, s46
	v_lshrrev_b32_e32 v3, 24, v2
	s_delay_alu instid0(VALU_DEP_1)
	v_and_or_b32 v1, 0x80, v3, v1
	global_store_b8 v[4:5], v1, off
.LBB77_747:
	s_mov_b32 s48, 0
	s_mov_b32 s46, -1
.LBB77_748:
	s_and_not1_b32 vcc_lo, exec_lo, s48
	s_cbranch_vccnz .LBB77_756
; %bb.749:
	s_cmp_gt_i32 s45, 14
	s_mov_b32 s48, -1
	s_cbranch_scc0 .LBB77_753
; %bb.750:
	s_cmp_eq_u32 s45, 15
	s_mov_b32 s0, -1
	s_cbranch_scc0 .LBB77_752
; %bb.751:
	s_wait_xcnt 0x0
	v_bfe_u32 v1, v2, 16, 1
	v_cmp_o_f32_e32 vcc_lo, v2, v2
	s_mov_b32 s46, -1
	s_mov_b32 s0, 0
	s_delay_alu instid0(VALU_DEP_2) | instskip(NEXT) | instid1(VALU_DEP_1)
	v_add3_u32 v1, v2, v1, 0x7fff
	v_lshrrev_b32_e32 v1, 16, v1
	s_delay_alu instid0(VALU_DEP_1)
	v_cndmask_b32_e32 v1, 0x7fc0, v1, vcc_lo
	global_store_b16 v[4:5], v1, off
.LBB77_752:
	s_mov_b32 s48, 0
.LBB77_753:
	s_delay_alu instid0(SALU_CYCLE_1)
	s_and_b32 vcc_lo, exec_lo, s48
	s_cbranch_vccz .LBB77_756
; %bb.754:
	s_cmp_eq_u32 s45, 11
	s_mov_b32 s0, -1
	s_cbranch_scc0 .LBB77_756
; %bb.755:
	v_cmp_neq_f32_e32 vcc_lo, 0, v2
	s_mov_b32 s0, 0
	s_mov_b32 s46, -1
	s_wait_xcnt 0x0
	v_cndmask_b32_e64 v1, 0, 1, vcc_lo
	global_store_b8 v[4:5], v1, off
.LBB77_756:
	s_mov_b32 s45, 0
.LBB77_757:
	s_delay_alu instid0(SALU_CYCLE_1)
	s_and_b32 vcc_lo, exec_lo, s45
	s_cbranch_vccz .LBB77_796
; %bb.758:
	s_and_b32 s44, 0xffff, s44
	s_mov_b32 s45, -1
	s_cmp_lt_i32 s44, 5
	s_cbranch_scc1 .LBB77_779
; %bb.759:
	s_cmp_lt_i32 s44, 8
	s_cbranch_scc1 .LBB77_769
; %bb.760:
	;; [unrolled: 3-line block ×3, first 2 shown]
	s_cmp_gt_i32 s44, 9
	s_cbranch_scc0 .LBB77_763
; %bb.762:
	s_wait_xcnt 0x0
	v_cvt_f64_f32_e32 v[6:7], v2
	v_mov_b32_e32 v8, 0
	s_mov_b32 s45, 0
	s_delay_alu instid0(VALU_DEP_1)
	v_mov_b32_e32 v9, v8
	global_store_b128 v[4:5], v[6:9], off
.LBB77_763:
	s_and_not1_b32 vcc_lo, exec_lo, s45
	s_cbranch_vccnz .LBB77_765
; %bb.764:
	s_wait_xcnt 0x0
	v_mov_b32_e32 v3, 0
	global_store_b64 v[4:5], v[2:3], off
.LBB77_765:
	s_mov_b32 s45, 0
.LBB77_766:
	s_delay_alu instid0(SALU_CYCLE_1)
	s_and_not1_b32 vcc_lo, exec_lo, s45
	s_cbranch_vccnz .LBB77_768
; %bb.767:
	s_wait_xcnt 0x0
	v_cvt_f16_f32_e32 v1, v2
	s_delay_alu instid0(VALU_DEP_1)
	v_and_b32_e32 v1, 0xffff, v1
	global_store_b32 v[4:5], v1, off
.LBB77_768:
	s_mov_b32 s45, 0
.LBB77_769:
	s_delay_alu instid0(SALU_CYCLE_1)
	s_and_not1_b32 vcc_lo, exec_lo, s45
	s_cbranch_vccnz .LBB77_778
; %bb.770:
	s_cmp_lt_i32 s44, 6
	s_mov_b32 s45, -1
	s_cbranch_scc1 .LBB77_776
; %bb.771:
	s_cmp_gt_i32 s44, 6
	s_cbranch_scc0 .LBB77_773
; %bb.772:
	s_wait_xcnt 0x0
	v_cvt_f64_f32_e32 v[6:7], v2
	s_mov_b32 s45, 0
	global_store_b64 v[4:5], v[6:7], off
.LBB77_773:
	s_and_not1_b32 vcc_lo, exec_lo, s45
	s_cbranch_vccnz .LBB77_775
; %bb.774:
	global_store_b32 v[4:5], v2, off
.LBB77_775:
	s_mov_b32 s45, 0
.LBB77_776:
	s_delay_alu instid0(SALU_CYCLE_1)
	s_and_not1_b32 vcc_lo, exec_lo, s45
	s_cbranch_vccnz .LBB77_778
; %bb.777:
	s_wait_xcnt 0x0
	v_cvt_f16_f32_e32 v1, v2
	global_store_b16 v[4:5], v1, off
.LBB77_778:
	s_mov_b32 s45, 0
.LBB77_779:
	s_delay_alu instid0(SALU_CYCLE_1)
	s_and_not1_b32 vcc_lo, exec_lo, s45
	s_cbranch_vccnz .LBB77_795
; %bb.780:
	s_cmp_lt_i32 s44, 2
	s_mov_b32 s45, -1
	s_cbranch_scc1 .LBB77_790
; %bb.781:
	s_cmp_lt_i32 s44, 3
	s_cbranch_scc1 .LBB77_787
; %bb.782:
	s_cmp_gt_i32 s44, 3
	s_cbranch_scc0 .LBB77_784
; %bb.783:
	s_wait_xcnt 0x0
	v_trunc_f32_e32 v1, v2
	s_mov_b32 s45, 0
	s_delay_alu instid0(VALU_DEP_1) | instskip(SKIP_1) | instid1(VALU_DEP_2)
	v_mul_f32_e64 v3, 0x2f800000, |v1|
	v_ashrrev_i32_e32 v6, 31, v1
	v_floor_f32_e32 v3, v3
	s_delay_alu instid0(VALU_DEP_1) | instskip(SKIP_1) | instid1(VALU_DEP_2)
	v_fma_f32 v7, 0xcf800000, v3, |v1|
	v_cvt_u32_f32_e32 v1, v3
	v_cvt_u32_f32_e32 v3, v7
	s_delay_alu instid0(VALU_DEP_2) | instskip(NEXT) | instid1(VALU_DEP_2)
	v_dual_mov_b32 v7, v6 :: v_dual_bitop2_b32 v9, v1, v6 bitop3:0x14
	v_xor_b32_e32 v8, v3, v6
	s_delay_alu instid0(VALU_DEP_1)
	v_sub_nc_u64_e32 v[6:7], v[8:9], v[6:7]
	global_store_b64 v[4:5], v[6:7], off
.LBB77_784:
	s_and_not1_b32 vcc_lo, exec_lo, s45
	s_cbranch_vccnz .LBB77_786
; %bb.785:
	s_wait_xcnt 0x0
	v_cvt_i32_f32_e32 v1, v2
	global_store_b32 v[4:5], v1, off
.LBB77_786:
	s_mov_b32 s45, 0
.LBB77_787:
	s_delay_alu instid0(SALU_CYCLE_1)
	s_and_not1_b32 vcc_lo, exec_lo, s45
	s_cbranch_vccnz .LBB77_789
; %bb.788:
	s_wait_xcnt 0x0
	v_cvt_i32_f32_e32 v1, v2
	global_store_b16 v[4:5], v1, off
.LBB77_789:
	s_mov_b32 s45, 0
.LBB77_790:
	s_delay_alu instid0(SALU_CYCLE_1)
	s_and_not1_b32 vcc_lo, exec_lo, s45
	s_cbranch_vccnz .LBB77_795
; %bb.791:
	s_cmp_gt_i32 s44, 0
	s_mov_b32 s44, -1
	s_cbranch_scc0 .LBB77_793
; %bb.792:
	s_wait_xcnt 0x0
	v_cvt_i32_f32_e32 v1, v2
	s_mov_b32 s44, 0
	global_store_b8 v[4:5], v1, off
.LBB77_793:
	s_and_not1_b32 vcc_lo, exec_lo, s44
	s_cbranch_vccnz .LBB77_795
; %bb.794:
	s_wait_xcnt 0x0
	v_trunc_f32_e32 v1, v2
	s_delay_alu instid0(VALU_DEP_1) | instskip(NEXT) | instid1(VALU_DEP_1)
	v_mul_f32_e64 v2, 0x2f800000, |v1|
	v_floor_f32_e32 v2, v2
	s_delay_alu instid0(VALU_DEP_1) | instskip(SKIP_1) | instid1(VALU_DEP_2)
	v_fma_f32 v2, 0xcf800000, v2, |v1|
	v_ashrrev_i32_e32 v1, 31, v1
	v_cvt_u32_f32_e32 v2, v2
	s_delay_alu instid0(VALU_DEP_1) | instskip(NEXT) | instid1(VALU_DEP_1)
	v_xor_b32_e32 v2, v2, v1
	v_sub_nc_u32_e32 v1, v2, v1
	global_store_b8 v[4:5], v1, off
.LBB77_795:
	s_mov_b32 s46, -1
.LBB77_796:
	s_delay_alu instid0(SALU_CYCLE_1)
	s_and_not1_b32 vcc_lo, exec_lo, s46
	s_cbranch_vccnz .LBB77_798
; %bb.797:
	v_add_nc_u32_e32 v0, 0x80, v0
	s_mov_b32 s48, -1
	s_branch .LBB77_800
.LBB77_798:
	s_mov_b32 s48, 0
.LBB77_799:
                                        ; implicit-def: $vgpr0
.LBB77_800:
	s_and_not1_b32 s44, s40, exec_lo
	s_and_b32 s0, s0, exec_lo
	s_and_b32 s27, s27, exec_lo
	s_or_b32 s45, s44, s0
	s_and_not1_b32 s0, s41, exec_lo
	s_and_not1_b32 s44, s42, exec_lo
	s_and_b32 s26, s26, exec_lo
	s_or_b32 s46, s0, s27
	s_or_b32 s44, s44, s26
	s_or_not1_b32 s49, s48, exec_lo
.LBB77_801:
	s_wait_xcnt 0x0
	s_or_b32 exec_lo, exec_lo, s47
	s_mov_b32 s27, 0
	s_mov_b32 s48, 0
	;; [unrolled: 1-line block ×3, first 2 shown]
                                        ; implicit-def: $sgpr0
                                        ; implicit-def: $vgpr8_vgpr9
                                        ; implicit-def: $vgpr6
                                        ; implicit-def: $vgpr4
                                        ; implicit-def: $vgpr2
	s_and_saveexec_b32 s47, s49
	s_cbranch_execz .LBB77_1302
; %bb.802:
	s_mov_b32 s53, -1
	s_mov_b32 s49, s44
	s_mov_b32 s51, s46
	;; [unrolled: 1-line block ×3, first 2 shown]
	s_mov_b32 s48, exec_lo
	v_cmpx_gt_i32_e64 s38, v0
	s_cbranch_execz .LBB77_1206
; %bb.803:
	s_and_not1_b32 vcc_lo, exec_lo, s31
	s_cbranch_vccnz .LBB77_809
; %bb.804:
	s_and_not1_b32 vcc_lo, exec_lo, s39
	s_cbranch_vccnz .LBB77_810
; %bb.805:
	s_wait_loadcnt 0x0
	v_dual_mov_b32 v4, 0 :: v_dual_mov_b32 v1, v0
	v_dual_mov_b32 v2, 0 :: v_dual_mov_b32 v6, 0
	s_add_co_i32 s0, s37, 1
	s_mov_b64 s[26:27], 0xffffffffffffffe8
	s_and_b32 s0, s0, 30
	s_add_nc_u64 s[26:27], s[2:3], s[26:27]
.LBB77_806:                             ; =>This Inner Loop Header: Depth=1
	s_clause 0x1
	s_load_b128 s[52:55], s[26:27], 0x1c
	s_load_b64 s[50:51], s[26:27], 0x2c
	s_add_co_i32 s0, s0, -2
	s_delay_alu instid0(SALU_CYCLE_1) | instskip(SKIP_2) | instid1(VALU_DEP_1)
	s_cmp_eq_u32 s0, 0
	s_wait_kmcnt 0x0
	v_mul_hi_u32 v3, s53, v1
	v_add_nc_u32_e32 v3, v1, v3
	s_delay_alu instid0(VALU_DEP_1) | instskip(NEXT) | instid1(VALU_DEP_1)
	v_lshrrev_b32_e32 v3, s54, v3
	v_mul_hi_u32 v5, s50, v3
	v_mul_lo_u32 v7, v3, s52
	s_clause 0x1
	s_load_b128 s[56:59], s[26:27], 0xdc
	s_load_b64 s[52:53], s[26:27], 0xec
	s_wait_xcnt 0x0
	s_add_nc_u64 s[26:27], s[26:27], 24
	s_delay_alu instid0(VALU_DEP_1) | instskip(NEXT) | instid1(VALU_DEP_1)
	v_dual_add_nc_u32 v5, v3, v5 :: v_dual_sub_nc_u32 v7, v1, v7
	v_lshrrev_b32_e32 v1, s51, v5
	s_wait_kmcnt 0x0
	s_delay_alu instid0(VALU_DEP_2) | instskip(NEXT) | instid1(VALU_DEP_2)
	v_mad_u32 v4, v7, s56, v4
	v_mul_lo_u32 v5, v1, s55
	v_mad_u32 v6, v7, s58, v6
	v_mad_u32 v2, v7, s57, v2
	s_delay_alu instid0(VALU_DEP_3) | instskip(NEXT) | instid1(VALU_DEP_1)
	v_sub_nc_u32_e32 v3, v3, v5
	v_mad_u32 v4, v3, s59, v4
	s_delay_alu instid0(VALU_DEP_4) | instskip(NEXT) | instid1(VALU_DEP_4)
	v_mad_u32 v6, v3, s53, v6
	v_mad_u32 v2, v3, s52, v2
	s_cbranch_scc0 .LBB77_806
; %bb.807:
	s_bitcmp1_b32 s37, 0
	s_cselect_b32 s0, -1, 0
	s_delay_alu instid0(SALU_CYCLE_1)
	s_and_b32 vcc_lo, exec_lo, s0
	s_cbranch_vccnz .LBB77_811
; %bb.808:
	s_clause 0x1
	s_load_b96 s[52:54], s[26:27], 0x1c
	s_load_b96 s[56:58], s[26:27], 0xdc
	s_wait_kmcnt 0x0
	v_mul_hi_u32 v3, s53, v1
	s_delay_alu instid0(VALU_DEP_1) | instskip(NEXT) | instid1(VALU_DEP_1)
	v_add_nc_u32_e32 v3, v1, v3
	v_lshrrev_b32_e32 v3, s54, v3
	s_delay_alu instid0(VALU_DEP_1) | instskip(NEXT) | instid1(VALU_DEP_1)
	v_mul_lo_u32 v3, v3, s52
	v_sub_nc_u32_e32 v1, v1, v3
	s_delay_alu instid0(VALU_DEP_1)
	v_mad_u32 v4, v1, s56, v4
	v_mad_u32 v2, v1, s57, v2
	;; [unrolled: 1-line block ×3, first 2 shown]
	s_branch .LBB77_811
.LBB77_809:
	s_mov_b32 s0, -1
                                        ; implicit-def: $vgpr6
                                        ; implicit-def: $vgpr2
                                        ; implicit-def: $vgpr4
	s_branch .LBB77_812
.LBB77_810:
	s_wait_loadcnt 0x0
	v_dual_mov_b32 v6, 0 :: v_dual_mov_b32 v2, 0
	v_mov_b32_e32 v4, 0
.LBB77_811:
	s_mov_b32 s0, 0
.LBB77_812:
	s_delay_alu instid0(SALU_CYCLE_1)
	s_and_not1_b32 vcc_lo, exec_lo, s0
	s_cbranch_vccnz .LBB77_815
; %bb.813:
	s_wait_loadcnt 0x0
	v_mov_b32_e32 v1, 0
	s_and_not1_b32 vcc_lo, exec_lo, s36
	s_delay_alu instid0(VALU_DEP_1) | instskip(NEXT) | instid1(VALU_DEP_1)
	v_mul_u64_e32 v[2:3], s[20:21], v[0:1]
	v_add_nc_u32_e32 v2, v0, v3
	s_delay_alu instid0(VALU_DEP_1) | instskip(NEXT) | instid1(VALU_DEP_1)
	v_lshrrev_b32_e32 v8, s14, v2
	v_mul_lo_u32 v2, v8, s12
	s_delay_alu instid0(VALU_DEP_1) | instskip(NEXT) | instid1(VALU_DEP_1)
	v_sub_nc_u32_e32 v2, v0, v2
	v_mul_lo_u32 v4, v2, s16
	v_mul_lo_u32 v6, v2, s18
	;; [unrolled: 1-line block ×3, first 2 shown]
	s_cbranch_vccnz .LBB77_815
; %bb.814:
	v_mov_b32_e32 v9, v1
	s_delay_alu instid0(VALU_DEP_1) | instskip(NEXT) | instid1(VALU_DEP_1)
	v_mul_u64_e32 v[10:11], s[24:25], v[8:9]
	v_add_nc_u32_e32 v1, v8, v11
	s_delay_alu instid0(VALU_DEP_1) | instskip(NEXT) | instid1(VALU_DEP_1)
	v_lshrrev_b32_e32 v1, s1, v1
	v_mul_lo_u32 v1, v1, s15
	s_delay_alu instid0(VALU_DEP_1) | instskip(NEXT) | instid1(VALU_DEP_1)
	v_sub_nc_u32_e32 v1, v8, v1
	v_mad_u32 v4, v1, s19, v4
	v_mad_u32 v2, v1, s22, v2
	;; [unrolled: 1-line block ×3, first 2 shown]
.LBB77_815:
	v_mov_b32_e32 v3, 0
	s_and_b32 s0, s35, 0xff
	s_delay_alu instid0(SALU_CYCLE_1) | instskip(SKIP_1) | instid1(VALU_DEP_1)
	s_cmp_lt_i32 s0, 11
	s_wait_loadcnt 0x0
	v_add_nc_u64_e32 v[8:9], s[6:7], v[2:3]
	s_cbranch_scc1 .LBB77_822
; %bb.816:
	s_and_b32 s27, 0xffff, s0
	s_delay_alu instid0(SALU_CYCLE_1)
	s_cmp_gt_i32 s27, 25
	s_cbranch_scc0 .LBB77_823
; %bb.817:
	s_cmp_gt_i32 s27, 28
	s_cbranch_scc0 .LBB77_824
; %bb.818:
	;; [unrolled: 3-line block ×4, first 2 shown]
	s_cmp_eq_u32 s27, 46
	s_mov_b32 s50, 0
	s_cbranch_scc0 .LBB77_829
; %bb.821:
	global_load_b32 v1, v[8:9], off
	s_mov_b32 s49, -1
	s_mov_b32 s26, 0
	s_wait_loadcnt 0x0
	v_lshlrev_b32_e32 v2, 16, v1
	s_branch .LBB77_831
.LBB77_822:
	s_mov_b32 s27, -1
	s_mov_b32 s49, 0
	s_mov_b32 s26, s44
                                        ; implicit-def: $vgpr2
	s_branch .LBB77_896
.LBB77_823:
	s_mov_b32 s50, -1
	s_mov_b32 s49, 0
	s_mov_b32 s26, s44
                                        ; implicit-def: $vgpr2
	s_branch .LBB77_860
.LBB77_824:
	s_mov_b32 s50, -1
	s_mov_b32 s49, 0
	s_mov_b32 s26, s44
                                        ; implicit-def: $vgpr2
	s_branch .LBB77_841
.LBB77_825:
	s_mov_b32 s50, -1
	s_mov_b32 s49, 0
	s_mov_b32 s26, s44
                                        ; implicit-def: $vgpr2
	s_branch .LBB77_836
.LBB77_826:
	s_mov_b32 s50, -1
	s_mov_b32 s49, 0
	s_mov_b32 s26, s44
	s_branch .LBB77_830
.LBB77_827:
	s_and_not1_saveexec_b32 s49, s49
	s_cbranch_execz .LBB77_709
.LBB77_828:
	v_add_f32_e64 v1, 0x46000000, |v2|
	s_and_not1_b32 s48, s48, exec_lo
	s_delay_alu instid0(VALU_DEP_1) | instskip(NEXT) | instid1(VALU_DEP_1)
	v_and_b32_e32 v1, 0xff, v1
	v_cmp_ne_u32_e32 vcc_lo, 0, v1
	s_and_b32 s50, vcc_lo, exec_lo
	s_delay_alu instid0(SALU_CYCLE_1)
	s_or_b32 s48, s48, s50
	s_or_b32 exec_lo, exec_lo, s49
	v_mov_b32_e32 v3, 0
	s_and_saveexec_b32 s49, s48
	s_cbranch_execnz .LBB77_710
	s_branch .LBB77_711
.LBB77_829:
	s_mov_b32 s26, -1
	s_mov_b32 s49, 0
.LBB77_830:
                                        ; implicit-def: $vgpr2
.LBB77_831:
	s_and_b32 vcc_lo, exec_lo, s50
	s_cbranch_vccz .LBB77_835
; %bb.832:
	s_cmp_eq_u32 s27, 44
	s_cbranch_scc0 .LBB77_834
; %bb.833:
	global_load_u8 v1, v[8:9], off
	s_mov_b32 s26, 0
	s_mov_b32 s49, -1
	s_wait_loadcnt 0x0
	v_lshlrev_b32_e32 v2, 23, v1
	v_cmp_ne_u32_e32 vcc_lo, 0xff, v1
	s_delay_alu instid0(VALU_DEP_2) | instskip(SKIP_1) | instid1(VALU_DEP_2)
	v_cndmask_b32_e32 v2, 0x7f800001, v2, vcc_lo
	v_cmp_ne_u32_e32 vcc_lo, 0, v1
	v_cndmask_b32_e32 v2, 0x400000, v2, vcc_lo
	s_branch .LBB77_835
.LBB77_834:
	s_mov_b32 s26, -1
                                        ; implicit-def: $vgpr2
.LBB77_835:
	s_mov_b32 s50, 0
.LBB77_836:
	s_delay_alu instid0(SALU_CYCLE_1)
	s_and_b32 vcc_lo, exec_lo, s50
	s_cbranch_vccz .LBB77_840
; %bb.837:
	s_cmp_eq_u32 s27, 29
	s_cbranch_scc0 .LBB77_839
; %bb.838:
	global_load_b64 v[2:3], v[8:9], off
	s_mov_b32 s49, -1
	s_mov_b32 s26, 0
	s_mov_b32 s50, 0
	s_wait_loadcnt 0x0
	v_clz_i32_u32_e32 v1, v3
	s_delay_alu instid0(VALU_DEP_1) | instskip(NEXT) | instid1(VALU_DEP_1)
	v_min_u32_e32 v1, 32, v1
	v_lshlrev_b64_e32 v[2:3], v1, v[2:3]
	v_sub_nc_u32_e32 v1, 32, v1
	s_delay_alu instid0(VALU_DEP_2) | instskip(NEXT) | instid1(VALU_DEP_1)
	v_min_u32_e32 v2, 1, v2
	v_or_b32_e32 v2, v3, v2
	s_delay_alu instid0(VALU_DEP_1) | instskip(NEXT) | instid1(VALU_DEP_1)
	v_cvt_f32_u32_e32 v2, v2
	v_ldexp_f32 v2, v2, v1
	s_branch .LBB77_841
.LBB77_839:
	s_mov_b32 s26, -1
                                        ; implicit-def: $vgpr2
.LBB77_840:
	s_mov_b32 s50, 0
.LBB77_841:
	s_delay_alu instid0(SALU_CYCLE_1)
	s_and_b32 vcc_lo, exec_lo, s50
	s_cbranch_vccz .LBB77_859
; %bb.842:
	s_cmp_lt_i32 s27, 27
	s_cbranch_scc1 .LBB77_845
; %bb.843:
	s_cmp_gt_i32 s27, 27
	s_cbranch_scc0 .LBB77_846
; %bb.844:
	global_load_b32 v1, v[8:9], off
	s_mov_b32 s49, 0
	s_wait_loadcnt 0x0
	v_cvt_f32_u32_e32 v2, v1
	s_branch .LBB77_847
.LBB77_845:
	s_mov_b32 s49, -1
                                        ; implicit-def: $vgpr2
	s_branch .LBB77_850
.LBB77_846:
	s_mov_b32 s49, -1
                                        ; implicit-def: $vgpr2
.LBB77_847:
	s_delay_alu instid0(SALU_CYCLE_1)
	s_and_not1_b32 vcc_lo, exec_lo, s49
	s_cbranch_vccnz .LBB77_849
; %bb.848:
	global_load_u16 v1, v[8:9], off
	s_wait_loadcnt 0x0
	v_cvt_f32_u32_e32 v2, v1
.LBB77_849:
	s_mov_b32 s49, 0
.LBB77_850:
	s_delay_alu instid0(SALU_CYCLE_1)
	s_and_not1_b32 vcc_lo, exec_lo, s49
	s_cbranch_vccnz .LBB77_858
; %bb.851:
	global_load_u8 v1, v[8:9], off
	s_mov_b32 s49, 0
	s_mov_b32 s50, exec_lo
	s_wait_loadcnt 0x0
	v_cmpx_lt_i16_e32 0x7f, v1
	s_xor_b32 s50, exec_lo, s50
	s_cbranch_execz .LBB77_872
; %bb.852:
	s_mov_b32 s49, -1
	s_mov_b32 s51, exec_lo
	v_cmpx_eq_u16_e32 0x80, v1
; %bb.853:
	s_xor_b32 s49, exec_lo, -1
; %bb.854:
	s_or_b32 exec_lo, exec_lo, s51
	s_delay_alu instid0(SALU_CYCLE_1)
	s_and_b32 s49, s49, exec_lo
	s_or_saveexec_b32 s50, s50
	v_mov_b32_e32 v2, 0x7f800001
	s_xor_b32 exec_lo, exec_lo, s50
	s_cbranch_execnz .LBB77_873
.LBB77_855:
	s_or_b32 exec_lo, exec_lo, s50
	s_and_saveexec_b32 s50, s49
	s_cbranch_execz .LBB77_857
.LBB77_856:
	v_and_b32_e32 v2, 0xffff, v1
	s_delay_alu instid0(VALU_DEP_1) | instskip(SKIP_1) | instid1(VALU_DEP_2)
	v_and_b32_e32 v3, 7, v2
	v_bfe_u32 v10, v2, 3, 4
	v_clz_i32_u32_e32 v5, v3
	s_delay_alu instid0(VALU_DEP_2) | instskip(NEXT) | instid1(VALU_DEP_2)
	v_cmp_eq_u32_e32 vcc_lo, 0, v10
	v_min_u32_e32 v5, 32, v5
	s_delay_alu instid0(VALU_DEP_1) | instskip(NEXT) | instid1(VALU_DEP_1)
	v_subrev_nc_u32_e32 v7, 28, v5
	v_dual_lshlrev_b32 v2, v7, v2 :: v_dual_sub_nc_u32 v5, 29, v5
	s_delay_alu instid0(VALU_DEP_1) | instskip(NEXT) | instid1(VALU_DEP_1)
	v_dual_lshlrev_b32 v1, 24, v1 :: v_dual_bitop2_b32 v2, 7, v2 bitop3:0x40
	v_dual_cndmask_b32 v2, v3, v2 :: v_dual_cndmask_b32 v5, v10, v5
	s_delay_alu instid0(VALU_DEP_2) | instskip(NEXT) | instid1(VALU_DEP_2)
	v_and_b32_e32 v1, 0x80000000, v1
	v_lshlrev_b32_e32 v2, 20, v2
	s_delay_alu instid0(VALU_DEP_3) | instskip(NEXT) | instid1(VALU_DEP_1)
	v_lshl_add_u32 v3, v5, 23, 0x3b800000
	v_or3_b32 v2, v1, v3, v2
.LBB77_857:
	s_or_b32 exec_lo, exec_lo, s50
.LBB77_858:
	s_mov_b32 s49, -1
.LBB77_859:
	s_mov_b32 s50, 0
.LBB77_860:
	s_delay_alu instid0(SALU_CYCLE_1)
	s_and_b32 vcc_lo, exec_lo, s50
	s_cbranch_vccz .LBB77_895
; %bb.861:
	s_cmp_gt_i32 s27, 22
	s_cbranch_scc0 .LBB77_871
; %bb.862:
	s_cmp_lt_i32 s27, 24
	s_cbranch_scc1 .LBB77_874
; %bb.863:
	s_cmp_gt_i32 s27, 24
	s_cbranch_scc0 .LBB77_875
; %bb.864:
	global_load_u8 v1, v[8:9], off
	s_mov_b32 s49, 0
	s_mov_b32 s50, exec_lo
	s_wait_loadcnt 0x0
	v_cmpx_lt_i16_e32 0x7f, v1
	s_xor_b32 s50, exec_lo, s50
	s_cbranch_execz .LBB77_887
; %bb.865:
	s_mov_b32 s49, -1
	s_mov_b32 s51, exec_lo
	v_cmpx_eq_u16_e32 0x80, v1
; %bb.866:
	s_xor_b32 s49, exec_lo, -1
; %bb.867:
	s_or_b32 exec_lo, exec_lo, s51
	s_delay_alu instid0(SALU_CYCLE_1)
	s_and_b32 s49, s49, exec_lo
	s_or_saveexec_b32 s50, s50
	v_mov_b32_e32 v2, 0x7f800001
	s_xor_b32 exec_lo, exec_lo, s50
	s_cbranch_execnz .LBB77_888
.LBB77_868:
	s_or_b32 exec_lo, exec_lo, s50
	s_and_saveexec_b32 s50, s49
	s_cbranch_execz .LBB77_870
.LBB77_869:
	v_and_b32_e32 v2, 0xffff, v1
	s_delay_alu instid0(VALU_DEP_1) | instskip(SKIP_1) | instid1(VALU_DEP_2)
	v_and_b32_e32 v3, 3, v2
	v_bfe_u32 v10, v2, 2, 5
	v_clz_i32_u32_e32 v5, v3
	s_delay_alu instid0(VALU_DEP_2) | instskip(NEXT) | instid1(VALU_DEP_2)
	v_cmp_eq_u32_e32 vcc_lo, 0, v10
	v_min_u32_e32 v5, 32, v5
	s_delay_alu instid0(VALU_DEP_1) | instskip(NEXT) | instid1(VALU_DEP_1)
	v_subrev_nc_u32_e32 v7, 29, v5
	v_dual_lshlrev_b32 v2, v7, v2 :: v_dual_sub_nc_u32 v5, 30, v5
	s_delay_alu instid0(VALU_DEP_1) | instskip(NEXT) | instid1(VALU_DEP_1)
	v_dual_lshlrev_b32 v1, 24, v1 :: v_dual_bitop2_b32 v2, 3, v2 bitop3:0x40
	v_dual_cndmask_b32 v2, v3, v2 :: v_dual_cndmask_b32 v5, v10, v5
	s_delay_alu instid0(VALU_DEP_2) | instskip(NEXT) | instid1(VALU_DEP_2)
	v_and_b32_e32 v1, 0x80000000, v1
	v_lshlrev_b32_e32 v2, 21, v2
	s_delay_alu instid0(VALU_DEP_3) | instskip(NEXT) | instid1(VALU_DEP_1)
	v_lshl_add_u32 v3, v5, 23, 0x37800000
	v_or3_b32 v2, v1, v3, v2
.LBB77_870:
	s_or_b32 exec_lo, exec_lo, s50
	s_mov_b32 s49, 0
	s_branch .LBB77_876
.LBB77_871:
	s_mov_b32 s50, -1
                                        ; implicit-def: $vgpr2
	s_branch .LBB77_882
.LBB77_872:
	s_or_saveexec_b32 s50, s50
	v_mov_b32_e32 v2, 0x7f800001
	s_xor_b32 exec_lo, exec_lo, s50
	s_cbranch_execz .LBB77_855
.LBB77_873:
	v_cmp_ne_u16_e32 vcc_lo, 0, v1
	v_mov_b32_e32 v2, 0
	s_and_not1_b32 s49, s49, exec_lo
	s_and_b32 s51, vcc_lo, exec_lo
	s_delay_alu instid0(SALU_CYCLE_1)
	s_or_b32 s49, s49, s51
	s_or_b32 exec_lo, exec_lo, s50
	s_and_saveexec_b32 s50, s49
	s_cbranch_execnz .LBB77_856
	s_branch .LBB77_857
.LBB77_874:
	s_mov_b32 s49, -1
                                        ; implicit-def: $vgpr2
	s_branch .LBB77_879
.LBB77_875:
	s_mov_b32 s49, -1
                                        ; implicit-def: $vgpr2
.LBB77_876:
	s_delay_alu instid0(SALU_CYCLE_1)
	s_and_b32 vcc_lo, exec_lo, s49
	s_cbranch_vccz .LBB77_878
; %bb.877:
	global_load_u8 v1, v[8:9], off
	s_wait_loadcnt 0x0
	v_lshlrev_b32_e32 v1, 24, v1
	s_delay_alu instid0(VALU_DEP_1) | instskip(NEXT) | instid1(VALU_DEP_1)
	v_and_b32_e32 v2, 0x7f000000, v1
	v_clz_i32_u32_e32 v3, v2
	v_cmp_ne_u32_e32 vcc_lo, 0, v2
	v_add_nc_u32_e32 v7, 0x1000000, v2
	s_delay_alu instid0(VALU_DEP_3) | instskip(NEXT) | instid1(VALU_DEP_1)
	v_min_u32_e32 v3, 32, v3
	v_sub_nc_u32_e64 v3, v3, 4 clamp
	s_delay_alu instid0(VALU_DEP_1) | instskip(NEXT) | instid1(VALU_DEP_1)
	v_dual_lshlrev_b32 v5, v3, v2 :: v_dual_lshlrev_b32 v3, 23, v3
	v_lshrrev_b32_e32 v5, 4, v5
	s_delay_alu instid0(VALU_DEP_1) | instskip(SKIP_1) | instid1(VALU_DEP_2)
	v_sub_nc_u32_e32 v3, v5, v3
	v_ashrrev_i32_e32 v5, 8, v7
	v_add_nc_u32_e32 v3, 0x3c000000, v3
	s_delay_alu instid0(VALU_DEP_1) | instskip(NEXT) | instid1(VALU_DEP_1)
	v_and_or_b32 v3, 0x7f800000, v5, v3
	v_cndmask_b32_e32 v2, 0, v3, vcc_lo
	s_delay_alu instid0(VALU_DEP_1)
	v_and_or_b32 v2, 0x80000000, v1, v2
.LBB77_878:
	s_mov_b32 s49, 0
.LBB77_879:
	s_delay_alu instid0(SALU_CYCLE_1)
	s_and_not1_b32 vcc_lo, exec_lo, s49
	s_cbranch_vccnz .LBB77_881
; %bb.880:
	global_load_u8 v1, v[8:9], off
	s_wait_loadcnt 0x0
	v_lshlrev_b32_e32 v2, 25, v1
	v_lshlrev_b16 v1, 8, v1
	s_delay_alu instid0(VALU_DEP_1) | instskip(NEXT) | instid1(VALU_DEP_3)
	v_and_or_b32 v5, 0x7f00, v1, 0.5
	v_lshrrev_b32_e32 v3, 4, v2
	v_bfe_i32 v1, v1, 0, 16
	s_delay_alu instid0(VALU_DEP_3) | instskip(NEXT) | instid1(VALU_DEP_3)
	v_add_f32_e32 v5, -0.5, v5
	v_or_b32_e32 v3, 0x70000000, v3
	s_delay_alu instid0(VALU_DEP_1) | instskip(SKIP_1) | instid1(VALU_DEP_2)
	v_mul_f32_e32 v3, 0x7800000, v3
	v_cmp_gt_u32_e32 vcc_lo, 0x8000000, v2
	v_cndmask_b32_e32 v2, v3, v5, vcc_lo
	s_delay_alu instid0(VALU_DEP_1)
	v_and_or_b32 v2, 0x80000000, v1, v2
.LBB77_881:
	s_mov_b32 s50, 0
	s_mov_b32 s49, -1
.LBB77_882:
	s_and_not1_b32 vcc_lo, exec_lo, s50
	s_cbranch_vccnz .LBB77_895
; %bb.883:
	s_cmp_gt_i32 s27, 14
	s_cbranch_scc0 .LBB77_886
; %bb.884:
	s_cmp_eq_u32 s27, 15
	s_cbranch_scc0 .LBB77_889
; %bb.885:
	global_load_u16 v1, v[8:9], off
	s_mov_b32 s49, -1
	s_mov_b32 s26, 0
	s_wait_loadcnt 0x0
	v_lshlrev_b32_e32 v2, 16, v1
	s_branch .LBB77_890
.LBB77_886:
	s_mov_b32 s50, -1
                                        ; implicit-def: $vgpr2
	s_branch .LBB77_891
.LBB77_887:
	s_or_saveexec_b32 s50, s50
	v_mov_b32_e32 v2, 0x7f800001
	s_xor_b32 exec_lo, exec_lo, s50
	s_cbranch_execz .LBB77_868
.LBB77_888:
	v_cmp_ne_u16_e32 vcc_lo, 0, v1
	v_mov_b32_e32 v2, 0
	s_and_not1_b32 s49, s49, exec_lo
	s_and_b32 s51, vcc_lo, exec_lo
	s_delay_alu instid0(SALU_CYCLE_1)
	s_or_b32 s49, s49, s51
	s_or_b32 exec_lo, exec_lo, s50
	s_and_saveexec_b32 s50, s49
	s_cbranch_execnz .LBB77_869
	s_branch .LBB77_870
.LBB77_889:
	s_mov_b32 s26, -1
                                        ; implicit-def: $vgpr2
.LBB77_890:
	s_mov_b32 s50, 0
.LBB77_891:
	s_delay_alu instid0(SALU_CYCLE_1)
	s_and_b32 vcc_lo, exec_lo, s50
	s_cbranch_vccz .LBB77_895
; %bb.892:
	s_cmp_eq_u32 s27, 11
	s_cbranch_scc0 .LBB77_894
; %bb.893:
	global_load_u8 v1, v[8:9], off
	s_mov_b32 s26, 0
	s_mov_b32 s49, -1
	s_wait_loadcnt 0x0
	v_cmp_ne_u16_e32 vcc_lo, 0, v1
	v_cndmask_b32_e64 v2, 0, 1.0, vcc_lo
	s_branch .LBB77_895
.LBB77_894:
	s_mov_b32 s26, -1
                                        ; implicit-def: $vgpr2
.LBB77_895:
	s_mov_b32 s27, 0
.LBB77_896:
	s_delay_alu instid0(SALU_CYCLE_1)
	s_and_b32 vcc_lo, exec_lo, s27
	s_cbranch_vccz .LBB77_945
; %bb.897:
	s_and_b32 s0, 0xffff, s0
	s_delay_alu instid0(SALU_CYCLE_1)
	s_cmp_lt_i32 s0, 5
	s_cbranch_scc1 .LBB77_902
; %bb.898:
	s_cmp_lt_i32 s0, 8
	s_cbranch_scc1 .LBB77_903
; %bb.899:
	s_cmp_lt_i32 s0, 9
	s_cbranch_scc1 .LBB77_904
; %bb.900:
	s_cmp_gt_i32 s0, 9
	s_cbranch_scc0 .LBB77_905
; %bb.901:
	global_load_b64 v[2:3], v[8:9], off
	s_mov_b32 s27, 0
	s_wait_loadcnt 0x0
	v_cvt_f32_f64_e32 v2, v[2:3]
	s_branch .LBB77_906
.LBB77_902:
	s_mov_b32 s27, -1
                                        ; implicit-def: $vgpr2
	s_branch .LBB77_924
.LBB77_903:
	s_mov_b32 s27, -1
                                        ; implicit-def: $vgpr2
	s_branch .LBB77_912
.LBB77_904:
	s_mov_b32 s27, -1
                                        ; implicit-def: $vgpr2
	s_branch .LBB77_909
.LBB77_905:
	s_mov_b32 s27, -1
                                        ; implicit-def: $vgpr2
.LBB77_906:
	s_delay_alu instid0(SALU_CYCLE_1)
	s_and_not1_b32 vcc_lo, exec_lo, s27
	s_cbranch_vccnz .LBB77_908
; %bb.907:
	global_load_b32 v2, v[8:9], off
.LBB77_908:
	s_mov_b32 s27, 0
.LBB77_909:
	s_delay_alu instid0(SALU_CYCLE_1)
	s_and_not1_b32 vcc_lo, exec_lo, s27
	s_cbranch_vccnz .LBB77_911
; %bb.910:
	global_load_b32 v1, v[8:9], off
	s_wait_loadcnt 0x0
	v_cvt_f32_f16_e32 v2, v1
.LBB77_911:
	s_mov_b32 s27, 0
.LBB77_912:
	s_delay_alu instid0(SALU_CYCLE_1)
	s_and_not1_b32 vcc_lo, exec_lo, s27
	s_cbranch_vccnz .LBB77_923
; %bb.913:
	s_cmp_lt_i32 s0, 6
	s_cbranch_scc1 .LBB77_916
; %bb.914:
	s_cmp_gt_i32 s0, 6
	s_cbranch_scc0 .LBB77_917
; %bb.915:
	s_wait_loadcnt 0x0
	global_load_b64 v[2:3], v[8:9], off
	s_mov_b32 s27, 0
	s_wait_loadcnt 0x0
	v_cvt_f32_f64_e32 v2, v[2:3]
	s_branch .LBB77_918
.LBB77_916:
	s_mov_b32 s27, -1
                                        ; implicit-def: $vgpr2
	s_branch .LBB77_921
.LBB77_917:
	s_mov_b32 s27, -1
                                        ; implicit-def: $vgpr2
.LBB77_918:
	s_delay_alu instid0(SALU_CYCLE_1)
	s_and_not1_b32 vcc_lo, exec_lo, s27
	s_cbranch_vccnz .LBB77_920
; %bb.919:
	s_wait_loadcnt 0x0
	global_load_b32 v2, v[8:9], off
.LBB77_920:
	s_mov_b32 s27, 0
.LBB77_921:
	s_delay_alu instid0(SALU_CYCLE_1)
	s_and_not1_b32 vcc_lo, exec_lo, s27
	s_cbranch_vccnz .LBB77_923
; %bb.922:
	global_load_u16 v1, v[8:9], off
	s_wait_loadcnt 0x0
	v_cvt_f32_f16_e32 v2, v1
.LBB77_923:
	s_mov_b32 s27, 0
.LBB77_924:
	s_delay_alu instid0(SALU_CYCLE_1)
	s_and_not1_b32 vcc_lo, exec_lo, s27
	s_cbranch_vccnz .LBB77_944
; %bb.925:
	s_cmp_lt_i32 s0, 2
	s_cbranch_scc1 .LBB77_929
; %bb.926:
	s_cmp_lt_i32 s0, 3
	s_cbranch_scc1 .LBB77_930
; %bb.927:
	s_cmp_gt_i32 s0, 3
	s_cbranch_scc0 .LBB77_931
; %bb.928:
	s_wait_loadcnt 0x0
	global_load_b64 v[2:3], v[8:9], off
	s_mov_b32 s27, 0
	s_wait_loadcnt 0x0
	v_xor_b32_e32 v1, v2, v3
	v_cls_i32_e32 v5, v3
	s_delay_alu instid0(VALU_DEP_2) | instskip(NEXT) | instid1(VALU_DEP_1)
	v_ashrrev_i32_e32 v1, 31, v1
	v_add_nc_u32_e32 v1, 32, v1
	s_delay_alu instid0(VALU_DEP_1) | instskip(NEXT) | instid1(VALU_DEP_1)
	v_add_min_u32_e64 v1, v5, -1, v1
	v_lshlrev_b64_e32 v[2:3], v1, v[2:3]
	v_sub_nc_u32_e32 v1, 32, v1
	s_delay_alu instid0(VALU_DEP_2) | instskip(NEXT) | instid1(VALU_DEP_1)
	v_min_u32_e32 v2, 1, v2
	v_or_b32_e32 v2, v3, v2
	s_delay_alu instid0(VALU_DEP_1) | instskip(NEXT) | instid1(VALU_DEP_1)
	v_cvt_f32_i32_e32 v2, v2
	v_ldexp_f32 v2, v2, v1
	s_branch .LBB77_932
.LBB77_929:
	s_mov_b32 s27, -1
                                        ; implicit-def: $vgpr2
	s_branch .LBB77_938
.LBB77_930:
	s_mov_b32 s27, -1
                                        ; implicit-def: $vgpr2
	s_branch .LBB77_935
.LBB77_931:
	s_mov_b32 s27, -1
                                        ; implicit-def: $vgpr2
.LBB77_932:
	s_delay_alu instid0(SALU_CYCLE_1)
	s_and_not1_b32 vcc_lo, exec_lo, s27
	s_cbranch_vccnz .LBB77_934
; %bb.933:
	global_load_b32 v1, v[8:9], off
	s_wait_loadcnt 0x0
	v_cvt_f32_i32_e32 v2, v1
.LBB77_934:
	s_mov_b32 s27, 0
.LBB77_935:
	s_delay_alu instid0(SALU_CYCLE_1)
	s_and_not1_b32 vcc_lo, exec_lo, s27
	s_cbranch_vccnz .LBB77_937
; %bb.936:
	global_load_i16 v1, v[8:9], off
	s_wait_loadcnt 0x0
	v_cvt_f32_i32_e32 v2, v1
.LBB77_937:
	s_mov_b32 s27, 0
.LBB77_938:
	s_delay_alu instid0(SALU_CYCLE_1)
	s_and_not1_b32 vcc_lo, exec_lo, s27
	s_cbranch_vccnz .LBB77_944
; %bb.939:
	s_cmp_gt_i32 s0, 0
	s_mov_b32 s0, 0
	s_cbranch_scc0 .LBB77_941
; %bb.940:
	global_load_i8 v1, v[8:9], off
	s_wait_loadcnt 0x0
	v_cvt_f32_i32_e32 v2, v1
	s_branch .LBB77_942
.LBB77_941:
	s_mov_b32 s0, -1
                                        ; implicit-def: $vgpr2
.LBB77_942:
	s_delay_alu instid0(SALU_CYCLE_1)
	s_and_not1_b32 vcc_lo, exec_lo, s0
	s_cbranch_vccnz .LBB77_944
; %bb.943:
	global_load_u8 v1, v[8:9], off
	s_wait_loadcnt 0x0
	v_cvt_f32_ubyte0_e32 v2, v1
.LBB77_944:
	s_mov_b32 s49, -1
.LBB77_945:
	s_delay_alu instid0(SALU_CYCLE_1)
	s_and_not1_b32 vcc_lo, exec_lo, s49
	s_cbranch_vccnz .LBB77_953
; %bb.946:
	v_mov_b32_e32 v7, 0
	s_and_b32 s0, s13, 0xff
	s_delay_alu instid0(SALU_CYCLE_1) | instskip(NEXT) | instid1(VALU_DEP_1)
	s_cmp_lt_i32 s0, 11
	v_add_nc_u64_e32 v[6:7], s[8:9], v[6:7]
	s_cbranch_scc1 .LBB77_954
; %bb.947:
	s_and_b32 s49, 0xffff, s0
	s_delay_alu instid0(SALU_CYCLE_1)
	s_cmp_gt_i32 s49, 25
	s_cbranch_scc0 .LBB77_955
; %bb.948:
	s_cmp_gt_i32 s49, 28
	s_cbranch_scc0 .LBB77_956
; %bb.949:
	;; [unrolled: 3-line block ×4, first 2 shown]
	s_cmp_eq_u32 s49, 46
	s_mov_b32 s51, 0
	s_cbranch_scc0 .LBB77_961
; %bb.952:
	global_load_b32 v1, v[6:7], off
	s_mov_b32 s50, -1
	s_mov_b32 s27, 0
	s_wait_loadcnt 0x0
	v_lshlrev_b32_e32 v1, 16, v1
	s_branch .LBB77_963
.LBB77_953:
	s_mov_b32 s52, 0
	s_mov_b32 s0, s45
	;; [unrolled: 1-line block ×3, first 2 shown]
	s_branch .LBB77_1204
.LBB77_954:
	s_mov_b32 s49, -1
	s_mov_b32 s50, 0
	s_mov_b32 s27, s46
                                        ; implicit-def: $vgpr1
	s_branch .LBB77_1028
.LBB77_955:
	s_mov_b32 s51, -1
	s_mov_b32 s50, 0
	s_mov_b32 s27, s46
                                        ; implicit-def: $vgpr1
	s_branch .LBB77_992
.LBB77_956:
	s_mov_b32 s51, -1
	s_mov_b32 s50, 0
	s_mov_b32 s27, s46
                                        ; implicit-def: $vgpr1
	s_branch .LBB77_973
.LBB77_957:
	s_mov_b32 s51, -1
	s_mov_b32 s50, 0
	s_mov_b32 s27, s46
                                        ; implicit-def: $vgpr1
	s_branch .LBB77_968
.LBB77_958:
	s_mov_b32 s51, -1
	s_mov_b32 s50, 0
	s_mov_b32 s27, s46
	s_branch .LBB77_962
.LBB77_959:
	s_and_not1_saveexec_b32 s49, s49
	s_cbranch_execz .LBB77_722
.LBB77_960:
	v_add_f32_e64 v1, 0x42800000, |v2|
	s_and_not1_b32 s48, s48, exec_lo
	s_delay_alu instid0(VALU_DEP_1) | instskip(NEXT) | instid1(VALU_DEP_1)
	v_and_b32_e32 v1, 0xff, v1
	v_cmp_ne_u32_e32 vcc_lo, 0, v1
	s_and_b32 s50, vcc_lo, exec_lo
	s_delay_alu instid0(SALU_CYCLE_1)
	s_or_b32 s48, s48, s50
	s_or_b32 exec_lo, exec_lo, s49
	v_mov_b32_e32 v3, 0
	s_and_saveexec_b32 s49, s48
	s_cbranch_execnz .LBB77_723
	s_branch .LBB77_724
.LBB77_961:
	s_mov_b32 s27, -1
	s_mov_b32 s50, 0
.LBB77_962:
                                        ; implicit-def: $vgpr1
.LBB77_963:
	s_and_b32 vcc_lo, exec_lo, s51
	s_cbranch_vccz .LBB77_967
; %bb.964:
	s_cmp_eq_u32 s49, 44
	s_cbranch_scc0 .LBB77_966
; %bb.965:
	global_load_u8 v1, v[6:7], off
	s_mov_b32 s27, 0
	s_mov_b32 s50, -1
	s_wait_loadcnt 0x0
	v_lshlrev_b32_e32 v3, 23, v1
	v_cmp_ne_u32_e32 vcc_lo, 0xff, v1
	s_delay_alu instid0(VALU_DEP_2) | instskip(SKIP_1) | instid1(VALU_DEP_2)
	v_cndmask_b32_e32 v3, 0x7f800001, v3, vcc_lo
	v_cmp_ne_u32_e32 vcc_lo, 0, v1
	v_cndmask_b32_e32 v1, 0x400000, v3, vcc_lo
	s_branch .LBB77_967
.LBB77_966:
	s_mov_b32 s27, -1
                                        ; implicit-def: $vgpr1
.LBB77_967:
	s_mov_b32 s51, 0
.LBB77_968:
	s_delay_alu instid0(SALU_CYCLE_1)
	s_and_b32 vcc_lo, exec_lo, s51
	s_cbranch_vccz .LBB77_972
; %bb.969:
	s_cmp_eq_u32 s49, 29
	s_cbranch_scc0 .LBB77_971
; %bb.970:
	global_load_b64 v[8:9], v[6:7], off
	s_mov_b32 s50, -1
	s_mov_b32 s27, 0
	s_mov_b32 s51, 0
	s_wait_loadcnt 0x0
	v_clz_i32_u32_e32 v1, v9
	s_delay_alu instid0(VALU_DEP_1) | instskip(NEXT) | instid1(VALU_DEP_1)
	v_min_u32_e32 v1, 32, v1
	v_lshlrev_b64_e32 v[8:9], v1, v[8:9]
	v_sub_nc_u32_e32 v1, 32, v1
	s_delay_alu instid0(VALU_DEP_2) | instskip(NEXT) | instid1(VALU_DEP_1)
	v_min_u32_e32 v3, 1, v8
	v_or_b32_e32 v3, v9, v3
	s_delay_alu instid0(VALU_DEP_1) | instskip(NEXT) | instid1(VALU_DEP_1)
	v_cvt_f32_u32_e32 v3, v3
	v_ldexp_f32 v1, v3, v1
	s_branch .LBB77_973
.LBB77_971:
	s_mov_b32 s27, -1
                                        ; implicit-def: $vgpr1
.LBB77_972:
	s_mov_b32 s51, 0
.LBB77_973:
	s_delay_alu instid0(SALU_CYCLE_1)
	s_and_b32 vcc_lo, exec_lo, s51
	s_cbranch_vccz .LBB77_991
; %bb.974:
	s_cmp_lt_i32 s49, 27
	s_cbranch_scc1 .LBB77_977
; %bb.975:
	s_cmp_gt_i32 s49, 27
	s_cbranch_scc0 .LBB77_978
; %bb.976:
	global_load_b32 v1, v[6:7], off
	s_mov_b32 s50, 0
	s_wait_loadcnt 0x0
	v_cvt_f32_u32_e32 v1, v1
	s_branch .LBB77_979
.LBB77_977:
	s_mov_b32 s50, -1
                                        ; implicit-def: $vgpr1
	s_branch .LBB77_982
.LBB77_978:
	s_mov_b32 s50, -1
                                        ; implicit-def: $vgpr1
.LBB77_979:
	s_delay_alu instid0(SALU_CYCLE_1)
	s_and_not1_b32 vcc_lo, exec_lo, s50
	s_cbranch_vccnz .LBB77_981
; %bb.980:
	global_load_u16 v1, v[6:7], off
	s_wait_loadcnt 0x0
	v_cvt_f32_u32_e32 v1, v1
.LBB77_981:
	s_mov_b32 s50, 0
.LBB77_982:
	s_delay_alu instid0(SALU_CYCLE_1)
	s_and_not1_b32 vcc_lo, exec_lo, s50
	s_cbranch_vccnz .LBB77_990
; %bb.983:
	global_load_u8 v3, v[6:7], off
	s_mov_b32 s50, 0
	s_mov_b32 s51, exec_lo
	s_wait_loadcnt 0x0
	v_cmpx_lt_i16_e32 0x7f, v3
	s_xor_b32 s51, exec_lo, s51
	s_cbranch_execz .LBB77_1004
; %bb.984:
	s_mov_b32 s50, -1
	s_mov_b32 s52, exec_lo
	v_cmpx_eq_u16_e32 0x80, v3
; %bb.985:
	s_xor_b32 s50, exec_lo, -1
; %bb.986:
	s_or_b32 exec_lo, exec_lo, s52
	s_delay_alu instid0(SALU_CYCLE_1)
	s_and_b32 s50, s50, exec_lo
	s_or_saveexec_b32 s51, s51
	v_mov_b32_e32 v1, 0x7f800001
	s_xor_b32 exec_lo, exec_lo, s51
	s_cbranch_execnz .LBB77_1005
.LBB77_987:
	s_or_b32 exec_lo, exec_lo, s51
	s_and_saveexec_b32 s51, s50
	s_cbranch_execz .LBB77_989
.LBB77_988:
	v_and_b32_e32 v1, 0xffff, v3
	s_delay_alu instid0(VALU_DEP_1) | instskip(SKIP_1) | instid1(VALU_DEP_2)
	v_and_b32_e32 v5, 7, v1
	v_bfe_u32 v10, v1, 3, 4
	v_clz_i32_u32_e32 v8, v5
	s_delay_alu instid0(VALU_DEP_2) | instskip(NEXT) | instid1(VALU_DEP_2)
	v_cmp_eq_u32_e32 vcc_lo, 0, v10
	v_min_u32_e32 v8, 32, v8
	s_delay_alu instid0(VALU_DEP_1) | instskip(NEXT) | instid1(VALU_DEP_1)
	v_subrev_nc_u32_e32 v9, 28, v8
	v_dual_lshlrev_b32 v1, v9, v1 :: v_dual_sub_nc_u32 v8, 29, v8
	s_delay_alu instid0(VALU_DEP_1) | instskip(NEXT) | instid1(VALU_DEP_1)
	v_dual_lshlrev_b32 v3, 24, v3 :: v_dual_bitop2_b32 v1, 7, v1 bitop3:0x40
	v_dual_cndmask_b32 v8, v10, v8 :: v_dual_cndmask_b32 v1, v5, v1
	s_delay_alu instid0(VALU_DEP_2) | instskip(NEXT) | instid1(VALU_DEP_2)
	v_and_b32_e32 v3, 0x80000000, v3
	v_lshl_add_u32 v5, v8, 23, 0x3b800000
	s_delay_alu instid0(VALU_DEP_3) | instskip(NEXT) | instid1(VALU_DEP_1)
	v_lshlrev_b32_e32 v1, 20, v1
	v_or3_b32 v1, v3, v5, v1
.LBB77_989:
	s_or_b32 exec_lo, exec_lo, s51
.LBB77_990:
	s_mov_b32 s50, -1
.LBB77_991:
	s_mov_b32 s51, 0
.LBB77_992:
	s_delay_alu instid0(SALU_CYCLE_1)
	s_and_b32 vcc_lo, exec_lo, s51
	s_cbranch_vccz .LBB77_1027
; %bb.993:
	s_cmp_gt_i32 s49, 22
	s_cbranch_scc0 .LBB77_1003
; %bb.994:
	s_cmp_lt_i32 s49, 24
	s_cbranch_scc1 .LBB77_1006
; %bb.995:
	s_cmp_gt_i32 s49, 24
	s_cbranch_scc0 .LBB77_1007
; %bb.996:
	global_load_u8 v3, v[6:7], off
	s_mov_b32 s50, 0
	s_mov_b32 s51, exec_lo
	s_wait_loadcnt 0x0
	v_cmpx_lt_i16_e32 0x7f, v3
	s_xor_b32 s51, exec_lo, s51
	s_cbranch_execz .LBB77_1019
; %bb.997:
	s_mov_b32 s50, -1
	s_mov_b32 s52, exec_lo
	v_cmpx_eq_u16_e32 0x80, v3
; %bb.998:
	s_xor_b32 s50, exec_lo, -1
; %bb.999:
	s_or_b32 exec_lo, exec_lo, s52
	s_delay_alu instid0(SALU_CYCLE_1)
	s_and_b32 s50, s50, exec_lo
	s_or_saveexec_b32 s51, s51
	v_mov_b32_e32 v1, 0x7f800001
	s_xor_b32 exec_lo, exec_lo, s51
	s_cbranch_execnz .LBB77_1020
.LBB77_1000:
	s_or_b32 exec_lo, exec_lo, s51
	s_and_saveexec_b32 s51, s50
	s_cbranch_execz .LBB77_1002
.LBB77_1001:
	v_and_b32_e32 v1, 0xffff, v3
	s_delay_alu instid0(VALU_DEP_1) | instskip(SKIP_1) | instid1(VALU_DEP_2)
	v_and_b32_e32 v5, 3, v1
	v_bfe_u32 v10, v1, 2, 5
	v_clz_i32_u32_e32 v8, v5
	s_delay_alu instid0(VALU_DEP_2) | instskip(NEXT) | instid1(VALU_DEP_2)
	v_cmp_eq_u32_e32 vcc_lo, 0, v10
	v_min_u32_e32 v8, 32, v8
	s_delay_alu instid0(VALU_DEP_1) | instskip(NEXT) | instid1(VALU_DEP_1)
	v_subrev_nc_u32_e32 v9, 29, v8
	v_dual_lshlrev_b32 v1, v9, v1 :: v_dual_sub_nc_u32 v8, 30, v8
	s_delay_alu instid0(VALU_DEP_1) | instskip(NEXT) | instid1(VALU_DEP_1)
	v_dual_lshlrev_b32 v3, 24, v3 :: v_dual_bitop2_b32 v1, 3, v1 bitop3:0x40
	v_dual_cndmask_b32 v8, v10, v8 :: v_dual_cndmask_b32 v1, v5, v1
	s_delay_alu instid0(VALU_DEP_2) | instskip(NEXT) | instid1(VALU_DEP_2)
	v_and_b32_e32 v3, 0x80000000, v3
	v_lshl_add_u32 v5, v8, 23, 0x37800000
	s_delay_alu instid0(VALU_DEP_3) | instskip(NEXT) | instid1(VALU_DEP_1)
	v_lshlrev_b32_e32 v1, 21, v1
	v_or3_b32 v1, v3, v5, v1
.LBB77_1002:
	s_or_b32 exec_lo, exec_lo, s51
	s_mov_b32 s50, 0
	s_branch .LBB77_1008
.LBB77_1003:
	s_mov_b32 s51, -1
                                        ; implicit-def: $vgpr1
	s_branch .LBB77_1014
.LBB77_1004:
	s_or_saveexec_b32 s51, s51
	v_mov_b32_e32 v1, 0x7f800001
	s_xor_b32 exec_lo, exec_lo, s51
	s_cbranch_execz .LBB77_987
.LBB77_1005:
	v_cmp_ne_u16_e32 vcc_lo, 0, v3
	v_mov_b32_e32 v1, 0
	s_and_not1_b32 s50, s50, exec_lo
	s_and_b32 s52, vcc_lo, exec_lo
	s_delay_alu instid0(SALU_CYCLE_1)
	s_or_b32 s50, s50, s52
	s_or_b32 exec_lo, exec_lo, s51
	s_and_saveexec_b32 s51, s50
	s_cbranch_execnz .LBB77_988
	s_branch .LBB77_989
.LBB77_1006:
	s_mov_b32 s50, -1
                                        ; implicit-def: $vgpr1
	s_branch .LBB77_1011
.LBB77_1007:
	s_mov_b32 s50, -1
                                        ; implicit-def: $vgpr1
.LBB77_1008:
	s_delay_alu instid0(SALU_CYCLE_1)
	s_and_b32 vcc_lo, exec_lo, s50
	s_cbranch_vccz .LBB77_1010
; %bb.1009:
	global_load_u8 v1, v[6:7], off
	s_wait_loadcnt 0x0
	v_lshlrev_b32_e32 v1, 24, v1
	s_delay_alu instid0(VALU_DEP_1) | instskip(NEXT) | instid1(VALU_DEP_1)
	v_and_b32_e32 v3, 0x7f000000, v1
	v_clz_i32_u32_e32 v5, v3
	s_wait_xcnt 0x1
	v_add_nc_u32_e32 v9, 0x1000000, v3
	v_cmp_ne_u32_e32 vcc_lo, 0, v3
	s_delay_alu instid0(VALU_DEP_3) | instskip(NEXT) | instid1(VALU_DEP_1)
	v_min_u32_e32 v5, 32, v5
	v_sub_nc_u32_e64 v5, v5, 4 clamp
	s_delay_alu instid0(VALU_DEP_1) | instskip(NEXT) | instid1(VALU_DEP_1)
	v_dual_lshlrev_b32 v8, v5, v3 :: v_dual_lshlrev_b32 v5, 23, v5
	v_lshrrev_b32_e32 v8, 4, v8
	s_delay_alu instid0(VALU_DEP_1) | instskip(SKIP_1) | instid1(VALU_DEP_2)
	v_sub_nc_u32_e32 v5, v8, v5
	v_ashrrev_i32_e32 v8, 8, v9
	v_add_nc_u32_e32 v5, 0x3c000000, v5
	s_delay_alu instid0(VALU_DEP_1) | instskip(NEXT) | instid1(VALU_DEP_1)
	v_and_or_b32 v5, 0x7f800000, v8, v5
	v_cndmask_b32_e32 v3, 0, v5, vcc_lo
	s_delay_alu instid0(VALU_DEP_1)
	v_and_or_b32 v1, 0x80000000, v1, v3
.LBB77_1010:
	s_mov_b32 s50, 0
.LBB77_1011:
	s_delay_alu instid0(SALU_CYCLE_1)
	s_and_not1_b32 vcc_lo, exec_lo, s50
	s_cbranch_vccnz .LBB77_1013
; %bb.1012:
	global_load_u8 v1, v[6:7], off
	s_wait_loadcnt 0x0
	v_lshlrev_b32_e32 v3, 25, v1
	v_lshlrev_b16 v1, 8, v1
	s_wait_xcnt 0x1
	s_delay_alu instid0(VALU_DEP_1) | instskip(SKIP_1) | instid1(VALU_DEP_2)
	v_and_or_b32 v8, 0x7f00, v1, 0.5
	v_bfe_i32 v1, v1, 0, 16
	v_dual_add_f32 v8, -0.5, v8 :: v_dual_lshrrev_b32 v5, 4, v3
	v_cmp_gt_u32_e32 vcc_lo, 0x8000000, v3
	s_delay_alu instid0(VALU_DEP_2) | instskip(NEXT) | instid1(VALU_DEP_1)
	v_or_b32_e32 v5, 0x70000000, v5
	v_mul_f32_e32 v5, 0x7800000, v5
	s_delay_alu instid0(VALU_DEP_1) | instskip(NEXT) | instid1(VALU_DEP_1)
	v_cndmask_b32_e32 v3, v5, v8, vcc_lo
	v_and_or_b32 v1, 0x80000000, v1, v3
.LBB77_1013:
	s_mov_b32 s51, 0
	s_mov_b32 s50, -1
.LBB77_1014:
	s_and_not1_b32 vcc_lo, exec_lo, s51
	s_cbranch_vccnz .LBB77_1027
; %bb.1015:
	s_cmp_gt_i32 s49, 14
	s_cbranch_scc0 .LBB77_1018
; %bb.1016:
	s_cmp_eq_u32 s49, 15
	s_cbranch_scc0 .LBB77_1021
; %bb.1017:
	global_load_u16 v1, v[6:7], off
	s_mov_b32 s50, -1
	s_mov_b32 s27, 0
	s_wait_loadcnt 0x0
	v_lshlrev_b32_e32 v1, 16, v1
	s_branch .LBB77_1022
.LBB77_1018:
	s_mov_b32 s51, -1
                                        ; implicit-def: $vgpr1
	s_branch .LBB77_1023
.LBB77_1019:
	s_or_saveexec_b32 s51, s51
	v_mov_b32_e32 v1, 0x7f800001
	s_xor_b32 exec_lo, exec_lo, s51
	s_cbranch_execz .LBB77_1000
.LBB77_1020:
	v_cmp_ne_u16_e32 vcc_lo, 0, v3
	v_mov_b32_e32 v1, 0
	s_and_not1_b32 s50, s50, exec_lo
	s_and_b32 s52, vcc_lo, exec_lo
	s_delay_alu instid0(SALU_CYCLE_1)
	s_or_b32 s50, s50, s52
	s_or_b32 exec_lo, exec_lo, s51
	s_and_saveexec_b32 s51, s50
	s_cbranch_execnz .LBB77_1001
	s_branch .LBB77_1002
.LBB77_1021:
	s_mov_b32 s27, -1
                                        ; implicit-def: $vgpr1
.LBB77_1022:
	s_mov_b32 s51, 0
.LBB77_1023:
	s_delay_alu instid0(SALU_CYCLE_1)
	s_and_b32 vcc_lo, exec_lo, s51
	s_cbranch_vccz .LBB77_1027
; %bb.1024:
	s_cmp_eq_u32 s49, 11
	s_cbranch_scc0 .LBB77_1026
; %bb.1025:
	global_load_u8 v1, v[6:7], off
	s_mov_b32 s27, 0
	s_mov_b32 s50, -1
	s_wait_loadcnt 0x0
	v_cmp_ne_u16_e32 vcc_lo, 0, v1
	v_cndmask_b32_e64 v1, 0, 1.0, vcc_lo
	s_branch .LBB77_1027
.LBB77_1026:
	s_mov_b32 s27, -1
                                        ; implicit-def: $vgpr1
.LBB77_1027:
	s_mov_b32 s49, 0
.LBB77_1028:
	s_delay_alu instid0(SALU_CYCLE_1)
	s_and_b32 vcc_lo, exec_lo, s49
	s_cbranch_vccz .LBB77_1077
; %bb.1029:
	s_and_b32 s0, 0xffff, s0
	s_delay_alu instid0(SALU_CYCLE_1)
	s_cmp_lt_i32 s0, 5
	s_cbranch_scc1 .LBB77_1034
; %bb.1030:
	s_cmp_lt_i32 s0, 8
	s_cbranch_scc1 .LBB77_1035
; %bb.1031:
	;; [unrolled: 3-line block ×3, first 2 shown]
	s_cmp_gt_i32 s0, 9
	s_cbranch_scc0 .LBB77_1037
; %bb.1033:
	global_load_b64 v[8:9], v[6:7], off
	s_mov_b32 s49, 0
	s_wait_loadcnt 0x0
	v_cvt_f32_f64_e32 v1, v[8:9]
	s_branch .LBB77_1038
.LBB77_1034:
	s_mov_b32 s49, -1
                                        ; implicit-def: $vgpr1
	s_branch .LBB77_1056
.LBB77_1035:
	s_mov_b32 s49, -1
                                        ; implicit-def: $vgpr1
	s_branch .LBB77_1044
.LBB77_1036:
	s_mov_b32 s49, -1
                                        ; implicit-def: $vgpr1
	s_branch .LBB77_1041
.LBB77_1037:
	s_mov_b32 s49, -1
                                        ; implicit-def: $vgpr1
.LBB77_1038:
	s_delay_alu instid0(SALU_CYCLE_1)
	s_and_not1_b32 vcc_lo, exec_lo, s49
	s_cbranch_vccnz .LBB77_1040
; %bb.1039:
	global_load_b32 v1, v[6:7], off
.LBB77_1040:
	s_mov_b32 s49, 0
.LBB77_1041:
	s_delay_alu instid0(SALU_CYCLE_1)
	s_and_not1_b32 vcc_lo, exec_lo, s49
	s_cbranch_vccnz .LBB77_1043
; %bb.1042:
	s_wait_loadcnt 0x0
	global_load_b32 v1, v[6:7], off
	s_wait_loadcnt 0x0
	v_cvt_f32_f16_e32 v1, v1
.LBB77_1043:
	s_mov_b32 s49, 0
.LBB77_1044:
	s_delay_alu instid0(SALU_CYCLE_1)
	s_and_not1_b32 vcc_lo, exec_lo, s49
	s_cbranch_vccnz .LBB77_1055
; %bb.1045:
	s_cmp_lt_i32 s0, 6
	s_cbranch_scc1 .LBB77_1048
; %bb.1046:
	s_cmp_gt_i32 s0, 6
	s_cbranch_scc0 .LBB77_1049
; %bb.1047:
	global_load_b64 v[8:9], v[6:7], off
	s_mov_b32 s49, 0
	s_wait_loadcnt 0x0
	v_cvt_f32_f64_e32 v1, v[8:9]
	s_branch .LBB77_1050
.LBB77_1048:
	s_mov_b32 s49, -1
                                        ; implicit-def: $vgpr1
	s_branch .LBB77_1053
.LBB77_1049:
	s_mov_b32 s49, -1
                                        ; implicit-def: $vgpr1
.LBB77_1050:
	s_delay_alu instid0(SALU_CYCLE_1)
	s_and_not1_b32 vcc_lo, exec_lo, s49
	s_cbranch_vccnz .LBB77_1052
; %bb.1051:
	s_wait_loadcnt 0x0
	global_load_b32 v1, v[6:7], off
.LBB77_1052:
	s_mov_b32 s49, 0
.LBB77_1053:
	s_delay_alu instid0(SALU_CYCLE_1)
	s_and_not1_b32 vcc_lo, exec_lo, s49
	s_cbranch_vccnz .LBB77_1055
; %bb.1054:
	s_wait_loadcnt 0x0
	global_load_u16 v1, v[6:7], off
	s_wait_loadcnt 0x0
	v_cvt_f32_f16_e32 v1, v1
.LBB77_1055:
	s_mov_b32 s49, 0
.LBB77_1056:
	s_delay_alu instid0(SALU_CYCLE_1)
	s_and_not1_b32 vcc_lo, exec_lo, s49
	s_cbranch_vccnz .LBB77_1076
; %bb.1057:
	s_cmp_lt_i32 s0, 2
	s_cbranch_scc1 .LBB77_1061
; %bb.1058:
	s_cmp_lt_i32 s0, 3
	s_cbranch_scc1 .LBB77_1062
; %bb.1059:
	s_cmp_gt_i32 s0, 3
	s_cbranch_scc0 .LBB77_1063
; %bb.1060:
	global_load_b64 v[8:9], v[6:7], off
	s_mov_b32 s49, 0
	s_wait_loadcnt 0x0
	v_xor_b32_e32 v1, v8, v9
	v_cls_i32_e32 v3, v9
	s_delay_alu instid0(VALU_DEP_2) | instskip(NEXT) | instid1(VALU_DEP_1)
	v_ashrrev_i32_e32 v1, 31, v1
	v_add_nc_u32_e32 v1, 32, v1
	s_delay_alu instid0(VALU_DEP_1) | instskip(NEXT) | instid1(VALU_DEP_1)
	v_add_min_u32_e64 v1, v3, -1, v1
	v_lshlrev_b64_e32 v[8:9], v1, v[8:9]
	v_sub_nc_u32_e32 v1, 32, v1
	s_delay_alu instid0(VALU_DEP_2) | instskip(NEXT) | instid1(VALU_DEP_1)
	v_min_u32_e32 v3, 1, v8
	v_or_b32_e32 v3, v9, v3
	s_delay_alu instid0(VALU_DEP_1) | instskip(NEXT) | instid1(VALU_DEP_1)
	v_cvt_f32_i32_e32 v3, v3
	v_ldexp_f32 v1, v3, v1
	s_branch .LBB77_1064
.LBB77_1061:
	s_mov_b32 s49, -1
                                        ; implicit-def: $vgpr1
	s_branch .LBB77_1070
.LBB77_1062:
	s_mov_b32 s49, -1
                                        ; implicit-def: $vgpr1
	s_branch .LBB77_1067
.LBB77_1063:
	s_mov_b32 s49, -1
                                        ; implicit-def: $vgpr1
.LBB77_1064:
	s_delay_alu instid0(SALU_CYCLE_1)
	s_and_not1_b32 vcc_lo, exec_lo, s49
	s_cbranch_vccnz .LBB77_1066
; %bb.1065:
	s_wait_loadcnt 0x0
	global_load_b32 v1, v[6:7], off
	s_wait_loadcnt 0x0
	v_cvt_f32_i32_e32 v1, v1
.LBB77_1066:
	s_mov_b32 s49, 0
.LBB77_1067:
	s_delay_alu instid0(SALU_CYCLE_1)
	s_and_not1_b32 vcc_lo, exec_lo, s49
	s_cbranch_vccnz .LBB77_1069
; %bb.1068:
	s_wait_loadcnt 0x0
	global_load_i16 v1, v[6:7], off
	s_wait_loadcnt 0x0
	v_cvt_f32_i32_e32 v1, v1
.LBB77_1069:
	s_mov_b32 s49, 0
.LBB77_1070:
	s_delay_alu instid0(SALU_CYCLE_1)
	s_and_not1_b32 vcc_lo, exec_lo, s49
	s_cbranch_vccnz .LBB77_1076
; %bb.1071:
	s_cmp_gt_i32 s0, 0
	s_mov_b32 s0, 0
	s_cbranch_scc0 .LBB77_1073
; %bb.1072:
	s_wait_loadcnt 0x0
	global_load_i8 v1, v[6:7], off
	s_wait_loadcnt 0x0
	v_cvt_f32_i32_e32 v1, v1
	s_branch .LBB77_1074
.LBB77_1073:
	s_mov_b32 s0, -1
                                        ; implicit-def: $vgpr1
.LBB77_1074:
	s_delay_alu instid0(SALU_CYCLE_1)
	s_and_not1_b32 vcc_lo, exec_lo, s0
	s_cbranch_vccnz .LBB77_1076
; %bb.1075:
	s_wait_loadcnt 0x0
	global_load_u8 v1, v[6:7], off
	s_wait_loadcnt 0x0
	v_cvt_f32_ubyte0_e32 v1, v1
.LBB77_1076:
	s_mov_b32 s50, -1
.LBB77_1077:
	s_delay_alu instid0(SALU_CYCLE_1)
	s_and_not1_b32 vcc_lo, exec_lo, s50
	s_cbranch_vccnz .LBB77_1087
; %bb.1078:
	s_wait_loadcnt 0x0
	s_delay_alu instid0(VALU_DEP_1) | instskip(SKIP_2) | instid1(VALU_DEP_1)
	v_mul_f32_e32 v1, s10, v1
	s_mov_b32 s0, exec_lo
	s_wait_xcnt 0x0
	v_cmpx_nlt_f32_e32 s11, v1
	s_cbranch_execz .LBB77_1080
; %bb.1079:
	v_mul_f32_e32 v3, 0x3fb8aa3b, v1
	v_cmp_ngt_f32_e32 vcc_lo, 0xc2ce8ed0, v1
	s_delay_alu instid0(VALU_DEP_2) | instskip(SKIP_1) | instid1(VALU_DEP_1)
	v_rndne_f32_e32 v5, v3
	v_fma_f32 v6, 0x3fb8aa3b, v1, -v3
	v_dual_sub_f32 v3, v3, v5 :: v_dual_fmamk_f32 v6, v1, 0x32a5705f, v6
	v_cvt_i32_f32_e32 v5, v5
	s_delay_alu instid0(VALU_DEP_2) | instskip(NEXT) | instid1(VALU_DEP_1)
	v_add_f32_e32 v3, v3, v6
	v_exp_f32_e32 v3, v3
	v_nop
	s_delay_alu instid0(TRANS32_DEP_1) | instskip(NEXT) | instid1(VALU_DEP_1)
	v_ldexp_f32 v3, v3, v5
	v_cndmask_b32_e32 v3, 0, v3, vcc_lo
	v_cmp_nlt_f32_e32 vcc_lo, 0x42b17218, v1
	s_delay_alu instid0(VALU_DEP_2) | instskip(NEXT) | instid1(VALU_DEP_1)
	v_cndmask_b32_e32 v1, 0x7f800000, v3, vcc_lo
	v_dual_mul_f32 v2, v2, v1 :: v_dual_add_f32 v1, 1.0, v1
	s_delay_alu instid0(VALU_DEP_1) | instskip(NEXT) | instid1(VALU_DEP_1)
	v_div_scale_f32 v3, null, v1, v1, v2
	v_rcp_f32_e32 v5, v3
	v_nop
	s_delay_alu instid0(TRANS32_DEP_1) | instskip(NEXT) | instid1(VALU_DEP_1)
	v_fma_f32 v6, -v3, v5, 1.0
	v_fmac_f32_e32 v5, v6, v5
	v_div_scale_f32 v6, vcc_lo, v2, v1, v2
	s_delay_alu instid0(VALU_DEP_1) | instskip(NEXT) | instid1(VALU_DEP_1)
	v_mul_f32_e32 v7, v6, v5
	v_fma_f32 v8, -v3, v7, v6
	s_delay_alu instid0(VALU_DEP_1) | instskip(NEXT) | instid1(VALU_DEP_1)
	v_fmac_f32_e32 v7, v8, v5
	v_fma_f32 v3, -v3, v7, v6
	s_delay_alu instid0(VALU_DEP_1) | instskip(NEXT) | instid1(VALU_DEP_1)
	v_div_fmas_f32 v3, v3, v5, v7
	v_div_fixup_f32 v2, v3, v1, v2
.LBB77_1080:
	s_or_b32 exec_lo, exec_lo, s0
	v_mov_b32_e32 v5, 0
	s_and_b32 s49, s34, 0xff
	s_delay_alu instid0(SALU_CYCLE_1) | instskip(NEXT) | instid1(VALU_DEP_1)
	s_cmp_lt_i32 s49, 11
	v_add_nc_u64_e32 v[4:5], s[4:5], v[4:5]
	s_cbranch_scc1 .LBB77_1088
; %bb.1081:
	s_and_b32 s50, 0xffff, s49
	s_delay_alu instid0(SALU_CYCLE_1)
	s_cmp_gt_i32 s50, 25
	s_cbranch_scc0 .LBB77_1089
; %bb.1082:
	s_cmp_gt_i32 s50, 28
	s_cbranch_scc0 .LBB77_1090
; %bb.1083:
	;; [unrolled: 3-line block ×4, first 2 shown]
	s_mov_b32 s52, 0
	s_mov_b32 s0, -1
	s_cmp_eq_u32 s50, 46
	s_mov_b32 s51, 0
	s_cbranch_scc0 .LBB77_1093
; %bb.1086:
	v_bfe_u32 v1, v2, 16, 1
	v_cmp_o_f32_e32 vcc_lo, v2, v2
	s_mov_b32 s51, -1
	s_mov_b32 s0, 0
	s_delay_alu instid0(VALU_DEP_2) | instskip(NEXT) | instid1(VALU_DEP_1)
	v_add3_u32 v1, v2, v1, 0x7fff
	v_lshrrev_b32_e32 v1, 16, v1
	s_delay_alu instid0(VALU_DEP_1)
	v_cndmask_b32_e32 v1, 0x7fc0, v1, vcc_lo
	global_store_b32 v[4:5], v1, off
	s_branch .LBB77_1093
.LBB77_1087:
	s_mov_b32 s52, 0
	s_mov_b32 s0, s45
	s_branch .LBB77_1204
.LBB77_1088:
	s_mov_b32 s50, -1
	s_mov_b32 s51, 0
	s_mov_b32 s0, s45
	s_branch .LBB77_1162
.LBB77_1089:
	s_mov_b32 s52, -1
	s_mov_b32 s51, 0
	s_mov_b32 s0, s45
	s_branch .LBB77_1120
.LBB77_1090:
	s_mov_b32 s52, -1
	s_mov_b32 s51, 0
	s_mov_b32 s0, s45
	s_branch .LBB77_1103
.LBB77_1091:
	s_mov_b32 s52, -1
	s_mov_b32 s51, 0
	s_mov_b32 s0, s45
	s_branch .LBB77_1099
.LBB77_1092:
	s_mov_b32 s52, -1
	s_mov_b32 s51, 0
	s_mov_b32 s0, s45
.LBB77_1093:
	s_and_b32 vcc_lo, exec_lo, s52
	s_cbranch_vccz .LBB77_1098
; %bb.1094:
	s_cmp_eq_u32 s50, 44
	s_mov_b32 s0, -1
	s_cbranch_scc0 .LBB77_1098
; %bb.1095:
	v_bfe_u32 v3, v2, 23, 8
	s_wait_xcnt 0x0
	v_mov_b32_e32 v1, 0xff
	s_mov_b32 s51, exec_lo
	s_delay_alu instid0(VALU_DEP_2)
	v_cmpx_ne_u32_e32 0xff, v3
	s_cbranch_execz .LBB77_1097
; %bb.1096:
	v_and_b32_e32 v1, 0x400000, v2
	v_and_or_b32 v3, 0x3fffff, v2, v3
	s_delay_alu instid0(VALU_DEP_2) | instskip(NEXT) | instid1(VALU_DEP_2)
	v_cmp_ne_u32_e32 vcc_lo, 0, v1
	v_cmp_ne_u32_e64 s0, 0, v3
	v_lshrrev_b32_e32 v1, 23, v2
	s_and_b32 s0, vcc_lo, s0
	s_delay_alu instid0(SALU_CYCLE_1) | instskip(NEXT) | instid1(VALU_DEP_1)
	v_cndmask_b32_e64 v3, 0, 1, s0
	v_add_nc_u32_e32 v1, v1, v3
.LBB77_1097:
	s_or_b32 exec_lo, exec_lo, s51
	s_mov_b32 s51, -1
	s_mov_b32 s0, 0
	global_store_b8 v[4:5], v1, off
.LBB77_1098:
	s_mov_b32 s52, 0
.LBB77_1099:
	s_delay_alu instid0(SALU_CYCLE_1)
	s_and_b32 vcc_lo, exec_lo, s52
	s_cbranch_vccz .LBB77_1102
; %bb.1100:
	s_cmp_eq_u32 s50, 29
	s_mov_b32 s0, -1
	s_cbranch_scc0 .LBB77_1102
; %bb.1101:
	s_wait_xcnt 0x0
	v_trunc_f32_e32 v1, v2
	s_mov_b32 s51, -1
	s_mov_b32 s0, 0
	s_mov_b32 s52, 0
	s_delay_alu instid0(VALU_DEP_1) | instskip(NEXT) | instid1(VALU_DEP_1)
	v_mul_f32_e32 v3, 0x2f800000, v1
	v_floor_f32_e32 v3, v3
	s_delay_alu instid0(VALU_DEP_1) | instskip(SKIP_1) | instid1(VALU_DEP_2)
	v_fmamk_f32 v1, v3, 0xcf800000, v1
	v_cvt_u32_f32_e32 v7, v3
	v_cvt_u32_f32_e32 v6, v1
	global_store_b64 v[4:5], v[6:7], off
	s_branch .LBB77_1103
.LBB77_1102:
	s_mov_b32 s52, 0
.LBB77_1103:
	s_delay_alu instid0(SALU_CYCLE_1)
	s_and_b32 vcc_lo, exec_lo, s52
	s_cbranch_vccz .LBB77_1119
; %bb.1104:
	s_cmp_lt_i32 s50, 27
	s_mov_b32 s51, -1
	s_cbranch_scc1 .LBB77_1110
; %bb.1105:
	s_cmp_gt_i32 s50, 27
	s_cbranch_scc0 .LBB77_1107
; %bb.1106:
	s_wait_xcnt 0x0
	v_cvt_u32_f32_e32 v1, v2
	s_mov_b32 s51, 0
	global_store_b32 v[4:5], v1, off
.LBB77_1107:
	s_and_not1_b32 vcc_lo, exec_lo, s51
	s_cbranch_vccnz .LBB77_1109
; %bb.1108:
	s_wait_xcnt 0x0
	v_cvt_u32_f32_e32 v1, v2
	global_store_b16 v[4:5], v1, off
.LBB77_1109:
	s_mov_b32 s51, 0
.LBB77_1110:
	s_delay_alu instid0(SALU_CYCLE_1)
	s_and_not1_b32 vcc_lo, exec_lo, s51
	s_cbranch_vccnz .LBB77_1118
; %bb.1111:
	s_wait_xcnt 0x0
	v_and_b32_e32 v1, 0x7fffffff, v2
	v_mov_b32_e32 v3, 0x80
	s_mov_b32 s51, exec_lo
	s_delay_alu instid0(VALU_DEP_2)
	v_cmpx_gt_u32_e32 0x43800000, v1
	s_cbranch_execz .LBB77_1117
; %bb.1112:
	v_cmp_lt_u32_e32 vcc_lo, 0x3bffffff, v1
	s_mov_b32 s52, 0
                                        ; implicit-def: $vgpr1
	s_and_saveexec_b32 s53, vcc_lo
	s_delay_alu instid0(SALU_CYCLE_1)
	s_xor_b32 s53, exec_lo, s53
	s_cbranch_execz .LBB77_1232
; %bb.1113:
	v_bfe_u32 v1, v2, 20, 1
	s_mov_b32 s52, exec_lo
	s_delay_alu instid0(VALU_DEP_1) | instskip(NEXT) | instid1(VALU_DEP_1)
	v_add3_u32 v1, v2, v1, 0x487ffff
	v_lshrrev_b32_e32 v1, 20, v1
	s_and_not1_saveexec_b32 s53, s53
	s_cbranch_execnz .LBB77_1233
.LBB77_1114:
	s_or_b32 exec_lo, exec_lo, s53
	v_mov_b32_e32 v3, 0
	s_and_saveexec_b32 s53, s52
.LBB77_1115:
	v_lshrrev_b32_e32 v3, 24, v2
	s_delay_alu instid0(VALU_DEP_1)
	v_and_or_b32 v3, 0x80, v3, v1
.LBB77_1116:
	s_or_b32 exec_lo, exec_lo, s53
.LBB77_1117:
	s_delay_alu instid0(SALU_CYCLE_1)
	s_or_b32 exec_lo, exec_lo, s51
	global_store_b8 v[4:5], v3, off
.LBB77_1118:
	s_mov_b32 s51, -1
.LBB77_1119:
	s_mov_b32 s52, 0
.LBB77_1120:
	s_delay_alu instid0(SALU_CYCLE_1)
	s_and_b32 vcc_lo, exec_lo, s52
	s_cbranch_vccz .LBB77_1161
; %bb.1121:
	s_cmp_gt_i32 s50, 22
	s_mov_b32 s52, -1
	s_cbranch_scc0 .LBB77_1153
; %bb.1122:
	s_cmp_lt_i32 s50, 24
	s_mov_b32 s51, -1
	s_cbranch_scc1 .LBB77_1142
; %bb.1123:
	s_cmp_gt_i32 s50, 24
	s_cbranch_scc0 .LBB77_1131
; %bb.1124:
	s_wait_xcnt 0x0
	v_and_b32_e32 v1, 0x7fffffff, v2
	v_mov_b32_e32 v3, 0x80
	s_mov_b32 s51, exec_lo
	s_delay_alu instid0(VALU_DEP_2)
	v_cmpx_gt_u32_e32 0x47800000, v1
	s_cbranch_execz .LBB77_1130
; %bb.1125:
	v_cmp_lt_u32_e32 vcc_lo, 0x37ffffff, v1
	s_mov_b32 s52, 0
                                        ; implicit-def: $vgpr1
	s_and_saveexec_b32 s53, vcc_lo
	s_delay_alu instid0(SALU_CYCLE_1)
	s_xor_b32 s53, exec_lo, s53
	s_cbranch_execz .LBB77_2310
; %bb.1126:
	v_bfe_u32 v1, v2, 21, 1
	s_mov_b32 s52, exec_lo
	s_delay_alu instid0(VALU_DEP_1) | instskip(NEXT) | instid1(VALU_DEP_1)
	v_add3_u32 v1, v2, v1, 0x88fffff
	v_lshrrev_b32_e32 v1, 21, v1
	s_and_not1_saveexec_b32 s53, s53
	s_cbranch_execnz .LBB77_2311
.LBB77_1127:
	s_or_b32 exec_lo, exec_lo, s53
	v_mov_b32_e32 v3, 0
	s_and_saveexec_b32 s53, s52
.LBB77_1128:
	v_lshrrev_b32_e32 v3, 24, v2
	s_delay_alu instid0(VALU_DEP_1)
	v_and_or_b32 v3, 0x80, v3, v1
.LBB77_1129:
	s_or_b32 exec_lo, exec_lo, s53
.LBB77_1130:
	s_delay_alu instid0(SALU_CYCLE_1)
	s_or_b32 exec_lo, exec_lo, s51
	s_mov_b32 s51, 0
	global_store_b8 v[4:5], v3, off
.LBB77_1131:
	s_and_b32 vcc_lo, exec_lo, s51
	s_cbranch_vccz .LBB77_1141
; %bb.1132:
	s_wait_xcnt 0x0
	v_and_b32_e32 v3, 0x7fffffff, v2
	s_mov_b32 s51, exec_lo
                                        ; implicit-def: $vgpr1
	s_delay_alu instid0(VALU_DEP_1)
	v_cmpx_gt_u32_e32 0x43f00000, v3
	s_xor_b32 s51, exec_lo, s51
	s_cbranch_execz .LBB77_1138
; %bb.1133:
	s_mov_b32 s52, exec_lo
                                        ; implicit-def: $vgpr1
	v_cmpx_lt_u32_e32 0x3c7fffff, v3
	s_xor_b32 s52, exec_lo, s52
; %bb.1134:
	v_bfe_u32 v1, v2, 20, 1
	s_delay_alu instid0(VALU_DEP_1) | instskip(NEXT) | instid1(VALU_DEP_1)
	v_add3_u32 v1, v2, v1, 0x407ffff
	v_and_b32_e32 v3, 0xff00000, v1
	v_lshrrev_b32_e32 v1, 20, v1
	s_delay_alu instid0(VALU_DEP_2) | instskip(NEXT) | instid1(VALU_DEP_2)
	v_cmp_ne_u32_e32 vcc_lo, 0x7f00000, v3
	v_cndmask_b32_e32 v1, 0x7e, v1, vcc_lo
; %bb.1135:
	s_and_not1_saveexec_b32 s52, s52
; %bb.1136:
	v_add_f32_e64 v1, 0x46800000, |v2|
; %bb.1137:
	s_or_b32 exec_lo, exec_lo, s52
                                        ; implicit-def: $vgpr3
.LBB77_1138:
	s_and_not1_saveexec_b32 s51, s51
; %bb.1139:
	v_mov_b32_e32 v1, 0x7f
	v_cmp_lt_u32_e32 vcc_lo, 0x7f800000, v3
	s_delay_alu instid0(VALU_DEP_2)
	v_cndmask_b32_e32 v1, 0x7e, v1, vcc_lo
; %bb.1140:
	s_or_b32 exec_lo, exec_lo, s51
	v_lshrrev_b32_e32 v3, 24, v2
	s_delay_alu instid0(VALU_DEP_1)
	v_and_or_b32 v1, 0x80, v3, v1
	global_store_b8 v[4:5], v1, off
.LBB77_1141:
	s_mov_b32 s51, 0
.LBB77_1142:
	s_delay_alu instid0(SALU_CYCLE_1)
	s_and_not1_b32 vcc_lo, exec_lo, s51
	s_cbranch_vccnz .LBB77_1152
; %bb.1143:
	s_wait_xcnt 0x0
	v_and_b32_e32 v3, 0x7fffffff, v2
	s_mov_b32 s51, exec_lo
                                        ; implicit-def: $vgpr1
	s_delay_alu instid0(VALU_DEP_1)
	v_cmpx_gt_u32_e32 0x47800000, v3
	s_xor_b32 s51, exec_lo, s51
	s_cbranch_execz .LBB77_1149
; %bb.1144:
	s_mov_b32 s52, exec_lo
                                        ; implicit-def: $vgpr1
	v_cmpx_lt_u32_e32 0x387fffff, v3
	s_xor_b32 s52, exec_lo, s52
; %bb.1145:
	v_bfe_u32 v1, v2, 21, 1
	s_delay_alu instid0(VALU_DEP_1) | instskip(NEXT) | instid1(VALU_DEP_1)
	v_add3_u32 v1, v2, v1, 0x80fffff
	v_lshrrev_b32_e32 v1, 21, v1
; %bb.1146:
	s_and_not1_saveexec_b32 s52, s52
; %bb.1147:
	v_add_f32_e64 v1, 0x43000000, |v2|
; %bb.1148:
	s_or_b32 exec_lo, exec_lo, s52
                                        ; implicit-def: $vgpr3
.LBB77_1149:
	s_and_not1_saveexec_b32 s51, s51
; %bb.1150:
	v_mov_b32_e32 v1, 0x7f
	v_cmp_lt_u32_e32 vcc_lo, 0x7f800000, v3
	s_delay_alu instid0(VALU_DEP_2)
	v_cndmask_b32_e32 v1, 0x7c, v1, vcc_lo
; %bb.1151:
	s_or_b32 exec_lo, exec_lo, s51
	v_lshrrev_b32_e32 v3, 24, v2
	s_delay_alu instid0(VALU_DEP_1)
	v_and_or_b32 v1, 0x80, v3, v1
	global_store_b8 v[4:5], v1, off
.LBB77_1152:
	s_mov_b32 s52, 0
	s_mov_b32 s51, -1
.LBB77_1153:
	s_and_not1_b32 vcc_lo, exec_lo, s52
	s_cbranch_vccnz .LBB77_1161
; %bb.1154:
	s_cmp_gt_i32 s50, 14
	s_mov_b32 s52, -1
	s_cbranch_scc0 .LBB77_1158
; %bb.1155:
	s_cmp_eq_u32 s50, 15
	s_mov_b32 s0, -1
	s_cbranch_scc0 .LBB77_1157
; %bb.1156:
	s_wait_xcnt 0x0
	v_bfe_u32 v1, v2, 16, 1
	v_cmp_o_f32_e32 vcc_lo, v2, v2
	s_mov_b32 s51, -1
	s_mov_b32 s0, 0
	s_delay_alu instid0(VALU_DEP_2) | instskip(NEXT) | instid1(VALU_DEP_1)
	v_add3_u32 v1, v2, v1, 0x7fff
	v_lshrrev_b32_e32 v1, 16, v1
	s_delay_alu instid0(VALU_DEP_1)
	v_cndmask_b32_e32 v1, 0x7fc0, v1, vcc_lo
	global_store_b16 v[4:5], v1, off
.LBB77_1157:
	s_mov_b32 s52, 0
.LBB77_1158:
	s_delay_alu instid0(SALU_CYCLE_1)
	s_and_b32 vcc_lo, exec_lo, s52
	s_cbranch_vccz .LBB77_1161
; %bb.1159:
	s_cmp_eq_u32 s50, 11
	s_mov_b32 s0, -1
	s_cbranch_scc0 .LBB77_1161
; %bb.1160:
	v_cmp_neq_f32_e32 vcc_lo, 0, v2
	s_mov_b32 s0, 0
	s_mov_b32 s51, -1
	s_wait_xcnt 0x0
	v_cndmask_b32_e64 v1, 0, 1, vcc_lo
	global_store_b8 v[4:5], v1, off
.LBB77_1161:
	s_mov_b32 s50, 0
.LBB77_1162:
	s_delay_alu instid0(SALU_CYCLE_1)
	s_and_b32 vcc_lo, exec_lo, s50
	s_cbranch_vccz .LBB77_1201
; %bb.1163:
	s_and_b32 s49, 0xffff, s49
	s_mov_b32 s50, -1
	s_cmp_lt_i32 s49, 5
	s_cbranch_scc1 .LBB77_1184
; %bb.1164:
	s_cmp_lt_i32 s49, 8
	s_cbranch_scc1 .LBB77_1174
; %bb.1165:
	;; [unrolled: 3-line block ×3, first 2 shown]
	s_cmp_gt_i32 s49, 9
	s_cbranch_scc0 .LBB77_1168
; %bb.1167:
	s_wait_xcnt 0x0
	v_cvt_f64_f32_e32 v[6:7], v2
	v_mov_b32_e32 v8, 0
	s_mov_b32 s50, 0
	s_delay_alu instid0(VALU_DEP_1)
	v_mov_b32_e32 v9, v8
	global_store_b128 v[4:5], v[6:9], off
.LBB77_1168:
	s_and_not1_b32 vcc_lo, exec_lo, s50
	s_cbranch_vccnz .LBB77_1170
; %bb.1169:
	s_wait_xcnt 0x0
	v_mov_b32_e32 v3, 0
	global_store_b64 v[4:5], v[2:3], off
.LBB77_1170:
	s_mov_b32 s50, 0
.LBB77_1171:
	s_delay_alu instid0(SALU_CYCLE_1)
	s_and_not1_b32 vcc_lo, exec_lo, s50
	s_cbranch_vccnz .LBB77_1173
; %bb.1172:
	s_wait_xcnt 0x0
	v_cvt_f16_f32_e32 v1, v2
	s_delay_alu instid0(VALU_DEP_1)
	v_and_b32_e32 v1, 0xffff, v1
	global_store_b32 v[4:5], v1, off
.LBB77_1173:
	s_mov_b32 s50, 0
.LBB77_1174:
	s_delay_alu instid0(SALU_CYCLE_1)
	s_and_not1_b32 vcc_lo, exec_lo, s50
	s_cbranch_vccnz .LBB77_1183
; %bb.1175:
	s_cmp_lt_i32 s49, 6
	s_mov_b32 s50, -1
	s_cbranch_scc1 .LBB77_1181
; %bb.1176:
	s_cmp_gt_i32 s49, 6
	s_cbranch_scc0 .LBB77_1178
; %bb.1177:
	s_wait_xcnt 0x0
	v_cvt_f64_f32_e32 v[6:7], v2
	s_mov_b32 s50, 0
	global_store_b64 v[4:5], v[6:7], off
.LBB77_1178:
	s_and_not1_b32 vcc_lo, exec_lo, s50
	s_cbranch_vccnz .LBB77_1180
; %bb.1179:
	global_store_b32 v[4:5], v2, off
.LBB77_1180:
	s_mov_b32 s50, 0
.LBB77_1181:
	s_delay_alu instid0(SALU_CYCLE_1)
	s_and_not1_b32 vcc_lo, exec_lo, s50
	s_cbranch_vccnz .LBB77_1183
; %bb.1182:
	s_wait_xcnt 0x0
	v_cvt_f16_f32_e32 v1, v2
	global_store_b16 v[4:5], v1, off
.LBB77_1183:
	s_mov_b32 s50, 0
.LBB77_1184:
	s_delay_alu instid0(SALU_CYCLE_1)
	s_and_not1_b32 vcc_lo, exec_lo, s50
	s_cbranch_vccnz .LBB77_1200
; %bb.1185:
	s_cmp_lt_i32 s49, 2
	s_mov_b32 s50, -1
	s_cbranch_scc1 .LBB77_1195
; %bb.1186:
	s_cmp_lt_i32 s49, 3
	s_cbranch_scc1 .LBB77_1192
; %bb.1187:
	s_cmp_gt_i32 s49, 3
	s_cbranch_scc0 .LBB77_1189
; %bb.1188:
	s_wait_xcnt 0x0
	v_trunc_f32_e32 v1, v2
	s_mov_b32 s50, 0
	s_delay_alu instid0(VALU_DEP_1) | instskip(SKIP_1) | instid1(VALU_DEP_2)
	v_mul_f32_e64 v3, 0x2f800000, |v1|
	v_ashrrev_i32_e32 v6, 31, v1
	v_floor_f32_e32 v3, v3
	s_delay_alu instid0(VALU_DEP_1) | instskip(SKIP_1) | instid1(VALU_DEP_2)
	v_fma_f32 v7, 0xcf800000, v3, |v1|
	v_cvt_u32_f32_e32 v1, v3
	v_cvt_u32_f32_e32 v3, v7
	s_delay_alu instid0(VALU_DEP_2) | instskip(NEXT) | instid1(VALU_DEP_2)
	v_dual_mov_b32 v7, v6 :: v_dual_bitop2_b32 v9, v1, v6 bitop3:0x14
	v_xor_b32_e32 v8, v3, v6
	s_delay_alu instid0(VALU_DEP_1)
	v_sub_nc_u64_e32 v[6:7], v[8:9], v[6:7]
	global_store_b64 v[4:5], v[6:7], off
.LBB77_1189:
	s_and_not1_b32 vcc_lo, exec_lo, s50
	s_cbranch_vccnz .LBB77_1191
; %bb.1190:
	s_wait_xcnt 0x0
	v_cvt_i32_f32_e32 v1, v2
	global_store_b32 v[4:5], v1, off
.LBB77_1191:
	s_mov_b32 s50, 0
.LBB77_1192:
	s_delay_alu instid0(SALU_CYCLE_1)
	s_and_not1_b32 vcc_lo, exec_lo, s50
	s_cbranch_vccnz .LBB77_1194
; %bb.1193:
	s_wait_xcnt 0x0
	v_cvt_i32_f32_e32 v1, v2
	global_store_b16 v[4:5], v1, off
.LBB77_1194:
	s_mov_b32 s50, 0
.LBB77_1195:
	s_delay_alu instid0(SALU_CYCLE_1)
	s_and_not1_b32 vcc_lo, exec_lo, s50
	s_cbranch_vccnz .LBB77_1200
; %bb.1196:
	s_cmp_gt_i32 s49, 0
	s_mov_b32 s49, -1
	s_cbranch_scc0 .LBB77_1198
; %bb.1197:
	s_wait_xcnt 0x0
	v_cvt_i32_f32_e32 v1, v2
	s_mov_b32 s49, 0
	global_store_b8 v[4:5], v1, off
.LBB77_1198:
	s_and_not1_b32 vcc_lo, exec_lo, s49
	s_cbranch_vccnz .LBB77_1200
; %bb.1199:
	s_wait_xcnt 0x0
	v_trunc_f32_e32 v1, v2
	s_delay_alu instid0(VALU_DEP_1) | instskip(NEXT) | instid1(VALU_DEP_1)
	v_mul_f32_e64 v2, 0x2f800000, |v1|
	v_floor_f32_e32 v2, v2
	s_delay_alu instid0(VALU_DEP_1) | instskip(SKIP_1) | instid1(VALU_DEP_2)
	v_fma_f32 v2, 0xcf800000, v2, |v1|
	v_ashrrev_i32_e32 v1, 31, v1
	v_cvt_u32_f32_e32 v2, v2
	s_delay_alu instid0(VALU_DEP_1) | instskip(NEXT) | instid1(VALU_DEP_1)
	v_xor_b32_e32 v2, v2, v1
	v_sub_nc_u32_e32 v1, v2, v1
	global_store_b8 v[4:5], v1, off
.LBB77_1200:
	s_mov_b32 s51, -1
.LBB77_1201:
	s_delay_alu instid0(SALU_CYCLE_1)
	s_and_not1_b32 vcc_lo, exec_lo, s51
	s_cbranch_vccnz .LBB77_1203
; %bb.1202:
	v_add_nc_u32_e32 v0, 0x80, v0
	s_mov_b32 s52, -1
	s_branch .LBB77_1205
.LBB77_1203:
	s_mov_b32 s52, 0
.LBB77_1204:
                                        ; implicit-def: $vgpr0
.LBB77_1205:
	s_and_not1_b32 s49, s45, exec_lo
	s_and_b32 s0, s0, exec_lo
	s_and_b32 s27, s27, exec_lo
	s_or_b32 s50, s49, s0
	s_and_not1_b32 s0, s46, exec_lo
	s_and_not1_b32 s49, s44, exec_lo
	s_and_b32 s26, s26, exec_lo
	s_or_b32 s51, s0, s27
	s_or_b32 s49, s49, s26
	s_or_not1_b32 s53, s52, exec_lo
.LBB77_1206:
	s_wait_xcnt 0x0
	s_or_b32 exec_lo, exec_lo, s48
	s_mov_b32 s27, 0
	s_mov_b32 s52, 0
	;; [unrolled: 1-line block ×3, first 2 shown]
                                        ; implicit-def: $sgpr0
                                        ; implicit-def: $vgpr8_vgpr9
                                        ; implicit-def: $vgpr6
                                        ; implicit-def: $vgpr4
                                        ; implicit-def: $vgpr2
	s_and_saveexec_b32 s48, s53
	s_cbranch_execz .LBB77_1301
; %bb.1207:
	v_cmp_gt_i32_e32 vcc_lo, s38, v0
	s_mov_b32 s53, s49
                                        ; implicit-def: $sgpr0
                                        ; implicit-def: $vgpr8_vgpr9
                                        ; implicit-def: $vgpr6
                                        ; implicit-def: $vgpr4
                                        ; implicit-def: $vgpr2
	s_and_saveexec_b32 s38, vcc_lo
	s_cbranch_execz .LBB77_1300
; %bb.1208:
	s_and_not1_b32 vcc_lo, exec_lo, s31
	s_cbranch_vccnz .LBB77_1214
; %bb.1209:
	s_and_not1_b32 vcc_lo, exec_lo, s39
	s_cbranch_vccnz .LBB77_1215
; %bb.1210:
	s_wait_loadcnt 0x0
	v_dual_mov_b32 v4, 0 :: v_dual_mov_b32 v1, v0
	v_dual_mov_b32 v2, 0 :: v_dual_mov_b32 v6, 0
	s_add_co_i32 s0, s37, 1
	s_mov_b64 s[26:27], 0xffffffffffffffe8
	s_and_b32 s0, s0, 30
	s_add_nc_u64 s[26:27], s[2:3], s[26:27]
.LBB77_1211:                            ; =>This Inner Loop Header: Depth=1
	s_clause 0x1
	s_load_b128 s[52:55], s[26:27], 0x1c
	s_load_b64 s[60:61], s[26:27], 0x2c
	s_add_co_i32 s0, s0, -2
	s_delay_alu instid0(SALU_CYCLE_1) | instskip(SKIP_2) | instid1(VALU_DEP_1)
	s_cmp_eq_u32 s0, 0
	s_wait_kmcnt 0x0
	v_mul_hi_u32 v3, s53, v1
	v_add_nc_u32_e32 v3, v1, v3
	s_delay_alu instid0(VALU_DEP_1) | instskip(NEXT) | instid1(VALU_DEP_1)
	v_lshrrev_b32_e32 v3, s54, v3
	v_mul_hi_u32 v5, s60, v3
	v_mul_lo_u32 v7, v3, s52
	s_clause 0x1
	s_load_b128 s[56:59], s[26:27], 0xdc
	s_load_b64 s[52:53], s[26:27], 0xec
	s_wait_xcnt 0x0
	s_add_nc_u64 s[26:27], s[26:27], 24
	s_delay_alu instid0(VALU_DEP_1) | instskip(NEXT) | instid1(VALU_DEP_1)
	v_dual_add_nc_u32 v5, v3, v5 :: v_dual_sub_nc_u32 v7, v1, v7
	v_lshrrev_b32_e32 v1, s61, v5
	s_wait_kmcnt 0x0
	s_delay_alu instid0(VALU_DEP_2) | instskip(NEXT) | instid1(VALU_DEP_2)
	v_mad_u32 v4, v7, s56, v4
	v_mul_lo_u32 v5, v1, s55
	v_mad_u32 v6, v7, s58, v6
	v_mad_u32 v2, v7, s57, v2
	s_delay_alu instid0(VALU_DEP_3) | instskip(NEXT) | instid1(VALU_DEP_1)
	v_sub_nc_u32_e32 v3, v3, v5
	v_mad_u32 v4, v3, s59, v4
	s_delay_alu instid0(VALU_DEP_4) | instskip(NEXT) | instid1(VALU_DEP_4)
	v_mad_u32 v6, v3, s53, v6
	v_mad_u32 v2, v3, s52, v2
	s_cbranch_scc0 .LBB77_1211
; %bb.1212:
	s_bitcmp1_b32 s37, 0
	s_cselect_b32 s0, -1, 0
	s_delay_alu instid0(SALU_CYCLE_1)
	s_and_b32 vcc_lo, exec_lo, s0
	s_cbranch_vccnz .LBB77_1216
; %bb.1213:
	s_clause 0x1
	s_load_b96 s[52:54], s[26:27], 0x1c
	s_load_b96 s[56:58], s[26:27], 0xdc
	s_wait_kmcnt 0x0
	v_mul_hi_u32 v3, s53, v1
	s_delay_alu instid0(VALU_DEP_1) | instskip(NEXT) | instid1(VALU_DEP_1)
	v_add_nc_u32_e32 v3, v1, v3
	v_lshrrev_b32_e32 v3, s54, v3
	s_delay_alu instid0(VALU_DEP_1) | instskip(NEXT) | instid1(VALU_DEP_1)
	v_mul_lo_u32 v3, v3, s52
	v_sub_nc_u32_e32 v1, v1, v3
	s_delay_alu instid0(VALU_DEP_1)
	v_mad_u32 v4, v1, s56, v4
	v_mad_u32 v2, v1, s57, v2
	;; [unrolled: 1-line block ×3, first 2 shown]
	s_branch .LBB77_1216
.LBB77_1214:
	s_mov_b32 s0, -1
                                        ; implicit-def: $vgpr6
                                        ; implicit-def: $vgpr2
                                        ; implicit-def: $vgpr4
	s_branch .LBB77_1217
.LBB77_1215:
	s_wait_loadcnt 0x0
	v_dual_mov_b32 v6, 0 :: v_dual_mov_b32 v2, 0
	v_mov_b32_e32 v4, 0
.LBB77_1216:
	s_mov_b32 s0, 0
.LBB77_1217:
	s_delay_alu instid0(SALU_CYCLE_1)
	s_and_not1_b32 vcc_lo, exec_lo, s0
	s_cbranch_vccnz .LBB77_1220
; %bb.1218:
	s_wait_loadcnt 0x0
	v_mov_b32_e32 v1, 0
	s_and_not1_b32 vcc_lo, exec_lo, s36
	s_delay_alu instid0(VALU_DEP_1) | instskip(NEXT) | instid1(VALU_DEP_1)
	v_mul_u64_e32 v[2:3], s[20:21], v[0:1]
	v_add_nc_u32_e32 v2, v0, v3
	s_delay_alu instid0(VALU_DEP_1) | instskip(NEXT) | instid1(VALU_DEP_1)
	v_lshrrev_b32_e32 v8, s14, v2
	v_mul_lo_u32 v2, v8, s12
	s_delay_alu instid0(VALU_DEP_1) | instskip(NEXT) | instid1(VALU_DEP_1)
	v_sub_nc_u32_e32 v0, v0, v2
	v_mul_lo_u32 v4, v0, s16
	v_mul_lo_u32 v6, v0, s18
	;; [unrolled: 1-line block ×3, first 2 shown]
	s_cbranch_vccnz .LBB77_1220
; %bb.1219:
	v_mov_b32_e32 v9, v1
	s_delay_alu instid0(VALU_DEP_1) | instskip(NEXT) | instid1(VALU_DEP_1)
	v_mul_u64_e32 v[0:1], s[24:25], v[8:9]
	v_add_nc_u32_e32 v0, v8, v1
	s_delay_alu instid0(VALU_DEP_1) | instskip(NEXT) | instid1(VALU_DEP_1)
	v_lshrrev_b32_e32 v0, s1, v0
	v_mul_lo_u32 v0, v0, s15
	s_delay_alu instid0(VALU_DEP_1) | instskip(NEXT) | instid1(VALU_DEP_1)
	v_sub_nc_u32_e32 v0, v8, v0
	v_mad_u32 v4, v0, s19, v4
	v_mad_u32 v2, v0, s22, v2
	v_mad_u32 v6, v0, s23, v6
.LBB77_1220:
	v_mov_b32_e32 v3, 0
	s_and_b32 s0, s35, 0xff
	s_delay_alu instid0(SALU_CYCLE_1) | instskip(SKIP_1) | instid1(VALU_DEP_1)
	s_cmp_lt_i32 s0, 11
	s_wait_loadcnt 0x0
	v_add_nc_u64_e32 v[8:9], s[6:7], v[2:3]
	s_cbranch_scc1 .LBB77_1227
; %bb.1221:
	s_and_b32 s1, 0xffff, s0
	s_mov_b32 s7, 0
	s_cmp_gt_i32 s1, 25
	s_cbranch_scc0 .LBB77_1228
; %bb.1222:
	s_cmp_gt_i32 s1, 28
	s_cbranch_scc0 .LBB77_1229
; %bb.1223:
	;; [unrolled: 3-line block ×4, first 2 shown]
	s_cmp_eq_u32 s1, 46
	s_mov_b32 s14, 0
	s_cbranch_scc0 .LBB77_1234
; %bb.1226:
	global_load_b32 v0, v[8:9], off
	s_mov_b32 s6, 0
	s_mov_b32 s12, -1
	s_wait_loadcnt 0x0
	v_lshlrev_b32_e32 v2, 16, v0
	s_branch .LBB77_1236
.LBB77_1227:
	s_mov_b32 s1, -1
	s_mov_b32 s12, 0
	s_mov_b32 s7, 0
	;; [unrolled: 1-line block ×3, first 2 shown]
                                        ; implicit-def: $vgpr2
	s_branch .LBB77_1299
.LBB77_1228:
	s_mov_b32 s14, -1
	s_mov_b32 s12, 0
	s_mov_b32 s6, s49
                                        ; implicit-def: $vgpr2
	s_branch .LBB77_1265
.LBB77_1229:
	s_mov_b32 s14, -1
	s_mov_b32 s12, 0
	s_mov_b32 s6, s49
                                        ; implicit-def: $vgpr2
	s_branch .LBB77_1246
.LBB77_1230:
	s_mov_b32 s14, -1
	s_mov_b32 s12, 0
	s_mov_b32 s6, s49
                                        ; implicit-def: $vgpr2
	s_branch .LBB77_1241
.LBB77_1231:
	s_mov_b32 s14, -1
	s_mov_b32 s12, 0
	s_mov_b32 s6, s49
	s_branch .LBB77_1235
.LBB77_1232:
	s_and_not1_saveexec_b32 s53, s53
	s_cbranch_execz .LBB77_1114
.LBB77_1233:
	v_add_f32_e64 v1, 0x46000000, |v2|
	s_and_not1_b32 s52, s52, exec_lo
	s_delay_alu instid0(VALU_DEP_1) | instskip(NEXT) | instid1(VALU_DEP_1)
	v_and_b32_e32 v1, 0xff, v1
	v_cmp_ne_u32_e32 vcc_lo, 0, v1
	s_and_b32 s54, vcc_lo, exec_lo
	s_delay_alu instid0(SALU_CYCLE_1)
	s_or_b32 s52, s52, s54
	s_or_b32 exec_lo, exec_lo, s53
	v_mov_b32_e32 v3, 0
	s_and_saveexec_b32 s53, s52
	s_cbranch_execnz .LBB77_1115
	s_branch .LBB77_1116
.LBB77_1234:
	s_mov_b32 s6, -1
	s_mov_b32 s12, 0
.LBB77_1235:
                                        ; implicit-def: $vgpr2
.LBB77_1236:
	s_and_b32 vcc_lo, exec_lo, s14
	s_cbranch_vccz .LBB77_1240
; %bb.1237:
	s_cmp_eq_u32 s1, 44
	s_cbranch_scc0 .LBB77_1239
; %bb.1238:
	global_load_u8 v0, v[8:9], off
	s_mov_b32 s6, 0
	s_mov_b32 s12, -1
	s_wait_loadcnt 0x0
	v_lshlrev_b32_e32 v1, 23, v0
	v_cmp_ne_u32_e32 vcc_lo, 0xff, v0
	s_delay_alu instid0(VALU_DEP_2) | instskip(SKIP_1) | instid1(VALU_DEP_2)
	v_cndmask_b32_e32 v1, 0x7f800001, v1, vcc_lo
	v_cmp_ne_u32_e32 vcc_lo, 0, v0
	v_cndmask_b32_e32 v2, 0x400000, v1, vcc_lo
	s_branch .LBB77_1240
.LBB77_1239:
	s_mov_b32 s6, -1
                                        ; implicit-def: $vgpr2
.LBB77_1240:
	s_mov_b32 s14, 0
.LBB77_1241:
	s_delay_alu instid0(SALU_CYCLE_1)
	s_and_b32 vcc_lo, exec_lo, s14
	s_cbranch_vccz .LBB77_1245
; %bb.1242:
	s_cmp_eq_u32 s1, 29
	s_cbranch_scc0 .LBB77_1244
; %bb.1243:
	global_load_b64 v[0:1], v[8:9], off
	s_mov_b32 s6, 0
	s_mov_b32 s12, -1
	s_mov_b32 s14, 0
	s_wait_loadcnt 0x0
	v_clz_i32_u32_e32 v2, v1
	s_delay_alu instid0(VALU_DEP_1) | instskip(NEXT) | instid1(VALU_DEP_1)
	v_min_u32_e32 v2, 32, v2
	v_lshlrev_b64_e32 v[0:1], v2, v[0:1]
	s_delay_alu instid0(VALU_DEP_1) | instskip(NEXT) | instid1(VALU_DEP_1)
	v_min_u32_e32 v0, 1, v0
	v_dual_sub_nc_u32 v1, 32, v2 :: v_dual_bitop2_b32 v0, v1, v0 bitop3:0x54
	s_delay_alu instid0(VALU_DEP_1) | instskip(NEXT) | instid1(VALU_DEP_1)
	v_cvt_f32_u32_e32 v0, v0
	v_ldexp_f32 v2, v0, v1
	s_branch .LBB77_1246
.LBB77_1244:
	s_mov_b32 s6, -1
                                        ; implicit-def: $vgpr2
.LBB77_1245:
	s_mov_b32 s14, 0
.LBB77_1246:
	s_delay_alu instid0(SALU_CYCLE_1)
	s_and_b32 vcc_lo, exec_lo, s14
	s_cbranch_vccz .LBB77_1264
; %bb.1247:
	s_cmp_lt_i32 s1, 27
	s_cbranch_scc1 .LBB77_1250
; %bb.1248:
	s_cmp_gt_i32 s1, 27
	s_cbranch_scc0 .LBB77_1251
; %bb.1249:
	global_load_b32 v0, v[8:9], off
	s_mov_b32 s12, 0
	s_wait_loadcnt 0x0
	v_cvt_f32_u32_e32 v2, v0
	s_branch .LBB77_1252
.LBB77_1250:
	s_mov_b32 s12, -1
                                        ; implicit-def: $vgpr2
	s_branch .LBB77_1255
.LBB77_1251:
	s_mov_b32 s12, -1
                                        ; implicit-def: $vgpr2
.LBB77_1252:
	s_delay_alu instid0(SALU_CYCLE_1)
	s_and_not1_b32 vcc_lo, exec_lo, s12
	s_cbranch_vccnz .LBB77_1254
; %bb.1253:
	global_load_u16 v0, v[8:9], off
	s_wait_loadcnt 0x0
	v_cvt_f32_u32_e32 v2, v0
.LBB77_1254:
	s_mov_b32 s12, 0
.LBB77_1255:
	s_delay_alu instid0(SALU_CYCLE_1)
	s_and_not1_b32 vcc_lo, exec_lo, s12
	s_cbranch_vccnz .LBB77_1263
; %bb.1256:
	global_load_u8 v0, v[8:9], off
	s_mov_b32 s12, 0
	s_mov_b32 s14, exec_lo
	s_wait_loadcnt 0x0
	v_cmpx_lt_i16_e32 0x7f, v0
	s_xor_b32 s14, exec_lo, s14
	s_cbranch_execz .LBB77_1277
; %bb.1257:
	s_mov_b32 s12, -1
	s_mov_b32 s15, exec_lo
	v_cmpx_eq_u16_e32 0x80, v0
; %bb.1258:
	s_xor_b32 s12, exec_lo, -1
; %bb.1259:
	s_or_b32 exec_lo, exec_lo, s15
	s_delay_alu instid0(SALU_CYCLE_1)
	s_and_b32 s12, s12, exec_lo
	s_or_saveexec_b32 s14, s14
	v_mov_b32_e32 v2, 0x7f800001
	s_xor_b32 exec_lo, exec_lo, s14
	s_cbranch_execnz .LBB77_1278
.LBB77_1260:
	s_or_b32 exec_lo, exec_lo, s14
	s_and_saveexec_b32 s14, s12
	s_cbranch_execz .LBB77_1262
.LBB77_1261:
	v_and_b32_e32 v1, 0xffff, v0
	s_delay_alu instid0(VALU_DEP_1) | instskip(SKIP_1) | instid1(VALU_DEP_2)
	v_and_b32_e32 v2, 7, v1
	v_bfe_u32 v7, v1, 3, 4
	v_clz_i32_u32_e32 v3, v2
	s_delay_alu instid0(VALU_DEP_2) | instskip(NEXT) | instid1(VALU_DEP_2)
	v_cmp_eq_u32_e32 vcc_lo, 0, v7
	v_min_u32_e32 v3, 32, v3
	s_delay_alu instid0(VALU_DEP_1) | instskip(NEXT) | instid1(VALU_DEP_1)
	v_subrev_nc_u32_e32 v5, 28, v3
	v_dual_lshlrev_b32 v1, v5, v1 :: v_dual_sub_nc_u32 v3, 29, v3
	s_delay_alu instid0(VALU_DEP_1) | instskip(NEXT) | instid1(VALU_DEP_1)
	v_dual_lshlrev_b32 v0, 24, v0 :: v_dual_bitop2_b32 v1, 7, v1 bitop3:0x40
	v_dual_cndmask_b32 v3, v7, v3, vcc_lo :: v_dual_cndmask_b32 v1, v2, v1, vcc_lo
	s_delay_alu instid0(VALU_DEP_2) | instskip(NEXT) | instid1(VALU_DEP_2)
	v_and_b32_e32 v0, 0x80000000, v0
	v_lshl_add_u32 v2, v3, 23, 0x3b800000
	s_delay_alu instid0(VALU_DEP_3) | instskip(NEXT) | instid1(VALU_DEP_1)
	v_lshlrev_b32_e32 v1, 20, v1
	v_or3_b32 v2, v0, v2, v1
.LBB77_1262:
	s_or_b32 exec_lo, exec_lo, s14
.LBB77_1263:
	s_mov_b32 s12, -1
.LBB77_1264:
	s_mov_b32 s14, 0
.LBB77_1265:
	s_delay_alu instid0(SALU_CYCLE_1)
	s_and_b32 vcc_lo, exec_lo, s14
	s_cbranch_vccz .LBB77_1298
; %bb.1266:
	s_cmp_gt_i32 s1, 22
	s_cbranch_scc0 .LBB77_1276
; %bb.1267:
	s_cmp_lt_i32 s1, 24
	s_cbranch_scc1 .LBB77_1279
; %bb.1268:
	s_cmp_gt_i32 s1, 24
	s_cbranch_scc0 .LBB77_1280
; %bb.1269:
	global_load_u8 v0, v[8:9], off
	s_mov_b32 s12, exec_lo
	s_wait_loadcnt 0x0
	v_cmpx_lt_i16_e32 0x7f, v0
	s_xor_b32 s12, exec_lo, s12
	s_cbranch_execz .LBB77_1292
; %bb.1270:
	s_mov_b32 s7, -1
	s_mov_b32 s14, exec_lo
	v_cmpx_eq_u16_e32 0x80, v0
; %bb.1271:
	s_xor_b32 s7, exec_lo, -1
; %bb.1272:
	s_or_b32 exec_lo, exec_lo, s14
	s_delay_alu instid0(SALU_CYCLE_1)
	s_and_b32 s7, s7, exec_lo
	s_or_saveexec_b32 s12, s12
	v_mov_b32_e32 v2, 0x7f800001
	s_xor_b32 exec_lo, exec_lo, s12
	s_cbranch_execnz .LBB77_1293
.LBB77_1273:
	s_or_b32 exec_lo, exec_lo, s12
	s_and_saveexec_b32 s12, s7
	s_cbranch_execz .LBB77_1275
.LBB77_1274:
	v_and_b32_e32 v1, 0xffff, v0
	s_delay_alu instid0(VALU_DEP_1) | instskip(SKIP_1) | instid1(VALU_DEP_2)
	v_and_b32_e32 v2, 3, v1
	v_bfe_u32 v7, v1, 2, 5
	v_clz_i32_u32_e32 v3, v2
	s_delay_alu instid0(VALU_DEP_2) | instskip(NEXT) | instid1(VALU_DEP_2)
	v_cmp_eq_u32_e32 vcc_lo, 0, v7
	v_min_u32_e32 v3, 32, v3
	s_delay_alu instid0(VALU_DEP_1) | instskip(NEXT) | instid1(VALU_DEP_1)
	v_subrev_nc_u32_e32 v5, 29, v3
	v_dual_lshlrev_b32 v1, v5, v1 :: v_dual_sub_nc_u32 v3, 30, v3
	s_delay_alu instid0(VALU_DEP_1) | instskip(NEXT) | instid1(VALU_DEP_1)
	v_dual_lshlrev_b32 v0, 24, v0 :: v_dual_bitop2_b32 v1, 3, v1 bitop3:0x40
	v_dual_cndmask_b32 v3, v7, v3, vcc_lo :: v_dual_cndmask_b32 v1, v2, v1, vcc_lo
	s_delay_alu instid0(VALU_DEP_2) | instskip(NEXT) | instid1(VALU_DEP_2)
	v_and_b32_e32 v0, 0x80000000, v0
	v_lshl_add_u32 v2, v3, 23, 0x37800000
	s_delay_alu instid0(VALU_DEP_3) | instskip(NEXT) | instid1(VALU_DEP_1)
	v_lshlrev_b32_e32 v1, 21, v1
	v_or3_b32 v2, v0, v2, v1
.LBB77_1275:
	s_or_b32 exec_lo, exec_lo, s12
	s_mov_b32 s7, 0
	s_branch .LBB77_1281
.LBB77_1276:
	s_mov_b32 s7, -1
                                        ; implicit-def: $vgpr2
	s_branch .LBB77_1287
.LBB77_1277:
	s_or_saveexec_b32 s14, s14
	v_mov_b32_e32 v2, 0x7f800001
	s_xor_b32 exec_lo, exec_lo, s14
	s_cbranch_execz .LBB77_1260
.LBB77_1278:
	v_cmp_ne_u16_e32 vcc_lo, 0, v0
	v_mov_b32_e32 v2, 0
	s_and_not1_b32 s12, s12, exec_lo
	s_and_b32 s15, vcc_lo, exec_lo
	s_delay_alu instid0(SALU_CYCLE_1)
	s_or_b32 s12, s12, s15
	s_or_b32 exec_lo, exec_lo, s14
	s_and_saveexec_b32 s14, s12
	s_cbranch_execnz .LBB77_1261
	s_branch .LBB77_1262
.LBB77_1279:
	s_mov_b32 s7, -1
                                        ; implicit-def: $vgpr2
	s_branch .LBB77_1284
.LBB77_1280:
	s_mov_b32 s7, -1
                                        ; implicit-def: $vgpr2
.LBB77_1281:
	s_delay_alu instid0(SALU_CYCLE_1)
	s_and_b32 vcc_lo, exec_lo, s7
	s_cbranch_vccz .LBB77_1283
; %bb.1282:
	global_load_u8 v0, v[8:9], off
	s_wait_loadcnt 0x0
	v_lshlrev_b32_e32 v0, 24, v0
	s_delay_alu instid0(VALU_DEP_1) | instskip(NEXT) | instid1(VALU_DEP_1)
	v_and_b32_e32 v1, 0x7f000000, v0
	v_clz_i32_u32_e32 v2, v1
	v_add_nc_u32_e32 v5, 0x1000000, v1
	v_cmp_ne_u32_e32 vcc_lo, 0, v1
	s_delay_alu instid0(VALU_DEP_3) | instskip(NEXT) | instid1(VALU_DEP_1)
	v_min_u32_e32 v2, 32, v2
	v_sub_nc_u32_e64 v2, v2, 4 clamp
	s_delay_alu instid0(VALU_DEP_1) | instskip(NEXT) | instid1(VALU_DEP_1)
	v_dual_lshlrev_b32 v3, v2, v1 :: v_dual_lshlrev_b32 v2, 23, v2
	v_lshrrev_b32_e32 v3, 4, v3
	s_delay_alu instid0(VALU_DEP_1) | instskip(NEXT) | instid1(VALU_DEP_1)
	v_dual_sub_nc_u32 v2, v3, v2 :: v_dual_ashrrev_i32 v3, 8, v5
	v_add_nc_u32_e32 v2, 0x3c000000, v2
	s_delay_alu instid0(VALU_DEP_1) | instskip(NEXT) | instid1(VALU_DEP_1)
	v_and_or_b32 v2, 0x7f800000, v3, v2
	v_cndmask_b32_e32 v1, 0, v2, vcc_lo
	s_delay_alu instid0(VALU_DEP_1)
	v_and_or_b32 v2, 0x80000000, v0, v1
.LBB77_1283:
	s_mov_b32 s7, 0
.LBB77_1284:
	s_delay_alu instid0(SALU_CYCLE_1)
	s_and_not1_b32 vcc_lo, exec_lo, s7
	s_cbranch_vccnz .LBB77_1286
; %bb.1285:
	global_load_u8 v0, v[8:9], off
	s_wait_loadcnt 0x0
	v_lshlrev_b32_e32 v1, 25, v0
	v_lshlrev_b16 v0, 8, v0
	s_delay_alu instid0(VALU_DEP_1) | instskip(SKIP_1) | instid1(VALU_DEP_2)
	v_and_or_b32 v3, 0x7f00, v0, 0.5
	v_bfe_i32 v0, v0, 0, 16
	v_dual_add_f32 v3, -0.5, v3 :: v_dual_lshrrev_b32 v2, 4, v1
	v_cmp_gt_u32_e32 vcc_lo, 0x8000000, v1
	s_delay_alu instid0(VALU_DEP_2) | instskip(NEXT) | instid1(VALU_DEP_1)
	v_or_b32_e32 v2, 0x70000000, v2
	v_mul_f32_e32 v2, 0x7800000, v2
	s_delay_alu instid0(VALU_DEP_1) | instskip(NEXT) | instid1(VALU_DEP_1)
	v_cndmask_b32_e32 v1, v2, v3, vcc_lo
	v_and_or_b32 v2, 0x80000000, v0, v1
.LBB77_1286:
	s_mov_b32 s7, 0
	s_mov_b32 s12, -1
.LBB77_1287:
	s_and_not1_b32 vcc_lo, exec_lo, s7
	s_mov_b32 s7, 0
	s_cbranch_vccnz .LBB77_1298
; %bb.1288:
	s_cmp_gt_i32 s1, 14
	s_cbranch_scc0 .LBB77_1291
; %bb.1289:
	s_cmp_eq_u32 s1, 15
	s_cbranch_scc0 .LBB77_1294
; %bb.1290:
	global_load_u16 v0, v[8:9], off
	s_mov_b32 s6, 0
	s_mov_b32 s12, -1
	s_wait_loadcnt 0x0
	v_lshlrev_b32_e32 v2, 16, v0
	s_branch .LBB77_1296
.LBB77_1291:
	s_mov_b32 s7, -1
	s_branch .LBB77_1295
.LBB77_1292:
	s_or_saveexec_b32 s12, s12
	v_mov_b32_e32 v2, 0x7f800001
	s_xor_b32 exec_lo, exec_lo, s12
	s_cbranch_execz .LBB77_1273
.LBB77_1293:
	v_cmp_ne_u16_e32 vcc_lo, 0, v0
	v_mov_b32_e32 v2, 0
	s_and_not1_b32 s7, s7, exec_lo
	s_and_b32 s14, vcc_lo, exec_lo
	s_delay_alu instid0(SALU_CYCLE_1)
	s_or_b32 s7, s7, s14
	s_or_b32 exec_lo, exec_lo, s12
	s_and_saveexec_b32 s12, s7
	s_cbranch_execnz .LBB77_1274
	s_branch .LBB77_1275
.LBB77_1294:
	s_mov_b32 s6, -1
.LBB77_1295:
                                        ; implicit-def: $vgpr2
.LBB77_1296:
	s_and_b32 vcc_lo, exec_lo, s7
	s_mov_b32 s7, 0
	s_cbranch_vccz .LBB77_1298
; %bb.1297:
	s_cmp_lg_u32 s1, 11
	s_mov_b32 s7, -1
	s_cselect_b32 s1, -1, 0
	s_and_not1_b32 s6, s6, exec_lo
	s_and_b32 s1, s1, exec_lo
	s_delay_alu instid0(SALU_CYCLE_1)
	s_or_b32 s6, s6, s1
.LBB77_1298:
	s_mov_b32 s1, 0
.LBB77_1299:
	s_delay_alu instid0(SALU_CYCLE_1)
	s_and_b32 s52, s1, exec_lo
	s_and_not1_b32 s1, s49, exec_lo
	s_and_b32 s6, s6, exec_lo
	s_and_b32 s26, s12, exec_lo
	;; [unrolled: 1-line block ×3, first 2 shown]
	s_or_b32 s53, s1, s6
.LBB77_1300:
	s_wait_xcnt 0x0
	s_or_b32 exec_lo, exec_lo, s38
	s_delay_alu instid0(SALU_CYCLE_1)
	s_and_not1_b32 s1, s49, exec_lo
	s_and_b32 s6, s53, exec_lo
	s_and_b32 s26, s26, exec_lo
	;; [unrolled: 1-line block ×4, first 2 shown]
	s_or_b32 s49, s1, s6
.LBB77_1301:
	s_or_b32 exec_lo, exec_lo, s48
	s_delay_alu instid0(SALU_CYCLE_1)
	s_and_not1_b32 s1, s45, exec_lo
	s_and_b32 s6, s50, exec_lo
	s_and_not1_b32 s7, s46, exec_lo
	s_and_b32 s12, s51, exec_lo
	s_or_b32 s45, s1, s6
	s_and_not1_b32 s1, s44, exec_lo
	s_and_b32 s6, s49, exec_lo
	s_or_b32 s46, s7, s12
	s_and_b32 s26, s26, exec_lo
	s_and_b32 s48, s52, exec_lo
	;; [unrolled: 1-line block ×3, first 2 shown]
	s_or_b32 s44, s1, s6
.LBB77_1302:
	s_or_b32 exec_lo, exec_lo, s47
	s_delay_alu instid0(SALU_CYCLE_1)
	s_and_not1_b32 s1, s40, exec_lo
	s_and_b32 s6, s45, exec_lo
	s_and_not1_b32 s7, s41, exec_lo
	s_and_b32 s12, s46, exec_lo
	s_or_b32 s40, s1, s6
	s_and_not1_b32 s1, s42, exec_lo
	s_and_b32 s6, s44, exec_lo
	s_or_b32 s41, s7, s12
	s_and_b32 s26, s26, exec_lo
	s_and_b32 s45, s48, exec_lo
	;; [unrolled: 1-line block ×3, first 2 shown]
	s_or_b32 s42, s1, s6
	s_or_b32 exec_lo, exec_lo, s43
	s_mov_b32 s1, 0
	s_and_saveexec_b32 s6, s42
	s_cbranch_execz .LBB77_404
.LBB77_1303:
	s_mov_b32 s1, exec_lo
	s_and_not1_b32 s21, s21, exec_lo
	s_trap 2
	s_or_b32 exec_lo, exec_lo, s6
	s_and_saveexec_b32 s6, s21
	s_delay_alu instid0(SALU_CYCLE_1)
	s_xor_b32 s6, exec_lo, s6
	s_cbranch_execnz .LBB77_405
.LBB77_1304:
	s_or_b32 exec_lo, exec_lo, s6
	s_and_saveexec_b32 s6, s45
	s_cbranch_execz .LBB77_1350
.LBB77_1305:
	s_sext_i32_i16 s7, s0
	s_delay_alu instid0(SALU_CYCLE_1)
	s_cmp_lt_i32 s7, 5
	s_cbranch_scc1 .LBB77_1310
; %bb.1306:
	s_cmp_lt_i32 s7, 8
	s_cbranch_scc1 .LBB77_1311
; %bb.1307:
	;; [unrolled: 3-line block ×3, first 2 shown]
	s_cmp_gt_i32 s7, 9
	s_cbranch_scc0 .LBB77_1313
; %bb.1309:
	s_wait_loadcnt 0x0
	global_load_b64 v[0:1], v[8:9], off
	s_mov_b32 s7, 0
	s_wait_loadcnt 0x0
	v_cvt_f32_f64_e32 v2, v[0:1]
	s_branch .LBB77_1314
.LBB77_1310:
                                        ; implicit-def: $vgpr2
	s_branch .LBB77_1331
.LBB77_1311:
                                        ; implicit-def: $vgpr2
	s_branch .LBB77_1320
.LBB77_1312:
	s_mov_b32 s7, -1
                                        ; implicit-def: $vgpr2
	s_branch .LBB77_1317
.LBB77_1313:
	s_mov_b32 s7, -1
                                        ; implicit-def: $vgpr2
.LBB77_1314:
	s_delay_alu instid0(SALU_CYCLE_1)
	s_and_not1_b32 vcc_lo, exec_lo, s7
	s_cbranch_vccnz .LBB77_1316
; %bb.1315:
	s_wait_loadcnt 0x0
	global_load_b32 v2, v[8:9], off
.LBB77_1316:
	s_mov_b32 s7, 0
.LBB77_1317:
	s_delay_alu instid0(SALU_CYCLE_1)
	s_and_not1_b32 vcc_lo, exec_lo, s7
	s_cbranch_vccnz .LBB77_1319
; %bb.1318:
	global_load_b32 v0, v[8:9], off
	s_wait_loadcnt 0x0
	v_cvt_f32_f16_e32 v2, v0
.LBB77_1319:
	s_cbranch_execnz .LBB77_1330
.LBB77_1320:
	s_sext_i32_i16 s7, s0
	s_delay_alu instid0(SALU_CYCLE_1)
	s_cmp_lt_i32 s7, 6
	s_cbranch_scc1 .LBB77_1323
; %bb.1321:
	s_cmp_gt_i32 s7, 6
	s_cbranch_scc0 .LBB77_1324
; %bb.1322:
	s_wait_loadcnt 0x0
	global_load_b64 v[0:1], v[8:9], off
	s_mov_b32 s7, 0
	s_wait_loadcnt 0x0
	v_cvt_f32_f64_e32 v2, v[0:1]
	s_branch .LBB77_1325
.LBB77_1323:
	s_mov_b32 s7, -1
                                        ; implicit-def: $vgpr2
	s_branch .LBB77_1328
.LBB77_1324:
	s_mov_b32 s7, -1
                                        ; implicit-def: $vgpr2
.LBB77_1325:
	s_delay_alu instid0(SALU_CYCLE_1)
	s_and_not1_b32 vcc_lo, exec_lo, s7
	s_cbranch_vccnz .LBB77_1327
; %bb.1326:
	s_wait_loadcnt 0x0
	global_load_b32 v2, v[8:9], off
.LBB77_1327:
	s_mov_b32 s7, 0
.LBB77_1328:
	s_delay_alu instid0(SALU_CYCLE_1)
	s_and_not1_b32 vcc_lo, exec_lo, s7
	s_cbranch_vccnz .LBB77_1330
; %bb.1329:
	global_load_u16 v0, v[8:9], off
	s_wait_loadcnt 0x0
	v_cvt_f32_f16_e32 v2, v0
.LBB77_1330:
	s_cbranch_execnz .LBB77_1349
.LBB77_1331:
	s_sext_i32_i16 s7, s0
	s_delay_alu instid0(SALU_CYCLE_1)
	s_cmp_lt_i32 s7, 2
	s_cbranch_scc1 .LBB77_1335
; %bb.1332:
	s_cmp_lt_i32 s7, 3
	s_cbranch_scc1 .LBB77_1336
; %bb.1333:
	s_cmp_gt_i32 s7, 3
	s_cbranch_scc0 .LBB77_1337
; %bb.1334:
	s_wait_loadcnt 0x0
	global_load_b64 v[0:1], v[8:9], off
	s_mov_b32 s7, 0
	s_wait_loadcnt 0x0
	v_xor_b32_e32 v2, v0, v1
	v_cls_i32_e32 v3, v1
	s_delay_alu instid0(VALU_DEP_2) | instskip(NEXT) | instid1(VALU_DEP_1)
	v_ashrrev_i32_e32 v2, 31, v2
	v_add_nc_u32_e32 v2, 32, v2
	s_delay_alu instid0(VALU_DEP_1) | instskip(NEXT) | instid1(VALU_DEP_1)
	v_add_min_u32_e64 v2, v3, -1, v2
	v_lshlrev_b64_e32 v[0:1], v2, v[0:1]
	s_delay_alu instid0(VALU_DEP_1) | instskip(NEXT) | instid1(VALU_DEP_1)
	v_min_u32_e32 v0, 1, v0
	v_dual_sub_nc_u32 v1, 32, v2 :: v_dual_bitop2_b32 v0, v1, v0 bitop3:0x54
	s_delay_alu instid0(VALU_DEP_1) | instskip(NEXT) | instid1(VALU_DEP_1)
	v_cvt_f32_i32_e32 v0, v0
	v_ldexp_f32 v2, v0, v1
	s_branch .LBB77_1338
.LBB77_1335:
                                        ; implicit-def: $vgpr2
	s_branch .LBB77_1344
.LBB77_1336:
	s_mov_b32 s7, -1
                                        ; implicit-def: $vgpr2
	s_branch .LBB77_1341
.LBB77_1337:
	s_mov_b32 s7, -1
                                        ; implicit-def: $vgpr2
.LBB77_1338:
	s_delay_alu instid0(SALU_CYCLE_1)
	s_and_not1_b32 vcc_lo, exec_lo, s7
	s_cbranch_vccnz .LBB77_1340
; %bb.1339:
	global_load_b32 v0, v[8:9], off
	s_wait_loadcnt 0x0
	v_cvt_f32_i32_e32 v2, v0
.LBB77_1340:
	s_mov_b32 s7, 0
.LBB77_1341:
	s_delay_alu instid0(SALU_CYCLE_1)
	s_and_not1_b32 vcc_lo, exec_lo, s7
	s_cbranch_vccnz .LBB77_1343
; %bb.1342:
	global_load_i16 v0, v[8:9], off
	s_wait_loadcnt 0x0
	v_cvt_f32_i32_e32 v2, v0
.LBB77_1343:
	s_cbranch_execnz .LBB77_1349
.LBB77_1344:
	s_sext_i32_i16 s0, s0
	s_delay_alu instid0(SALU_CYCLE_1)
	s_cmp_gt_i32 s0, 0
	s_mov_b32 s0, 0
	s_cbranch_scc0 .LBB77_1346
; %bb.1345:
	global_load_i8 v0, v[8:9], off
	s_wait_loadcnt 0x0
	v_cvt_f32_i32_e32 v2, v0
	s_branch .LBB77_1347
.LBB77_1346:
	s_mov_b32 s0, -1
                                        ; implicit-def: $vgpr2
.LBB77_1347:
	s_delay_alu instid0(SALU_CYCLE_1)
	s_and_not1_b32 vcc_lo, exec_lo, s0
	s_cbranch_vccnz .LBB77_1349
; %bb.1348:
	global_load_u8 v0, v[8:9], off
	s_wait_loadcnt 0x0
	v_cvt_f32_ubyte0_e32 v2, v0
.LBB77_1349:
	s_or_b32 s26, s26, exec_lo
.LBB77_1350:
	s_wait_xcnt 0x0
	s_or_b32 exec_lo, exec_lo, s6
	s_mov_b32 s14, 0
	s_mov_b32 s7, 0
	;; [unrolled: 1-line block ×3, first 2 shown]
                                        ; implicit-def: $sgpr0
                                        ; implicit-def: $vgpr0_vgpr1
                                        ; implicit-def: $vgpr3
	s_and_saveexec_b32 s6, s26
	s_cbranch_execz .LBB77_1358
; %bb.1351:
	v_mov_b32_e32 v7, 0
	s_and_b32 s0, s13, 0xff
	s_delay_alu instid0(SALU_CYCLE_1) | instskip(SKIP_1) | instid1(VALU_DEP_1)
	s_cmp_lt_i32 s0, 11
	s_wait_loadcnt 0x0
	v_add_nc_u64_e32 v[0:1], s[8:9], v[6:7]
	s_cbranch_scc1 .LBB77_1361
; %bb.1352:
	s_and_b32 s7, 0xffff, s0
	s_mov_b32 s9, 0
	s_cmp_gt_i32 s7, 25
	s_cbranch_scc0 .LBB77_1362
; %bb.1353:
	s_cmp_gt_i32 s7, 28
	s_cbranch_scc0 .LBB77_1363
; %bb.1354:
	;; [unrolled: 3-line block ×4, first 2 shown]
	s_cmp_eq_u32 s7, 46
	s_mov_b32 s13, 0
	s_cbranch_scc0 .LBB77_1366
; %bb.1357:
	global_load_b32 v3, v[0:1], off
	s_mov_b32 s8, 0
	s_mov_b32 s12, -1
	s_wait_loadcnt 0x0
	v_lshlrev_b32_e32 v3, 16, v3
	s_branch .LBB77_1368
.LBB77_1358:
	s_or_b32 exec_lo, exec_lo, s6
	s_and_saveexec_b32 s6, s41
	s_cbranch_execnz .LBB77_1431
.LBB77_1359:
	s_or_b32 exec_lo, exec_lo, s6
	s_and_saveexec_b32 s6, s14
	s_delay_alu instid0(SALU_CYCLE_1)
	s_xor_b32 s6, exec_lo, s6
	s_cbranch_execz .LBB77_1432
.LBB77_1360:
	s_wait_loadcnt 0x0
	global_load_u8 v3, v[0:1], off
	s_or_b32 s12, s12, exec_lo
	s_wait_loadcnt 0x0
	v_cmp_ne_u16_e32 vcc_lo, 0, v3
	v_cndmask_b32_e64 v3, 0, 1.0, vcc_lo
	s_wait_xcnt 0x0
	s_or_b32 exec_lo, exec_lo, s6
	s_and_saveexec_b32 s6, s7
	s_cbranch_execz .LBB77_1478
	s_branch .LBB77_1433
.LBB77_1361:
	s_mov_b32 s7, -1
	s_mov_b32 s9, 0
	s_mov_b32 s8, s41
                                        ; implicit-def: $vgpr3
	s_branch .LBB77_1430
.LBB77_1362:
	s_mov_b32 s8, s41
                                        ; implicit-def: $vgpr3
	s_cbranch_execnz .LBB77_1397
	s_branch .LBB77_1429
.LBB77_1363:
	s_mov_b32 s13, -1
	s_mov_b32 s8, s41
                                        ; implicit-def: $vgpr3
	s_branch .LBB77_1378
.LBB77_1364:
	s_mov_b32 s13, -1
	s_mov_b32 s8, s41
                                        ; implicit-def: $vgpr3
	s_branch .LBB77_1373
.LBB77_1365:
	s_mov_b32 s13, -1
	s_mov_b32 s8, s41
	s_branch .LBB77_1367
.LBB77_1366:
	s_mov_b32 s8, -1
.LBB77_1367:
                                        ; implicit-def: $vgpr3
.LBB77_1368:
	s_and_b32 vcc_lo, exec_lo, s13
	s_cbranch_vccz .LBB77_1372
; %bb.1369:
	s_cmp_eq_u32 s7, 44
	s_cbranch_scc0 .LBB77_1371
; %bb.1370:
	global_load_u8 v3, v[0:1], off
	s_mov_b32 s8, 0
	s_mov_b32 s12, -1
	s_wait_loadcnt 0x0
	v_lshlrev_b32_e32 v5, 23, v3
	v_cmp_ne_u32_e32 vcc_lo, 0xff, v3
	s_delay_alu instid0(VALU_DEP_2) | instskip(SKIP_1) | instid1(VALU_DEP_2)
	v_cndmask_b32_e32 v5, 0x7f800001, v5, vcc_lo
	v_cmp_ne_u32_e32 vcc_lo, 0, v3
	v_cndmask_b32_e32 v3, 0x400000, v5, vcc_lo
	s_branch .LBB77_1372
.LBB77_1371:
	s_mov_b32 s8, -1
                                        ; implicit-def: $vgpr3
.LBB77_1372:
	s_mov_b32 s13, 0
.LBB77_1373:
	s_delay_alu instid0(SALU_CYCLE_1)
	s_and_b32 vcc_lo, exec_lo, s13
	s_cbranch_vccz .LBB77_1377
; %bb.1374:
	s_cmp_eq_u32 s7, 29
	s_cbranch_scc0 .LBB77_1376
; %bb.1375:
	global_load_b64 v[6:7], v[0:1], off
	s_mov_b32 s8, 0
	s_mov_b32 s12, -1
	s_mov_b32 s13, 0
	s_wait_loadcnt 0x0
	v_clz_i32_u32_e32 v3, v7
	s_delay_alu instid0(VALU_DEP_1) | instskip(NEXT) | instid1(VALU_DEP_1)
	v_min_u32_e32 v3, 32, v3
	v_lshlrev_b64_e32 v[6:7], v3, v[6:7]
	v_sub_nc_u32_e32 v3, 32, v3
	s_delay_alu instid0(VALU_DEP_2) | instskip(NEXT) | instid1(VALU_DEP_1)
	v_min_u32_e32 v5, 1, v6
	v_or_b32_e32 v5, v7, v5
	s_delay_alu instid0(VALU_DEP_1) | instskip(NEXT) | instid1(VALU_DEP_1)
	v_cvt_f32_u32_e32 v5, v5
	v_ldexp_f32 v3, v5, v3
	s_branch .LBB77_1378
.LBB77_1376:
	s_mov_b32 s8, -1
                                        ; implicit-def: $vgpr3
.LBB77_1377:
	s_mov_b32 s13, 0
.LBB77_1378:
	s_delay_alu instid0(SALU_CYCLE_1)
	s_and_b32 vcc_lo, exec_lo, s13
	s_cbranch_vccz .LBB77_1396
; %bb.1379:
	s_cmp_lt_i32 s7, 27
	s_cbranch_scc1 .LBB77_1382
; %bb.1380:
	s_cmp_gt_i32 s7, 27
	s_cbranch_scc0 .LBB77_1383
; %bb.1381:
	global_load_b32 v3, v[0:1], off
	s_mov_b32 s12, 0
	s_wait_loadcnt 0x0
	v_cvt_f32_u32_e32 v3, v3
	s_branch .LBB77_1384
.LBB77_1382:
	s_mov_b32 s12, -1
                                        ; implicit-def: $vgpr3
	s_branch .LBB77_1387
.LBB77_1383:
	s_mov_b32 s12, -1
                                        ; implicit-def: $vgpr3
.LBB77_1384:
	s_delay_alu instid0(SALU_CYCLE_1)
	s_and_not1_b32 vcc_lo, exec_lo, s12
	s_cbranch_vccnz .LBB77_1386
; %bb.1385:
	global_load_u16 v3, v[0:1], off
	s_wait_loadcnt 0x0
	v_cvt_f32_u32_e32 v3, v3
.LBB77_1386:
	s_mov_b32 s12, 0
.LBB77_1387:
	s_delay_alu instid0(SALU_CYCLE_1)
	s_and_not1_b32 vcc_lo, exec_lo, s12
	s_cbranch_vccnz .LBB77_1395
; %bb.1388:
	global_load_u8 v5, v[0:1], off
	s_mov_b32 s12, 0
	s_mov_b32 s13, exec_lo
	s_wait_loadcnt 0x0
	v_cmpx_lt_i16_e32 0x7f, v5
	s_xor_b32 s13, exec_lo, s13
	s_cbranch_execz .LBB77_1408
; %bb.1389:
	s_mov_b32 s12, -1
	s_mov_b32 s14, exec_lo
	v_cmpx_eq_u16_e32 0x80, v5
; %bb.1390:
	s_xor_b32 s12, exec_lo, -1
; %bb.1391:
	s_or_b32 exec_lo, exec_lo, s14
	s_delay_alu instid0(SALU_CYCLE_1)
	s_and_b32 s12, s12, exec_lo
	s_or_saveexec_b32 s13, s13
	v_mov_b32_e32 v3, 0x7f800001
	s_xor_b32 exec_lo, exec_lo, s13
	s_cbranch_execnz .LBB77_1409
.LBB77_1392:
	s_or_b32 exec_lo, exec_lo, s13
	s_and_saveexec_b32 s13, s12
	s_cbranch_execz .LBB77_1394
.LBB77_1393:
	v_and_b32_e32 v3, 0xffff, v5
	s_delay_alu instid0(VALU_DEP_1) | instskip(SKIP_1) | instid1(VALU_DEP_2)
	v_dual_lshlrev_b32 v5, 24, v5 :: v_dual_bitop2_b32 v6, 7, v3 bitop3:0x40
	v_bfe_u32 v9, v3, 3, 4
	v_and_b32_e32 v5, 0x80000000, v5
	s_delay_alu instid0(VALU_DEP_3) | instskip(NEXT) | instid1(VALU_DEP_3)
	v_clz_i32_u32_e32 v7, v6
	v_cmp_eq_u32_e32 vcc_lo, 0, v9
	s_delay_alu instid0(VALU_DEP_2) | instskip(NEXT) | instid1(VALU_DEP_1)
	v_min_u32_e32 v7, 32, v7
	v_subrev_nc_u32_e32 v8, 28, v7
	v_sub_nc_u32_e32 v7, 29, v7
	s_delay_alu instid0(VALU_DEP_2) | instskip(NEXT) | instid1(VALU_DEP_2)
	v_lshlrev_b32_e32 v3, v8, v3
	v_cndmask_b32_e32 v7, v9, v7, vcc_lo
	s_delay_alu instid0(VALU_DEP_2) | instskip(NEXT) | instid1(VALU_DEP_1)
	v_and_b32_e32 v3, 7, v3
	v_cndmask_b32_e32 v3, v6, v3, vcc_lo
	s_delay_alu instid0(VALU_DEP_3) | instskip(NEXT) | instid1(VALU_DEP_2)
	v_lshl_add_u32 v6, v7, 23, 0x3b800000
	v_lshlrev_b32_e32 v3, 20, v3
	s_delay_alu instid0(VALU_DEP_1)
	v_or3_b32 v3, v5, v6, v3
.LBB77_1394:
	s_or_b32 exec_lo, exec_lo, s13
.LBB77_1395:
	s_mov_b32 s12, -1
.LBB77_1396:
	s_branch .LBB77_1429
.LBB77_1397:
	s_cmp_gt_i32 s7, 22
	s_cbranch_scc0 .LBB77_1407
; %bb.1398:
	s_cmp_lt_i32 s7, 24
	s_cbranch_scc1 .LBB77_1410
; %bb.1399:
	s_cmp_gt_i32 s7, 24
	s_cbranch_scc0 .LBB77_1411
; %bb.1400:
	global_load_u8 v5, v[0:1], off
	s_mov_b32 s12, exec_lo
	s_wait_loadcnt 0x0
	v_cmpx_lt_i16_e32 0x7f, v5
	s_xor_b32 s12, exec_lo, s12
	s_cbranch_execz .LBB77_1423
; %bb.1401:
	s_mov_b32 s9, -1
	s_mov_b32 s13, exec_lo
	v_cmpx_eq_u16_e32 0x80, v5
; %bb.1402:
	s_xor_b32 s9, exec_lo, -1
; %bb.1403:
	s_or_b32 exec_lo, exec_lo, s13
	s_delay_alu instid0(SALU_CYCLE_1)
	s_and_b32 s9, s9, exec_lo
	s_or_saveexec_b32 s12, s12
	v_mov_b32_e32 v3, 0x7f800001
	s_xor_b32 exec_lo, exec_lo, s12
	s_cbranch_execnz .LBB77_1424
.LBB77_1404:
	s_or_b32 exec_lo, exec_lo, s12
	s_and_saveexec_b32 s12, s9
	s_cbranch_execz .LBB77_1406
.LBB77_1405:
	v_and_b32_e32 v3, 0xffff, v5
	s_delay_alu instid0(VALU_DEP_1) | instskip(SKIP_1) | instid1(VALU_DEP_2)
	v_dual_lshlrev_b32 v5, 24, v5 :: v_dual_bitop2_b32 v6, 3, v3 bitop3:0x40
	v_bfe_u32 v9, v3, 2, 5
	v_and_b32_e32 v5, 0x80000000, v5
	s_delay_alu instid0(VALU_DEP_3) | instskip(NEXT) | instid1(VALU_DEP_3)
	v_clz_i32_u32_e32 v7, v6
	v_cmp_eq_u32_e32 vcc_lo, 0, v9
	s_delay_alu instid0(VALU_DEP_2) | instskip(NEXT) | instid1(VALU_DEP_1)
	v_min_u32_e32 v7, 32, v7
	v_subrev_nc_u32_e32 v8, 29, v7
	v_sub_nc_u32_e32 v7, 30, v7
	s_delay_alu instid0(VALU_DEP_2) | instskip(NEXT) | instid1(VALU_DEP_2)
	v_lshlrev_b32_e32 v3, v8, v3
	v_cndmask_b32_e32 v7, v9, v7, vcc_lo
	s_delay_alu instid0(VALU_DEP_2) | instskip(NEXT) | instid1(VALU_DEP_1)
	v_and_b32_e32 v3, 3, v3
	v_cndmask_b32_e32 v3, v6, v3, vcc_lo
	s_delay_alu instid0(VALU_DEP_3) | instskip(NEXT) | instid1(VALU_DEP_2)
	v_lshl_add_u32 v6, v7, 23, 0x37800000
	v_lshlrev_b32_e32 v3, 21, v3
	s_delay_alu instid0(VALU_DEP_1)
	v_or3_b32 v3, v5, v6, v3
.LBB77_1406:
	s_or_b32 exec_lo, exec_lo, s12
	s_mov_b32 s9, 0
	s_branch .LBB77_1412
.LBB77_1407:
	s_mov_b32 s9, -1
                                        ; implicit-def: $vgpr3
	s_branch .LBB77_1418
.LBB77_1408:
	s_or_saveexec_b32 s13, s13
	v_mov_b32_e32 v3, 0x7f800001
	s_xor_b32 exec_lo, exec_lo, s13
	s_cbranch_execz .LBB77_1392
.LBB77_1409:
	v_cmp_ne_u16_e32 vcc_lo, 0, v5
	v_mov_b32_e32 v3, 0
	s_and_not1_b32 s12, s12, exec_lo
	s_and_b32 s14, vcc_lo, exec_lo
	s_delay_alu instid0(SALU_CYCLE_1)
	s_or_b32 s12, s12, s14
	s_or_b32 exec_lo, exec_lo, s13
	s_and_saveexec_b32 s13, s12
	s_cbranch_execnz .LBB77_1393
	s_branch .LBB77_1394
.LBB77_1410:
	s_mov_b32 s9, -1
                                        ; implicit-def: $vgpr3
	s_branch .LBB77_1415
.LBB77_1411:
	s_mov_b32 s9, -1
                                        ; implicit-def: $vgpr3
.LBB77_1412:
	s_delay_alu instid0(SALU_CYCLE_1)
	s_and_b32 vcc_lo, exec_lo, s9
	s_cbranch_vccz .LBB77_1414
; %bb.1413:
	global_load_u8 v3, v[0:1], off
	s_wait_loadcnt 0x0
	v_lshlrev_b32_e32 v3, 24, v3
	s_delay_alu instid0(VALU_DEP_1) | instskip(NEXT) | instid1(VALU_DEP_1)
	v_and_b32_e32 v5, 0x7f000000, v3
	v_clz_i32_u32_e32 v6, v5
	v_cmp_ne_u32_e32 vcc_lo, 0, v5
	v_add_nc_u32_e32 v8, 0x1000000, v5
	s_delay_alu instid0(VALU_DEP_3) | instskip(NEXT) | instid1(VALU_DEP_1)
	v_min_u32_e32 v6, 32, v6
	v_sub_nc_u32_e64 v6, v6, 4 clamp
	s_delay_alu instid0(VALU_DEP_1) | instskip(NEXT) | instid1(VALU_DEP_1)
	v_dual_lshlrev_b32 v7, v6, v5 :: v_dual_lshlrev_b32 v6, 23, v6
	v_lshrrev_b32_e32 v7, 4, v7
	s_delay_alu instid0(VALU_DEP_1) | instskip(NEXT) | instid1(VALU_DEP_1)
	v_dual_sub_nc_u32 v6, v7, v6 :: v_dual_ashrrev_i32 v7, 8, v8
	v_add_nc_u32_e32 v6, 0x3c000000, v6
	s_delay_alu instid0(VALU_DEP_1) | instskip(NEXT) | instid1(VALU_DEP_1)
	v_and_or_b32 v6, 0x7f800000, v7, v6
	v_cndmask_b32_e32 v5, 0, v6, vcc_lo
	s_delay_alu instid0(VALU_DEP_1)
	v_and_or_b32 v3, 0x80000000, v3, v5
.LBB77_1414:
	s_mov_b32 s9, 0
.LBB77_1415:
	s_delay_alu instid0(SALU_CYCLE_1)
	s_and_not1_b32 vcc_lo, exec_lo, s9
	s_cbranch_vccnz .LBB77_1417
; %bb.1416:
	global_load_u8 v3, v[0:1], off
	s_wait_loadcnt 0x0
	v_lshlrev_b32_e32 v5, 25, v3
	v_lshlrev_b16 v3, 8, v3
	s_delay_alu instid0(VALU_DEP_1) | instskip(NEXT) | instid1(VALU_DEP_3)
	v_and_or_b32 v7, 0x7f00, v3, 0.5
	v_lshrrev_b32_e32 v6, 4, v5
	v_bfe_i32 v3, v3, 0, 16
	s_delay_alu instid0(VALU_DEP_3) | instskip(NEXT) | instid1(VALU_DEP_3)
	v_add_f32_e32 v7, -0.5, v7
	v_or_b32_e32 v6, 0x70000000, v6
	s_delay_alu instid0(VALU_DEP_1) | instskip(SKIP_1) | instid1(VALU_DEP_2)
	v_mul_f32_e32 v6, 0x7800000, v6
	v_cmp_gt_u32_e32 vcc_lo, 0x8000000, v5
	v_cndmask_b32_e32 v5, v6, v7, vcc_lo
	s_delay_alu instid0(VALU_DEP_1)
	v_and_or_b32 v3, 0x80000000, v3, v5
.LBB77_1417:
	s_mov_b32 s9, 0
	s_mov_b32 s12, -1
.LBB77_1418:
	s_and_not1_b32 vcc_lo, exec_lo, s9
	s_mov_b32 s9, 0
	s_cbranch_vccnz .LBB77_1429
; %bb.1419:
	s_cmp_gt_i32 s7, 14
	s_cbranch_scc0 .LBB77_1422
; %bb.1420:
	s_cmp_eq_u32 s7, 15
	s_cbranch_scc0 .LBB77_1425
; %bb.1421:
	global_load_u16 v3, v[0:1], off
	s_mov_b32 s8, 0
	s_mov_b32 s12, -1
	s_wait_loadcnt 0x0
	v_lshlrev_b32_e32 v3, 16, v3
	s_branch .LBB77_1427
.LBB77_1422:
	s_mov_b32 s9, -1
	s_branch .LBB77_1426
.LBB77_1423:
	s_or_saveexec_b32 s12, s12
	v_mov_b32_e32 v3, 0x7f800001
	s_xor_b32 exec_lo, exec_lo, s12
	s_cbranch_execz .LBB77_1404
.LBB77_1424:
	v_cmp_ne_u16_e32 vcc_lo, 0, v5
	v_mov_b32_e32 v3, 0
	s_and_not1_b32 s9, s9, exec_lo
	s_and_b32 s13, vcc_lo, exec_lo
	s_delay_alu instid0(SALU_CYCLE_1)
	s_or_b32 s9, s9, s13
	s_or_b32 exec_lo, exec_lo, s12
	s_and_saveexec_b32 s12, s9
	s_cbranch_execnz .LBB77_1405
	s_branch .LBB77_1406
.LBB77_1425:
	s_mov_b32 s8, -1
.LBB77_1426:
                                        ; implicit-def: $vgpr3
.LBB77_1427:
	s_and_b32 vcc_lo, exec_lo, s9
	s_mov_b32 s9, 0
	s_cbranch_vccz .LBB77_1429
; %bb.1428:
	s_cmp_lg_u32 s7, 11
	s_mov_b32 s9, -1
	s_cselect_b32 s7, -1, 0
	s_and_not1_b32 s8, s8, exec_lo
	s_and_b32 s7, s7, exec_lo
	s_delay_alu instid0(SALU_CYCLE_1)
	s_or_b32 s8, s8, s7
.LBB77_1429:
	s_mov_b32 s7, 0
.LBB77_1430:
	s_and_not1_b32 s13, s41, exec_lo
	s_and_b32 s8, s8, exec_lo
	s_and_b32 s12, s12, exec_lo
	;; [unrolled: 1-line block ×4, first 2 shown]
	s_or_b32 s41, s13, s8
	s_wait_xcnt 0x0
	s_or_b32 exec_lo, exec_lo, s6
	s_and_saveexec_b32 s6, s41
	s_cbranch_execz .LBB77_1359
.LBB77_1431:
	s_or_b32 s1, s1, exec_lo
	s_and_not1_b32 s14, s14, exec_lo
	s_trap 2
	s_or_b32 exec_lo, exec_lo, s6
	s_and_saveexec_b32 s6, s14
	s_delay_alu instid0(SALU_CYCLE_1)
	s_xor_b32 s6, exec_lo, s6
	s_cbranch_execnz .LBB77_1360
.LBB77_1432:
	s_or_b32 exec_lo, exec_lo, s6
	s_and_saveexec_b32 s6, s7
	s_cbranch_execz .LBB77_1478
.LBB77_1433:
	s_sext_i32_i16 s7, s0
	s_delay_alu instid0(SALU_CYCLE_1)
	s_cmp_lt_i32 s7, 5
	s_cbranch_scc1 .LBB77_1438
; %bb.1434:
	s_cmp_lt_i32 s7, 8
	s_cbranch_scc1 .LBB77_1439
; %bb.1435:
	;; [unrolled: 3-line block ×3, first 2 shown]
	s_cmp_gt_i32 s7, 9
	s_cbranch_scc0 .LBB77_1441
; %bb.1437:
	s_wait_loadcnt 0x0
	global_load_b64 v[6:7], v[0:1], off
	s_mov_b32 s7, 0
	s_wait_loadcnt 0x0
	v_cvt_f32_f64_e32 v3, v[6:7]
	s_branch .LBB77_1442
.LBB77_1438:
                                        ; implicit-def: $vgpr3
	s_branch .LBB77_1459
.LBB77_1439:
                                        ; implicit-def: $vgpr3
	s_branch .LBB77_1448
.LBB77_1440:
	s_mov_b32 s7, -1
                                        ; implicit-def: $vgpr3
	s_branch .LBB77_1445
.LBB77_1441:
	s_mov_b32 s7, -1
                                        ; implicit-def: $vgpr3
.LBB77_1442:
	s_delay_alu instid0(SALU_CYCLE_1)
	s_and_not1_b32 vcc_lo, exec_lo, s7
	s_cbranch_vccnz .LBB77_1444
; %bb.1443:
	s_wait_loadcnt 0x0
	global_load_b32 v3, v[0:1], off
.LBB77_1444:
	s_mov_b32 s7, 0
.LBB77_1445:
	s_delay_alu instid0(SALU_CYCLE_1)
	s_and_not1_b32 vcc_lo, exec_lo, s7
	s_cbranch_vccnz .LBB77_1447
; %bb.1446:
	s_wait_loadcnt 0x0
	global_load_b32 v3, v[0:1], off
	s_wait_loadcnt 0x0
	v_cvt_f32_f16_e32 v3, v3
.LBB77_1447:
	s_cbranch_execnz .LBB77_1458
.LBB77_1448:
	s_sext_i32_i16 s7, s0
	s_delay_alu instid0(SALU_CYCLE_1)
	s_cmp_lt_i32 s7, 6
	s_cbranch_scc1 .LBB77_1451
; %bb.1449:
	s_cmp_gt_i32 s7, 6
	s_cbranch_scc0 .LBB77_1452
; %bb.1450:
	s_wait_loadcnt 0x0
	global_load_b64 v[6:7], v[0:1], off
	s_mov_b32 s7, 0
	s_wait_loadcnt 0x0
	v_cvt_f32_f64_e32 v3, v[6:7]
	s_branch .LBB77_1453
.LBB77_1451:
	s_mov_b32 s7, -1
                                        ; implicit-def: $vgpr3
	s_branch .LBB77_1456
.LBB77_1452:
	s_mov_b32 s7, -1
                                        ; implicit-def: $vgpr3
.LBB77_1453:
	s_delay_alu instid0(SALU_CYCLE_1)
	s_and_not1_b32 vcc_lo, exec_lo, s7
	s_cbranch_vccnz .LBB77_1455
; %bb.1454:
	s_wait_loadcnt 0x0
	global_load_b32 v3, v[0:1], off
.LBB77_1455:
	s_mov_b32 s7, 0
.LBB77_1456:
	s_delay_alu instid0(SALU_CYCLE_1)
	s_and_not1_b32 vcc_lo, exec_lo, s7
	s_cbranch_vccnz .LBB77_1458
; %bb.1457:
	s_wait_loadcnt 0x0
	global_load_u16 v3, v[0:1], off
	s_wait_loadcnt 0x0
	v_cvt_f32_f16_e32 v3, v3
.LBB77_1458:
	s_cbranch_execnz .LBB77_1477
.LBB77_1459:
	s_sext_i32_i16 s7, s0
	s_delay_alu instid0(SALU_CYCLE_1)
	s_cmp_lt_i32 s7, 2
	s_cbranch_scc1 .LBB77_1463
; %bb.1460:
	s_cmp_lt_i32 s7, 3
	s_cbranch_scc1 .LBB77_1464
; %bb.1461:
	s_cmp_gt_i32 s7, 3
	s_cbranch_scc0 .LBB77_1465
; %bb.1462:
	s_wait_loadcnt 0x0
	global_load_b64 v[6:7], v[0:1], off
	s_mov_b32 s7, 0
	s_wait_loadcnt 0x0
	v_xor_b32_e32 v3, v6, v7
	v_cls_i32_e32 v5, v7
	s_delay_alu instid0(VALU_DEP_2) | instskip(NEXT) | instid1(VALU_DEP_1)
	v_ashrrev_i32_e32 v3, 31, v3
	v_add_nc_u32_e32 v3, 32, v3
	s_delay_alu instid0(VALU_DEP_1) | instskip(NEXT) | instid1(VALU_DEP_1)
	v_add_min_u32_e64 v3, v5, -1, v3
	v_lshlrev_b64_e32 v[6:7], v3, v[6:7]
	v_sub_nc_u32_e32 v3, 32, v3
	s_delay_alu instid0(VALU_DEP_2) | instskip(NEXT) | instid1(VALU_DEP_1)
	v_min_u32_e32 v5, 1, v6
	v_or_b32_e32 v5, v7, v5
	s_delay_alu instid0(VALU_DEP_1) | instskip(NEXT) | instid1(VALU_DEP_1)
	v_cvt_f32_i32_e32 v5, v5
	v_ldexp_f32 v3, v5, v3
	s_branch .LBB77_1466
.LBB77_1463:
                                        ; implicit-def: $vgpr3
	s_branch .LBB77_1472
.LBB77_1464:
	s_mov_b32 s7, -1
                                        ; implicit-def: $vgpr3
	s_branch .LBB77_1469
.LBB77_1465:
	s_mov_b32 s7, -1
                                        ; implicit-def: $vgpr3
.LBB77_1466:
	s_delay_alu instid0(SALU_CYCLE_1)
	s_and_not1_b32 vcc_lo, exec_lo, s7
	s_cbranch_vccnz .LBB77_1468
; %bb.1467:
	s_wait_loadcnt 0x0
	global_load_b32 v3, v[0:1], off
	s_wait_loadcnt 0x0
	v_cvt_f32_i32_e32 v3, v3
.LBB77_1468:
	s_mov_b32 s7, 0
.LBB77_1469:
	s_delay_alu instid0(SALU_CYCLE_1)
	s_and_not1_b32 vcc_lo, exec_lo, s7
	s_cbranch_vccnz .LBB77_1471
; %bb.1470:
	s_wait_loadcnt 0x0
	global_load_i16 v3, v[0:1], off
	s_wait_loadcnt 0x0
	v_cvt_f32_i32_e32 v3, v3
.LBB77_1471:
	s_cbranch_execnz .LBB77_1477
.LBB77_1472:
	s_sext_i32_i16 s0, s0
	s_delay_alu instid0(SALU_CYCLE_1)
	s_cmp_gt_i32 s0, 0
	s_mov_b32 s0, 0
	s_cbranch_scc0 .LBB77_1474
; %bb.1473:
	s_wait_loadcnt 0x0
	global_load_i8 v3, v[0:1], off
	s_wait_loadcnt 0x0
	v_cvt_f32_i32_e32 v3, v3
	s_branch .LBB77_1475
.LBB77_1474:
	s_mov_b32 s0, -1
                                        ; implicit-def: $vgpr3
.LBB77_1475:
	s_delay_alu instid0(SALU_CYCLE_1)
	s_and_not1_b32 vcc_lo, exec_lo, s0
	s_cbranch_vccnz .LBB77_1477
; %bb.1476:
	s_wait_loadcnt 0x0
	global_load_u8 v0, v[0:1], off
	s_wait_loadcnt 0x0
	v_cvt_f32_ubyte0_e32 v3, v0
.LBB77_1477:
	s_or_b32 s12, s12, exec_lo
.LBB77_1478:
	s_wait_xcnt 0x0
	s_or_b32 exec_lo, exec_lo, s6
	s_mov_b32 s0, 0
	s_mov_b32 s8, 0
                                        ; implicit-def: $sgpr6
                                        ; implicit-def: $vgpr0_vgpr1
	s_and_saveexec_b32 s7, s12
	s_cbranch_execz .LBB77_1488
; %bb.1479:
	s_wait_loadcnt 0x0
	s_delay_alu instid0(VALU_DEP_1) | instskip(SKIP_1) | instid1(VALU_DEP_1)
	v_mul_f32_e32 v0, s10, v3
	s_mov_b32 s0, exec_lo
	v_cmpx_nlt_f32_e32 s11, v0
	s_cbranch_execz .LBB77_1481
; %bb.1480:
	v_mul_f32_e32 v1, 0x3fb8aa3b, v0
	v_cmp_ngt_f32_e32 vcc_lo, 0xc2ce8ed0, v0
	s_delay_alu instid0(VALU_DEP_2) | instskip(SKIP_1) | instid1(VALU_DEP_2)
	v_rndne_f32_e32 v3, v1
	v_fma_f32 v5, 0x3fb8aa3b, v0, -v1
	v_sub_f32_e32 v1, v1, v3
	s_delay_alu instid0(VALU_DEP_2) | instskip(SKIP_1) | instid1(VALU_DEP_2)
	v_fmamk_f32 v5, v0, 0x32a5705f, v5
	v_cvt_i32_f32_e32 v3, v3
	v_add_f32_e32 v1, v1, v5
	s_delay_alu instid0(VALU_DEP_1) | instskip(SKIP_1) | instid1(TRANS32_DEP_1)
	v_exp_f32_e32 v1, v1
	v_nop
	v_ldexp_f32 v1, v1, v3
	s_delay_alu instid0(VALU_DEP_1) | instskip(SKIP_1) | instid1(VALU_DEP_2)
	v_cndmask_b32_e32 v1, 0, v1, vcc_lo
	v_cmp_nlt_f32_e32 vcc_lo, 0x42b17218, v0
	v_cndmask_b32_e32 v0, 0x7f800000, v1, vcc_lo
	s_delay_alu instid0(VALU_DEP_1) | instskip(NEXT) | instid1(VALU_DEP_1)
	v_dual_mul_f32 v1, v2, v0 :: v_dual_add_f32 v0, 1.0, v0
	v_div_scale_f32 v2, null, v0, v0, v1
	s_delay_alu instid0(VALU_DEP_1) | instskip(SKIP_1) | instid1(TRANS32_DEP_1)
	v_rcp_f32_e32 v3, v2
	v_nop
	v_fma_f32 v5, -v2, v3, 1.0
	s_delay_alu instid0(VALU_DEP_1) | instskip(SKIP_1) | instid1(VALU_DEP_1)
	v_fmac_f32_e32 v3, v5, v3
	v_div_scale_f32 v5, vcc_lo, v1, v0, v1
	v_mul_f32_e32 v6, v5, v3
	s_delay_alu instid0(VALU_DEP_1) | instskip(NEXT) | instid1(VALU_DEP_1)
	v_fma_f32 v7, -v2, v6, v5
	v_fmac_f32_e32 v6, v7, v3
	s_delay_alu instid0(VALU_DEP_1) | instskip(NEXT) | instid1(VALU_DEP_1)
	v_fma_f32 v2, -v2, v6, v5
	v_div_fmas_f32 v2, v2, v3, v6
	s_delay_alu instid0(VALU_DEP_1)
	v_div_fixup_f32 v2, v2, v0, v1
.LBB77_1481:
	s_or_b32 exec_lo, exec_lo, s0
	v_mov_b32_e32 v5, 0
	s_and_b32 s6, s34, 0xff
	s_delay_alu instid0(SALU_CYCLE_1) | instskip(NEXT) | instid1(VALU_DEP_1)
	s_cmp_lt_i32 s6, 11
	v_add_nc_u64_e32 v[0:1], s[4:5], v[4:5]
	s_cbranch_scc1 .LBB77_1491
; %bb.1482:
	s_and_b32 s4, 0xffff, s6
	s_mov_b32 s5, -1
	s_cmp_gt_i32 s4, 25
	s_mov_b32 s0, s40
	s_cbranch_scc0 .LBB77_1519
; %bb.1483:
	s_cmp_gt_i32 s4, 28
	s_mov_b32 s0, s40
	s_cbranch_scc0 .LBB77_1503
; %bb.1484:
	;; [unrolled: 4-line block ×4, first 2 shown]
	s_cmp_eq_u32 s4, 46
	s_mov_b32 s0, -1
	s_cbranch_scc0 .LBB77_1492
; %bb.1487:
	v_bfe_u32 v3, v2, 16, 1
	v_cmp_o_f32_e32 vcc_lo, v2, v2
	s_mov_b32 s0, 0
	s_mov_b32 s5, 0
	s_delay_alu instid0(VALU_DEP_2) | instskip(NEXT) | instid1(VALU_DEP_1)
	v_add3_u32 v3, v2, v3, 0x7fff
	v_lshrrev_b32_e32 v3, 16, v3
	s_delay_alu instid0(VALU_DEP_1)
	v_cndmask_b32_e32 v3, 0x7fc0, v3, vcc_lo
	global_store_b32 v[0:1], v3, off
	s_branch .LBB77_1493
.LBB77_1488:
	s_or_b32 exec_lo, exec_lo, s7
	s_and_saveexec_b32 s4, s40
	s_cbranch_execnz .LBB77_1561
.LBB77_1489:
	s_or_b32 exec_lo, exec_lo, s4
	s_and_saveexec_b32 s4, s0
	s_delay_alu instid0(SALU_CYCLE_1)
	s_xor_b32 s0, exec_lo, s4
	s_cbranch_execz .LBB77_1562
.LBB77_1490:
	s_wait_loadcnt 0x0
	v_cmp_neq_f32_e32 vcc_lo, 0, v2
	v_cndmask_b32_e64 v3, 0, 1, vcc_lo
	global_store_b8 v[0:1], v3, off
	s_wait_xcnt 0x0
	s_or_b32 exec_lo, exec_lo, s0
	s_and_saveexec_b32 s0, s8
	s_delay_alu instid0(SALU_CYCLE_1)
	s_xor_b32 s0, exec_lo, s0
	s_cbranch_execz .LBB77_1600
	s_branch .LBB77_1563
.LBB77_1491:
	s_mov_b32 s9, 0
	s_mov_b32 s5, -1
	s_mov_b32 s0, s40
	s_branch .LBB77_1560
.LBB77_1492:
	s_mov_b32 s5, 0
.LBB77_1493:
	s_delay_alu instid0(SALU_CYCLE_1)
	s_and_b32 vcc_lo, exec_lo, s5
	s_cbranch_vccz .LBB77_1498
; %bb.1494:
	s_cmp_eq_u32 s4, 44
	s_mov_b32 s0, -1
	s_cbranch_scc0 .LBB77_1498
; %bb.1495:
	v_bfe_u32 v4, v2, 23, 8
	s_wait_xcnt 0x0
	v_mov_b32_e32 v3, 0xff
	s_mov_b32 s5, exec_lo
	s_delay_alu instid0(VALU_DEP_2)
	v_cmpx_ne_u32_e32 0xff, v4
	s_cbranch_execz .LBB77_1497
; %bb.1496:
	v_and_b32_e32 v3, 0x400000, v2
	v_and_or_b32 v4, 0x3fffff, v2, v4
	s_delay_alu instid0(VALU_DEP_2) | instskip(NEXT) | instid1(VALU_DEP_2)
	v_cmp_ne_u32_e32 vcc_lo, 0, v3
	v_cmp_ne_u32_e64 s0, 0, v4
	v_lshrrev_b32_e32 v3, 23, v2
	s_and_b32 s0, vcc_lo, s0
	s_delay_alu instid0(SALU_CYCLE_1) | instskip(NEXT) | instid1(VALU_DEP_1)
	v_cndmask_b32_e64 v4, 0, 1, s0
	v_add_nc_u32_e32 v3, v3, v4
.LBB77_1497:
	s_or_b32 exec_lo, exec_lo, s5
	s_mov_b32 s0, 0
	global_store_b8 v[0:1], v3, off
.LBB77_1498:
	s_mov_b32 s5, 0
.LBB77_1499:
	s_delay_alu instid0(SALU_CYCLE_1)
	s_and_b32 vcc_lo, exec_lo, s5
	s_cbranch_vccz .LBB77_1502
; %bb.1500:
	s_cmp_eq_u32 s4, 29
	s_mov_b32 s0, -1
	s_cbranch_scc0 .LBB77_1502
; %bb.1501:
	s_wait_xcnt 0x0
	v_trunc_f32_e32 v3, v2
	s_mov_b32 s0, 0
	s_mov_b32 s5, 0
	s_delay_alu instid0(VALU_DEP_1) | instskip(NEXT) | instid1(VALU_DEP_1)
	v_mul_f32_e32 v4, 0x2f800000, v3
	v_floor_f32_e32 v4, v4
	s_delay_alu instid0(VALU_DEP_1) | instskip(SKIP_1) | instid1(VALU_DEP_2)
	v_fmamk_f32 v3, v4, 0xcf800000, v3
	v_cvt_u32_f32_e32 v5, v4
	v_cvt_u32_f32_e32 v4, v3
	global_store_b64 v[0:1], v[4:5], off
	s_branch .LBB77_1503
.LBB77_1502:
	s_mov_b32 s5, 0
.LBB77_1503:
	s_delay_alu instid0(SALU_CYCLE_1)
	s_and_b32 vcc_lo, exec_lo, s5
	s_cbranch_vccz .LBB77_1518
; %bb.1504:
	s_cmp_lt_i32 s4, 27
	s_mov_b32 s5, -1
	s_cbranch_scc1 .LBB77_1510
; %bb.1505:
	s_cmp_gt_i32 s4, 27
	s_cbranch_scc0 .LBB77_1507
; %bb.1506:
	s_wait_xcnt 0x0
	v_cvt_u32_f32_e32 v3, v2
	s_mov_b32 s5, 0
	global_store_b32 v[0:1], v3, off
.LBB77_1507:
	s_and_not1_b32 vcc_lo, exec_lo, s5
	s_cbranch_vccnz .LBB77_1509
; %bb.1508:
	s_wait_xcnt 0x0
	v_cvt_u32_f32_e32 v3, v2
	global_store_b16 v[0:1], v3, off
.LBB77_1509:
	s_mov_b32 s5, 0
.LBB77_1510:
	s_delay_alu instid0(SALU_CYCLE_1)
	s_and_not1_b32 vcc_lo, exec_lo, s5
	s_cbranch_vccnz .LBB77_1518
; %bb.1511:
	s_wait_xcnt 0x0
	v_and_b32_e32 v3, 0x7fffffff, v2
	v_mov_b32_e32 v4, 0x80
	s_mov_b32 s5, exec_lo
	s_delay_alu instid0(VALU_DEP_2)
	v_cmpx_gt_u32_e32 0x43800000, v3
	s_cbranch_execz .LBB77_1517
; %bb.1512:
	v_cmp_lt_u32_e32 vcc_lo, 0x3bffffff, v3
                                        ; implicit-def: $vgpr3
	s_and_saveexec_b32 s9, vcc_lo
	s_delay_alu instid0(SALU_CYCLE_1)
	s_xor_b32 s9, exec_lo, s9
	s_cbranch_execz .LBB77_1659
; %bb.1513:
	v_bfe_u32 v3, v2, 20, 1
	s_mov_b32 s8, exec_lo
	s_delay_alu instid0(VALU_DEP_1) | instskip(NEXT) | instid1(VALU_DEP_1)
	v_add3_u32 v3, v2, v3, 0x487ffff
	v_lshrrev_b32_e32 v3, 20, v3
	s_and_not1_saveexec_b32 s9, s9
	s_cbranch_execnz .LBB77_1660
.LBB77_1514:
	s_or_b32 exec_lo, exec_lo, s9
	v_mov_b32_e32 v4, 0
	s_and_saveexec_b32 s9, s8
.LBB77_1515:
	v_lshrrev_b32_e32 v4, 24, v2
	s_delay_alu instid0(VALU_DEP_1)
	v_and_or_b32 v4, 0x80, v4, v3
.LBB77_1516:
	s_or_b32 exec_lo, exec_lo, s9
.LBB77_1517:
	s_delay_alu instid0(SALU_CYCLE_1)
	s_or_b32 exec_lo, exec_lo, s5
	global_store_b8 v[0:1], v4, off
.LBB77_1518:
	s_mov_b32 s5, 0
.LBB77_1519:
	s_delay_alu instid0(SALU_CYCLE_1)
	s_and_b32 vcc_lo, exec_lo, s5
	s_mov_b32 s5, 0
	s_cbranch_vccz .LBB77_1559
; %bb.1520:
	s_cmp_gt_i32 s4, 22
	s_mov_b32 s8, -1
	s_cbranch_scc0 .LBB77_1552
; %bb.1521:
	s_cmp_lt_i32 s4, 24
	s_cbranch_scc1 .LBB77_1541
; %bb.1522:
	s_cmp_gt_i32 s4, 24
	s_cbranch_scc0 .LBB77_1530
; %bb.1523:
	s_wait_xcnt 0x0
	v_and_b32_e32 v3, 0x7fffffff, v2
	v_mov_b32_e32 v4, 0x80
	s_mov_b32 s8, exec_lo
	s_delay_alu instid0(VALU_DEP_2)
	v_cmpx_gt_u32_e32 0x47800000, v3
	s_cbranch_execz .LBB77_1529
; %bb.1524:
	v_cmp_lt_u32_e32 vcc_lo, 0x37ffffff, v3
	s_mov_b32 s9, 0
                                        ; implicit-def: $vgpr3
	s_and_saveexec_b32 s10, vcc_lo
	s_delay_alu instid0(SALU_CYCLE_1)
	s_xor_b32 s10, exec_lo, s10
	s_cbranch_execz .LBB77_1785
; %bb.1525:
	v_bfe_u32 v3, v2, 21, 1
	s_mov_b32 s9, exec_lo
	s_delay_alu instid0(VALU_DEP_1) | instskip(NEXT) | instid1(VALU_DEP_1)
	v_add3_u32 v3, v2, v3, 0x88fffff
	v_lshrrev_b32_e32 v3, 21, v3
	s_and_not1_saveexec_b32 s10, s10
	s_cbranch_execnz .LBB77_1786
.LBB77_1526:
	s_or_b32 exec_lo, exec_lo, s10
	v_mov_b32_e32 v4, 0
	s_and_saveexec_b32 s10, s9
.LBB77_1527:
	v_lshrrev_b32_e32 v4, 24, v2
	s_delay_alu instid0(VALU_DEP_1)
	v_and_or_b32 v4, 0x80, v4, v3
.LBB77_1528:
	s_or_b32 exec_lo, exec_lo, s10
.LBB77_1529:
	s_delay_alu instid0(SALU_CYCLE_1)
	s_or_b32 exec_lo, exec_lo, s8
	s_mov_b32 s8, 0
	global_store_b8 v[0:1], v4, off
.LBB77_1530:
	s_and_b32 vcc_lo, exec_lo, s8
	s_cbranch_vccz .LBB77_1540
; %bb.1531:
	s_wait_xcnt 0x0
	v_and_b32_e32 v4, 0x7fffffff, v2
	s_mov_b32 s8, exec_lo
                                        ; implicit-def: $vgpr3
	s_delay_alu instid0(VALU_DEP_1)
	v_cmpx_gt_u32_e32 0x43f00000, v4
	s_xor_b32 s8, exec_lo, s8
	s_cbranch_execz .LBB77_1537
; %bb.1532:
	s_mov_b32 s9, exec_lo
                                        ; implicit-def: $vgpr3
	v_cmpx_lt_u32_e32 0x3c7fffff, v4
	s_xor_b32 s9, exec_lo, s9
; %bb.1533:
	v_bfe_u32 v3, v2, 20, 1
	s_delay_alu instid0(VALU_DEP_1) | instskip(NEXT) | instid1(VALU_DEP_1)
	v_add3_u32 v3, v2, v3, 0x407ffff
	v_and_b32_e32 v4, 0xff00000, v3
	v_lshrrev_b32_e32 v3, 20, v3
	s_delay_alu instid0(VALU_DEP_2) | instskip(NEXT) | instid1(VALU_DEP_2)
	v_cmp_ne_u32_e32 vcc_lo, 0x7f00000, v4
	v_cndmask_b32_e32 v3, 0x7e, v3, vcc_lo
; %bb.1534:
	s_and_not1_saveexec_b32 s9, s9
; %bb.1535:
	v_add_f32_e64 v3, 0x46800000, |v2|
; %bb.1536:
	s_or_b32 exec_lo, exec_lo, s9
                                        ; implicit-def: $vgpr4
.LBB77_1537:
	s_and_not1_saveexec_b32 s8, s8
; %bb.1538:
	v_mov_b32_e32 v3, 0x7f
	v_cmp_lt_u32_e32 vcc_lo, 0x7f800000, v4
	s_delay_alu instid0(VALU_DEP_2)
	v_cndmask_b32_e32 v3, 0x7e, v3, vcc_lo
; %bb.1539:
	s_or_b32 exec_lo, exec_lo, s8
	v_lshrrev_b32_e32 v4, 24, v2
	s_delay_alu instid0(VALU_DEP_1)
	v_and_or_b32 v3, 0x80, v4, v3
	global_store_b8 v[0:1], v3, off
.LBB77_1540:
	s_mov_b32 s8, 0
.LBB77_1541:
	s_delay_alu instid0(SALU_CYCLE_1)
	s_and_not1_b32 vcc_lo, exec_lo, s8
	s_cbranch_vccnz .LBB77_1551
; %bb.1542:
	s_wait_xcnt 0x0
	v_and_b32_e32 v4, 0x7fffffff, v2
	s_mov_b32 s8, exec_lo
                                        ; implicit-def: $vgpr3
	s_delay_alu instid0(VALU_DEP_1)
	v_cmpx_gt_u32_e32 0x47800000, v4
	s_xor_b32 s8, exec_lo, s8
	s_cbranch_execz .LBB77_1548
; %bb.1543:
	s_mov_b32 s9, exec_lo
                                        ; implicit-def: $vgpr3
	v_cmpx_lt_u32_e32 0x387fffff, v4
	s_xor_b32 s9, exec_lo, s9
; %bb.1544:
	v_bfe_u32 v3, v2, 21, 1
	s_delay_alu instid0(VALU_DEP_1) | instskip(NEXT) | instid1(VALU_DEP_1)
	v_add3_u32 v3, v2, v3, 0x80fffff
	v_lshrrev_b32_e32 v3, 21, v3
; %bb.1545:
	s_and_not1_saveexec_b32 s9, s9
; %bb.1546:
	v_add_f32_e64 v3, 0x43000000, |v2|
; %bb.1547:
	s_or_b32 exec_lo, exec_lo, s9
                                        ; implicit-def: $vgpr4
.LBB77_1548:
	s_and_not1_saveexec_b32 s8, s8
; %bb.1549:
	v_mov_b32_e32 v3, 0x7f
	v_cmp_lt_u32_e32 vcc_lo, 0x7f800000, v4
	s_delay_alu instid0(VALU_DEP_2)
	v_cndmask_b32_e32 v3, 0x7c, v3, vcc_lo
; %bb.1550:
	s_or_b32 exec_lo, exec_lo, s8
	v_lshrrev_b32_e32 v4, 24, v2
	s_delay_alu instid0(VALU_DEP_1)
	v_and_or_b32 v3, 0x80, v4, v3
	global_store_b8 v[0:1], v3, off
.LBB77_1551:
	s_mov_b32 s8, 0
.LBB77_1552:
	s_delay_alu instid0(SALU_CYCLE_1)
	s_and_not1_b32 vcc_lo, exec_lo, s8
	s_mov_b32 s9, 0
	s_cbranch_vccnz .LBB77_1560
; %bb.1553:
	s_cmp_gt_i32 s4, 14
	s_mov_b32 s8, -1
	s_cbranch_scc0 .LBB77_1557
; %bb.1554:
	s_cmp_eq_u32 s4, 15
	s_mov_b32 s0, -1
	s_cbranch_scc0 .LBB77_1556
; %bb.1555:
	s_wait_xcnt 0x0
	v_bfe_u32 v3, v2, 16, 1
	v_cmp_o_f32_e32 vcc_lo, v2, v2
	s_mov_b32 s0, 0
	s_delay_alu instid0(VALU_DEP_2) | instskip(NEXT) | instid1(VALU_DEP_1)
	v_add3_u32 v3, v2, v3, 0x7fff
	v_lshrrev_b32_e32 v3, 16, v3
	s_delay_alu instid0(VALU_DEP_1)
	v_cndmask_b32_e32 v3, 0x7fc0, v3, vcc_lo
	global_store_b16 v[0:1], v3, off
.LBB77_1556:
	s_mov_b32 s8, 0
.LBB77_1557:
	s_delay_alu instid0(SALU_CYCLE_1)
	s_and_b32 vcc_lo, exec_lo, s8
	s_cbranch_vccz .LBB77_1560
; %bb.1558:
	s_cmp_lg_u32 s4, 11
	s_mov_b32 s9, -1
	s_cselect_b32 s4, -1, 0
	s_and_not1_b32 s0, s0, exec_lo
	s_and_b32 s4, s4, exec_lo
	s_delay_alu instid0(SALU_CYCLE_1)
	s_or_b32 s0, s0, s4
	s_branch .LBB77_1560
.LBB77_1559:
	s_mov_b32 s9, 0
.LBB77_1560:
	s_and_b32 s8, s5, exec_lo
	s_and_not1_b32 s4, s40, exec_lo
	s_and_b32 s5, s0, exec_lo
	s_and_b32 s0, s9, exec_lo
	s_or_b32 s40, s4, s5
	s_wait_xcnt 0x0
	s_or_b32 exec_lo, exec_lo, s7
	s_and_saveexec_b32 s4, s40
	s_cbranch_execz .LBB77_1489
.LBB77_1561:
	s_or_b32 s1, s1, exec_lo
	s_and_not1_b32 s0, s0, exec_lo
	s_trap 2
	s_or_b32 exec_lo, exec_lo, s4
	s_and_saveexec_b32 s4, s0
	s_delay_alu instid0(SALU_CYCLE_1)
	s_xor_b32 s0, exec_lo, s4
	s_cbranch_execnz .LBB77_1490
.LBB77_1562:
	s_or_b32 exec_lo, exec_lo, s0
	s_and_saveexec_b32 s0, s8
	s_delay_alu instid0(SALU_CYCLE_1)
	s_xor_b32 s0, exec_lo, s0
	s_cbranch_execz .LBB77_1600
.LBB77_1563:
	s_sext_i32_i16 s5, s6
	s_mov_b32 s4, -1
	s_cmp_lt_i32 s5, 5
	s_cbranch_scc1 .LBB77_1584
; %bb.1564:
	s_cmp_lt_i32 s5, 8
	s_cbranch_scc1 .LBB77_1574
; %bb.1565:
	;; [unrolled: 3-line block ×3, first 2 shown]
	s_cmp_gt_i32 s5, 9
	s_cbranch_scc0 .LBB77_1568
; %bb.1567:
	s_wait_loadcnt 0x0
	v_cvt_f64_f32_e32 v[4:5], v2
	v_mov_b32_e32 v6, 0
	s_mov_b32 s4, 0
	s_delay_alu instid0(VALU_DEP_1)
	v_mov_b32_e32 v7, v6
	global_store_b128 v[0:1], v[4:7], off
.LBB77_1568:
	s_and_not1_b32 vcc_lo, exec_lo, s4
	s_cbranch_vccnz .LBB77_1570
; %bb.1569:
	s_wait_loadcnt 0x0
	v_mov_b32_e32 v3, 0
	global_store_b64 v[0:1], v[2:3], off
.LBB77_1570:
	s_mov_b32 s4, 0
.LBB77_1571:
	s_delay_alu instid0(SALU_CYCLE_1)
	s_and_not1_b32 vcc_lo, exec_lo, s4
	s_cbranch_vccnz .LBB77_1573
; %bb.1572:
	s_wait_loadcnt 0x0
	v_cvt_f16_f32_e32 v3, v2
	s_delay_alu instid0(VALU_DEP_1)
	v_and_b32_e32 v3, 0xffff, v3
	global_store_b32 v[0:1], v3, off
.LBB77_1573:
	s_mov_b32 s4, 0
.LBB77_1574:
	s_delay_alu instid0(SALU_CYCLE_1)
	s_and_not1_b32 vcc_lo, exec_lo, s4
	s_cbranch_vccnz .LBB77_1583
; %bb.1575:
	s_sext_i32_i16 s5, s6
	s_mov_b32 s4, -1
	s_cmp_lt_i32 s5, 6
	s_cbranch_scc1 .LBB77_1581
; %bb.1576:
	s_cmp_gt_i32 s5, 6
	s_cbranch_scc0 .LBB77_1578
; %bb.1577:
	s_wait_loadcnt 0x0
	v_cvt_f64_f32_e32 v[4:5], v2
	s_mov_b32 s4, 0
	global_store_b64 v[0:1], v[4:5], off
.LBB77_1578:
	s_and_not1_b32 vcc_lo, exec_lo, s4
	s_cbranch_vccnz .LBB77_1580
; %bb.1579:
	s_wait_loadcnt 0x0
	global_store_b32 v[0:1], v2, off
.LBB77_1580:
	s_mov_b32 s4, 0
.LBB77_1581:
	s_delay_alu instid0(SALU_CYCLE_1)
	s_and_not1_b32 vcc_lo, exec_lo, s4
	s_cbranch_vccnz .LBB77_1583
; %bb.1582:
	s_wait_loadcnt 0x0
	v_cvt_f16_f32_e32 v3, v2
	global_store_b16 v[0:1], v3, off
.LBB77_1583:
	s_mov_b32 s4, 0
.LBB77_1584:
	s_delay_alu instid0(SALU_CYCLE_1)
	s_and_not1_b32 vcc_lo, exec_lo, s4
	s_cbranch_vccnz .LBB77_1600
; %bb.1585:
	s_sext_i32_i16 s5, s6
	s_mov_b32 s4, -1
	s_cmp_lt_i32 s5, 2
	s_cbranch_scc1 .LBB77_1595
; %bb.1586:
	s_cmp_lt_i32 s5, 3
	s_cbranch_scc1 .LBB77_1592
; %bb.1587:
	s_cmp_gt_i32 s5, 3
	s_cbranch_scc0 .LBB77_1589
; %bb.1588:
	s_wait_loadcnt 0x0
	v_trunc_f32_e32 v3, v2
	s_mov_b32 s4, 0
	s_delay_alu instid0(VALU_DEP_1) | instskip(NEXT) | instid1(VALU_DEP_1)
	v_mul_f32_e64 v4, 0x2f800000, |v3|
	v_floor_f32_e32 v5, v4
	v_ashrrev_i32_e32 v4, 31, v3
	s_delay_alu instid0(VALU_DEP_2) | instskip(SKIP_1) | instid1(VALU_DEP_3)
	v_fma_f32 v6, 0xcf800000, v5, |v3|
	v_cvt_u32_f32_e32 v3, v5
	v_mov_b32_e32 v5, v4
	s_delay_alu instid0(VALU_DEP_3) | instskip(NEXT) | instid1(VALU_DEP_3)
	v_cvt_u32_f32_e32 v6, v6
	v_xor_b32_e32 v7, v3, v4
	s_delay_alu instid0(VALU_DEP_2) | instskip(NEXT) | instid1(VALU_DEP_1)
	v_xor_b32_e32 v6, v6, v4
	v_sub_nc_u64_e32 v[4:5], v[6:7], v[4:5]
	global_store_b64 v[0:1], v[4:5], off
.LBB77_1589:
	s_and_not1_b32 vcc_lo, exec_lo, s4
	s_cbranch_vccnz .LBB77_1591
; %bb.1590:
	s_wait_loadcnt 0x0
	v_cvt_i32_f32_e32 v3, v2
	global_store_b32 v[0:1], v3, off
.LBB77_1591:
	s_mov_b32 s4, 0
.LBB77_1592:
	s_delay_alu instid0(SALU_CYCLE_1)
	s_and_not1_b32 vcc_lo, exec_lo, s4
	s_cbranch_vccnz .LBB77_1594
; %bb.1593:
	s_wait_loadcnt 0x0
	v_cvt_i32_f32_e32 v3, v2
	global_store_b16 v[0:1], v3, off
.LBB77_1594:
	s_mov_b32 s4, 0
.LBB77_1595:
	s_delay_alu instid0(SALU_CYCLE_1)
	s_and_not1_b32 vcc_lo, exec_lo, s4
	s_cbranch_vccnz .LBB77_1600
; %bb.1596:
	s_sext_i32_i16 s4, s6
	s_delay_alu instid0(SALU_CYCLE_1)
	s_cmp_gt_i32 s4, 0
	s_mov_b32 s4, -1
	s_cbranch_scc0 .LBB77_1598
; %bb.1597:
	s_wait_loadcnt 0x0
	v_cvt_i32_f32_e32 v3, v2
	s_mov_b32 s4, 0
	global_store_b8 v[0:1], v3, off
.LBB77_1598:
	s_and_not1_b32 vcc_lo, exec_lo, s4
	s_cbranch_vccnz .LBB77_1600
; %bb.1599:
	s_wait_loadcnt 0x0
	v_trunc_f32_e32 v2, v2
	s_delay_alu instid0(VALU_DEP_1) | instskip(NEXT) | instid1(VALU_DEP_1)
	v_mul_f32_e64 v3, 0x2f800000, |v2|
	v_floor_f32_e32 v3, v3
	s_delay_alu instid0(VALU_DEP_1) | instskip(SKIP_1) | instid1(VALU_DEP_2)
	v_fma_f32 v3, 0xcf800000, v3, |v2|
	v_ashrrev_i32_e32 v2, 31, v2
	v_cvt_u32_f32_e32 v3, v3
	s_delay_alu instid0(VALU_DEP_1) | instskip(NEXT) | instid1(VALU_DEP_1)
	v_xor_b32_e32 v3, v3, v2
	v_sub_nc_u32_e32 v2, v3, v2
	global_store_b8 v[0:1], v2, off
.LBB77_1600:
	s_wait_xcnt 0x0
	s_or_b32 exec_lo, exec_lo, s0
	s_delay_alu instid0(SALU_CYCLE_1)
	s_and_b32 s10, s1, exec_lo
                                        ; implicit-def: $vgpr1
                                        ; implicit-def: $vgpr0
.LBB77_1601:
	s_or_saveexec_b32 s11, s33
	s_mov_b32 s0, 0
                                        ; implicit-def: $vgpr2_vgpr3
                                        ; implicit-def: $sgpr1
                                        ; implicit-def: $vgpr16
	s_xor_b32 exec_lo, exec_lo, s11
	s_cbranch_execz .LBB77_2776
; %bb.1602:
	s_wait_loadcnt 0x0
	v_cndmask_b32_e64 v3, 0, 1, s31
	s_and_not1_b32 vcc_lo, exec_lo, s31
	s_cbranch_vccnz .LBB77_1608
; %bb.1603:
	s_cmp_lg_u32 s28, 0
	s_mov_b32 s4, 0
	s_cbranch_scc0 .LBB77_1612
; %bb.1604:
	s_min_u32 s5, s29, 15
	v_dual_mov_b32 v6, 0 :: v_dual_mov_b32 v2, v0
	v_dual_mov_b32 v8, 0 :: v_dual_mov_b32 v22, 0
	s_add_co_i32 s6, s5, 1
	s_mov_b64 s[0:1], 0xffffffffffffffe8
	s_and_b32 s6, s6, 30
	s_add_nc_u64 s[0:1], s[2:3], s[0:1]
.LBB77_1605:                            ; =>This Inner Loop Header: Depth=1
	s_clause 0x1
	s_load_b128 s[12:15], s[0:1], 0x1c
	s_load_b64 s[8:9], s[0:1], 0x2c
	s_add_co_i32 s6, s6, -2
	s_delay_alu instid0(SALU_CYCLE_1) | instskip(SKIP_2) | instid1(VALU_DEP_1)
	s_cmp_lg_u32 s6, 0
	s_wait_kmcnt 0x0
	v_mul_hi_u32 v4, s13, v2
	v_add_nc_u32_e32 v4, v2, v4
	s_delay_alu instid0(VALU_DEP_1) | instskip(NEXT) | instid1(VALU_DEP_1)
	v_lshrrev_b32_e32 v4, s14, v4
	v_mul_hi_u32 v5, s8, v4
	v_mul_lo_u32 v7, v4, s12
	s_clause 0x1
	s_load_b128 s[16:19], s[0:1], 0xdc
	s_load_b64 s[12:13], s[0:1], 0xec
	s_wait_xcnt 0x0
	s_add_nc_u64 s[0:1], s[0:1], 24
	s_delay_alu instid0(VALU_DEP_1) | instskip(NEXT) | instid1(VALU_DEP_1)
	v_dual_add_nc_u32 v5, v4, v5 :: v_dual_sub_nc_u32 v7, v2, v7
	v_lshrrev_b32_e32 v2, s9, v5
	s_wait_kmcnt 0x0
	s_delay_alu instid0(VALU_DEP_2) | instskip(NEXT) | instid1(VALU_DEP_2)
	v_mad_u32 v6, v7, s16, v6
	v_mul_lo_u32 v5, v2, s15
	v_mad_u32 v9, v7, s18, v22
	v_mad_u32 v7, v7, s17, v8
	s_delay_alu instid0(VALU_DEP_3) | instskip(NEXT) | instid1(VALU_DEP_1)
	v_sub_nc_u32_e32 v4, v4, v5
	v_mad_u32 v6, v4, s19, v6
	s_delay_alu instid0(VALU_DEP_4) | instskip(NEXT) | instid1(VALU_DEP_4)
	v_mad_u32 v22, v4, s13, v9
	v_mad_u32 v8, v4, s12, v7
	s_cbranch_scc1 .LBB77_1605
; %bb.1606:
	s_bitcmp1_b32 s5, 0
	s_cselect_b32 s5, -1, 0
	s_delay_alu instid0(SALU_CYCLE_1)
	s_and_b32 vcc_lo, exec_lo, s5
	s_cbranch_vccnz .LBB77_1609
; %bb.1607:
	s_clause 0x1
	s_load_b96 s[12:14], s[0:1], 0x1c
	s_load_b96 s[16:18], s[0:1], 0xdc
	s_wait_kmcnt 0x0
	v_mul_hi_u32 v4, s13, v2
	s_delay_alu instid0(VALU_DEP_1) | instskip(NEXT) | instid1(VALU_DEP_1)
	v_add_nc_u32_e32 v4, v2, v4
	v_lshrrev_b32_e32 v4, s14, v4
	s_delay_alu instid0(VALU_DEP_1) | instskip(NEXT) | instid1(VALU_DEP_1)
	v_mul_lo_u32 v4, v4, s12
	v_sub_nc_u32_e32 v2, v2, v4
	s_delay_alu instid0(VALU_DEP_1)
	v_mad_u32 v6, v2, s16, v6
	v_mad_u32 v8, v2, s17, v8
	;; [unrolled: 1-line block ×3, first 2 shown]
	s_and_not1_b32 vcc_lo, exec_lo, s4
	s_cbranch_vccz .LBB77_1610
	s_branch .LBB77_1613
.LBB77_1608:
	s_mov_b32 s4, -1
                                        ; implicit-def: $vgpr22
                                        ; implicit-def: $vgpr8
                                        ; implicit-def: $vgpr6
.LBB77_1609:
	s_delay_alu instid0(SALU_CYCLE_1)
	s_and_not1_b32 vcc_lo, exec_lo, s4
	s_cbranch_vccnz .LBB77_1613
.LBB77_1610:
	s_clause 0x1
	s_load_b96 s[4:6], s[2:3], 0x4
	s_load_b96 s[12:14], s[2:3], 0xc4
	s_cmp_lt_u32 s28, 2
	s_wait_kmcnt 0x0
	v_mul_hi_u32 v2, s5, v0
	s_delay_alu instid0(VALU_DEP_1) | instskip(NEXT) | instid1(VALU_DEP_1)
	v_add_nc_u32_e32 v2, v0, v2
	v_lshrrev_b32_e32 v2, s6, v2
	s_delay_alu instid0(VALU_DEP_1) | instskip(NEXT) | instid1(VALU_DEP_1)
	v_mul_lo_u32 v4, v2, s4
	v_sub_nc_u32_e32 v4, v0, v4
	s_delay_alu instid0(VALU_DEP_1)
	v_mul_lo_u32 v6, v4, s12
	v_mul_lo_u32 v22, v4, s14
	;; [unrolled: 1-line block ×3, first 2 shown]
	s_cbranch_scc1 .LBB77_1613
; %bb.1611:
	s_clause 0x1
	s_load_b96 s[4:6], s[2:3], 0x10
	s_load_b96 s[12:14], s[2:3], 0xd0
	s_wait_kmcnt 0x0
	v_mul_hi_u32 v4, s5, v2
	s_delay_alu instid0(VALU_DEP_1) | instskip(NEXT) | instid1(VALU_DEP_1)
	v_add_nc_u32_e32 v4, v2, v4
	v_lshrrev_b32_e32 v4, s6, v4
	s_delay_alu instid0(VALU_DEP_1) | instskip(NEXT) | instid1(VALU_DEP_1)
	v_mul_lo_u32 v4, v4, s4
	v_sub_nc_u32_e32 v2, v2, v4
	s_delay_alu instid0(VALU_DEP_1)
	v_mad_u32 v6, v2, s12, v6
	v_mad_u32 v8, v2, s13, v8
	;; [unrolled: 1-line block ×3, first 2 shown]
	s_branch .LBB77_1613
.LBB77_1612:
	v_dual_mov_b32 v22, 0 :: v_dual_mov_b32 v8, 0
	v_mov_b32_e32 v6, 0
	s_and_not1_b32 vcc_lo, exec_lo, s4
	s_cbranch_vccz .LBB77_1610
.LBB77_1613:
	v_cmp_ne_u32_e32 vcc_lo, 1, v3
	v_add_nc_u32_e32 v2, 0x80, v0
	s_cbranch_vccnz .LBB77_1619
; %bb.1614:
	s_cmp_lg_u32 s28, 0
	s_mov_b32 s4, 0
	s_cbranch_scc0 .LBB77_1623
; %bb.1615:
	s_min_u32 s5, s29, 15
	v_dual_mov_b32 v4, 0 :: v_dual_mov_b32 v5, v2
	v_dual_mov_b32 v10, 0 :: v_dual_mov_b32 v20, 0
	s_add_co_i32 s6, s5, 1
	s_mov_b64 s[0:1], 0xffffffffffffffe8
	s_and_b32 s6, s6, 30
	s_add_nc_u64 s[0:1], s[2:3], s[0:1]
.LBB77_1616:                            ; =>This Inner Loop Header: Depth=1
	s_clause 0x1
	s_load_b128 s[12:15], s[0:1], 0x1c
	s_load_b64 s[8:9], s[0:1], 0x2c
	s_add_co_i32 s6, s6, -2
	s_delay_alu instid0(SALU_CYCLE_1) | instskip(SKIP_2) | instid1(VALU_DEP_1)
	s_cmp_lg_u32 s6, 0
	s_wait_kmcnt 0x0
	v_mul_hi_u32 v7, s13, v5
	v_add_nc_u32_e32 v7, v5, v7
	s_delay_alu instid0(VALU_DEP_1) | instskip(NEXT) | instid1(VALU_DEP_1)
	v_lshrrev_b32_e32 v7, s14, v7
	v_mul_hi_u32 v9, s8, v7
	v_mul_lo_u32 v11, v7, s12
	s_clause 0x1
	s_load_b128 s[16:19], s[0:1], 0xdc
	s_load_b64 s[12:13], s[0:1], 0xec
	s_wait_xcnt 0x0
	s_add_nc_u64 s[0:1], s[0:1], 24
	s_delay_alu instid0(VALU_DEP_1) | instskip(NEXT) | instid1(VALU_DEP_1)
	v_dual_add_nc_u32 v9, v7, v9 :: v_dual_sub_nc_u32 v11, v5, v11
	v_lshrrev_b32_e32 v5, s9, v9
	s_wait_kmcnt 0x0
	s_delay_alu instid0(VALU_DEP_2) | instskip(NEXT) | instid1(VALU_DEP_2)
	v_mad_u32 v4, v11, s16, v4
	v_mul_lo_u32 v9, v5, s15
	v_mad_u32 v12, v11, s18, v20
	v_mad_u32 v10, v11, s17, v10
	s_delay_alu instid0(VALU_DEP_3) | instskip(NEXT) | instid1(VALU_DEP_1)
	v_sub_nc_u32_e32 v7, v7, v9
	v_mad_u32 v4, v7, s19, v4
	s_delay_alu instid0(VALU_DEP_4) | instskip(NEXT) | instid1(VALU_DEP_4)
	v_mad_u32 v20, v7, s13, v12
	v_mad_u32 v10, v7, s12, v10
	s_cbranch_scc1 .LBB77_1616
; %bb.1617:
	s_bitcmp1_b32 s5, 0
	s_cselect_b32 s5, -1, 0
	s_delay_alu instid0(SALU_CYCLE_1)
	s_and_b32 vcc_lo, exec_lo, s5
	s_cbranch_vccnz .LBB77_1620
; %bb.1618:
	s_clause 0x1
	s_load_b96 s[12:14], s[0:1], 0x1c
	s_load_b96 s[16:18], s[0:1], 0xdc
	s_wait_kmcnt 0x0
	v_mul_hi_u32 v7, s13, v5
	s_delay_alu instid0(VALU_DEP_1) | instskip(NEXT) | instid1(VALU_DEP_1)
	v_add_nc_u32_e32 v7, v5, v7
	v_lshrrev_b32_e32 v7, s14, v7
	s_delay_alu instid0(VALU_DEP_1) | instskip(NEXT) | instid1(VALU_DEP_1)
	v_mul_lo_u32 v7, v7, s12
	v_sub_nc_u32_e32 v5, v5, v7
	s_delay_alu instid0(VALU_DEP_1)
	v_mad_u32 v4, v5, s16, v4
	v_mad_u32 v10, v5, s17, v10
	;; [unrolled: 1-line block ×3, first 2 shown]
	s_and_not1_b32 vcc_lo, exec_lo, s4
	s_cbranch_vccz .LBB77_1621
	s_branch .LBB77_1624
.LBB77_1619:
	s_mov_b32 s4, -1
                                        ; implicit-def: $vgpr20
                                        ; implicit-def: $vgpr10
                                        ; implicit-def: $vgpr4
.LBB77_1620:
	s_delay_alu instid0(SALU_CYCLE_1)
	s_and_not1_b32 vcc_lo, exec_lo, s4
	s_cbranch_vccnz .LBB77_1624
.LBB77_1621:
	s_clause 0x1
	s_load_b96 s[4:6], s[2:3], 0x4
	s_load_b96 s[12:14], s[2:3], 0xc4
	s_cmp_lt_u32 s28, 2
	s_wait_kmcnt 0x0
	v_mul_hi_u32 v4, s5, v2
	s_delay_alu instid0(VALU_DEP_1) | instskip(NEXT) | instid1(VALU_DEP_1)
	v_add_nc_u32_e32 v4, v2, v4
	v_lshrrev_b32_e32 v5, s6, v4
	s_delay_alu instid0(VALU_DEP_1) | instskip(NEXT) | instid1(VALU_DEP_1)
	v_mul_lo_u32 v4, v5, s4
	v_sub_nc_u32_e32 v2, v2, v4
	s_delay_alu instid0(VALU_DEP_1)
	v_mul_lo_u32 v4, v2, s12
	v_mul_lo_u32 v20, v2, s14
	;; [unrolled: 1-line block ×3, first 2 shown]
	s_cbranch_scc1 .LBB77_1624
; %bb.1622:
	s_clause 0x1
	s_load_b96 s[4:6], s[2:3], 0x10
	s_load_b96 s[12:14], s[2:3], 0xd0
	s_wait_kmcnt 0x0
	v_mul_hi_u32 v2, s5, v5
	s_delay_alu instid0(VALU_DEP_1) | instskip(NEXT) | instid1(VALU_DEP_1)
	v_add_nc_u32_e32 v2, v5, v2
	v_lshrrev_b32_e32 v2, s6, v2
	s_delay_alu instid0(VALU_DEP_1) | instskip(NEXT) | instid1(VALU_DEP_1)
	v_mul_lo_u32 v2, v2, s4
	v_sub_nc_u32_e32 v2, v5, v2
	s_delay_alu instid0(VALU_DEP_1)
	v_mad_u32 v4, v2, s12, v4
	v_mad_u32 v10, v2, s13, v10
	;; [unrolled: 1-line block ×3, first 2 shown]
	s_branch .LBB77_1624
.LBB77_1623:
	v_dual_mov_b32 v20, 0 :: v_dual_mov_b32 v10, 0
	v_mov_b32_e32 v4, 0
	s_and_not1_b32 vcc_lo, exec_lo, s4
	s_cbranch_vccz .LBB77_1621
.LBB77_1624:
	v_cmp_ne_u32_e32 vcc_lo, 1, v3
	v_add_nc_u32_e32 v0, 0x100, v0
	s_cbranch_vccnz .LBB77_1630
; %bb.1625:
	s_cmp_lg_u32 s28, 0
	s_mov_b32 s4, 0
	s_cbranch_scc0 .LBB77_1634
; %bb.1626:
	s_min_u32 s5, s29, 15
	v_dual_mov_b32 v2, 0 :: v_dual_mov_b32 v5, v0
	v_dual_mov_b32 v14, 0 :: v_dual_mov_b32 v18, 0
	s_add_co_i32 s6, s5, 1
	s_mov_b64 s[0:1], 0xffffffffffffffe8
	s_and_b32 s6, s6, 30
	s_add_nc_u64 s[0:1], s[2:3], s[0:1]
.LBB77_1627:                            ; =>This Inner Loop Header: Depth=1
	s_clause 0x1
	s_load_b128 s[12:15], s[0:1], 0x1c
	s_load_b64 s[8:9], s[0:1], 0x2c
	s_add_co_i32 s6, s6, -2
	s_delay_alu instid0(SALU_CYCLE_1) | instskip(SKIP_2) | instid1(VALU_DEP_1)
	s_cmp_lg_u32 s6, 0
	s_wait_kmcnt 0x0
	v_mul_hi_u32 v7, s13, v5
	v_add_nc_u32_e32 v7, v5, v7
	s_delay_alu instid0(VALU_DEP_1) | instskip(NEXT) | instid1(VALU_DEP_1)
	v_lshrrev_b32_e32 v7, s14, v7
	v_mul_hi_u32 v9, s8, v7
	v_mul_lo_u32 v11, v7, s12
	s_clause 0x1
	s_load_b128 s[16:19], s[0:1], 0xdc
	s_load_b64 s[12:13], s[0:1], 0xec
	s_wait_xcnt 0x0
	s_add_nc_u64 s[0:1], s[0:1], 24
	s_delay_alu instid0(VALU_DEP_1) | instskip(NEXT) | instid1(VALU_DEP_1)
	v_dual_add_nc_u32 v9, v7, v9 :: v_dual_sub_nc_u32 v11, v5, v11
	v_lshrrev_b32_e32 v5, s9, v9
	s_wait_kmcnt 0x0
	s_delay_alu instid0(VALU_DEP_2) | instskip(NEXT) | instid1(VALU_DEP_2)
	v_mad_u32 v2, v11, s16, v2
	v_mul_lo_u32 v9, v5, s15
	v_mad_u32 v12, v11, s18, v18
	v_mad_u32 v11, v11, s17, v14
	s_delay_alu instid0(VALU_DEP_3) | instskip(NEXT) | instid1(VALU_DEP_1)
	v_sub_nc_u32_e32 v7, v7, v9
	v_mad_u32 v2, v7, s19, v2
	s_delay_alu instid0(VALU_DEP_4) | instskip(NEXT) | instid1(VALU_DEP_4)
	v_mad_u32 v18, v7, s13, v12
	v_mad_u32 v14, v7, s12, v11
	s_cbranch_scc1 .LBB77_1627
; %bb.1628:
	s_bitcmp1_b32 s5, 0
	s_cselect_b32 s5, -1, 0
	s_delay_alu instid0(SALU_CYCLE_1)
	s_and_b32 vcc_lo, exec_lo, s5
	s_cbranch_vccnz .LBB77_1631
; %bb.1629:
	s_clause 0x1
	s_load_b96 s[12:14], s[0:1], 0x1c
	s_load_b96 s[16:18], s[0:1], 0xdc
	s_wait_kmcnt 0x0
	v_mul_hi_u32 v7, s13, v5
	s_delay_alu instid0(VALU_DEP_1) | instskip(NEXT) | instid1(VALU_DEP_1)
	v_add_nc_u32_e32 v7, v5, v7
	v_lshrrev_b32_e32 v7, s14, v7
	s_delay_alu instid0(VALU_DEP_1) | instskip(NEXT) | instid1(VALU_DEP_1)
	v_mul_lo_u32 v7, v7, s12
	v_sub_nc_u32_e32 v5, v5, v7
	s_delay_alu instid0(VALU_DEP_1)
	v_mad_u32 v2, v5, s16, v2
	v_mad_u32 v14, v5, s17, v14
	;; [unrolled: 1-line block ×3, first 2 shown]
	s_and_not1_b32 vcc_lo, exec_lo, s4
	s_cbranch_vccz .LBB77_1632
	s_branch .LBB77_1635
.LBB77_1630:
	s_mov_b32 s4, -1
                                        ; implicit-def: $vgpr18
                                        ; implicit-def: $vgpr14
                                        ; implicit-def: $vgpr2
.LBB77_1631:
	s_delay_alu instid0(SALU_CYCLE_1)
	s_and_not1_b32 vcc_lo, exec_lo, s4
	s_cbranch_vccnz .LBB77_1635
.LBB77_1632:
	s_clause 0x1
	s_load_b96 s[4:6], s[2:3], 0x4
	s_load_b96 s[12:14], s[2:3], 0xc4
	s_cmp_lt_u32 s28, 2
	s_wait_kmcnt 0x0
	v_mul_hi_u32 v2, s5, v0
	s_delay_alu instid0(VALU_DEP_1) | instskip(NEXT) | instid1(VALU_DEP_1)
	v_add_nc_u32_e32 v2, v0, v2
	v_lshrrev_b32_e32 v5, s6, v2
	s_delay_alu instid0(VALU_DEP_1) | instskip(NEXT) | instid1(VALU_DEP_1)
	v_mul_lo_u32 v2, v5, s4
	v_sub_nc_u32_e32 v0, v0, v2
	s_delay_alu instid0(VALU_DEP_1)
	v_mul_lo_u32 v2, v0, s12
	v_mul_lo_u32 v18, v0, s14
	;; [unrolled: 1-line block ×3, first 2 shown]
	s_cbranch_scc1 .LBB77_1635
; %bb.1633:
	s_clause 0x1
	s_load_b96 s[4:6], s[2:3], 0x10
	s_load_b96 s[12:14], s[2:3], 0xd0
	s_wait_kmcnt 0x0
	v_mul_hi_u32 v0, s5, v5
	s_delay_alu instid0(VALU_DEP_1) | instskip(NEXT) | instid1(VALU_DEP_1)
	v_add_nc_u32_e32 v0, v5, v0
	v_lshrrev_b32_e32 v0, s6, v0
	s_delay_alu instid0(VALU_DEP_1) | instskip(NEXT) | instid1(VALU_DEP_1)
	v_mul_lo_u32 v0, v0, s4
	v_sub_nc_u32_e32 v0, v5, v0
	s_delay_alu instid0(VALU_DEP_1)
	v_mad_u32 v2, v0, s12, v2
	v_mad_u32 v14, v0, s13, v14
	;; [unrolled: 1-line block ×3, first 2 shown]
	s_branch .LBB77_1635
.LBB77_1634:
	v_dual_mov_b32 v18, 0 :: v_dual_mov_b32 v14, 0
	v_mov_b32_e32 v2, 0
	s_and_not1_b32 vcc_lo, exec_lo, s4
	s_cbranch_vccz .LBB77_1632
.LBB77_1635:
	v_cmp_ne_u32_e32 vcc_lo, 1, v3
	s_cbranch_vccnz .LBB77_1641
; %bb.1636:
	s_cmp_lg_u32 s28, 0
	s_mov_b32 s4, 0
	s_cbranch_scc0 .LBB77_1645
; %bb.1637:
	s_min_u32 s5, s29, 15
	v_dual_mov_b32 v0, 0 :: v_dual_mov_b32 v3, v1
	v_dual_mov_b32 v16, 0 :: v_dual_mov_b32 v12, 0
	s_add_co_i32 s6, s5, 1
	s_mov_b64 s[0:1], 0xffffffffffffffe8
	s_and_b32 s6, s6, 30
	s_add_nc_u64 s[0:1], s[2:3], s[0:1]
.LBB77_1638:                            ; =>This Inner Loop Header: Depth=1
	s_clause 0x1
	s_load_b128 s[12:15], s[0:1], 0x1c
	s_load_b64 s[8:9], s[0:1], 0x2c
	s_add_co_i32 s6, s6, -2
	s_delay_alu instid0(SALU_CYCLE_1) | instskip(SKIP_2) | instid1(VALU_DEP_1)
	s_cmp_lg_u32 s6, 0
	s_wait_kmcnt 0x0
	v_mul_hi_u32 v5, s13, v3
	v_add_nc_u32_e32 v5, v3, v5
	s_delay_alu instid0(VALU_DEP_1) | instskip(NEXT) | instid1(VALU_DEP_1)
	v_lshrrev_b32_e32 v5, s14, v5
	v_mul_hi_u32 v7, s8, v5
	v_mul_lo_u32 v9, v5, s12
	s_clause 0x1
	s_load_b128 s[16:19], s[0:1], 0xdc
	s_load_b64 s[12:13], s[0:1], 0xec
	s_wait_xcnt 0x0
	s_add_nc_u64 s[0:1], s[0:1], 24
	s_delay_alu instid0(VALU_DEP_1) | instskip(NEXT) | instid1(VALU_DEP_1)
	v_dual_add_nc_u32 v7, v5, v7 :: v_dual_sub_nc_u32 v9, v3, v9
	v_lshrrev_b32_e32 v3, s9, v7
	s_wait_kmcnt 0x0
	s_delay_alu instid0(VALU_DEP_2) | instskip(NEXT) | instid1(VALU_DEP_2)
	v_mad_u32 v0, v9, s16, v0
	v_mul_lo_u32 v7, v3, s15
	v_mad_u32 v11, v9, s18, v12
	v_mad_u32 v9, v9, s17, v16
	s_delay_alu instid0(VALU_DEP_3) | instskip(NEXT) | instid1(VALU_DEP_1)
	v_sub_nc_u32_e32 v5, v5, v7
	v_mad_u32 v0, v5, s19, v0
	s_delay_alu instid0(VALU_DEP_4) | instskip(NEXT) | instid1(VALU_DEP_4)
	v_mad_u32 v12, v5, s13, v11
	v_mad_u32 v16, v5, s12, v9
	s_cbranch_scc1 .LBB77_1638
; %bb.1639:
	s_bitcmp1_b32 s5, 0
	s_cselect_b32 s5, -1, 0
	s_delay_alu instid0(SALU_CYCLE_1)
	s_and_b32 vcc_lo, exec_lo, s5
	s_cbranch_vccnz .LBB77_1642
; %bb.1640:
	s_clause 0x1
	s_load_b96 s[12:14], s[0:1], 0x1c
	s_load_b96 s[16:18], s[0:1], 0xdc
	s_wait_kmcnt 0x0
	v_mul_hi_u32 v5, s13, v3
	s_delay_alu instid0(VALU_DEP_1) | instskip(NEXT) | instid1(VALU_DEP_1)
	v_add_nc_u32_e32 v5, v3, v5
	v_lshrrev_b32_e32 v5, s14, v5
	s_delay_alu instid0(VALU_DEP_1) | instskip(NEXT) | instid1(VALU_DEP_1)
	v_mul_lo_u32 v5, v5, s12
	v_sub_nc_u32_e32 v3, v3, v5
	s_delay_alu instid0(VALU_DEP_1)
	v_mad_u32 v0, v3, s16, v0
	v_mad_u32 v16, v3, s17, v16
	;; [unrolled: 1-line block ×3, first 2 shown]
	s_and_not1_b32 vcc_lo, exec_lo, s4
	s_cbranch_vccz .LBB77_1643
	s_branch .LBB77_1646
.LBB77_1641:
	s_mov_b32 s4, -1
                                        ; implicit-def: $vgpr12
                                        ; implicit-def: $vgpr16
                                        ; implicit-def: $vgpr0
.LBB77_1642:
	s_delay_alu instid0(SALU_CYCLE_1)
	s_and_not1_b32 vcc_lo, exec_lo, s4
	s_cbranch_vccnz .LBB77_1646
.LBB77_1643:
	s_clause 0x1
	s_load_b96 s[4:6], s[2:3], 0x4
	s_load_b96 s[12:14], s[2:3], 0xc4
	s_cmp_lt_u32 s28, 2
	s_wait_kmcnt 0x0
	v_mul_hi_u32 v0, s5, v1
	s_delay_alu instid0(VALU_DEP_1) | instskip(NEXT) | instid1(VALU_DEP_1)
	v_add_nc_u32_e32 v0, v1, v0
	v_lshrrev_b32_e32 v3, s6, v0
	s_delay_alu instid0(VALU_DEP_1) | instskip(NEXT) | instid1(VALU_DEP_1)
	v_mul_lo_u32 v0, v3, s4
	v_sub_nc_u32_e32 v1, v1, v0
	s_delay_alu instid0(VALU_DEP_1)
	v_mul_lo_u32 v0, v1, s12
	v_mul_lo_u32 v12, v1, s14
	;; [unrolled: 1-line block ×3, first 2 shown]
	s_cbranch_scc1 .LBB77_1646
; %bb.1644:
	s_clause 0x1
	s_load_b96 s[4:6], s[2:3], 0x10
	s_load_b96 s[12:14], s[2:3], 0xd0
	s_wait_kmcnt 0x0
	v_mul_hi_u32 v1, s5, v3
	s_delay_alu instid0(VALU_DEP_1) | instskip(NEXT) | instid1(VALU_DEP_1)
	v_add_nc_u32_e32 v1, v3, v1
	v_lshrrev_b32_e32 v1, s6, v1
	s_delay_alu instid0(VALU_DEP_1) | instskip(NEXT) | instid1(VALU_DEP_1)
	v_mul_lo_u32 v1, v1, s4
	v_sub_nc_u32_e32 v1, v3, v1
	s_delay_alu instid0(VALU_DEP_1)
	v_mad_u32 v0, v1, s12, v0
	v_mad_u32 v16, v1, s13, v16
	;; [unrolled: 1-line block ×3, first 2 shown]
	s_branch .LBB77_1646
.LBB77_1645:
	v_dual_mov_b32 v12, 0 :: v_dual_mov_b32 v16, 0
	v_mov_b32_e32 v0, 0
	s_and_not1_b32 vcc_lo, exec_lo, s4
	s_cbranch_vccz .LBB77_1643
.LBB77_1646:
	v_mov_b32_e32 v9, 0
	s_load_b128 s[4:7], s[2:3], 0x188
	global_load_u8 v1, v9, s[2:3] offset:425
	s_wait_kmcnt 0x0
	v_add_nc_u64_e32 v[24:25], s[6:7], v[8:9]
	s_wait_loadcnt 0x0
	v_and_b32_e32 v3, 0xffff, v1
	v_readfirstlane_b32 s13, v1
	s_delay_alu instid0(VALU_DEP_2)
	v_cmp_gt_i32_e32 vcc_lo, 11, v3
	s_cbranch_vccnz .LBB77_1653
; %bb.1647:
	s_and_b32 s0, 0xffff, s13
	s_mov_b32 s8, 0
	s_cmp_gt_i32 s0, 25
	s_cbranch_scc0 .LBB77_1655
; %bb.1648:
	s_cmp_gt_i32 s0, 28
	s_cbranch_scc0 .LBB77_1656
; %bb.1649:
	;; [unrolled: 3-line block ×4, first 2 shown]
	s_cmp_eq_u32 s0, 46
	s_mov_b32 s12, 0
	s_cbranch_scc0 .LBB77_1661
; %bb.1652:
	global_load_b32 v1, v[24:25], off
	s_mov_b32 s1, 0
	s_mov_b32 s9, -1
	s_wait_loadcnt 0x0
	v_lshlrev_b32_e32 v8, 16, v1
	s_branch .LBB77_1663
.LBB77_1653:
	s_mov_b32 s9, 0
	s_mov_b32 s12, s10
                                        ; implicit-def: $vgpr8
	s_cbranch_execnz .LBB77_1726
.LBB77_1654:
	s_and_not1_b32 vcc_lo, exec_lo, s9
	s_cbranch_vccz .LBB77_1771
	s_branch .LBB77_2774
.LBB77_1655:
	s_mov_b32 s9, 0
	s_mov_b32 s1, 0
                                        ; implicit-def: $vgpr8
	s_cbranch_execnz .LBB77_1691
	s_branch .LBB77_1722
.LBB77_1656:
	s_mov_b32 s12, -1
	s_mov_b32 s9, 0
	s_mov_b32 s1, 0
                                        ; implicit-def: $vgpr8
	s_branch .LBB77_1672
.LBB77_1657:
	s_mov_b32 s9, 0
	s_mov_b32 s1, 0
                                        ; implicit-def: $vgpr8
	s_cbranch_execnz .LBB77_1668
	s_branch .LBB77_1671
.LBB77_1658:
	s_mov_b32 s12, -1
	s_mov_b32 s9, 0
	s_mov_b32 s1, 0
	s_branch .LBB77_1662
.LBB77_1659:
	s_and_not1_saveexec_b32 s9, s9
	s_cbranch_execz .LBB77_1514
.LBB77_1660:
	v_add_f32_e64 v3, 0x46000000, |v2|
	s_and_not1_b32 s8, s8, exec_lo
	s_delay_alu instid0(VALU_DEP_1) | instskip(NEXT) | instid1(VALU_DEP_1)
	v_and_b32_e32 v3, 0xff, v3
	v_cmp_ne_u32_e32 vcc_lo, 0, v3
	s_and_b32 s10, vcc_lo, exec_lo
	s_delay_alu instid0(SALU_CYCLE_1)
	s_or_b32 s8, s8, s10
	s_or_b32 exec_lo, exec_lo, s9
	v_mov_b32_e32 v4, 0
	s_and_saveexec_b32 s9, s8
	s_cbranch_execnz .LBB77_1515
	s_branch .LBB77_1516
.LBB77_1661:
	s_mov_b32 s1, -1
	s_mov_b32 s9, 0
.LBB77_1662:
                                        ; implicit-def: $vgpr8
.LBB77_1663:
	s_and_b32 vcc_lo, exec_lo, s12
	s_cbranch_vccz .LBB77_1666
; %bb.1664:
	s_cmp_eq_u32 s0, 44
	s_cbranch_scc0 .LBB77_1667
; %bb.1665:
	global_load_u8 v1, v[24:25], off
	s_mov_b32 s1, 0
	s_mov_b32 s9, -1
	s_wait_loadcnt 0x0
	v_lshlrev_b32_e32 v3, 23, v1
	v_cmp_ne_u32_e32 vcc_lo, 0xff, v1
	s_delay_alu instid0(VALU_DEP_2) | instskip(SKIP_1) | instid1(VALU_DEP_2)
	v_cndmask_b32_e32 v3, 0x7f800001, v3, vcc_lo
	v_cmp_ne_u32_e32 vcc_lo, 0, v1
	v_cndmask_b32_e32 v8, 0x400000, v3, vcc_lo
.LBB77_1666:
	s_branch .LBB77_1671
.LBB77_1667:
	s_mov_b32 s1, -1
                                        ; implicit-def: $vgpr8
	s_branch .LBB77_1671
.LBB77_1668:
	s_cmp_eq_u32 s0, 29
	s_cbranch_scc0 .LBB77_1670
; %bb.1669:
	global_load_b64 v[8:9], v[24:25], off
	s_mov_b32 s1, 0
	s_mov_b32 s9, -1
	s_mov_b32 s12, 0
	s_wait_loadcnt 0x0
	v_clz_i32_u32_e32 v1, v9
	s_delay_alu instid0(VALU_DEP_1) | instskip(NEXT) | instid1(VALU_DEP_1)
	v_min_u32_e32 v1, 32, v1
	v_lshlrev_b64_e32 v[8:9], v1, v[8:9]
	v_sub_nc_u32_e32 v1, 32, v1
	s_delay_alu instid0(VALU_DEP_2) | instskip(NEXT) | instid1(VALU_DEP_1)
	v_min_u32_e32 v3, 1, v8
	v_or_b32_e32 v3, v9, v3
	s_delay_alu instid0(VALU_DEP_1) | instskip(NEXT) | instid1(VALU_DEP_1)
	v_cvt_f32_u32_e32 v3, v3
	v_ldexp_f32 v8, v3, v1
	s_branch .LBB77_1672
.LBB77_1670:
	s_mov_b32 s1, -1
                                        ; implicit-def: $vgpr8
.LBB77_1671:
	s_mov_b32 s12, 0
.LBB77_1672:
	s_delay_alu instid0(SALU_CYCLE_1)
	s_and_b32 vcc_lo, exec_lo, s12
	s_cbranch_vccz .LBB77_1690
; %bb.1673:
	s_cmp_lt_i32 s0, 27
	s_cbranch_scc1 .LBB77_1676
; %bb.1674:
	s_cmp_gt_i32 s0, 27
	s_cbranch_scc0 .LBB77_1677
; %bb.1675:
	global_load_b32 v1, v[24:25], off
	s_mov_b32 s9, 0
	s_wait_loadcnt 0x0
	v_cvt_f32_u32_e32 v8, v1
	s_branch .LBB77_1678
.LBB77_1676:
	s_mov_b32 s9, -1
                                        ; implicit-def: $vgpr8
	s_branch .LBB77_1681
.LBB77_1677:
	s_mov_b32 s9, -1
                                        ; implicit-def: $vgpr8
.LBB77_1678:
	s_delay_alu instid0(SALU_CYCLE_1)
	s_and_not1_b32 vcc_lo, exec_lo, s9
	s_cbranch_vccnz .LBB77_1680
; %bb.1679:
	global_load_u16 v1, v[24:25], off
	s_wait_loadcnt 0x0
	v_cvt_f32_u32_e32 v8, v1
.LBB77_1680:
	s_mov_b32 s9, 0
.LBB77_1681:
	s_delay_alu instid0(SALU_CYCLE_1)
	s_and_not1_b32 vcc_lo, exec_lo, s9
	s_cbranch_vccnz .LBB77_1689
; %bb.1682:
	global_load_u8 v1, v[24:25], off
	s_mov_b32 s9, 0
	s_mov_b32 s12, exec_lo
	s_wait_loadcnt 0x0
	v_cmpx_lt_i16_e32 0x7f, v1
	s_xor_b32 s12, exec_lo, s12
	s_cbranch_execz .LBB77_1702
; %bb.1683:
	s_mov_b32 s9, -1
	s_mov_b32 s14, exec_lo
	v_cmpx_eq_u16_e32 0x80, v1
; %bb.1684:
	s_xor_b32 s9, exec_lo, -1
; %bb.1685:
	s_or_b32 exec_lo, exec_lo, s14
	s_delay_alu instid0(SALU_CYCLE_1)
	s_and_b32 s9, s9, exec_lo
	s_or_saveexec_b32 s12, s12
	v_mov_b32_e32 v8, 0x7f800001
	s_xor_b32 exec_lo, exec_lo, s12
	s_cbranch_execnz .LBB77_1703
.LBB77_1686:
	s_or_b32 exec_lo, exec_lo, s12
	s_and_saveexec_b32 s12, s9
	s_cbranch_execz .LBB77_1688
.LBB77_1687:
	v_and_b32_e32 v3, 0xffff, v1
	s_delay_alu instid0(VALU_DEP_1) | instskip(SKIP_1) | instid1(VALU_DEP_2)
	v_dual_lshlrev_b32 v1, 24, v1 :: v_dual_bitop2_b32 v5, 7, v3 bitop3:0x40
	v_bfe_u32 v9, v3, 3, 4
	v_and_b32_e32 v1, 0x80000000, v1
	s_delay_alu instid0(VALU_DEP_3) | instskip(NEXT) | instid1(VALU_DEP_3)
	v_clz_i32_u32_e32 v7, v5
	v_cmp_eq_u32_e32 vcc_lo, 0, v9
	s_delay_alu instid0(VALU_DEP_2) | instskip(NEXT) | instid1(VALU_DEP_1)
	v_min_u32_e32 v7, 32, v7
	v_subrev_nc_u32_e32 v8, 28, v7
	v_sub_nc_u32_e32 v7, 29, v7
	s_delay_alu instid0(VALU_DEP_2) | instskip(NEXT) | instid1(VALU_DEP_2)
	v_lshlrev_b32_e32 v3, v8, v3
	v_cndmask_b32_e32 v7, v9, v7, vcc_lo
	s_delay_alu instid0(VALU_DEP_2) | instskip(NEXT) | instid1(VALU_DEP_1)
	v_and_b32_e32 v3, 7, v3
	v_cndmask_b32_e32 v3, v5, v3, vcc_lo
	s_delay_alu instid0(VALU_DEP_3) | instskip(NEXT) | instid1(VALU_DEP_2)
	v_lshl_add_u32 v5, v7, 23, 0x3b800000
	v_lshlrev_b32_e32 v3, 20, v3
	s_delay_alu instid0(VALU_DEP_1)
	v_or3_b32 v8, v1, v5, v3
.LBB77_1688:
	s_or_b32 exec_lo, exec_lo, s12
.LBB77_1689:
	s_mov_b32 s9, -1
.LBB77_1690:
	s_branch .LBB77_1722
.LBB77_1691:
	s_cmp_gt_i32 s0, 22
	s_cbranch_scc0 .LBB77_1701
; %bb.1692:
	s_cmp_lt_i32 s0, 24
	s_cbranch_scc1 .LBB77_1704
; %bb.1693:
	s_cmp_gt_i32 s0, 24
	s_cbranch_scc0 .LBB77_1705
; %bb.1694:
	global_load_u8 v1, v[24:25], off
	s_mov_b32 s9, exec_lo
	s_wait_loadcnt 0x0
	v_cmpx_lt_i16_e32 0x7f, v1
	s_xor_b32 s9, exec_lo, s9
	s_cbranch_execz .LBB77_1716
; %bb.1695:
	s_mov_b32 s8, -1
	s_mov_b32 s12, exec_lo
	v_cmpx_eq_u16_e32 0x80, v1
; %bb.1696:
	s_xor_b32 s8, exec_lo, -1
; %bb.1697:
	s_or_b32 exec_lo, exec_lo, s12
	s_delay_alu instid0(SALU_CYCLE_1)
	s_and_b32 s8, s8, exec_lo
	s_or_saveexec_b32 s9, s9
	v_mov_b32_e32 v8, 0x7f800001
	s_xor_b32 exec_lo, exec_lo, s9
	s_cbranch_execnz .LBB77_1717
.LBB77_1698:
	s_or_b32 exec_lo, exec_lo, s9
	s_and_saveexec_b32 s9, s8
	s_cbranch_execz .LBB77_1700
.LBB77_1699:
	v_and_b32_e32 v3, 0xffff, v1
	s_delay_alu instid0(VALU_DEP_1) | instskip(SKIP_1) | instid1(VALU_DEP_2)
	v_dual_lshlrev_b32 v1, 24, v1 :: v_dual_bitop2_b32 v5, 3, v3 bitop3:0x40
	v_bfe_u32 v9, v3, 2, 5
	v_and_b32_e32 v1, 0x80000000, v1
	s_delay_alu instid0(VALU_DEP_3) | instskip(NEXT) | instid1(VALU_DEP_3)
	v_clz_i32_u32_e32 v7, v5
	v_cmp_eq_u32_e32 vcc_lo, 0, v9
	s_delay_alu instid0(VALU_DEP_2) | instskip(NEXT) | instid1(VALU_DEP_1)
	v_min_u32_e32 v7, 32, v7
	v_subrev_nc_u32_e32 v8, 29, v7
	v_sub_nc_u32_e32 v7, 30, v7
	s_delay_alu instid0(VALU_DEP_2) | instskip(NEXT) | instid1(VALU_DEP_2)
	v_lshlrev_b32_e32 v3, v8, v3
	v_cndmask_b32_e32 v7, v9, v7, vcc_lo
	s_delay_alu instid0(VALU_DEP_2) | instskip(NEXT) | instid1(VALU_DEP_1)
	v_and_b32_e32 v3, 3, v3
	v_cndmask_b32_e32 v3, v5, v3, vcc_lo
	s_delay_alu instid0(VALU_DEP_3) | instskip(NEXT) | instid1(VALU_DEP_2)
	v_lshl_add_u32 v5, v7, 23, 0x37800000
	v_lshlrev_b32_e32 v3, 21, v3
	s_delay_alu instid0(VALU_DEP_1)
	v_or3_b32 v8, v1, v5, v3
.LBB77_1700:
	s_or_b32 exec_lo, exec_lo, s9
	s_mov_b32 s8, 0
	s_branch .LBB77_1706
.LBB77_1701:
                                        ; implicit-def: $vgpr8
	s_mov_b32 s8, 0
	s_branch .LBB77_1712
.LBB77_1702:
	s_or_saveexec_b32 s12, s12
	v_mov_b32_e32 v8, 0x7f800001
	s_xor_b32 exec_lo, exec_lo, s12
	s_cbranch_execz .LBB77_1686
.LBB77_1703:
	v_cmp_ne_u16_e32 vcc_lo, 0, v1
	v_mov_b32_e32 v8, 0
	s_and_not1_b32 s9, s9, exec_lo
	s_and_b32 s14, vcc_lo, exec_lo
	s_delay_alu instid0(SALU_CYCLE_1)
	s_or_b32 s9, s9, s14
	s_or_b32 exec_lo, exec_lo, s12
	s_and_saveexec_b32 s12, s9
	s_cbranch_execnz .LBB77_1687
	s_branch .LBB77_1688
.LBB77_1704:
	s_mov_b32 s8, -1
                                        ; implicit-def: $vgpr8
	s_branch .LBB77_1709
.LBB77_1705:
	s_mov_b32 s8, -1
                                        ; implicit-def: $vgpr8
.LBB77_1706:
	s_delay_alu instid0(SALU_CYCLE_1)
	s_and_b32 vcc_lo, exec_lo, s8
	s_cbranch_vccz .LBB77_1708
; %bb.1707:
	global_load_u8 v1, v[24:25], off
	s_wait_loadcnt 0x0
	v_lshlrev_b32_e32 v1, 24, v1
	s_delay_alu instid0(VALU_DEP_1) | instskip(NEXT) | instid1(VALU_DEP_1)
	v_and_b32_e32 v3, 0x7f000000, v1
	v_clz_i32_u32_e32 v5, v3
	v_cmp_ne_u32_e32 vcc_lo, 0, v3
	v_add_nc_u32_e32 v8, 0x1000000, v3
	s_delay_alu instid0(VALU_DEP_3) | instskip(NEXT) | instid1(VALU_DEP_1)
	v_min_u32_e32 v5, 32, v5
	v_sub_nc_u32_e64 v5, v5, 4 clamp
	s_delay_alu instid0(VALU_DEP_1) | instskip(NEXT) | instid1(VALU_DEP_1)
	v_dual_lshlrev_b32 v7, v5, v3 :: v_dual_lshlrev_b32 v5, 23, v5
	v_lshrrev_b32_e32 v7, 4, v7
	s_delay_alu instid0(VALU_DEP_1) | instskip(NEXT) | instid1(VALU_DEP_1)
	v_dual_sub_nc_u32 v5, v7, v5 :: v_dual_ashrrev_i32 v7, 8, v8
	v_add_nc_u32_e32 v5, 0x3c000000, v5
	s_delay_alu instid0(VALU_DEP_1) | instskip(NEXT) | instid1(VALU_DEP_1)
	v_and_or_b32 v5, 0x7f800000, v7, v5
	v_cndmask_b32_e32 v3, 0, v5, vcc_lo
	s_delay_alu instid0(VALU_DEP_1)
	v_and_or_b32 v8, 0x80000000, v1, v3
.LBB77_1708:
	s_mov_b32 s8, 0
.LBB77_1709:
	s_delay_alu instid0(SALU_CYCLE_1)
	s_and_not1_b32 vcc_lo, exec_lo, s8
	s_cbranch_vccnz .LBB77_1711
; %bb.1710:
	global_load_u8 v1, v[24:25], off
	s_wait_loadcnt 0x0
	v_lshlrev_b32_e32 v3, 25, v1
	v_lshlrev_b16 v1, 8, v1
	s_delay_alu instid0(VALU_DEP_1) | instskip(SKIP_1) | instid1(VALU_DEP_2)
	v_and_or_b32 v7, 0x7f00, v1, 0.5
	v_bfe_i32 v1, v1, 0, 16
	v_add_f32_e32 v7, -0.5, v7
	v_lshrrev_b32_e32 v5, 4, v3
	v_cmp_gt_u32_e32 vcc_lo, 0x8000000, v3
	s_delay_alu instid0(VALU_DEP_2) | instskip(NEXT) | instid1(VALU_DEP_1)
	v_or_b32_e32 v5, 0x70000000, v5
	v_mul_f32_e32 v5, 0x7800000, v5
	s_delay_alu instid0(VALU_DEP_1) | instskip(NEXT) | instid1(VALU_DEP_1)
	v_cndmask_b32_e32 v3, v5, v7, vcc_lo
	v_and_or_b32 v8, 0x80000000, v1, v3
.LBB77_1711:
	s_mov_b32 s9, -1
	s_mov_b32 s8, 0
	s_cbranch_execnz .LBB77_1722
.LBB77_1712:
	s_cmp_gt_i32 s0, 14
	s_cbranch_scc0 .LBB77_1715
; %bb.1713:
	s_cmp_eq_u32 s0, 15
	s_cbranch_scc0 .LBB77_1718
; %bb.1714:
	global_load_u16 v1, v[24:25], off
	s_mov_b32 s1, 0
	s_mov_b32 s9, -1
	s_wait_loadcnt 0x0
	v_lshlrev_b32_e32 v8, 16, v1
	s_branch .LBB77_1720
.LBB77_1715:
	s_mov_b32 s8, -1
	s_branch .LBB77_1719
.LBB77_1716:
	s_or_saveexec_b32 s9, s9
	v_mov_b32_e32 v8, 0x7f800001
	s_xor_b32 exec_lo, exec_lo, s9
	s_cbranch_execz .LBB77_1698
.LBB77_1717:
	v_cmp_ne_u16_e32 vcc_lo, 0, v1
	v_mov_b32_e32 v8, 0
	s_and_not1_b32 s8, s8, exec_lo
	s_and_b32 s12, vcc_lo, exec_lo
	s_delay_alu instid0(SALU_CYCLE_1)
	s_or_b32 s8, s8, s12
	s_or_b32 exec_lo, exec_lo, s9
	s_and_saveexec_b32 s9, s8
	s_cbranch_execnz .LBB77_1699
	s_branch .LBB77_1700
.LBB77_1718:
	s_mov_b32 s1, -1
.LBB77_1719:
                                        ; implicit-def: $vgpr8
.LBB77_1720:
	s_and_b32 vcc_lo, exec_lo, s8
	s_mov_b32 s8, 0
	s_cbranch_vccz .LBB77_1722
; %bb.1721:
	s_cmp_lg_u32 s0, 11
	s_mov_b32 s8, -1
	s_cselect_b32 s1, -1, 0
.LBB77_1722:
	s_delay_alu instid0(SALU_CYCLE_1)
	s_and_b32 vcc_lo, exec_lo, s1
	s_mov_b32 s12, s10
	s_cbranch_vccnz .LBB77_1783
; %bb.1723:
	s_and_not1_b32 vcc_lo, exec_lo, s8
	s_cbranch_vccnz .LBB77_1725
.LBB77_1724:
	global_load_u8 v1, v[24:25], off
	s_mov_b32 s9, -1
	s_wait_loadcnt 0x0
	v_cmp_ne_u16_e32 vcc_lo, 0, v1
	v_cndmask_b32_e64 v8, 0, 1.0, vcc_lo
.LBB77_1725:
	s_branch .LBB77_1654
.LBB77_1726:
	s_and_b32 s0, 0xffff, s13
	s_delay_alu instid0(SALU_CYCLE_1)
	s_cmp_lt_i32 s0, 5
	s_cbranch_scc1 .LBB77_1731
; %bb.1727:
	s_cmp_lt_i32 s0, 8
	s_cbranch_scc1 .LBB77_1732
; %bb.1728:
	;; [unrolled: 3-line block ×3, first 2 shown]
	s_cmp_gt_i32 s0, 9
	s_cbranch_scc0 .LBB77_1734
; %bb.1730:
	global_load_b64 v[8:9], v[24:25], off
	s_mov_b32 s1, 0
	s_wait_loadcnt 0x0
	v_cvt_f32_f64_e32 v8, v[8:9]
	s_branch .LBB77_1735
.LBB77_1731:
                                        ; implicit-def: $vgpr8
	s_branch .LBB77_1752
.LBB77_1732:
                                        ; implicit-def: $vgpr8
	s_branch .LBB77_1741
.LBB77_1733:
	s_mov_b32 s1, -1
                                        ; implicit-def: $vgpr8
	s_branch .LBB77_1738
.LBB77_1734:
	s_mov_b32 s1, -1
                                        ; implicit-def: $vgpr8
.LBB77_1735:
	s_delay_alu instid0(SALU_CYCLE_1)
	s_and_not1_b32 vcc_lo, exec_lo, s1
	s_cbranch_vccnz .LBB77_1737
; %bb.1736:
	global_load_b32 v8, v[24:25], off
.LBB77_1737:
	s_mov_b32 s1, 0
.LBB77_1738:
	s_delay_alu instid0(SALU_CYCLE_1)
	s_and_not1_b32 vcc_lo, exec_lo, s1
	s_cbranch_vccnz .LBB77_1740
; %bb.1739:
	global_load_b32 v1, v[24:25], off
	s_wait_loadcnt 0x0
	v_cvt_f32_f16_e32 v8, v1
.LBB77_1740:
	s_cbranch_execnz .LBB77_1751
.LBB77_1741:
	s_cmp_lt_i32 s0, 6
	s_cbranch_scc1 .LBB77_1744
; %bb.1742:
	s_cmp_gt_i32 s0, 6
	s_cbranch_scc0 .LBB77_1745
; %bb.1743:
	s_wait_loadcnt 0x0
	global_load_b64 v[8:9], v[24:25], off
	s_mov_b32 s1, 0
	s_wait_loadcnt 0x0
	v_cvt_f32_f64_e32 v8, v[8:9]
	s_branch .LBB77_1746
.LBB77_1744:
	s_mov_b32 s1, -1
                                        ; implicit-def: $vgpr8
	s_branch .LBB77_1749
.LBB77_1745:
	s_mov_b32 s1, -1
                                        ; implicit-def: $vgpr8
.LBB77_1746:
	s_delay_alu instid0(SALU_CYCLE_1)
	s_and_not1_b32 vcc_lo, exec_lo, s1
	s_cbranch_vccnz .LBB77_1748
; %bb.1747:
	s_wait_loadcnt 0x0
	global_load_b32 v8, v[24:25], off
.LBB77_1748:
	s_mov_b32 s1, 0
.LBB77_1749:
	s_delay_alu instid0(SALU_CYCLE_1)
	s_and_not1_b32 vcc_lo, exec_lo, s1
	s_cbranch_vccnz .LBB77_1751
; %bb.1750:
	global_load_u16 v1, v[24:25], off
	s_wait_loadcnt 0x0
	v_cvt_f32_f16_e32 v8, v1
.LBB77_1751:
	s_cbranch_execnz .LBB77_1770
.LBB77_1752:
	s_cmp_lt_i32 s0, 2
	s_cbranch_scc1 .LBB77_1756
; %bb.1753:
	s_cmp_lt_i32 s0, 3
	s_cbranch_scc1 .LBB77_1757
; %bb.1754:
	s_cmp_gt_i32 s0, 3
	s_cbranch_scc0 .LBB77_1758
; %bb.1755:
	s_wait_loadcnt 0x0
	global_load_b64 v[8:9], v[24:25], off
	s_mov_b32 s1, 0
	s_wait_loadcnt 0x0
	v_xor_b32_e32 v1, v8, v9
	v_cls_i32_e32 v3, v9
	s_delay_alu instid0(VALU_DEP_2) | instskip(NEXT) | instid1(VALU_DEP_1)
	v_ashrrev_i32_e32 v1, 31, v1
	v_add_nc_u32_e32 v1, 32, v1
	s_delay_alu instid0(VALU_DEP_1) | instskip(NEXT) | instid1(VALU_DEP_1)
	v_add_min_u32_e64 v1, v3, -1, v1
	v_lshlrev_b64_e32 v[8:9], v1, v[8:9]
	v_sub_nc_u32_e32 v1, 32, v1
	s_delay_alu instid0(VALU_DEP_2) | instskip(NEXT) | instid1(VALU_DEP_1)
	v_min_u32_e32 v3, 1, v8
	v_or_b32_e32 v3, v9, v3
	s_delay_alu instid0(VALU_DEP_1) | instskip(NEXT) | instid1(VALU_DEP_1)
	v_cvt_f32_i32_e32 v3, v3
	v_ldexp_f32 v8, v3, v1
	s_branch .LBB77_1759
.LBB77_1756:
                                        ; implicit-def: $vgpr8
	s_branch .LBB77_1765
.LBB77_1757:
	s_mov_b32 s1, -1
                                        ; implicit-def: $vgpr8
	s_branch .LBB77_1762
.LBB77_1758:
	s_mov_b32 s1, -1
                                        ; implicit-def: $vgpr8
.LBB77_1759:
	s_delay_alu instid0(SALU_CYCLE_1)
	s_and_not1_b32 vcc_lo, exec_lo, s1
	s_cbranch_vccnz .LBB77_1761
; %bb.1760:
	global_load_b32 v1, v[24:25], off
	s_wait_loadcnt 0x0
	v_cvt_f32_i32_e32 v8, v1
.LBB77_1761:
	s_mov_b32 s1, 0
.LBB77_1762:
	s_delay_alu instid0(SALU_CYCLE_1)
	s_and_not1_b32 vcc_lo, exec_lo, s1
	s_cbranch_vccnz .LBB77_1764
; %bb.1763:
	global_load_i16 v1, v[24:25], off
	s_wait_loadcnt 0x0
	v_cvt_f32_i32_e32 v8, v1
.LBB77_1764:
	s_cbranch_execnz .LBB77_1770
.LBB77_1765:
	s_cmp_gt_i32 s0, 0
	s_mov_b32 s0, 0
	s_cbranch_scc0 .LBB77_1767
; %bb.1766:
	global_load_i8 v1, v[24:25], off
	s_wait_loadcnt 0x0
	v_cvt_f32_i32_e32 v8, v1
	s_branch .LBB77_1768
.LBB77_1767:
	s_mov_b32 s0, -1
                                        ; implicit-def: $vgpr8
.LBB77_1768:
	s_delay_alu instid0(SALU_CYCLE_1)
	s_and_not1_b32 vcc_lo, exec_lo, s0
	s_cbranch_vccnz .LBB77_1770
; %bb.1769:
	global_load_u8 v1, v[24:25], off
	s_wait_loadcnt 0x0
	v_cvt_f32_ubyte0_e32 v8, v1
.LBB77_1770:
.LBB77_1771:
	v_mov_b32_e32 v23, 0
	s_load_b64 s[0:1], s[2:3], 0x198
	global_load_u8 v1, v23, s[2:3] offset:426
	s_wait_kmcnt 0x0
	v_add_nc_u64_e32 v[22:23], s[0:1], v[22:23]
	s_wait_loadcnt 0x0
	v_and_b32_e32 v3, 0xffff, v1
	v_readfirstlane_b32 s14, v1
	s_delay_alu instid0(VALU_DEP_2)
	v_cmp_gt_i32_e32 vcc_lo, 11, v3
	s_cbranch_vccnz .LBB77_1778
; %bb.1772:
	s_and_b32 s8, 0xffff, s14
	s_mov_b32 s15, 0
	s_cmp_gt_i32 s8, 25
	s_cbranch_scc0 .LBB77_1780
; %bb.1773:
	s_cmp_gt_i32 s8, 28
	s_cbranch_scc0 .LBB77_1781
; %bb.1774:
	s_cmp_gt_i32 s8, 43
	s_cbranch_scc0 .LBB77_1782
; %bb.1775:
	s_cmp_gt_i32 s8, 45
	s_cbranch_scc0 .LBB77_1784
; %bb.1776:
	s_cmp_eq_u32 s8, 46
	s_mov_b32 s17, 0
	s_cbranch_scc0 .LBB77_1787
; %bb.1777:
	global_load_b32 v1, v[22:23], off
	s_mov_b32 s9, 0
	s_mov_b32 s16, -1
	s_wait_loadcnt 0x0
	v_lshlrev_b32_e32 v1, 16, v1
	s_branch .LBB77_1789
.LBB77_1778:
	s_mov_b32 s16, 0
                                        ; implicit-def: $vgpr1
	s_cbranch_execnz .LBB77_1854
.LBB77_1779:
	s_and_not1_b32 vcc_lo, exec_lo, s16
	s_cbranch_vccnz .LBB77_2774
	s_branch .LBB77_1901
.LBB77_1780:
	s_mov_b32 s16, 0
	s_mov_b32 s9, 0
                                        ; implicit-def: $vgpr1
	s_cbranch_execnz .LBB77_1818
	s_branch .LBB77_1850
.LBB77_1781:
	s_mov_b32 s17, -1
	s_mov_b32 s16, 0
	s_mov_b32 s9, 0
                                        ; implicit-def: $vgpr1
	s_branch .LBB77_1799
.LBB77_1782:
	s_mov_b32 s17, -1
	s_mov_b32 s16, 0
	s_mov_b32 s9, 0
                                        ; implicit-def: $vgpr1
	s_branch .LBB77_1794
.LBB77_1783:
	s_or_b32 s12, s10, exec_lo
	s_trap 2
	s_cbranch_execz .LBB77_1724
	s_branch .LBB77_1725
.LBB77_1784:
	s_mov_b32 s17, -1
	s_mov_b32 s16, 0
	s_mov_b32 s9, 0
	s_branch .LBB77_1788
.LBB77_1785:
	s_and_not1_saveexec_b32 s10, s10
	s_cbranch_execz .LBB77_1526
.LBB77_1786:
	v_add_f32_e64 v3, 0x42800000, |v2|
	s_and_not1_b32 s9, s9, exec_lo
	s_delay_alu instid0(VALU_DEP_1) | instskip(NEXT) | instid1(VALU_DEP_1)
	v_and_b32_e32 v3, 0xff, v3
	v_cmp_ne_u32_e32 vcc_lo, 0, v3
	s_and_b32 s11, vcc_lo, exec_lo
	s_delay_alu instid0(SALU_CYCLE_1)
	s_or_b32 s9, s9, s11
	s_or_b32 exec_lo, exec_lo, s10
	v_mov_b32_e32 v4, 0
	s_and_saveexec_b32 s10, s9
	s_cbranch_execnz .LBB77_1527
	s_branch .LBB77_1528
.LBB77_1787:
	s_mov_b32 s9, -1
	s_mov_b32 s16, 0
.LBB77_1788:
                                        ; implicit-def: $vgpr1
.LBB77_1789:
	s_and_b32 vcc_lo, exec_lo, s17
	s_cbranch_vccz .LBB77_1793
; %bb.1790:
	s_cmp_eq_u32 s8, 44
	s_cbranch_scc0 .LBB77_1792
; %bb.1791:
	global_load_u8 v1, v[22:23], off
	s_mov_b32 s9, 0
	s_mov_b32 s16, -1
	s_wait_loadcnt 0x0
	v_lshlrev_b32_e32 v3, 23, v1
	v_cmp_ne_u32_e32 vcc_lo, 0xff, v1
	s_delay_alu instid0(VALU_DEP_2) | instskip(SKIP_1) | instid1(VALU_DEP_2)
	v_cndmask_b32_e32 v3, 0x7f800001, v3, vcc_lo
	v_cmp_ne_u32_e32 vcc_lo, 0, v1
	v_cndmask_b32_e32 v1, 0x400000, v3, vcc_lo
	s_branch .LBB77_1793
.LBB77_1792:
	s_mov_b32 s9, -1
                                        ; implicit-def: $vgpr1
.LBB77_1793:
	s_mov_b32 s17, 0
.LBB77_1794:
	s_delay_alu instid0(SALU_CYCLE_1)
	s_and_b32 vcc_lo, exec_lo, s17
	s_cbranch_vccz .LBB77_1798
; %bb.1795:
	s_cmp_eq_u32 s8, 29
	s_cbranch_scc0 .LBB77_1797
; %bb.1796:
	global_load_b64 v[24:25], v[22:23], off
	s_mov_b32 s9, 0
	s_mov_b32 s16, -1
	s_mov_b32 s17, 0
	s_wait_loadcnt 0x0
	v_clz_i32_u32_e32 v1, v25
	s_delay_alu instid0(VALU_DEP_1) | instskip(NEXT) | instid1(VALU_DEP_1)
	v_min_u32_e32 v1, 32, v1
	v_lshlrev_b64_e32 v[24:25], v1, v[24:25]
	v_sub_nc_u32_e32 v1, 32, v1
	s_delay_alu instid0(VALU_DEP_2) | instskip(NEXT) | instid1(VALU_DEP_1)
	v_min_u32_e32 v3, 1, v24
	v_or_b32_e32 v3, v25, v3
	s_delay_alu instid0(VALU_DEP_1) | instskip(NEXT) | instid1(VALU_DEP_1)
	v_cvt_f32_u32_e32 v3, v3
	v_ldexp_f32 v1, v3, v1
	s_branch .LBB77_1799
.LBB77_1797:
	s_mov_b32 s9, -1
                                        ; implicit-def: $vgpr1
.LBB77_1798:
	s_mov_b32 s17, 0
.LBB77_1799:
	s_delay_alu instid0(SALU_CYCLE_1)
	s_and_b32 vcc_lo, exec_lo, s17
	s_cbranch_vccz .LBB77_1817
; %bb.1800:
	s_cmp_lt_i32 s8, 27
	s_cbranch_scc1 .LBB77_1803
; %bb.1801:
	s_cmp_gt_i32 s8, 27
	s_cbranch_scc0 .LBB77_1804
; %bb.1802:
	global_load_b32 v1, v[22:23], off
	s_mov_b32 s16, 0
	s_wait_loadcnt 0x0
	v_cvt_f32_u32_e32 v1, v1
	s_branch .LBB77_1805
.LBB77_1803:
	s_mov_b32 s16, -1
                                        ; implicit-def: $vgpr1
	s_branch .LBB77_1808
.LBB77_1804:
	s_mov_b32 s16, -1
                                        ; implicit-def: $vgpr1
.LBB77_1805:
	s_delay_alu instid0(SALU_CYCLE_1)
	s_and_not1_b32 vcc_lo, exec_lo, s16
	s_cbranch_vccnz .LBB77_1807
; %bb.1806:
	global_load_u16 v1, v[22:23], off
	s_wait_loadcnt 0x0
	v_cvt_f32_u32_e32 v1, v1
.LBB77_1807:
	s_mov_b32 s16, 0
.LBB77_1808:
	s_delay_alu instid0(SALU_CYCLE_1)
	s_and_not1_b32 vcc_lo, exec_lo, s16
	s_cbranch_vccnz .LBB77_1816
; %bb.1809:
	global_load_u8 v3, v[22:23], off
	s_mov_b32 s16, 0
	s_mov_b32 s17, exec_lo
	s_wait_loadcnt 0x0
	v_cmpx_lt_i16_e32 0x7f, v3
	s_xor_b32 s17, exec_lo, s17
	s_cbranch_execz .LBB77_1829
; %bb.1810:
	s_mov_b32 s16, -1
	s_mov_b32 s18, exec_lo
	v_cmpx_eq_u16_e32 0x80, v3
; %bb.1811:
	s_xor_b32 s16, exec_lo, -1
; %bb.1812:
	s_or_b32 exec_lo, exec_lo, s18
	s_delay_alu instid0(SALU_CYCLE_1)
	s_and_b32 s16, s16, exec_lo
	s_or_saveexec_b32 s17, s17
	v_mov_b32_e32 v1, 0x7f800001
	s_xor_b32 exec_lo, exec_lo, s17
	s_cbranch_execnz .LBB77_1830
.LBB77_1813:
	s_or_b32 exec_lo, exec_lo, s17
	s_and_saveexec_b32 s17, s16
	s_cbranch_execz .LBB77_1815
.LBB77_1814:
	v_and_b32_e32 v1, 0xffff, v3
	s_delay_alu instid0(VALU_DEP_1) | instskip(SKIP_1) | instid1(VALU_DEP_2)
	v_and_b32_e32 v5, 7, v1
	v_bfe_u32 v11, v1, 3, 4
	v_clz_i32_u32_e32 v7, v5
	s_delay_alu instid0(VALU_DEP_2) | instskip(NEXT) | instid1(VALU_DEP_2)
	v_cmp_eq_u32_e32 vcc_lo, 0, v11
	v_min_u32_e32 v7, 32, v7
	s_delay_alu instid0(VALU_DEP_1) | instskip(NEXT) | instid1(VALU_DEP_1)
	v_subrev_nc_u32_e32 v9, 28, v7
	v_dual_lshlrev_b32 v1, v9, v1 :: v_dual_sub_nc_u32 v7, 29, v7
	s_delay_alu instid0(VALU_DEP_1) | instskip(NEXT) | instid1(VALU_DEP_1)
	v_dual_lshlrev_b32 v3, 24, v3 :: v_dual_bitop2_b32 v1, 7, v1 bitop3:0x40
	v_dual_cndmask_b32 v1, v5, v1, vcc_lo :: v_dual_cndmask_b32 v7, v11, v7, vcc_lo
	s_delay_alu instid0(VALU_DEP_2) | instskip(NEXT) | instid1(VALU_DEP_2)
	v_and_b32_e32 v3, 0x80000000, v3
	v_lshlrev_b32_e32 v1, 20, v1
	s_delay_alu instid0(VALU_DEP_3) | instskip(NEXT) | instid1(VALU_DEP_1)
	v_lshl_add_u32 v5, v7, 23, 0x3b800000
	v_or3_b32 v1, v3, v5, v1
.LBB77_1815:
	s_or_b32 exec_lo, exec_lo, s17
.LBB77_1816:
	s_mov_b32 s16, -1
.LBB77_1817:
	s_branch .LBB77_1850
.LBB77_1818:
	s_cmp_gt_i32 s8, 22
	s_cbranch_scc0 .LBB77_1828
; %bb.1819:
	s_cmp_lt_i32 s8, 24
	s_cbranch_scc1 .LBB77_1831
; %bb.1820:
	s_cmp_gt_i32 s8, 24
	s_cbranch_scc0 .LBB77_1832
; %bb.1821:
	global_load_u8 v3, v[22:23], off
	s_mov_b32 s16, exec_lo
	s_wait_loadcnt 0x0
	v_cmpx_lt_i16_e32 0x7f, v3
	s_xor_b32 s16, exec_lo, s16
	s_cbranch_execz .LBB77_1844
; %bb.1822:
	s_mov_b32 s15, -1
	s_mov_b32 s17, exec_lo
	v_cmpx_eq_u16_e32 0x80, v3
; %bb.1823:
	s_xor_b32 s15, exec_lo, -1
; %bb.1824:
	s_or_b32 exec_lo, exec_lo, s17
	s_delay_alu instid0(SALU_CYCLE_1)
	s_and_b32 s15, s15, exec_lo
	s_or_saveexec_b32 s16, s16
	v_mov_b32_e32 v1, 0x7f800001
	s_xor_b32 exec_lo, exec_lo, s16
	s_cbranch_execnz .LBB77_1845
.LBB77_1825:
	s_or_b32 exec_lo, exec_lo, s16
	s_and_saveexec_b32 s16, s15
	s_cbranch_execz .LBB77_1827
.LBB77_1826:
	v_and_b32_e32 v1, 0xffff, v3
	s_delay_alu instid0(VALU_DEP_1) | instskip(SKIP_1) | instid1(VALU_DEP_2)
	v_and_b32_e32 v5, 3, v1
	v_bfe_u32 v11, v1, 2, 5
	v_clz_i32_u32_e32 v7, v5
	s_delay_alu instid0(VALU_DEP_2) | instskip(NEXT) | instid1(VALU_DEP_2)
	v_cmp_eq_u32_e32 vcc_lo, 0, v11
	v_min_u32_e32 v7, 32, v7
	s_delay_alu instid0(VALU_DEP_1) | instskip(NEXT) | instid1(VALU_DEP_1)
	v_subrev_nc_u32_e32 v9, 29, v7
	v_dual_lshlrev_b32 v1, v9, v1 :: v_dual_sub_nc_u32 v7, 30, v7
	s_delay_alu instid0(VALU_DEP_1) | instskip(NEXT) | instid1(VALU_DEP_1)
	v_dual_lshlrev_b32 v3, 24, v3 :: v_dual_bitop2_b32 v1, 3, v1 bitop3:0x40
	v_dual_cndmask_b32 v1, v5, v1, vcc_lo :: v_dual_cndmask_b32 v7, v11, v7, vcc_lo
	s_delay_alu instid0(VALU_DEP_2) | instskip(NEXT) | instid1(VALU_DEP_2)
	v_and_b32_e32 v3, 0x80000000, v3
	v_lshlrev_b32_e32 v1, 21, v1
	s_delay_alu instid0(VALU_DEP_3) | instskip(NEXT) | instid1(VALU_DEP_1)
	v_lshl_add_u32 v5, v7, 23, 0x37800000
	v_or3_b32 v1, v3, v5, v1
.LBB77_1827:
	s_or_b32 exec_lo, exec_lo, s16
	s_mov_b32 s15, 0
	s_branch .LBB77_1833
.LBB77_1828:
	s_mov_b32 s15, -1
                                        ; implicit-def: $vgpr1
	s_branch .LBB77_1839
.LBB77_1829:
	s_or_saveexec_b32 s17, s17
	v_mov_b32_e32 v1, 0x7f800001
	s_xor_b32 exec_lo, exec_lo, s17
	s_cbranch_execz .LBB77_1813
.LBB77_1830:
	v_cmp_ne_u16_e32 vcc_lo, 0, v3
	v_mov_b32_e32 v1, 0
	s_and_not1_b32 s16, s16, exec_lo
	s_and_b32 s18, vcc_lo, exec_lo
	s_delay_alu instid0(SALU_CYCLE_1)
	s_or_b32 s16, s16, s18
	s_or_b32 exec_lo, exec_lo, s17
	s_and_saveexec_b32 s17, s16
	s_cbranch_execnz .LBB77_1814
	s_branch .LBB77_1815
.LBB77_1831:
	s_mov_b32 s15, -1
                                        ; implicit-def: $vgpr1
	s_branch .LBB77_1836
.LBB77_1832:
	s_mov_b32 s15, -1
                                        ; implicit-def: $vgpr1
.LBB77_1833:
	s_delay_alu instid0(SALU_CYCLE_1)
	s_and_b32 vcc_lo, exec_lo, s15
	s_cbranch_vccz .LBB77_1835
; %bb.1834:
	global_load_u8 v1, v[22:23], off
	s_wait_loadcnt 0x0
	v_lshlrev_b32_e32 v1, 24, v1
	s_delay_alu instid0(VALU_DEP_1) | instskip(NEXT) | instid1(VALU_DEP_1)
	v_and_b32_e32 v3, 0x7f000000, v1
	v_clz_i32_u32_e32 v5, v3
	v_add_nc_u32_e32 v9, 0x1000000, v3
	v_cmp_ne_u32_e32 vcc_lo, 0, v3
	s_delay_alu instid0(VALU_DEP_3) | instskip(NEXT) | instid1(VALU_DEP_1)
	v_min_u32_e32 v5, 32, v5
	v_sub_nc_u32_e64 v5, v5, 4 clamp
	s_delay_alu instid0(VALU_DEP_1) | instskip(NEXT) | instid1(VALU_DEP_1)
	v_dual_lshlrev_b32 v7, v5, v3 :: v_dual_lshlrev_b32 v5, 23, v5
	v_lshrrev_b32_e32 v7, 4, v7
	s_delay_alu instid0(VALU_DEP_1) | instskip(SKIP_1) | instid1(VALU_DEP_2)
	v_sub_nc_u32_e32 v5, v7, v5
	v_ashrrev_i32_e32 v7, 8, v9
	v_add_nc_u32_e32 v5, 0x3c000000, v5
	s_delay_alu instid0(VALU_DEP_1) | instskip(NEXT) | instid1(VALU_DEP_1)
	v_and_or_b32 v5, 0x7f800000, v7, v5
	v_cndmask_b32_e32 v3, 0, v5, vcc_lo
	s_delay_alu instid0(VALU_DEP_1)
	v_and_or_b32 v1, 0x80000000, v1, v3
.LBB77_1835:
	s_mov_b32 s15, 0
.LBB77_1836:
	s_delay_alu instid0(SALU_CYCLE_1)
	s_and_not1_b32 vcc_lo, exec_lo, s15
	s_cbranch_vccnz .LBB77_1838
; %bb.1837:
	global_load_u8 v1, v[22:23], off
	s_wait_loadcnt 0x0
	v_lshlrev_b32_e32 v3, 25, v1
	v_lshlrev_b16 v1, 8, v1
	s_delay_alu instid0(VALU_DEP_1) | instskip(SKIP_1) | instid1(VALU_DEP_2)
	v_and_or_b32 v7, 0x7f00, v1, 0.5
	v_bfe_i32 v1, v1, 0, 16
	v_add_f32_e32 v7, -0.5, v7
	v_lshrrev_b32_e32 v5, 4, v3
	v_cmp_gt_u32_e32 vcc_lo, 0x8000000, v3
	s_delay_alu instid0(VALU_DEP_2) | instskip(NEXT) | instid1(VALU_DEP_1)
	v_or_b32_e32 v5, 0x70000000, v5
	v_mul_f32_e32 v5, 0x7800000, v5
	s_delay_alu instid0(VALU_DEP_1) | instskip(NEXT) | instid1(VALU_DEP_1)
	v_cndmask_b32_e32 v3, v5, v7, vcc_lo
	v_and_or_b32 v1, 0x80000000, v1, v3
.LBB77_1838:
	s_mov_b32 s15, 0
	s_mov_b32 s16, -1
.LBB77_1839:
	s_and_not1_b32 vcc_lo, exec_lo, s15
	s_mov_b32 s15, 0
	s_cbranch_vccnz .LBB77_1850
; %bb.1840:
	s_cmp_gt_i32 s8, 14
	s_cbranch_scc0 .LBB77_1843
; %bb.1841:
	s_cmp_eq_u32 s8, 15
	s_cbranch_scc0 .LBB77_1846
; %bb.1842:
	global_load_u16 v1, v[22:23], off
	s_mov_b32 s9, 0
	s_mov_b32 s16, -1
	s_wait_loadcnt 0x0
	v_lshlrev_b32_e32 v1, 16, v1
	s_branch .LBB77_1848
.LBB77_1843:
	s_mov_b32 s15, -1
	s_branch .LBB77_1847
.LBB77_1844:
	s_or_saveexec_b32 s16, s16
	v_mov_b32_e32 v1, 0x7f800001
	s_xor_b32 exec_lo, exec_lo, s16
	s_cbranch_execz .LBB77_1825
.LBB77_1845:
	v_cmp_ne_u16_e32 vcc_lo, 0, v3
	v_mov_b32_e32 v1, 0
	s_and_not1_b32 s15, s15, exec_lo
	s_and_b32 s17, vcc_lo, exec_lo
	s_delay_alu instid0(SALU_CYCLE_1)
	s_or_b32 s15, s15, s17
	s_or_b32 exec_lo, exec_lo, s16
	s_and_saveexec_b32 s16, s15
	s_cbranch_execnz .LBB77_1826
	s_branch .LBB77_1827
.LBB77_1846:
	s_mov_b32 s9, -1
.LBB77_1847:
                                        ; implicit-def: $vgpr1
.LBB77_1848:
	s_and_b32 vcc_lo, exec_lo, s15
	s_mov_b32 s15, 0
	s_cbranch_vccz .LBB77_1850
; %bb.1849:
	s_cmp_lg_u32 s8, 11
	s_mov_b32 s15, -1
	s_cselect_b32 s9, -1, 0
.LBB77_1850:
	s_delay_alu instid0(SALU_CYCLE_1)
	s_and_b32 vcc_lo, exec_lo, s9
	s_cbranch_vccnz .LBB77_1915
; %bb.1851:
	s_and_not1_b32 vcc_lo, exec_lo, s15
	s_cbranch_vccnz .LBB77_1853
.LBB77_1852:
	global_load_u8 v1, v[22:23], off
	s_mov_b32 s16, -1
	s_wait_loadcnt 0x0
	v_cmp_ne_u16_e32 vcc_lo, 0, v1
	v_cndmask_b32_e64 v1, 0, 1.0, vcc_lo
.LBB77_1853:
	s_branch .LBB77_1779
.LBB77_1854:
	s_and_b32 s8, 0xffff, s14
	s_delay_alu instid0(SALU_CYCLE_1)
	s_cmp_lt_i32 s8, 5
	s_cbranch_scc1 .LBB77_1859
; %bb.1855:
	s_cmp_lt_i32 s8, 8
	s_cbranch_scc1 .LBB77_1860
; %bb.1856:
	;; [unrolled: 3-line block ×3, first 2 shown]
	s_cmp_gt_i32 s8, 9
	s_cbranch_scc0 .LBB77_1862
; %bb.1858:
	global_load_b64 v[24:25], v[22:23], off
	s_mov_b32 s9, 0
	s_wait_loadcnt 0x0
	v_cvt_f32_f64_e32 v1, v[24:25]
	s_branch .LBB77_1863
.LBB77_1859:
                                        ; implicit-def: $vgpr1
	s_branch .LBB77_1881
.LBB77_1860:
	s_mov_b32 s9, -1
                                        ; implicit-def: $vgpr1
	s_branch .LBB77_1869
.LBB77_1861:
	s_mov_b32 s9, -1
                                        ; implicit-def: $vgpr1
	s_branch .LBB77_1866
.LBB77_1862:
	s_mov_b32 s9, -1
                                        ; implicit-def: $vgpr1
.LBB77_1863:
	s_delay_alu instid0(SALU_CYCLE_1)
	s_and_not1_b32 vcc_lo, exec_lo, s9
	s_cbranch_vccnz .LBB77_1865
; %bb.1864:
	global_load_b32 v1, v[22:23], off
.LBB77_1865:
	s_mov_b32 s9, 0
.LBB77_1866:
	s_delay_alu instid0(SALU_CYCLE_1)
	s_and_not1_b32 vcc_lo, exec_lo, s9
	s_cbranch_vccnz .LBB77_1868
; %bb.1867:
	s_wait_loadcnt 0x0
	global_load_b32 v1, v[22:23], off
	s_wait_loadcnt 0x0
	v_cvt_f32_f16_e32 v1, v1
.LBB77_1868:
	s_mov_b32 s9, 0
.LBB77_1869:
	s_delay_alu instid0(SALU_CYCLE_1)
	s_and_not1_b32 vcc_lo, exec_lo, s9
	s_cbranch_vccnz .LBB77_1880
; %bb.1870:
	s_cmp_lt_i32 s8, 6
	s_cbranch_scc1 .LBB77_1873
; %bb.1871:
	s_cmp_gt_i32 s8, 6
	s_cbranch_scc0 .LBB77_1874
; %bb.1872:
	global_load_b64 v[24:25], v[22:23], off
	s_mov_b32 s9, 0
	s_wait_loadcnt 0x0
	v_cvt_f32_f64_e32 v1, v[24:25]
	s_branch .LBB77_1875
.LBB77_1873:
	s_mov_b32 s9, -1
                                        ; implicit-def: $vgpr1
	s_branch .LBB77_1878
.LBB77_1874:
	s_mov_b32 s9, -1
                                        ; implicit-def: $vgpr1
.LBB77_1875:
	s_delay_alu instid0(SALU_CYCLE_1)
	s_and_not1_b32 vcc_lo, exec_lo, s9
	s_cbranch_vccnz .LBB77_1877
; %bb.1876:
	s_wait_loadcnt 0x0
	global_load_b32 v1, v[22:23], off
.LBB77_1877:
	s_mov_b32 s9, 0
.LBB77_1878:
	s_delay_alu instid0(SALU_CYCLE_1)
	s_and_not1_b32 vcc_lo, exec_lo, s9
	s_cbranch_vccnz .LBB77_1880
; %bb.1879:
	s_wait_loadcnt 0x0
	global_load_u16 v1, v[22:23], off
	s_wait_loadcnt 0x0
	v_cvt_f32_f16_e32 v1, v1
.LBB77_1880:
	s_cbranch_execnz .LBB77_1900
.LBB77_1881:
	s_cmp_lt_i32 s8, 2
	s_cbranch_scc1 .LBB77_1885
; %bb.1882:
	s_cmp_lt_i32 s8, 3
	s_cbranch_scc1 .LBB77_1886
; %bb.1883:
	s_cmp_gt_i32 s8, 3
	s_cbranch_scc0 .LBB77_1887
; %bb.1884:
	global_load_b64 v[24:25], v[22:23], off
	s_mov_b32 s9, 0
	s_wait_loadcnt 0x0
	v_xor_b32_e32 v1, v24, v25
	v_cls_i32_e32 v3, v25
	s_delay_alu instid0(VALU_DEP_2) | instskip(NEXT) | instid1(VALU_DEP_1)
	v_ashrrev_i32_e32 v1, 31, v1
	v_add_nc_u32_e32 v1, 32, v1
	s_delay_alu instid0(VALU_DEP_1) | instskip(NEXT) | instid1(VALU_DEP_1)
	v_add_min_u32_e64 v1, v3, -1, v1
	v_lshlrev_b64_e32 v[24:25], v1, v[24:25]
	v_sub_nc_u32_e32 v1, 32, v1
	s_delay_alu instid0(VALU_DEP_2) | instskip(NEXT) | instid1(VALU_DEP_1)
	v_min_u32_e32 v3, 1, v24
	v_or_b32_e32 v3, v25, v3
	s_delay_alu instid0(VALU_DEP_1) | instskip(NEXT) | instid1(VALU_DEP_1)
	v_cvt_f32_i32_e32 v3, v3
	v_ldexp_f32 v1, v3, v1
	s_branch .LBB77_1888
.LBB77_1885:
	s_mov_b32 s9, -1
                                        ; implicit-def: $vgpr1
	s_branch .LBB77_1894
.LBB77_1886:
	s_mov_b32 s9, -1
                                        ; implicit-def: $vgpr1
	s_branch .LBB77_1891
.LBB77_1887:
	s_mov_b32 s9, -1
                                        ; implicit-def: $vgpr1
.LBB77_1888:
	s_delay_alu instid0(SALU_CYCLE_1)
	s_and_not1_b32 vcc_lo, exec_lo, s9
	s_cbranch_vccnz .LBB77_1890
; %bb.1889:
	s_wait_loadcnt 0x0
	global_load_b32 v1, v[22:23], off
	s_wait_loadcnt 0x0
	v_cvt_f32_i32_e32 v1, v1
.LBB77_1890:
	s_mov_b32 s9, 0
.LBB77_1891:
	s_delay_alu instid0(SALU_CYCLE_1)
	s_and_not1_b32 vcc_lo, exec_lo, s9
	s_cbranch_vccnz .LBB77_1893
; %bb.1892:
	s_wait_loadcnt 0x0
	global_load_i16 v1, v[22:23], off
	s_wait_loadcnt 0x0
	v_cvt_f32_i32_e32 v1, v1
.LBB77_1893:
	s_mov_b32 s9, 0
.LBB77_1894:
	s_delay_alu instid0(SALU_CYCLE_1)
	s_and_not1_b32 vcc_lo, exec_lo, s9
	s_cbranch_vccnz .LBB77_1900
; %bb.1895:
	s_cmp_gt_i32 s8, 0
	s_mov_b32 s8, 0
	s_cbranch_scc0 .LBB77_1897
; %bb.1896:
	s_wait_loadcnt 0x0
	global_load_i8 v1, v[22:23], off
	s_wait_loadcnt 0x0
	v_cvt_f32_i32_e32 v1, v1
	s_branch .LBB77_1898
.LBB77_1897:
	s_mov_b32 s8, -1
                                        ; implicit-def: $vgpr1
.LBB77_1898:
	s_delay_alu instid0(SALU_CYCLE_1)
	s_and_not1_b32 vcc_lo, exec_lo, s8
	s_cbranch_vccnz .LBB77_1900
; %bb.1899:
	s_wait_loadcnt 0x0
	global_load_u8 v1, v[22:23], off
	s_wait_loadcnt 0x0
	v_cvt_f32_ubyte0_e32 v1, v1
.LBB77_1900:
.LBB77_1901:
	s_load_b64 s[8:9], s[2:3], 0x1a0
	s_mov_b32 s15, exec_lo
	s_wait_loadcnt 0x0
	s_wait_kmcnt 0x0
	s_delay_alu instid0(VALU_DEP_1) | instskip(NEXT) | instid1(VALU_DEP_1)
	v_mul_f32_e32 v1, s8, v1
	v_cmpx_nlt_f32_e32 s9, v1
	s_cbranch_execz .LBB77_1903
; %bb.1902:
	v_mul_f32_e32 v3, 0x3fb8aa3b, v1
	v_cmp_ngt_f32_e32 vcc_lo, 0xc2ce8ed0, v1
	s_delay_alu instid0(VALU_DEP_2) | instskip(SKIP_1) | instid1(VALU_DEP_2)
	v_rndne_f32_e32 v5, v3
	v_fma_f32 v7, 0x3fb8aa3b, v1, -v3
	v_sub_f32_e32 v3, v3, v5
	s_delay_alu instid0(VALU_DEP_2) | instskip(SKIP_1) | instid1(VALU_DEP_2)
	v_fmamk_f32 v7, v1, 0x32a5705f, v7
	v_cvt_i32_f32_e32 v5, v5
	v_add_f32_e32 v3, v3, v7
	s_delay_alu instid0(VALU_DEP_1) | instskip(SKIP_1) | instid1(TRANS32_DEP_1)
	v_exp_f32_e32 v3, v3
	v_nop
	v_ldexp_f32 v3, v3, v5
	s_delay_alu instid0(VALU_DEP_1) | instskip(SKIP_1) | instid1(VALU_DEP_2)
	v_cndmask_b32_e32 v3, 0, v3, vcc_lo
	v_cmp_nlt_f32_e32 vcc_lo, 0x42b17218, v1
	v_cndmask_b32_e32 v1, 0x7f800000, v3, vcc_lo
	s_delay_alu instid0(VALU_DEP_1) | instskip(NEXT) | instid1(VALU_DEP_1)
	v_dual_mul_f32 v3, v8, v1 :: v_dual_add_f32 v1, 1.0, v1
	v_div_scale_f32 v5, null, v1, v1, v3
	s_delay_alu instid0(VALU_DEP_1) | instskip(SKIP_1) | instid1(TRANS32_DEP_1)
	v_rcp_f32_e32 v7, v5
	v_nop
	v_fma_f32 v8, -v5, v7, 1.0
	s_delay_alu instid0(VALU_DEP_1) | instskip(SKIP_1) | instid1(VALU_DEP_1)
	v_fmac_f32_e32 v7, v8, v7
	v_div_scale_f32 v8, vcc_lo, v3, v1, v3
	v_mul_f32_e32 v9, v8, v7
	s_delay_alu instid0(VALU_DEP_1) | instskip(NEXT) | instid1(VALU_DEP_1)
	v_fma_f32 v11, -v5, v9, v8
	v_fmac_f32_e32 v9, v11, v7
	s_delay_alu instid0(VALU_DEP_1) | instskip(NEXT) | instid1(VALU_DEP_1)
	v_fma_f32 v5, -v5, v9, v8
	v_div_fmas_f32 v5, v5, v7, v9
	s_delay_alu instid0(VALU_DEP_1)
	v_div_fixup_f32 v8, v5, v1, v3
.LBB77_1903:
	s_or_b32 exec_lo, exec_lo, s15
	v_mov_b32_e32 v11, 0
	s_and_b32 s13, 0xffff, s13
	s_delay_alu instid0(SALU_CYCLE_1) | instskip(NEXT) | instid1(VALU_DEP_1)
	s_cmp_lt_i32 s13, 11
	v_add_nc_u64_e32 v[22:23], s[6:7], v[10:11]
	s_cbranch_scc1 .LBB77_1910
; %bb.1904:
	s_cmp_gt_i32 s13, 25
	s_mov_b32 s16, 0
	s_cbranch_scc0 .LBB77_1912
; %bb.1905:
	s_cmp_gt_i32 s13, 28
	s_cbranch_scc0 .LBB77_1913
; %bb.1906:
	s_cmp_gt_i32 s13, 43
	;; [unrolled: 3-line block ×3, first 2 shown]
	s_cbranch_scc0 .LBB77_1916
; %bb.1908:
	s_cmp_eq_u32 s13, 46
	s_mov_b32 s18, 0
	s_cbranch_scc0 .LBB77_1917
; %bb.1909:
	global_load_b32 v1, v[22:23], off
	s_mov_b32 s15, 0
	s_mov_b32 s17, -1
	s_wait_loadcnt 0x0
	v_lshlrev_b32_e32 v10, 16, v1
	s_branch .LBB77_1919
.LBB77_1910:
	s_mov_b32 s17, 0
                                        ; implicit-def: $vgpr10
	s_cbranch_execnz .LBB77_1985
.LBB77_1911:
	s_and_not1_b32 vcc_lo, exec_lo, s17
	s_cbranch_vccnz .LBB77_2774
	s_branch .LBB77_2033
.LBB77_1912:
	s_mov_b32 s18, -1
	s_mov_b32 s17, 0
	s_mov_b32 s15, 0
                                        ; implicit-def: $vgpr10
	s_branch .LBB77_1948
.LBB77_1913:
	s_mov_b32 s18, -1
	s_mov_b32 s17, 0
	s_mov_b32 s15, 0
                                        ; implicit-def: $vgpr10
	s_branch .LBB77_1929
.LBB77_1914:
	s_mov_b32 s18, -1
	s_mov_b32 s17, 0
	s_mov_b32 s15, 0
                                        ; implicit-def: $vgpr10
	s_branch .LBB77_1924
.LBB77_1915:
	s_or_b32 s12, s12, exec_lo
	s_trap 2
	s_cbranch_execz .LBB77_1852
	s_branch .LBB77_1853
.LBB77_1916:
	s_mov_b32 s18, -1
	s_mov_b32 s17, 0
	s_mov_b32 s15, 0
	s_branch .LBB77_1918
.LBB77_1917:
	s_mov_b32 s15, -1
	s_mov_b32 s17, 0
.LBB77_1918:
                                        ; implicit-def: $vgpr10
.LBB77_1919:
	s_and_b32 vcc_lo, exec_lo, s18
	s_cbranch_vccz .LBB77_1923
; %bb.1920:
	s_cmp_eq_u32 s13, 44
	s_cbranch_scc0 .LBB77_1922
; %bb.1921:
	global_load_u8 v1, v[22:23], off
	s_mov_b32 s15, 0
	s_mov_b32 s17, -1
	s_wait_loadcnt 0x0
	v_lshlrev_b32_e32 v3, 23, v1
	v_cmp_ne_u32_e32 vcc_lo, 0xff, v1
	s_delay_alu instid0(VALU_DEP_2) | instskip(SKIP_1) | instid1(VALU_DEP_2)
	v_cndmask_b32_e32 v3, 0x7f800001, v3, vcc_lo
	v_cmp_ne_u32_e32 vcc_lo, 0, v1
	v_cndmask_b32_e32 v10, 0x400000, v3, vcc_lo
	s_branch .LBB77_1923
.LBB77_1922:
	s_mov_b32 s15, -1
                                        ; implicit-def: $vgpr10
.LBB77_1923:
	s_mov_b32 s18, 0
.LBB77_1924:
	s_delay_alu instid0(SALU_CYCLE_1)
	s_and_b32 vcc_lo, exec_lo, s18
	s_cbranch_vccz .LBB77_1928
; %bb.1925:
	s_cmp_eq_u32 s13, 29
	s_cbranch_scc0 .LBB77_1927
; %bb.1926:
	global_load_b64 v[10:11], v[22:23], off
	s_mov_b32 s15, 0
	s_mov_b32 s17, -1
	s_mov_b32 s18, 0
	s_wait_loadcnt 0x0
	v_clz_i32_u32_e32 v1, v11
	s_delay_alu instid0(VALU_DEP_1) | instskip(NEXT) | instid1(VALU_DEP_1)
	v_min_u32_e32 v1, 32, v1
	v_lshlrev_b64_e32 v[10:11], v1, v[10:11]
	v_sub_nc_u32_e32 v1, 32, v1
	s_delay_alu instid0(VALU_DEP_2) | instskip(NEXT) | instid1(VALU_DEP_1)
	v_min_u32_e32 v3, 1, v10
	v_or_b32_e32 v3, v11, v3
	s_delay_alu instid0(VALU_DEP_1) | instskip(NEXT) | instid1(VALU_DEP_1)
	v_cvt_f32_u32_e32 v3, v3
	v_ldexp_f32 v10, v3, v1
	s_branch .LBB77_1929
.LBB77_1927:
	s_mov_b32 s15, -1
                                        ; implicit-def: $vgpr10
.LBB77_1928:
	s_mov_b32 s18, 0
.LBB77_1929:
	s_delay_alu instid0(SALU_CYCLE_1)
	s_and_b32 vcc_lo, exec_lo, s18
	s_cbranch_vccz .LBB77_1947
; %bb.1930:
	s_cmp_lt_i32 s13, 27
	s_cbranch_scc1 .LBB77_1933
; %bb.1931:
	s_cmp_gt_i32 s13, 27
	s_cbranch_scc0 .LBB77_1934
; %bb.1932:
	global_load_b32 v1, v[22:23], off
	s_mov_b32 s17, 0
	s_wait_loadcnt 0x0
	v_cvt_f32_u32_e32 v10, v1
	s_branch .LBB77_1935
.LBB77_1933:
	s_mov_b32 s17, -1
                                        ; implicit-def: $vgpr10
	s_branch .LBB77_1938
.LBB77_1934:
	s_mov_b32 s17, -1
                                        ; implicit-def: $vgpr10
.LBB77_1935:
	s_delay_alu instid0(SALU_CYCLE_1)
	s_and_not1_b32 vcc_lo, exec_lo, s17
	s_cbranch_vccnz .LBB77_1937
; %bb.1936:
	global_load_u16 v1, v[22:23], off
	s_wait_loadcnt 0x0
	v_cvt_f32_u32_e32 v10, v1
.LBB77_1937:
	s_mov_b32 s17, 0
.LBB77_1938:
	s_delay_alu instid0(SALU_CYCLE_1)
	s_and_not1_b32 vcc_lo, exec_lo, s17
	s_cbranch_vccnz .LBB77_1946
; %bb.1939:
	global_load_u8 v1, v[22:23], off
	s_mov_b32 s17, 0
	s_mov_b32 s18, exec_lo
	s_wait_loadcnt 0x0
	v_cmpx_lt_i16_e32 0x7f, v1
	s_xor_b32 s18, exec_lo, s18
	s_cbranch_execz .LBB77_1960
; %bb.1940:
	s_mov_b32 s17, -1
	s_mov_b32 s19, exec_lo
	v_cmpx_eq_u16_e32 0x80, v1
; %bb.1941:
	s_xor_b32 s17, exec_lo, -1
; %bb.1942:
	s_or_b32 exec_lo, exec_lo, s19
	s_delay_alu instid0(SALU_CYCLE_1)
	s_and_b32 s17, s17, exec_lo
	s_or_saveexec_b32 s18, s18
	v_mov_b32_e32 v10, 0x7f800001
	s_xor_b32 exec_lo, exec_lo, s18
	s_cbranch_execnz .LBB77_1961
.LBB77_1943:
	s_or_b32 exec_lo, exec_lo, s18
	s_and_saveexec_b32 s18, s17
	s_cbranch_execz .LBB77_1945
.LBB77_1944:
	v_and_b32_e32 v3, 0xffff, v1
	s_delay_alu instid0(VALU_DEP_1) | instskip(SKIP_1) | instid1(VALU_DEP_2)
	v_dual_lshlrev_b32 v1, 24, v1 :: v_dual_bitop2_b32 v5, 7, v3 bitop3:0x40
	v_bfe_u32 v10, v3, 3, 4
	v_and_b32_e32 v1, 0x80000000, v1
	s_delay_alu instid0(VALU_DEP_3) | instskip(NEXT) | instid1(VALU_DEP_3)
	v_clz_i32_u32_e32 v7, v5
	v_cmp_eq_u32_e32 vcc_lo, 0, v10
	s_delay_alu instid0(VALU_DEP_2) | instskip(NEXT) | instid1(VALU_DEP_1)
	v_min_u32_e32 v7, 32, v7
	v_subrev_nc_u32_e32 v9, 28, v7
	v_sub_nc_u32_e32 v7, 29, v7
	s_delay_alu instid0(VALU_DEP_2) | instskip(NEXT) | instid1(VALU_DEP_2)
	v_lshlrev_b32_e32 v3, v9, v3
	v_cndmask_b32_e32 v7, v10, v7, vcc_lo
	s_delay_alu instid0(VALU_DEP_2) | instskip(NEXT) | instid1(VALU_DEP_1)
	v_and_b32_e32 v3, 7, v3
	v_cndmask_b32_e32 v3, v5, v3, vcc_lo
	s_delay_alu instid0(VALU_DEP_3) | instskip(NEXT) | instid1(VALU_DEP_2)
	v_lshl_add_u32 v5, v7, 23, 0x3b800000
	v_lshlrev_b32_e32 v3, 20, v3
	s_delay_alu instid0(VALU_DEP_1)
	v_or3_b32 v10, v1, v5, v3
.LBB77_1945:
	s_or_b32 exec_lo, exec_lo, s18
.LBB77_1946:
	s_mov_b32 s17, -1
.LBB77_1947:
	s_mov_b32 s18, 0
.LBB77_1948:
	s_delay_alu instid0(SALU_CYCLE_1)
	s_and_b32 vcc_lo, exec_lo, s18
	s_cbranch_vccz .LBB77_1981
; %bb.1949:
	s_cmp_gt_i32 s13, 22
	s_cbranch_scc0 .LBB77_1959
; %bb.1950:
	s_cmp_lt_i32 s13, 24
	s_cbranch_scc1 .LBB77_1962
; %bb.1951:
	s_cmp_gt_i32 s13, 24
	s_cbranch_scc0 .LBB77_1963
; %bb.1952:
	global_load_u8 v1, v[22:23], off
	s_mov_b32 s17, exec_lo
	s_wait_loadcnt 0x0
	v_cmpx_lt_i16_e32 0x7f, v1
	s_xor_b32 s17, exec_lo, s17
	s_cbranch_execz .LBB77_1975
; %bb.1953:
	s_mov_b32 s16, -1
	s_mov_b32 s18, exec_lo
	v_cmpx_eq_u16_e32 0x80, v1
; %bb.1954:
	s_xor_b32 s16, exec_lo, -1
; %bb.1955:
	s_or_b32 exec_lo, exec_lo, s18
	s_delay_alu instid0(SALU_CYCLE_1)
	s_and_b32 s16, s16, exec_lo
	s_or_saveexec_b32 s17, s17
	v_mov_b32_e32 v10, 0x7f800001
	s_xor_b32 exec_lo, exec_lo, s17
	s_cbranch_execnz .LBB77_1976
.LBB77_1956:
	s_or_b32 exec_lo, exec_lo, s17
	s_and_saveexec_b32 s17, s16
	s_cbranch_execz .LBB77_1958
.LBB77_1957:
	v_and_b32_e32 v3, 0xffff, v1
	s_delay_alu instid0(VALU_DEP_1) | instskip(SKIP_1) | instid1(VALU_DEP_2)
	v_dual_lshlrev_b32 v1, 24, v1 :: v_dual_bitop2_b32 v5, 3, v3 bitop3:0x40
	v_bfe_u32 v10, v3, 2, 5
	v_and_b32_e32 v1, 0x80000000, v1
	s_delay_alu instid0(VALU_DEP_3) | instskip(NEXT) | instid1(VALU_DEP_3)
	v_clz_i32_u32_e32 v7, v5
	v_cmp_eq_u32_e32 vcc_lo, 0, v10
	s_delay_alu instid0(VALU_DEP_2) | instskip(NEXT) | instid1(VALU_DEP_1)
	v_min_u32_e32 v7, 32, v7
	v_subrev_nc_u32_e32 v9, 29, v7
	v_sub_nc_u32_e32 v7, 30, v7
	s_delay_alu instid0(VALU_DEP_2) | instskip(NEXT) | instid1(VALU_DEP_2)
	v_lshlrev_b32_e32 v3, v9, v3
	v_cndmask_b32_e32 v7, v10, v7, vcc_lo
	s_delay_alu instid0(VALU_DEP_2) | instskip(NEXT) | instid1(VALU_DEP_1)
	v_and_b32_e32 v3, 3, v3
	v_cndmask_b32_e32 v3, v5, v3, vcc_lo
	s_delay_alu instid0(VALU_DEP_3) | instskip(NEXT) | instid1(VALU_DEP_2)
	v_lshl_add_u32 v5, v7, 23, 0x37800000
	v_lshlrev_b32_e32 v3, 21, v3
	s_delay_alu instid0(VALU_DEP_1)
	v_or3_b32 v10, v1, v5, v3
.LBB77_1958:
	s_or_b32 exec_lo, exec_lo, s17
	s_mov_b32 s16, 0
	s_branch .LBB77_1964
.LBB77_1959:
	s_mov_b32 s16, -1
                                        ; implicit-def: $vgpr10
	s_branch .LBB77_1970
.LBB77_1960:
	s_or_saveexec_b32 s18, s18
	v_mov_b32_e32 v10, 0x7f800001
	s_xor_b32 exec_lo, exec_lo, s18
	s_cbranch_execz .LBB77_1943
.LBB77_1961:
	v_cmp_ne_u16_e32 vcc_lo, 0, v1
	v_mov_b32_e32 v10, 0
	s_and_not1_b32 s17, s17, exec_lo
	s_and_b32 s19, vcc_lo, exec_lo
	s_delay_alu instid0(SALU_CYCLE_1)
	s_or_b32 s17, s17, s19
	s_or_b32 exec_lo, exec_lo, s18
	s_and_saveexec_b32 s18, s17
	s_cbranch_execnz .LBB77_1944
	s_branch .LBB77_1945
.LBB77_1962:
	s_mov_b32 s16, -1
                                        ; implicit-def: $vgpr10
	s_branch .LBB77_1967
.LBB77_1963:
	s_mov_b32 s16, -1
                                        ; implicit-def: $vgpr10
.LBB77_1964:
	s_delay_alu instid0(SALU_CYCLE_1)
	s_and_b32 vcc_lo, exec_lo, s16
	s_cbranch_vccz .LBB77_1966
; %bb.1965:
	global_load_u8 v1, v[22:23], off
	s_wait_loadcnt 0x0
	v_lshlrev_b32_e32 v1, 24, v1
	s_delay_alu instid0(VALU_DEP_1) | instskip(NEXT) | instid1(VALU_DEP_1)
	v_and_b32_e32 v3, 0x7f000000, v1
	v_clz_i32_u32_e32 v5, v3
	v_add_nc_u32_e32 v9, 0x1000000, v3
	v_cmp_ne_u32_e32 vcc_lo, 0, v3
	s_delay_alu instid0(VALU_DEP_3) | instskip(NEXT) | instid1(VALU_DEP_1)
	v_min_u32_e32 v5, 32, v5
	v_sub_nc_u32_e64 v5, v5, 4 clamp
	s_delay_alu instid0(VALU_DEP_1) | instskip(NEXT) | instid1(VALU_DEP_1)
	v_dual_lshlrev_b32 v7, v5, v3 :: v_dual_lshlrev_b32 v5, 23, v5
	v_lshrrev_b32_e32 v7, 4, v7
	s_delay_alu instid0(VALU_DEP_1) | instskip(SKIP_1) | instid1(VALU_DEP_2)
	v_sub_nc_u32_e32 v5, v7, v5
	v_ashrrev_i32_e32 v7, 8, v9
	v_add_nc_u32_e32 v5, 0x3c000000, v5
	s_delay_alu instid0(VALU_DEP_1) | instskip(NEXT) | instid1(VALU_DEP_1)
	v_and_or_b32 v5, 0x7f800000, v7, v5
	v_cndmask_b32_e32 v3, 0, v5, vcc_lo
	s_delay_alu instid0(VALU_DEP_1)
	v_and_or_b32 v10, 0x80000000, v1, v3
.LBB77_1966:
	s_mov_b32 s16, 0
.LBB77_1967:
	s_delay_alu instid0(SALU_CYCLE_1)
	s_and_not1_b32 vcc_lo, exec_lo, s16
	s_cbranch_vccnz .LBB77_1969
; %bb.1968:
	global_load_u8 v1, v[22:23], off
	s_wait_loadcnt 0x0
	v_lshlrev_b32_e32 v3, 25, v1
	v_lshlrev_b16 v1, 8, v1
	s_delay_alu instid0(VALU_DEP_1) | instskip(SKIP_1) | instid1(VALU_DEP_2)
	v_and_or_b32 v7, 0x7f00, v1, 0.5
	v_bfe_i32 v1, v1, 0, 16
	v_add_f32_e32 v7, -0.5, v7
	v_lshrrev_b32_e32 v5, 4, v3
	v_cmp_gt_u32_e32 vcc_lo, 0x8000000, v3
	s_delay_alu instid0(VALU_DEP_2) | instskip(NEXT) | instid1(VALU_DEP_1)
	v_or_b32_e32 v5, 0x70000000, v5
	v_mul_f32_e32 v5, 0x7800000, v5
	s_delay_alu instid0(VALU_DEP_1) | instskip(NEXT) | instid1(VALU_DEP_1)
	v_cndmask_b32_e32 v3, v5, v7, vcc_lo
	v_and_or_b32 v10, 0x80000000, v1, v3
.LBB77_1969:
	s_mov_b32 s16, 0
	s_mov_b32 s17, -1
.LBB77_1970:
	s_and_not1_b32 vcc_lo, exec_lo, s16
	s_mov_b32 s16, 0
	s_cbranch_vccnz .LBB77_1981
; %bb.1971:
	s_cmp_gt_i32 s13, 14
	s_cbranch_scc0 .LBB77_1974
; %bb.1972:
	s_cmp_eq_u32 s13, 15
	s_cbranch_scc0 .LBB77_1977
; %bb.1973:
	global_load_u16 v1, v[22:23], off
	s_mov_b32 s15, 0
	s_mov_b32 s17, -1
	s_wait_loadcnt 0x0
	v_lshlrev_b32_e32 v10, 16, v1
	s_branch .LBB77_1979
.LBB77_1974:
	s_mov_b32 s16, -1
	s_branch .LBB77_1978
.LBB77_1975:
	s_or_saveexec_b32 s17, s17
	v_mov_b32_e32 v10, 0x7f800001
	s_xor_b32 exec_lo, exec_lo, s17
	s_cbranch_execz .LBB77_1956
.LBB77_1976:
	v_cmp_ne_u16_e32 vcc_lo, 0, v1
	v_mov_b32_e32 v10, 0
	s_and_not1_b32 s16, s16, exec_lo
	s_and_b32 s18, vcc_lo, exec_lo
	s_delay_alu instid0(SALU_CYCLE_1)
	s_or_b32 s16, s16, s18
	s_or_b32 exec_lo, exec_lo, s17
	s_and_saveexec_b32 s17, s16
	s_cbranch_execnz .LBB77_1957
	s_branch .LBB77_1958
.LBB77_1977:
	s_mov_b32 s15, -1
.LBB77_1978:
                                        ; implicit-def: $vgpr10
.LBB77_1979:
	s_and_b32 vcc_lo, exec_lo, s16
	s_mov_b32 s16, 0
	s_cbranch_vccz .LBB77_1981
; %bb.1980:
	s_cmp_lg_u32 s13, 11
	s_mov_b32 s16, -1
	s_cselect_b32 s15, -1, 0
.LBB77_1981:
	s_delay_alu instid0(SALU_CYCLE_1)
	s_and_b32 vcc_lo, exec_lo, s15
	s_cbranch_vccnz .LBB77_2044
; %bb.1982:
	s_and_not1_b32 vcc_lo, exec_lo, s16
	s_cbranch_vccnz .LBB77_1984
.LBB77_1983:
	global_load_u8 v1, v[22:23], off
	s_mov_b32 s17, -1
	s_wait_loadcnt 0x0
	v_cmp_ne_u16_e32 vcc_lo, 0, v1
	v_cndmask_b32_e64 v10, 0, 1.0, vcc_lo
.LBB77_1984:
	s_branch .LBB77_1911
.LBB77_1985:
	s_cmp_lt_i32 s13, 5
	s_cbranch_scc1 .LBB77_1990
; %bb.1986:
	s_cmp_lt_i32 s13, 8
	s_cbranch_scc1 .LBB77_1991
; %bb.1987:
	;; [unrolled: 3-line block ×3, first 2 shown]
	s_cmp_gt_i32 s13, 9
	s_cbranch_scc0 .LBB77_1993
; %bb.1989:
	global_load_b64 v[10:11], v[22:23], off
	s_mov_b32 s15, 0
	s_wait_loadcnt 0x0
	v_cvt_f32_f64_e32 v10, v[10:11]
	s_branch .LBB77_1994
.LBB77_1990:
	s_mov_b32 s15, -1
                                        ; implicit-def: $vgpr10
	s_branch .LBB77_2012
.LBB77_1991:
	s_mov_b32 s15, -1
                                        ; implicit-def: $vgpr10
	s_branch .LBB77_2000
.LBB77_1992:
	s_mov_b32 s15, -1
                                        ; implicit-def: $vgpr10
	s_branch .LBB77_1997
.LBB77_1993:
	s_mov_b32 s15, -1
                                        ; implicit-def: $vgpr10
.LBB77_1994:
	s_delay_alu instid0(SALU_CYCLE_1)
	s_and_not1_b32 vcc_lo, exec_lo, s15
	s_cbranch_vccnz .LBB77_1996
; %bb.1995:
	global_load_b32 v10, v[22:23], off
.LBB77_1996:
	s_mov_b32 s15, 0
.LBB77_1997:
	s_delay_alu instid0(SALU_CYCLE_1)
	s_and_not1_b32 vcc_lo, exec_lo, s15
	s_cbranch_vccnz .LBB77_1999
; %bb.1998:
	global_load_b32 v1, v[22:23], off
	s_wait_loadcnt 0x0
	v_cvt_f32_f16_e32 v10, v1
.LBB77_1999:
	s_mov_b32 s15, 0
.LBB77_2000:
	s_delay_alu instid0(SALU_CYCLE_1)
	s_and_not1_b32 vcc_lo, exec_lo, s15
	s_cbranch_vccnz .LBB77_2011
; %bb.2001:
	s_cmp_lt_i32 s13, 6
	s_cbranch_scc1 .LBB77_2004
; %bb.2002:
	s_cmp_gt_i32 s13, 6
	s_cbranch_scc0 .LBB77_2005
; %bb.2003:
	s_wait_loadcnt 0x0
	global_load_b64 v[10:11], v[22:23], off
	s_mov_b32 s15, 0
	s_wait_loadcnt 0x0
	v_cvt_f32_f64_e32 v10, v[10:11]
	s_branch .LBB77_2006
.LBB77_2004:
	s_mov_b32 s15, -1
                                        ; implicit-def: $vgpr10
	s_branch .LBB77_2009
.LBB77_2005:
	s_mov_b32 s15, -1
                                        ; implicit-def: $vgpr10
.LBB77_2006:
	s_delay_alu instid0(SALU_CYCLE_1)
	s_and_not1_b32 vcc_lo, exec_lo, s15
	s_cbranch_vccnz .LBB77_2008
; %bb.2007:
	s_wait_loadcnt 0x0
	global_load_b32 v10, v[22:23], off
.LBB77_2008:
	s_mov_b32 s15, 0
.LBB77_2009:
	s_delay_alu instid0(SALU_CYCLE_1)
	s_and_not1_b32 vcc_lo, exec_lo, s15
	s_cbranch_vccnz .LBB77_2011
; %bb.2010:
	global_load_u16 v1, v[22:23], off
	s_wait_loadcnt 0x0
	v_cvt_f32_f16_e32 v10, v1
.LBB77_2011:
	s_mov_b32 s15, 0
.LBB77_2012:
	s_delay_alu instid0(SALU_CYCLE_1)
	s_and_not1_b32 vcc_lo, exec_lo, s15
	s_cbranch_vccnz .LBB77_2032
; %bb.2013:
	s_cmp_lt_i32 s13, 2
	s_cbranch_scc1 .LBB77_2017
; %bb.2014:
	s_cmp_lt_i32 s13, 3
	s_cbranch_scc1 .LBB77_2018
; %bb.2015:
	s_cmp_gt_i32 s13, 3
	s_cbranch_scc0 .LBB77_2019
; %bb.2016:
	s_wait_loadcnt 0x0
	global_load_b64 v[10:11], v[22:23], off
	s_mov_b32 s15, 0
	s_wait_loadcnt 0x0
	v_xor_b32_e32 v1, v10, v11
	v_cls_i32_e32 v3, v11
	s_delay_alu instid0(VALU_DEP_2) | instskip(NEXT) | instid1(VALU_DEP_1)
	v_ashrrev_i32_e32 v1, 31, v1
	v_add_nc_u32_e32 v1, 32, v1
	s_delay_alu instid0(VALU_DEP_1) | instskip(NEXT) | instid1(VALU_DEP_1)
	v_add_min_u32_e64 v1, v3, -1, v1
	v_lshlrev_b64_e32 v[10:11], v1, v[10:11]
	v_sub_nc_u32_e32 v1, 32, v1
	s_delay_alu instid0(VALU_DEP_2) | instskip(NEXT) | instid1(VALU_DEP_1)
	v_min_u32_e32 v3, 1, v10
	v_or_b32_e32 v3, v11, v3
	s_delay_alu instid0(VALU_DEP_1) | instskip(NEXT) | instid1(VALU_DEP_1)
	v_cvt_f32_i32_e32 v3, v3
	v_ldexp_f32 v10, v3, v1
	s_branch .LBB77_2020
.LBB77_2017:
	s_mov_b32 s15, -1
                                        ; implicit-def: $vgpr10
	s_branch .LBB77_2026
.LBB77_2018:
	s_mov_b32 s15, -1
                                        ; implicit-def: $vgpr10
	s_branch .LBB77_2023
.LBB77_2019:
	s_mov_b32 s15, -1
                                        ; implicit-def: $vgpr10
.LBB77_2020:
	s_delay_alu instid0(SALU_CYCLE_1)
	s_and_not1_b32 vcc_lo, exec_lo, s15
	s_cbranch_vccnz .LBB77_2022
; %bb.2021:
	global_load_b32 v1, v[22:23], off
	s_wait_loadcnt 0x0
	v_cvt_f32_i32_e32 v10, v1
.LBB77_2022:
	s_mov_b32 s15, 0
.LBB77_2023:
	s_delay_alu instid0(SALU_CYCLE_1)
	s_and_not1_b32 vcc_lo, exec_lo, s15
	s_cbranch_vccnz .LBB77_2025
; %bb.2024:
	global_load_i16 v1, v[22:23], off
	s_wait_loadcnt 0x0
	v_cvt_f32_i32_e32 v10, v1
.LBB77_2025:
	s_mov_b32 s15, 0
.LBB77_2026:
	s_delay_alu instid0(SALU_CYCLE_1)
	s_and_not1_b32 vcc_lo, exec_lo, s15
	s_cbranch_vccnz .LBB77_2032
; %bb.2027:
	s_cmp_gt_i32 s13, 0
	s_mov_b32 s15, 0
	s_cbranch_scc0 .LBB77_2029
; %bb.2028:
	global_load_i8 v1, v[22:23], off
	s_wait_loadcnt 0x0
	v_cvt_f32_i32_e32 v10, v1
	s_branch .LBB77_2030
.LBB77_2029:
	s_mov_b32 s15, -1
                                        ; implicit-def: $vgpr10
.LBB77_2030:
	s_delay_alu instid0(SALU_CYCLE_1)
	s_and_not1_b32 vcc_lo, exec_lo, s15
	s_cbranch_vccnz .LBB77_2032
; %bb.2031:
	global_load_u8 v1, v[22:23], off
	s_wait_loadcnt 0x0
	v_cvt_f32_ubyte0_e32 v10, v1
.LBB77_2032:
.LBB77_2033:
	v_mov_b32_e32 v21, 0
	s_and_b32 s14, 0xffff, s14
	s_delay_alu instid0(SALU_CYCLE_1) | instskip(NEXT) | instid1(VALU_DEP_1)
	s_cmp_lt_i32 s14, 11
	v_add_nc_u64_e32 v[20:21], s[0:1], v[20:21]
	s_cbranch_scc1 .LBB77_2040
; %bb.2034:
	s_cmp_gt_i32 s14, 25
	s_mov_b32 s16, 0
	s_cbranch_scc0 .LBB77_2041
; %bb.2035:
	s_cmp_gt_i32 s14, 28
	s_cbranch_scc0 .LBB77_2042
; %bb.2036:
	s_cmp_gt_i32 s14, 43
	;; [unrolled: 3-line block ×3, first 2 shown]
	s_cbranch_scc0 .LBB77_2045
; %bb.2038:
	s_cmp_eq_u32 s14, 46
	s_mov_b32 s18, 0
	s_cbranch_scc0 .LBB77_2046
; %bb.2039:
	global_load_b32 v1, v[20:21], off
	s_mov_b32 s15, 0
	s_mov_b32 s17, -1
	s_wait_loadcnt 0x0
	v_lshlrev_b32_e32 v1, 16, v1
	s_branch .LBB77_2048
.LBB77_2040:
	s_mov_b32 s15, -1
	s_mov_b32 s17, 0
                                        ; implicit-def: $vgpr1
	s_branch .LBB77_2114
.LBB77_2041:
	s_mov_b32 s18, -1
	s_mov_b32 s17, 0
	s_mov_b32 s15, 0
                                        ; implicit-def: $vgpr1
	s_branch .LBB77_2077
.LBB77_2042:
	s_mov_b32 s18, -1
	s_mov_b32 s17, 0
	s_mov_b32 s15, 0
                                        ; implicit-def: $vgpr1
	s_branch .LBB77_2058
.LBB77_2043:
	s_mov_b32 s18, -1
	s_mov_b32 s17, 0
	s_mov_b32 s15, 0
                                        ; implicit-def: $vgpr1
	s_branch .LBB77_2053
.LBB77_2044:
	s_or_b32 s12, s12, exec_lo
	s_trap 2
	s_cbranch_execz .LBB77_1983
	s_branch .LBB77_1984
.LBB77_2045:
	s_mov_b32 s18, -1
	s_mov_b32 s17, 0
	s_mov_b32 s15, 0
	s_branch .LBB77_2047
.LBB77_2046:
	s_mov_b32 s15, -1
	s_mov_b32 s17, 0
.LBB77_2047:
                                        ; implicit-def: $vgpr1
.LBB77_2048:
	s_and_b32 vcc_lo, exec_lo, s18
	s_cbranch_vccz .LBB77_2052
; %bb.2049:
	s_cmp_eq_u32 s14, 44
	s_cbranch_scc0 .LBB77_2051
; %bb.2050:
	global_load_u8 v1, v[20:21], off
	s_mov_b32 s15, 0
	s_mov_b32 s17, -1
	s_wait_loadcnt 0x0
	v_lshlrev_b32_e32 v3, 23, v1
	v_cmp_ne_u32_e32 vcc_lo, 0xff, v1
	s_delay_alu instid0(VALU_DEP_2) | instskip(SKIP_1) | instid1(VALU_DEP_2)
	v_cndmask_b32_e32 v3, 0x7f800001, v3, vcc_lo
	v_cmp_ne_u32_e32 vcc_lo, 0, v1
	v_cndmask_b32_e32 v1, 0x400000, v3, vcc_lo
	s_branch .LBB77_2052
.LBB77_2051:
	s_mov_b32 s15, -1
                                        ; implicit-def: $vgpr1
.LBB77_2052:
	s_mov_b32 s18, 0
.LBB77_2053:
	s_delay_alu instid0(SALU_CYCLE_1)
	s_and_b32 vcc_lo, exec_lo, s18
	s_cbranch_vccz .LBB77_2057
; %bb.2054:
	s_cmp_eq_u32 s14, 29
	s_cbranch_scc0 .LBB77_2056
; %bb.2055:
	global_load_b64 v[22:23], v[20:21], off
	s_mov_b32 s15, 0
	s_mov_b32 s17, -1
	s_mov_b32 s18, 0
	s_wait_loadcnt 0x0
	v_clz_i32_u32_e32 v1, v23
	s_delay_alu instid0(VALU_DEP_1) | instskip(NEXT) | instid1(VALU_DEP_1)
	v_min_u32_e32 v1, 32, v1
	v_lshlrev_b64_e32 v[22:23], v1, v[22:23]
	v_sub_nc_u32_e32 v1, 32, v1
	s_delay_alu instid0(VALU_DEP_2) | instskip(NEXT) | instid1(VALU_DEP_1)
	v_min_u32_e32 v3, 1, v22
	v_or_b32_e32 v3, v23, v3
	s_delay_alu instid0(VALU_DEP_1) | instskip(NEXT) | instid1(VALU_DEP_1)
	v_cvt_f32_u32_e32 v3, v3
	v_ldexp_f32 v1, v3, v1
	s_branch .LBB77_2058
.LBB77_2056:
	s_mov_b32 s15, -1
                                        ; implicit-def: $vgpr1
.LBB77_2057:
	s_mov_b32 s18, 0
.LBB77_2058:
	s_delay_alu instid0(SALU_CYCLE_1)
	s_and_b32 vcc_lo, exec_lo, s18
	s_cbranch_vccz .LBB77_2076
; %bb.2059:
	s_cmp_lt_i32 s14, 27
	s_cbranch_scc1 .LBB77_2062
; %bb.2060:
	s_cmp_gt_i32 s14, 27
	s_cbranch_scc0 .LBB77_2063
; %bb.2061:
	global_load_b32 v1, v[20:21], off
	s_mov_b32 s17, 0
	s_wait_loadcnt 0x0
	v_cvt_f32_u32_e32 v1, v1
	s_branch .LBB77_2064
.LBB77_2062:
	s_mov_b32 s17, -1
                                        ; implicit-def: $vgpr1
	s_branch .LBB77_2067
.LBB77_2063:
	s_mov_b32 s17, -1
                                        ; implicit-def: $vgpr1
.LBB77_2064:
	s_delay_alu instid0(SALU_CYCLE_1)
	s_and_not1_b32 vcc_lo, exec_lo, s17
	s_cbranch_vccnz .LBB77_2066
; %bb.2065:
	global_load_u16 v1, v[20:21], off
	s_wait_loadcnt 0x0
	v_cvt_f32_u32_e32 v1, v1
.LBB77_2066:
	s_mov_b32 s17, 0
.LBB77_2067:
	s_delay_alu instid0(SALU_CYCLE_1)
	s_and_not1_b32 vcc_lo, exec_lo, s17
	s_cbranch_vccnz .LBB77_2075
; %bb.2068:
	global_load_u8 v3, v[20:21], off
	s_mov_b32 s17, 0
	s_mov_b32 s18, exec_lo
	s_wait_loadcnt 0x0
	v_cmpx_lt_i16_e32 0x7f, v3
	s_xor_b32 s18, exec_lo, s18
	s_cbranch_execz .LBB77_2089
; %bb.2069:
	s_mov_b32 s17, -1
	s_mov_b32 s19, exec_lo
	v_cmpx_eq_u16_e32 0x80, v3
; %bb.2070:
	s_xor_b32 s17, exec_lo, -1
; %bb.2071:
	s_or_b32 exec_lo, exec_lo, s19
	s_delay_alu instid0(SALU_CYCLE_1)
	s_and_b32 s17, s17, exec_lo
	s_or_saveexec_b32 s18, s18
	v_mov_b32_e32 v1, 0x7f800001
	s_xor_b32 exec_lo, exec_lo, s18
	s_cbranch_execnz .LBB77_2090
.LBB77_2072:
	s_or_b32 exec_lo, exec_lo, s18
	s_and_saveexec_b32 s18, s17
	s_cbranch_execz .LBB77_2074
.LBB77_2073:
	v_and_b32_e32 v1, 0xffff, v3
	s_delay_alu instid0(VALU_DEP_1) | instskip(SKIP_1) | instid1(VALU_DEP_2)
	v_and_b32_e32 v5, 7, v1
	v_bfe_u32 v11, v1, 3, 4
	v_clz_i32_u32_e32 v7, v5
	s_delay_alu instid0(VALU_DEP_2) | instskip(NEXT) | instid1(VALU_DEP_2)
	v_cmp_eq_u32_e32 vcc_lo, 0, v11
	v_min_u32_e32 v7, 32, v7
	s_delay_alu instid0(VALU_DEP_1) | instskip(NEXT) | instid1(VALU_DEP_1)
	v_subrev_nc_u32_e32 v9, 28, v7
	v_dual_lshlrev_b32 v1, v9, v1 :: v_dual_sub_nc_u32 v7, 29, v7
	s_delay_alu instid0(VALU_DEP_1) | instskip(NEXT) | instid1(VALU_DEP_1)
	v_dual_lshlrev_b32 v3, 24, v3 :: v_dual_bitop2_b32 v1, 7, v1 bitop3:0x40
	v_dual_cndmask_b32 v1, v5, v1, vcc_lo :: v_dual_cndmask_b32 v7, v11, v7, vcc_lo
	s_delay_alu instid0(VALU_DEP_2) | instskip(NEXT) | instid1(VALU_DEP_2)
	v_and_b32_e32 v3, 0x80000000, v3
	v_lshlrev_b32_e32 v1, 20, v1
	s_delay_alu instid0(VALU_DEP_3) | instskip(NEXT) | instid1(VALU_DEP_1)
	v_lshl_add_u32 v5, v7, 23, 0x3b800000
	v_or3_b32 v1, v3, v5, v1
.LBB77_2074:
	s_or_b32 exec_lo, exec_lo, s18
.LBB77_2075:
	s_mov_b32 s17, -1
.LBB77_2076:
	s_mov_b32 s18, 0
.LBB77_2077:
	s_delay_alu instid0(SALU_CYCLE_1)
	s_and_b32 vcc_lo, exec_lo, s18
	s_cbranch_vccz .LBB77_2110
; %bb.2078:
	s_cmp_gt_i32 s14, 22
	s_cbranch_scc0 .LBB77_2088
; %bb.2079:
	s_cmp_lt_i32 s14, 24
	s_cbranch_scc1 .LBB77_2091
; %bb.2080:
	s_cmp_gt_i32 s14, 24
	s_cbranch_scc0 .LBB77_2092
; %bb.2081:
	global_load_u8 v3, v[20:21], off
	s_mov_b32 s17, exec_lo
	s_wait_loadcnt 0x0
	v_cmpx_lt_i16_e32 0x7f, v3
	s_xor_b32 s17, exec_lo, s17
	s_cbranch_execz .LBB77_2104
; %bb.2082:
	s_mov_b32 s16, -1
	s_mov_b32 s18, exec_lo
	v_cmpx_eq_u16_e32 0x80, v3
; %bb.2083:
	s_xor_b32 s16, exec_lo, -1
; %bb.2084:
	s_or_b32 exec_lo, exec_lo, s18
	s_delay_alu instid0(SALU_CYCLE_1)
	s_and_b32 s16, s16, exec_lo
	s_or_saveexec_b32 s17, s17
	v_mov_b32_e32 v1, 0x7f800001
	s_xor_b32 exec_lo, exec_lo, s17
	s_cbranch_execnz .LBB77_2105
.LBB77_2085:
	s_or_b32 exec_lo, exec_lo, s17
	s_and_saveexec_b32 s17, s16
	s_cbranch_execz .LBB77_2087
.LBB77_2086:
	v_and_b32_e32 v1, 0xffff, v3
	s_delay_alu instid0(VALU_DEP_1) | instskip(SKIP_1) | instid1(VALU_DEP_2)
	v_and_b32_e32 v5, 3, v1
	v_bfe_u32 v11, v1, 2, 5
	v_clz_i32_u32_e32 v7, v5
	s_delay_alu instid0(VALU_DEP_2) | instskip(NEXT) | instid1(VALU_DEP_2)
	v_cmp_eq_u32_e32 vcc_lo, 0, v11
	v_min_u32_e32 v7, 32, v7
	s_delay_alu instid0(VALU_DEP_1) | instskip(NEXT) | instid1(VALU_DEP_1)
	v_subrev_nc_u32_e32 v9, 29, v7
	v_dual_lshlrev_b32 v1, v9, v1 :: v_dual_sub_nc_u32 v7, 30, v7
	s_delay_alu instid0(VALU_DEP_1) | instskip(NEXT) | instid1(VALU_DEP_1)
	v_dual_lshlrev_b32 v3, 24, v3 :: v_dual_bitop2_b32 v1, 3, v1 bitop3:0x40
	v_dual_cndmask_b32 v1, v5, v1, vcc_lo :: v_dual_cndmask_b32 v7, v11, v7, vcc_lo
	s_delay_alu instid0(VALU_DEP_2) | instskip(NEXT) | instid1(VALU_DEP_2)
	v_and_b32_e32 v3, 0x80000000, v3
	v_lshlrev_b32_e32 v1, 21, v1
	s_delay_alu instid0(VALU_DEP_3) | instskip(NEXT) | instid1(VALU_DEP_1)
	v_lshl_add_u32 v5, v7, 23, 0x37800000
	v_or3_b32 v1, v3, v5, v1
.LBB77_2087:
	s_or_b32 exec_lo, exec_lo, s17
	s_mov_b32 s16, 0
	s_branch .LBB77_2093
.LBB77_2088:
	s_mov_b32 s16, -1
                                        ; implicit-def: $vgpr1
	s_branch .LBB77_2099
.LBB77_2089:
	s_or_saveexec_b32 s18, s18
	v_mov_b32_e32 v1, 0x7f800001
	s_xor_b32 exec_lo, exec_lo, s18
	s_cbranch_execz .LBB77_2072
.LBB77_2090:
	v_cmp_ne_u16_e32 vcc_lo, 0, v3
	v_mov_b32_e32 v1, 0
	s_and_not1_b32 s17, s17, exec_lo
	s_and_b32 s19, vcc_lo, exec_lo
	s_delay_alu instid0(SALU_CYCLE_1)
	s_or_b32 s17, s17, s19
	s_or_b32 exec_lo, exec_lo, s18
	s_and_saveexec_b32 s18, s17
	s_cbranch_execnz .LBB77_2073
	s_branch .LBB77_2074
.LBB77_2091:
	s_mov_b32 s16, -1
                                        ; implicit-def: $vgpr1
	s_branch .LBB77_2096
.LBB77_2092:
	s_mov_b32 s16, -1
                                        ; implicit-def: $vgpr1
.LBB77_2093:
	s_delay_alu instid0(SALU_CYCLE_1)
	s_and_b32 vcc_lo, exec_lo, s16
	s_cbranch_vccz .LBB77_2095
; %bb.2094:
	global_load_u8 v1, v[20:21], off
	s_wait_loadcnt 0x0
	v_lshlrev_b32_e32 v1, 24, v1
	s_delay_alu instid0(VALU_DEP_1) | instskip(NEXT) | instid1(VALU_DEP_1)
	v_and_b32_e32 v3, 0x7f000000, v1
	v_clz_i32_u32_e32 v5, v3
	v_add_nc_u32_e32 v9, 0x1000000, v3
	v_cmp_ne_u32_e32 vcc_lo, 0, v3
	s_delay_alu instid0(VALU_DEP_3) | instskip(NEXT) | instid1(VALU_DEP_1)
	v_min_u32_e32 v5, 32, v5
	v_sub_nc_u32_e64 v5, v5, 4 clamp
	s_delay_alu instid0(VALU_DEP_1) | instskip(NEXT) | instid1(VALU_DEP_1)
	v_dual_lshlrev_b32 v7, v5, v3 :: v_dual_lshlrev_b32 v5, 23, v5
	v_lshrrev_b32_e32 v7, 4, v7
	s_delay_alu instid0(VALU_DEP_1) | instskip(SKIP_1) | instid1(VALU_DEP_2)
	v_sub_nc_u32_e32 v5, v7, v5
	v_ashrrev_i32_e32 v7, 8, v9
	v_add_nc_u32_e32 v5, 0x3c000000, v5
	s_delay_alu instid0(VALU_DEP_1) | instskip(NEXT) | instid1(VALU_DEP_1)
	v_and_or_b32 v5, 0x7f800000, v7, v5
	v_cndmask_b32_e32 v3, 0, v5, vcc_lo
	s_delay_alu instid0(VALU_DEP_1)
	v_and_or_b32 v1, 0x80000000, v1, v3
.LBB77_2095:
	s_mov_b32 s16, 0
.LBB77_2096:
	s_delay_alu instid0(SALU_CYCLE_1)
	s_and_not1_b32 vcc_lo, exec_lo, s16
	s_cbranch_vccnz .LBB77_2098
; %bb.2097:
	global_load_u8 v1, v[20:21], off
	s_wait_loadcnt 0x0
	v_lshlrev_b32_e32 v3, 25, v1
	v_lshlrev_b16 v1, 8, v1
	s_delay_alu instid0(VALU_DEP_1) | instskip(SKIP_1) | instid1(VALU_DEP_2)
	v_and_or_b32 v7, 0x7f00, v1, 0.5
	v_bfe_i32 v1, v1, 0, 16
	v_add_f32_e32 v7, -0.5, v7
	v_lshrrev_b32_e32 v5, 4, v3
	v_cmp_gt_u32_e32 vcc_lo, 0x8000000, v3
	s_delay_alu instid0(VALU_DEP_2) | instskip(NEXT) | instid1(VALU_DEP_1)
	v_or_b32_e32 v5, 0x70000000, v5
	v_mul_f32_e32 v5, 0x7800000, v5
	s_delay_alu instid0(VALU_DEP_1) | instskip(NEXT) | instid1(VALU_DEP_1)
	v_cndmask_b32_e32 v3, v5, v7, vcc_lo
	v_and_or_b32 v1, 0x80000000, v1, v3
.LBB77_2098:
	s_mov_b32 s16, 0
	s_mov_b32 s17, -1
.LBB77_2099:
	s_and_not1_b32 vcc_lo, exec_lo, s16
	s_mov_b32 s16, 0
	s_cbranch_vccnz .LBB77_2110
; %bb.2100:
	s_cmp_gt_i32 s14, 14
	s_cbranch_scc0 .LBB77_2103
; %bb.2101:
	s_cmp_eq_u32 s14, 15
	s_cbranch_scc0 .LBB77_2106
; %bb.2102:
	global_load_u16 v1, v[20:21], off
	s_mov_b32 s15, 0
	s_mov_b32 s17, -1
	s_wait_loadcnt 0x0
	v_lshlrev_b32_e32 v1, 16, v1
	s_branch .LBB77_2108
.LBB77_2103:
	s_mov_b32 s16, -1
	s_branch .LBB77_2107
.LBB77_2104:
	s_or_saveexec_b32 s17, s17
	v_mov_b32_e32 v1, 0x7f800001
	s_xor_b32 exec_lo, exec_lo, s17
	s_cbranch_execz .LBB77_2085
.LBB77_2105:
	v_cmp_ne_u16_e32 vcc_lo, 0, v3
	v_mov_b32_e32 v1, 0
	s_and_not1_b32 s16, s16, exec_lo
	s_and_b32 s18, vcc_lo, exec_lo
	s_delay_alu instid0(SALU_CYCLE_1)
	s_or_b32 s16, s16, s18
	s_or_b32 exec_lo, exec_lo, s17
	s_and_saveexec_b32 s17, s16
	s_cbranch_execnz .LBB77_2086
	s_branch .LBB77_2087
.LBB77_2106:
	s_mov_b32 s15, -1
.LBB77_2107:
                                        ; implicit-def: $vgpr1
.LBB77_2108:
	s_and_b32 vcc_lo, exec_lo, s16
	s_mov_b32 s16, 0
	s_cbranch_vccz .LBB77_2110
; %bb.2109:
	s_cmp_lg_u32 s14, 11
	s_mov_b32 s16, -1
	s_cselect_b32 s15, -1, 0
.LBB77_2110:
	s_delay_alu instid0(SALU_CYCLE_1)
	s_and_b32 vcc_lo, exec_lo, s15
	s_cbranch_vccnz .LBB77_2177
; %bb.2111:
	s_and_not1_b32 vcc_lo, exec_lo, s16
	s_cbranch_vccnz .LBB77_2113
.LBB77_2112:
	global_load_u8 v1, v[20:21], off
	s_mov_b32 s17, -1
	s_wait_loadcnt 0x0
	v_cmp_ne_u16_e32 vcc_lo, 0, v1
	v_cndmask_b32_e64 v1, 0, 1.0, vcc_lo
.LBB77_2113:
	s_mov_b32 s15, 0
.LBB77_2114:
	s_delay_alu instid0(SALU_CYCLE_1)
	s_and_b32 vcc_lo, exec_lo, s15
	s_cbranch_vccz .LBB77_2163
; %bb.2115:
	s_cmp_lt_i32 s14, 5
	s_cbranch_scc1 .LBB77_2120
; %bb.2116:
	s_cmp_lt_i32 s14, 8
	s_cbranch_scc1 .LBB77_2121
	;; [unrolled: 3-line block ×3, first 2 shown]
; %bb.2118:
	s_cmp_gt_i32 s14, 9
	s_cbranch_scc0 .LBB77_2123
; %bb.2119:
	global_load_b64 v[22:23], v[20:21], off
	s_mov_b32 s15, 0
	s_wait_loadcnt 0x0
	v_cvt_f32_f64_e32 v1, v[22:23]
	s_branch .LBB77_2124
.LBB77_2120:
	s_mov_b32 s15, -1
                                        ; implicit-def: $vgpr1
	s_branch .LBB77_2142
.LBB77_2121:
	s_mov_b32 s15, -1
                                        ; implicit-def: $vgpr1
	s_branch .LBB77_2130
.LBB77_2122:
	s_mov_b32 s15, -1
                                        ; implicit-def: $vgpr1
	s_branch .LBB77_2127
.LBB77_2123:
	s_mov_b32 s15, -1
                                        ; implicit-def: $vgpr1
.LBB77_2124:
	s_delay_alu instid0(SALU_CYCLE_1)
	s_and_not1_b32 vcc_lo, exec_lo, s15
	s_cbranch_vccnz .LBB77_2126
; %bb.2125:
	global_load_b32 v1, v[20:21], off
.LBB77_2126:
	s_mov_b32 s15, 0
.LBB77_2127:
	s_delay_alu instid0(SALU_CYCLE_1)
	s_and_not1_b32 vcc_lo, exec_lo, s15
	s_cbranch_vccnz .LBB77_2129
; %bb.2128:
	s_wait_loadcnt 0x0
	global_load_b32 v1, v[20:21], off
	s_wait_loadcnt 0x0
	v_cvt_f32_f16_e32 v1, v1
.LBB77_2129:
	s_mov_b32 s15, 0
.LBB77_2130:
	s_delay_alu instid0(SALU_CYCLE_1)
	s_and_not1_b32 vcc_lo, exec_lo, s15
	s_cbranch_vccnz .LBB77_2141
; %bb.2131:
	s_cmp_lt_i32 s14, 6
	s_cbranch_scc1 .LBB77_2134
; %bb.2132:
	s_cmp_gt_i32 s14, 6
	s_cbranch_scc0 .LBB77_2135
; %bb.2133:
	global_load_b64 v[22:23], v[20:21], off
	s_mov_b32 s15, 0
	s_wait_loadcnt 0x0
	v_cvt_f32_f64_e32 v1, v[22:23]
	s_branch .LBB77_2136
.LBB77_2134:
	s_mov_b32 s15, -1
                                        ; implicit-def: $vgpr1
	s_branch .LBB77_2139
.LBB77_2135:
	s_mov_b32 s15, -1
                                        ; implicit-def: $vgpr1
.LBB77_2136:
	s_delay_alu instid0(SALU_CYCLE_1)
	s_and_not1_b32 vcc_lo, exec_lo, s15
	s_cbranch_vccnz .LBB77_2138
; %bb.2137:
	s_wait_loadcnt 0x0
	global_load_b32 v1, v[20:21], off
.LBB77_2138:
	s_mov_b32 s15, 0
.LBB77_2139:
	s_delay_alu instid0(SALU_CYCLE_1)
	s_and_not1_b32 vcc_lo, exec_lo, s15
	s_cbranch_vccnz .LBB77_2141
; %bb.2140:
	s_wait_loadcnt 0x0
	global_load_u16 v1, v[20:21], off
	s_wait_loadcnt 0x0
	v_cvt_f32_f16_e32 v1, v1
.LBB77_2141:
	s_mov_b32 s15, 0
.LBB77_2142:
	s_delay_alu instid0(SALU_CYCLE_1)
	s_and_not1_b32 vcc_lo, exec_lo, s15
	s_cbranch_vccnz .LBB77_2162
; %bb.2143:
	s_cmp_lt_i32 s14, 2
	s_cbranch_scc1 .LBB77_2147
; %bb.2144:
	s_cmp_lt_i32 s14, 3
	s_cbranch_scc1 .LBB77_2148
; %bb.2145:
	s_cmp_gt_i32 s14, 3
	s_cbranch_scc0 .LBB77_2149
; %bb.2146:
	global_load_b64 v[22:23], v[20:21], off
	s_mov_b32 s15, 0
	s_wait_loadcnt 0x0
	v_xor_b32_e32 v1, v22, v23
	v_cls_i32_e32 v3, v23
	s_delay_alu instid0(VALU_DEP_2) | instskip(NEXT) | instid1(VALU_DEP_1)
	v_ashrrev_i32_e32 v1, 31, v1
	v_add_nc_u32_e32 v1, 32, v1
	s_delay_alu instid0(VALU_DEP_1) | instskip(NEXT) | instid1(VALU_DEP_1)
	v_add_min_u32_e64 v1, v3, -1, v1
	v_lshlrev_b64_e32 v[22:23], v1, v[22:23]
	v_sub_nc_u32_e32 v1, 32, v1
	s_delay_alu instid0(VALU_DEP_2) | instskip(NEXT) | instid1(VALU_DEP_1)
	v_min_u32_e32 v3, 1, v22
	v_or_b32_e32 v3, v23, v3
	s_delay_alu instid0(VALU_DEP_1) | instskip(NEXT) | instid1(VALU_DEP_1)
	v_cvt_f32_i32_e32 v3, v3
	v_ldexp_f32 v1, v3, v1
	s_branch .LBB77_2150
.LBB77_2147:
	s_mov_b32 s15, -1
                                        ; implicit-def: $vgpr1
	s_branch .LBB77_2156
.LBB77_2148:
	s_mov_b32 s15, -1
                                        ; implicit-def: $vgpr1
	s_branch .LBB77_2153
.LBB77_2149:
	s_mov_b32 s15, -1
                                        ; implicit-def: $vgpr1
.LBB77_2150:
	s_delay_alu instid0(SALU_CYCLE_1)
	s_and_not1_b32 vcc_lo, exec_lo, s15
	s_cbranch_vccnz .LBB77_2152
; %bb.2151:
	s_wait_loadcnt 0x0
	global_load_b32 v1, v[20:21], off
	s_wait_loadcnt 0x0
	v_cvt_f32_i32_e32 v1, v1
.LBB77_2152:
	s_mov_b32 s15, 0
.LBB77_2153:
	s_delay_alu instid0(SALU_CYCLE_1)
	s_and_not1_b32 vcc_lo, exec_lo, s15
	s_cbranch_vccnz .LBB77_2155
; %bb.2154:
	s_wait_loadcnt 0x0
	global_load_i16 v1, v[20:21], off
	s_wait_loadcnt 0x0
	v_cvt_f32_i32_e32 v1, v1
.LBB77_2155:
	s_mov_b32 s15, 0
.LBB77_2156:
	s_delay_alu instid0(SALU_CYCLE_1)
	s_and_not1_b32 vcc_lo, exec_lo, s15
	s_cbranch_vccnz .LBB77_2162
; %bb.2157:
	s_cmp_gt_i32 s14, 0
	s_mov_b32 s15, 0
	s_cbranch_scc0 .LBB77_2159
; %bb.2158:
	s_wait_loadcnt 0x0
	global_load_i8 v1, v[20:21], off
	s_wait_loadcnt 0x0
	v_cvt_f32_i32_e32 v1, v1
	s_branch .LBB77_2160
.LBB77_2159:
	s_mov_b32 s15, -1
                                        ; implicit-def: $vgpr1
.LBB77_2160:
	s_delay_alu instid0(SALU_CYCLE_1)
	s_and_not1_b32 vcc_lo, exec_lo, s15
	s_cbranch_vccnz .LBB77_2162
; %bb.2161:
	s_wait_loadcnt 0x0
	global_load_u8 v1, v[20:21], off
	s_wait_loadcnt 0x0
	v_cvt_f32_ubyte0_e32 v1, v1
.LBB77_2162:
	s_mov_b32 s17, -1
.LBB77_2163:
	s_delay_alu instid0(SALU_CYCLE_1)
	s_and_not1_b32 vcc_lo, exec_lo, s17
	s_cbranch_vccnz .LBB77_2774
; %bb.2164:
	s_wait_loadcnt 0x0
	s_delay_alu instid0(VALU_DEP_1) | instskip(SKIP_2) | instid1(VALU_DEP_1)
	v_mul_f32_e32 v1, s8, v1
	s_mov_b32 s15, exec_lo
	s_wait_xcnt 0x0
	v_cmpx_nlt_f32_e32 s9, v1
	s_cbranch_execz .LBB77_2166
; %bb.2165:
	v_mul_f32_e32 v3, 0x3fb8aa3b, v1
	v_cmp_ngt_f32_e32 vcc_lo, 0xc2ce8ed0, v1
	s_delay_alu instid0(VALU_DEP_2) | instskip(SKIP_1) | instid1(VALU_DEP_2)
	v_rndne_f32_e32 v5, v3
	v_fma_f32 v7, 0x3fb8aa3b, v1, -v3
	v_sub_f32_e32 v3, v3, v5
	s_delay_alu instid0(VALU_DEP_2) | instskip(SKIP_1) | instid1(VALU_DEP_2)
	v_fmamk_f32 v7, v1, 0x32a5705f, v7
	v_cvt_i32_f32_e32 v5, v5
	v_add_f32_e32 v3, v3, v7
	s_delay_alu instid0(VALU_DEP_1) | instskip(SKIP_1) | instid1(TRANS32_DEP_1)
	v_exp_f32_e32 v3, v3
	v_nop
	v_ldexp_f32 v3, v3, v5
	s_delay_alu instid0(VALU_DEP_1) | instskip(SKIP_1) | instid1(VALU_DEP_2)
	v_cndmask_b32_e32 v3, 0, v3, vcc_lo
	v_cmp_nlt_f32_e32 vcc_lo, 0x42b17218, v1
	v_cndmask_b32_e32 v1, 0x7f800000, v3, vcc_lo
	s_delay_alu instid0(VALU_DEP_1) | instskip(NEXT) | instid1(VALU_DEP_1)
	v_dual_mul_f32 v3, v10, v1 :: v_dual_add_f32 v1, 1.0, v1
	v_div_scale_f32 v5, null, v1, v1, v3
	s_delay_alu instid0(VALU_DEP_1) | instskip(SKIP_1) | instid1(TRANS32_DEP_1)
	v_rcp_f32_e32 v7, v5
	v_nop
	v_fma_f32 v9, -v5, v7, 1.0
	s_delay_alu instid0(VALU_DEP_1) | instskip(SKIP_1) | instid1(VALU_DEP_1)
	v_fmac_f32_e32 v7, v9, v7
	v_div_scale_f32 v9, vcc_lo, v3, v1, v3
	v_mul_f32_e32 v10, v9, v7
	s_delay_alu instid0(VALU_DEP_1) | instskip(NEXT) | instid1(VALU_DEP_1)
	v_fma_f32 v11, -v5, v10, v9
	v_fmac_f32_e32 v10, v11, v7
	s_delay_alu instid0(VALU_DEP_1) | instskip(NEXT) | instid1(VALU_DEP_1)
	v_fma_f32 v5, -v5, v10, v9
	v_div_fmas_f32 v5, v5, v7, v10
	s_delay_alu instid0(VALU_DEP_1)
	v_div_fixup_f32 v10, v5, v1, v3
.LBB77_2166:
	s_or_b32 exec_lo, exec_lo, s15
	v_mov_b32_e32 v15, 0
	s_cmp_lt_i32 s13, 11
	s_delay_alu instid0(VALU_DEP_1)
	v_add_nc_u64_e32 v[20:21], s[6:7], v[14:15]
	s_cbranch_scc1 .LBB77_2173
; %bb.2167:
	s_cmp_gt_i32 s13, 25
	s_mov_b32 s16, 0
	s_cbranch_scc0 .LBB77_2174
; %bb.2168:
	s_cmp_gt_i32 s13, 28
	s_cbranch_scc0 .LBB77_2175
; %bb.2169:
	s_cmp_gt_i32 s13, 43
	;; [unrolled: 3-line block ×3, first 2 shown]
	s_cbranch_scc0 .LBB77_2178
; %bb.2171:
	s_cmp_eq_u32 s13, 46
	s_mov_b32 s18, 0
	s_cbranch_scc0 .LBB77_2179
; %bb.2172:
	global_load_b32 v1, v[20:21], off
	s_mov_b32 s15, 0
	s_mov_b32 s17, -1
	s_wait_loadcnt 0x0
	v_lshlrev_b32_e32 v14, 16, v1
	s_branch .LBB77_2181
.LBB77_2173:
	s_mov_b32 s15, -1
	s_mov_b32 s17, 0
                                        ; implicit-def: $vgpr14
	s_branch .LBB77_2247
.LBB77_2174:
	s_mov_b32 s18, -1
	s_mov_b32 s17, 0
	s_mov_b32 s15, 0
                                        ; implicit-def: $vgpr14
	s_branch .LBB77_2210
.LBB77_2175:
	s_mov_b32 s18, -1
	s_mov_b32 s17, 0
	s_mov_b32 s15, 0
                                        ; implicit-def: $vgpr14
	s_branch .LBB77_2191
.LBB77_2176:
	s_mov_b32 s18, -1
	s_mov_b32 s17, 0
	s_mov_b32 s15, 0
                                        ; implicit-def: $vgpr14
	s_branch .LBB77_2186
.LBB77_2177:
	s_or_b32 s12, s12, exec_lo
	s_trap 2
	s_cbranch_execz .LBB77_2112
	s_branch .LBB77_2113
.LBB77_2178:
	s_mov_b32 s18, -1
	s_mov_b32 s17, 0
	s_mov_b32 s15, 0
	s_branch .LBB77_2180
.LBB77_2179:
	s_mov_b32 s15, -1
	s_mov_b32 s17, 0
.LBB77_2180:
                                        ; implicit-def: $vgpr14
.LBB77_2181:
	s_and_b32 vcc_lo, exec_lo, s18
	s_cbranch_vccz .LBB77_2185
; %bb.2182:
	s_cmp_eq_u32 s13, 44
	s_cbranch_scc0 .LBB77_2184
; %bb.2183:
	global_load_u8 v1, v[20:21], off
	s_mov_b32 s15, 0
	s_mov_b32 s17, -1
	s_wait_loadcnt 0x0
	v_lshlrev_b32_e32 v3, 23, v1
	v_cmp_ne_u32_e32 vcc_lo, 0xff, v1
	s_delay_alu instid0(VALU_DEP_2) | instskip(SKIP_1) | instid1(VALU_DEP_2)
	v_cndmask_b32_e32 v3, 0x7f800001, v3, vcc_lo
	v_cmp_ne_u32_e32 vcc_lo, 0, v1
	v_cndmask_b32_e32 v14, 0x400000, v3, vcc_lo
	s_branch .LBB77_2185
.LBB77_2184:
	s_mov_b32 s15, -1
                                        ; implicit-def: $vgpr14
.LBB77_2185:
	s_mov_b32 s18, 0
.LBB77_2186:
	s_delay_alu instid0(SALU_CYCLE_1)
	s_and_b32 vcc_lo, exec_lo, s18
	s_cbranch_vccz .LBB77_2190
; %bb.2187:
	s_cmp_eq_u32 s13, 29
	s_cbranch_scc0 .LBB77_2189
; %bb.2188:
	global_load_b64 v[14:15], v[20:21], off
	s_mov_b32 s15, 0
	s_mov_b32 s17, -1
	s_mov_b32 s18, 0
	s_wait_loadcnt 0x0
	v_clz_i32_u32_e32 v1, v15
	s_delay_alu instid0(VALU_DEP_1) | instskip(NEXT) | instid1(VALU_DEP_1)
	v_min_u32_e32 v1, 32, v1
	v_lshlrev_b64_e32 v[14:15], v1, v[14:15]
	v_sub_nc_u32_e32 v1, 32, v1
	s_delay_alu instid0(VALU_DEP_2) | instskip(NEXT) | instid1(VALU_DEP_1)
	v_min_u32_e32 v3, 1, v14
	v_or_b32_e32 v3, v15, v3
	s_delay_alu instid0(VALU_DEP_1) | instskip(NEXT) | instid1(VALU_DEP_1)
	v_cvt_f32_u32_e32 v3, v3
	v_ldexp_f32 v14, v3, v1
	s_branch .LBB77_2191
.LBB77_2189:
	s_mov_b32 s15, -1
                                        ; implicit-def: $vgpr14
.LBB77_2190:
	s_mov_b32 s18, 0
.LBB77_2191:
	s_delay_alu instid0(SALU_CYCLE_1)
	s_and_b32 vcc_lo, exec_lo, s18
	s_cbranch_vccz .LBB77_2209
; %bb.2192:
	s_cmp_lt_i32 s13, 27
	s_cbranch_scc1 .LBB77_2195
; %bb.2193:
	s_cmp_gt_i32 s13, 27
	s_cbranch_scc0 .LBB77_2196
; %bb.2194:
	global_load_b32 v1, v[20:21], off
	s_mov_b32 s17, 0
	s_wait_loadcnt 0x0
	v_cvt_f32_u32_e32 v14, v1
	s_branch .LBB77_2197
.LBB77_2195:
	s_mov_b32 s17, -1
                                        ; implicit-def: $vgpr14
	s_branch .LBB77_2200
.LBB77_2196:
	s_mov_b32 s17, -1
                                        ; implicit-def: $vgpr14
.LBB77_2197:
	s_delay_alu instid0(SALU_CYCLE_1)
	s_and_not1_b32 vcc_lo, exec_lo, s17
	s_cbranch_vccnz .LBB77_2199
; %bb.2198:
	global_load_u16 v1, v[20:21], off
	s_wait_loadcnt 0x0
	v_cvt_f32_u32_e32 v14, v1
.LBB77_2199:
	s_mov_b32 s17, 0
.LBB77_2200:
	s_delay_alu instid0(SALU_CYCLE_1)
	s_and_not1_b32 vcc_lo, exec_lo, s17
	s_cbranch_vccnz .LBB77_2208
; %bb.2201:
	global_load_u8 v1, v[20:21], off
	s_mov_b32 s17, 0
	s_mov_b32 s18, exec_lo
	s_wait_loadcnt 0x0
	v_cmpx_lt_i16_e32 0x7f, v1
	s_xor_b32 s18, exec_lo, s18
	s_cbranch_execz .LBB77_2222
; %bb.2202:
	s_mov_b32 s17, -1
	s_mov_b32 s19, exec_lo
	v_cmpx_eq_u16_e32 0x80, v1
; %bb.2203:
	s_xor_b32 s17, exec_lo, -1
; %bb.2204:
	s_or_b32 exec_lo, exec_lo, s19
	s_delay_alu instid0(SALU_CYCLE_1)
	s_and_b32 s17, s17, exec_lo
	s_or_saveexec_b32 s18, s18
	v_mov_b32_e32 v14, 0x7f800001
	s_xor_b32 exec_lo, exec_lo, s18
	s_cbranch_execnz .LBB77_2223
.LBB77_2205:
	s_or_b32 exec_lo, exec_lo, s18
	s_and_saveexec_b32 s18, s17
	s_cbranch_execz .LBB77_2207
.LBB77_2206:
	v_and_b32_e32 v3, 0xffff, v1
	s_delay_alu instid0(VALU_DEP_1) | instskip(SKIP_1) | instid1(VALU_DEP_2)
	v_dual_lshlrev_b32 v1, 24, v1 :: v_dual_bitop2_b32 v5, 7, v3 bitop3:0x40
	v_bfe_u32 v11, v3, 3, 4
	v_and_b32_e32 v1, 0x80000000, v1
	s_delay_alu instid0(VALU_DEP_3) | instskip(NEXT) | instid1(VALU_DEP_3)
	v_clz_i32_u32_e32 v7, v5
	v_cmp_eq_u32_e32 vcc_lo, 0, v11
	s_delay_alu instid0(VALU_DEP_2) | instskip(NEXT) | instid1(VALU_DEP_1)
	v_min_u32_e32 v7, 32, v7
	v_subrev_nc_u32_e32 v9, 28, v7
	v_sub_nc_u32_e32 v7, 29, v7
	s_delay_alu instid0(VALU_DEP_2) | instskip(NEXT) | instid1(VALU_DEP_2)
	v_lshlrev_b32_e32 v3, v9, v3
	v_cndmask_b32_e32 v7, v11, v7, vcc_lo
	s_delay_alu instid0(VALU_DEP_2) | instskip(NEXT) | instid1(VALU_DEP_1)
	v_and_b32_e32 v3, 7, v3
	v_cndmask_b32_e32 v3, v5, v3, vcc_lo
	s_delay_alu instid0(VALU_DEP_3) | instskip(NEXT) | instid1(VALU_DEP_2)
	v_lshl_add_u32 v5, v7, 23, 0x3b800000
	v_lshlrev_b32_e32 v3, 20, v3
	s_delay_alu instid0(VALU_DEP_1)
	v_or3_b32 v14, v1, v5, v3
.LBB77_2207:
	s_or_b32 exec_lo, exec_lo, s18
.LBB77_2208:
	s_mov_b32 s17, -1
.LBB77_2209:
	s_mov_b32 s18, 0
.LBB77_2210:
	s_delay_alu instid0(SALU_CYCLE_1)
	s_and_b32 vcc_lo, exec_lo, s18
	s_cbranch_vccz .LBB77_2243
; %bb.2211:
	s_cmp_gt_i32 s13, 22
	s_cbranch_scc0 .LBB77_2221
; %bb.2212:
	s_cmp_lt_i32 s13, 24
	s_cbranch_scc1 .LBB77_2224
; %bb.2213:
	s_cmp_gt_i32 s13, 24
	s_cbranch_scc0 .LBB77_2225
; %bb.2214:
	global_load_u8 v1, v[20:21], off
	s_mov_b32 s17, exec_lo
	s_wait_loadcnt 0x0
	v_cmpx_lt_i16_e32 0x7f, v1
	s_xor_b32 s17, exec_lo, s17
	s_cbranch_execz .LBB77_2237
; %bb.2215:
	s_mov_b32 s16, -1
	s_mov_b32 s18, exec_lo
	v_cmpx_eq_u16_e32 0x80, v1
; %bb.2216:
	s_xor_b32 s16, exec_lo, -1
; %bb.2217:
	s_or_b32 exec_lo, exec_lo, s18
	s_delay_alu instid0(SALU_CYCLE_1)
	s_and_b32 s16, s16, exec_lo
	s_or_saveexec_b32 s17, s17
	v_mov_b32_e32 v14, 0x7f800001
	s_xor_b32 exec_lo, exec_lo, s17
	s_cbranch_execnz .LBB77_2238
.LBB77_2218:
	s_or_b32 exec_lo, exec_lo, s17
	s_and_saveexec_b32 s17, s16
	s_cbranch_execz .LBB77_2220
.LBB77_2219:
	v_and_b32_e32 v3, 0xffff, v1
	s_delay_alu instid0(VALU_DEP_1) | instskip(SKIP_1) | instid1(VALU_DEP_2)
	v_dual_lshlrev_b32 v1, 24, v1 :: v_dual_bitop2_b32 v5, 3, v3 bitop3:0x40
	v_bfe_u32 v11, v3, 2, 5
	v_and_b32_e32 v1, 0x80000000, v1
	s_delay_alu instid0(VALU_DEP_3) | instskip(NEXT) | instid1(VALU_DEP_3)
	v_clz_i32_u32_e32 v7, v5
	v_cmp_eq_u32_e32 vcc_lo, 0, v11
	s_delay_alu instid0(VALU_DEP_2) | instskip(NEXT) | instid1(VALU_DEP_1)
	v_min_u32_e32 v7, 32, v7
	v_subrev_nc_u32_e32 v9, 29, v7
	v_sub_nc_u32_e32 v7, 30, v7
	s_delay_alu instid0(VALU_DEP_2) | instskip(NEXT) | instid1(VALU_DEP_2)
	v_lshlrev_b32_e32 v3, v9, v3
	v_cndmask_b32_e32 v7, v11, v7, vcc_lo
	s_delay_alu instid0(VALU_DEP_2) | instskip(NEXT) | instid1(VALU_DEP_1)
	v_and_b32_e32 v3, 3, v3
	v_cndmask_b32_e32 v3, v5, v3, vcc_lo
	s_delay_alu instid0(VALU_DEP_3) | instskip(NEXT) | instid1(VALU_DEP_2)
	v_lshl_add_u32 v5, v7, 23, 0x37800000
	v_lshlrev_b32_e32 v3, 21, v3
	s_delay_alu instid0(VALU_DEP_1)
	v_or3_b32 v14, v1, v5, v3
.LBB77_2220:
	s_or_b32 exec_lo, exec_lo, s17
	s_mov_b32 s16, 0
	s_branch .LBB77_2226
.LBB77_2221:
	s_mov_b32 s16, -1
                                        ; implicit-def: $vgpr14
	s_branch .LBB77_2232
.LBB77_2222:
	s_or_saveexec_b32 s18, s18
	v_mov_b32_e32 v14, 0x7f800001
	s_xor_b32 exec_lo, exec_lo, s18
	s_cbranch_execz .LBB77_2205
.LBB77_2223:
	v_cmp_ne_u16_e32 vcc_lo, 0, v1
	v_mov_b32_e32 v14, 0
	s_and_not1_b32 s17, s17, exec_lo
	s_and_b32 s19, vcc_lo, exec_lo
	s_delay_alu instid0(SALU_CYCLE_1)
	s_or_b32 s17, s17, s19
	s_or_b32 exec_lo, exec_lo, s18
	s_and_saveexec_b32 s18, s17
	s_cbranch_execnz .LBB77_2206
	s_branch .LBB77_2207
.LBB77_2224:
	s_mov_b32 s16, -1
                                        ; implicit-def: $vgpr14
	s_branch .LBB77_2229
.LBB77_2225:
	s_mov_b32 s16, -1
                                        ; implicit-def: $vgpr14
.LBB77_2226:
	s_delay_alu instid0(SALU_CYCLE_1)
	s_and_b32 vcc_lo, exec_lo, s16
	s_cbranch_vccz .LBB77_2228
; %bb.2227:
	global_load_u8 v1, v[20:21], off
	s_wait_loadcnt 0x0
	v_lshlrev_b32_e32 v1, 24, v1
	s_delay_alu instid0(VALU_DEP_1) | instskip(NEXT) | instid1(VALU_DEP_1)
	v_and_b32_e32 v3, 0x7f000000, v1
	v_clz_i32_u32_e32 v5, v3
	v_add_nc_u32_e32 v9, 0x1000000, v3
	v_cmp_ne_u32_e32 vcc_lo, 0, v3
	s_delay_alu instid0(VALU_DEP_3) | instskip(NEXT) | instid1(VALU_DEP_1)
	v_min_u32_e32 v5, 32, v5
	v_sub_nc_u32_e64 v5, v5, 4 clamp
	s_delay_alu instid0(VALU_DEP_1) | instskip(NEXT) | instid1(VALU_DEP_1)
	v_dual_lshlrev_b32 v7, v5, v3 :: v_dual_lshlrev_b32 v5, 23, v5
	v_lshrrev_b32_e32 v7, 4, v7
	s_delay_alu instid0(VALU_DEP_1) | instskip(SKIP_1) | instid1(VALU_DEP_2)
	v_sub_nc_u32_e32 v5, v7, v5
	v_ashrrev_i32_e32 v7, 8, v9
	v_add_nc_u32_e32 v5, 0x3c000000, v5
	s_delay_alu instid0(VALU_DEP_1) | instskip(NEXT) | instid1(VALU_DEP_1)
	v_and_or_b32 v5, 0x7f800000, v7, v5
	v_cndmask_b32_e32 v3, 0, v5, vcc_lo
	s_delay_alu instid0(VALU_DEP_1)
	v_and_or_b32 v14, 0x80000000, v1, v3
.LBB77_2228:
	s_mov_b32 s16, 0
.LBB77_2229:
	s_delay_alu instid0(SALU_CYCLE_1)
	s_and_not1_b32 vcc_lo, exec_lo, s16
	s_cbranch_vccnz .LBB77_2231
; %bb.2230:
	global_load_u8 v1, v[20:21], off
	s_wait_loadcnt 0x0
	v_lshlrev_b32_e32 v3, 25, v1
	v_lshlrev_b16 v1, 8, v1
	s_delay_alu instid0(VALU_DEP_1) | instskip(SKIP_1) | instid1(VALU_DEP_2)
	v_and_or_b32 v7, 0x7f00, v1, 0.5
	v_bfe_i32 v1, v1, 0, 16
	v_add_f32_e32 v7, -0.5, v7
	v_lshrrev_b32_e32 v5, 4, v3
	v_cmp_gt_u32_e32 vcc_lo, 0x8000000, v3
	s_delay_alu instid0(VALU_DEP_2) | instskip(NEXT) | instid1(VALU_DEP_1)
	v_or_b32_e32 v5, 0x70000000, v5
	v_mul_f32_e32 v5, 0x7800000, v5
	s_delay_alu instid0(VALU_DEP_1) | instskip(NEXT) | instid1(VALU_DEP_1)
	v_cndmask_b32_e32 v3, v5, v7, vcc_lo
	v_and_or_b32 v14, 0x80000000, v1, v3
.LBB77_2231:
	s_mov_b32 s16, 0
	s_mov_b32 s17, -1
.LBB77_2232:
	s_and_not1_b32 vcc_lo, exec_lo, s16
	s_mov_b32 s16, 0
	s_cbranch_vccnz .LBB77_2243
; %bb.2233:
	s_cmp_gt_i32 s13, 14
	s_cbranch_scc0 .LBB77_2236
; %bb.2234:
	s_cmp_eq_u32 s13, 15
	s_cbranch_scc0 .LBB77_2239
; %bb.2235:
	global_load_u16 v1, v[20:21], off
	s_mov_b32 s15, 0
	s_mov_b32 s17, -1
	s_wait_loadcnt 0x0
	v_lshlrev_b32_e32 v14, 16, v1
	s_branch .LBB77_2241
.LBB77_2236:
	s_mov_b32 s16, -1
	s_branch .LBB77_2240
.LBB77_2237:
	s_or_saveexec_b32 s17, s17
	v_mov_b32_e32 v14, 0x7f800001
	s_xor_b32 exec_lo, exec_lo, s17
	s_cbranch_execz .LBB77_2218
.LBB77_2238:
	v_cmp_ne_u16_e32 vcc_lo, 0, v1
	v_mov_b32_e32 v14, 0
	s_and_not1_b32 s16, s16, exec_lo
	s_and_b32 s18, vcc_lo, exec_lo
	s_delay_alu instid0(SALU_CYCLE_1)
	s_or_b32 s16, s16, s18
	s_or_b32 exec_lo, exec_lo, s17
	s_and_saveexec_b32 s17, s16
	s_cbranch_execnz .LBB77_2219
	s_branch .LBB77_2220
.LBB77_2239:
	s_mov_b32 s15, -1
.LBB77_2240:
                                        ; implicit-def: $vgpr14
.LBB77_2241:
	s_and_b32 vcc_lo, exec_lo, s16
	s_mov_b32 s16, 0
	s_cbranch_vccz .LBB77_2243
; %bb.2242:
	s_cmp_lg_u32 s13, 11
	s_mov_b32 s16, -1
	s_cselect_b32 s15, -1, 0
.LBB77_2243:
	s_delay_alu instid0(SALU_CYCLE_1)
	s_and_b32 vcc_lo, exec_lo, s15
	s_cbranch_vccnz .LBB77_2308
; %bb.2244:
	s_and_not1_b32 vcc_lo, exec_lo, s16
	s_cbranch_vccnz .LBB77_2246
.LBB77_2245:
	global_load_u8 v1, v[20:21], off
	s_mov_b32 s17, -1
	s_wait_loadcnt 0x0
	v_cmp_ne_u16_e32 vcc_lo, 0, v1
	v_cndmask_b32_e64 v14, 0, 1.0, vcc_lo
.LBB77_2246:
	s_mov_b32 s15, 0
.LBB77_2247:
	s_delay_alu instid0(SALU_CYCLE_1)
	s_and_b32 vcc_lo, exec_lo, s15
	s_cbranch_vccz .LBB77_2296
; %bb.2248:
	s_cmp_lt_i32 s13, 5
	s_cbranch_scc1 .LBB77_2253
; %bb.2249:
	s_cmp_lt_i32 s13, 8
	s_cbranch_scc1 .LBB77_2254
	;; [unrolled: 3-line block ×3, first 2 shown]
; %bb.2251:
	s_cmp_gt_i32 s13, 9
	s_cbranch_scc0 .LBB77_2256
; %bb.2252:
	global_load_b64 v[14:15], v[20:21], off
	s_mov_b32 s15, 0
	s_wait_loadcnt 0x0
	v_cvt_f32_f64_e32 v14, v[14:15]
	s_branch .LBB77_2257
.LBB77_2253:
	s_mov_b32 s15, -1
                                        ; implicit-def: $vgpr14
	s_branch .LBB77_2275
.LBB77_2254:
	s_mov_b32 s15, -1
                                        ; implicit-def: $vgpr14
	s_branch .LBB77_2263
.LBB77_2255:
	s_mov_b32 s15, -1
                                        ; implicit-def: $vgpr14
	s_branch .LBB77_2260
.LBB77_2256:
	s_mov_b32 s15, -1
                                        ; implicit-def: $vgpr14
.LBB77_2257:
	s_delay_alu instid0(SALU_CYCLE_1)
	s_and_not1_b32 vcc_lo, exec_lo, s15
	s_cbranch_vccnz .LBB77_2259
; %bb.2258:
	global_load_b32 v14, v[20:21], off
.LBB77_2259:
	s_mov_b32 s15, 0
.LBB77_2260:
	s_delay_alu instid0(SALU_CYCLE_1)
	s_and_not1_b32 vcc_lo, exec_lo, s15
	s_cbranch_vccnz .LBB77_2262
; %bb.2261:
	global_load_b32 v1, v[20:21], off
	s_wait_loadcnt 0x0
	v_cvt_f32_f16_e32 v14, v1
.LBB77_2262:
	s_mov_b32 s15, 0
.LBB77_2263:
	s_delay_alu instid0(SALU_CYCLE_1)
	s_and_not1_b32 vcc_lo, exec_lo, s15
	s_cbranch_vccnz .LBB77_2274
; %bb.2264:
	s_cmp_lt_i32 s13, 6
	s_cbranch_scc1 .LBB77_2267
; %bb.2265:
	s_cmp_gt_i32 s13, 6
	s_cbranch_scc0 .LBB77_2268
; %bb.2266:
	s_wait_loadcnt 0x0
	global_load_b64 v[14:15], v[20:21], off
	s_mov_b32 s15, 0
	s_wait_loadcnt 0x0
	v_cvt_f32_f64_e32 v14, v[14:15]
	s_branch .LBB77_2269
.LBB77_2267:
	s_mov_b32 s15, -1
                                        ; implicit-def: $vgpr14
	s_branch .LBB77_2272
.LBB77_2268:
	s_mov_b32 s15, -1
                                        ; implicit-def: $vgpr14
.LBB77_2269:
	s_delay_alu instid0(SALU_CYCLE_1)
	s_and_not1_b32 vcc_lo, exec_lo, s15
	s_cbranch_vccnz .LBB77_2271
; %bb.2270:
	s_wait_loadcnt 0x0
	global_load_b32 v14, v[20:21], off
.LBB77_2271:
	s_mov_b32 s15, 0
.LBB77_2272:
	s_delay_alu instid0(SALU_CYCLE_1)
	s_and_not1_b32 vcc_lo, exec_lo, s15
	s_cbranch_vccnz .LBB77_2274
; %bb.2273:
	global_load_u16 v1, v[20:21], off
	s_wait_loadcnt 0x0
	v_cvt_f32_f16_e32 v14, v1
.LBB77_2274:
	s_mov_b32 s15, 0
.LBB77_2275:
	s_delay_alu instid0(SALU_CYCLE_1)
	s_and_not1_b32 vcc_lo, exec_lo, s15
	s_cbranch_vccnz .LBB77_2295
; %bb.2276:
	s_cmp_lt_i32 s13, 2
	s_cbranch_scc1 .LBB77_2280
; %bb.2277:
	s_cmp_lt_i32 s13, 3
	s_cbranch_scc1 .LBB77_2281
; %bb.2278:
	s_cmp_gt_i32 s13, 3
	s_cbranch_scc0 .LBB77_2282
; %bb.2279:
	s_wait_loadcnt 0x0
	global_load_b64 v[14:15], v[20:21], off
	s_mov_b32 s15, 0
	s_wait_loadcnt 0x0
	v_xor_b32_e32 v1, v14, v15
	v_cls_i32_e32 v3, v15
	s_delay_alu instid0(VALU_DEP_2) | instskip(NEXT) | instid1(VALU_DEP_1)
	v_ashrrev_i32_e32 v1, 31, v1
	v_add_nc_u32_e32 v1, 32, v1
	s_delay_alu instid0(VALU_DEP_1) | instskip(NEXT) | instid1(VALU_DEP_1)
	v_add_min_u32_e64 v1, v3, -1, v1
	v_lshlrev_b64_e32 v[14:15], v1, v[14:15]
	v_sub_nc_u32_e32 v1, 32, v1
	s_delay_alu instid0(VALU_DEP_2) | instskip(NEXT) | instid1(VALU_DEP_1)
	v_min_u32_e32 v3, 1, v14
	v_or_b32_e32 v3, v15, v3
	s_delay_alu instid0(VALU_DEP_1) | instskip(NEXT) | instid1(VALU_DEP_1)
	v_cvt_f32_i32_e32 v3, v3
	v_ldexp_f32 v14, v3, v1
	s_branch .LBB77_2283
.LBB77_2280:
	s_mov_b32 s15, -1
                                        ; implicit-def: $vgpr14
	s_branch .LBB77_2289
.LBB77_2281:
	s_mov_b32 s15, -1
                                        ; implicit-def: $vgpr14
	s_branch .LBB77_2286
.LBB77_2282:
	s_mov_b32 s15, -1
                                        ; implicit-def: $vgpr14
.LBB77_2283:
	s_delay_alu instid0(SALU_CYCLE_1)
	s_and_not1_b32 vcc_lo, exec_lo, s15
	s_cbranch_vccnz .LBB77_2285
; %bb.2284:
	global_load_b32 v1, v[20:21], off
	s_wait_loadcnt 0x0
	v_cvt_f32_i32_e32 v14, v1
.LBB77_2285:
	s_mov_b32 s15, 0
.LBB77_2286:
	s_delay_alu instid0(SALU_CYCLE_1)
	s_and_not1_b32 vcc_lo, exec_lo, s15
	s_cbranch_vccnz .LBB77_2288
; %bb.2287:
	global_load_i16 v1, v[20:21], off
	s_wait_loadcnt 0x0
	v_cvt_f32_i32_e32 v14, v1
.LBB77_2288:
	s_mov_b32 s15, 0
.LBB77_2289:
	s_delay_alu instid0(SALU_CYCLE_1)
	s_and_not1_b32 vcc_lo, exec_lo, s15
	s_cbranch_vccnz .LBB77_2295
; %bb.2290:
	s_cmp_gt_i32 s13, 0
	s_mov_b32 s15, 0
	s_cbranch_scc0 .LBB77_2292
; %bb.2291:
	global_load_i8 v1, v[20:21], off
	s_wait_loadcnt 0x0
	v_cvt_f32_i32_e32 v14, v1
	s_branch .LBB77_2293
.LBB77_2292:
	s_mov_b32 s15, -1
                                        ; implicit-def: $vgpr14
.LBB77_2293:
	s_delay_alu instid0(SALU_CYCLE_1)
	s_and_not1_b32 vcc_lo, exec_lo, s15
	s_cbranch_vccnz .LBB77_2295
; %bb.2294:
	global_load_u8 v1, v[20:21], off
	s_wait_loadcnt 0x0
	v_cvt_f32_ubyte0_e32 v14, v1
.LBB77_2295:
	s_mov_b32 s17, -1
.LBB77_2296:
	s_delay_alu instid0(SALU_CYCLE_1)
	s_and_not1_b32 vcc_lo, exec_lo, s17
	s_cbranch_vccnz .LBB77_2774
; %bb.2297:
	v_mov_b32_e32 v19, 0
	s_cmp_lt_i32 s14, 11
	s_delay_alu instid0(VALU_DEP_1)
	v_add_nc_u64_e32 v[18:19], s[0:1], v[18:19]
	s_cbranch_scc1 .LBB77_2304
; %bb.2298:
	s_cmp_gt_i32 s14, 25
	s_mov_b32 s16, 0
	s_cbranch_scc0 .LBB77_2305
; %bb.2299:
	s_cmp_gt_i32 s14, 28
	s_cbranch_scc0 .LBB77_2306
; %bb.2300:
	s_cmp_gt_i32 s14, 43
	;; [unrolled: 3-line block ×3, first 2 shown]
	s_cbranch_scc0 .LBB77_2309
; %bb.2302:
	s_cmp_eq_u32 s14, 46
	s_mov_b32 s18, 0
	s_cbranch_scc0 .LBB77_2312
; %bb.2303:
	global_load_b32 v1, v[18:19], off
	s_mov_b32 s15, 0
	s_mov_b32 s17, -1
	s_wait_loadcnt 0x0
	v_lshlrev_b32_e32 v1, 16, v1
	s_branch .LBB77_2314
.LBB77_2304:
	s_mov_b32 s15, -1
	s_mov_b32 s17, 0
                                        ; implicit-def: $vgpr1
	s_branch .LBB77_2380
.LBB77_2305:
	s_mov_b32 s18, -1
	s_mov_b32 s17, 0
	s_mov_b32 s15, 0
                                        ; implicit-def: $vgpr1
	s_branch .LBB77_2343
.LBB77_2306:
	s_mov_b32 s18, -1
	s_mov_b32 s17, 0
	s_mov_b32 s15, 0
                                        ; implicit-def: $vgpr1
	s_branch .LBB77_2324
.LBB77_2307:
	s_mov_b32 s18, -1
	s_mov_b32 s17, 0
	s_mov_b32 s15, 0
                                        ; implicit-def: $vgpr1
	s_branch .LBB77_2319
.LBB77_2308:
	s_or_b32 s12, s12, exec_lo
	s_trap 2
	s_cbranch_execz .LBB77_2245
	s_branch .LBB77_2246
.LBB77_2309:
	s_mov_b32 s18, -1
	s_mov_b32 s17, 0
	s_mov_b32 s15, 0
	s_branch .LBB77_2313
.LBB77_2310:
	s_and_not1_saveexec_b32 s53, s53
	s_cbranch_execz .LBB77_1127
.LBB77_2311:
	v_add_f32_e64 v1, 0x42800000, |v2|
	s_and_not1_b32 s52, s52, exec_lo
	s_delay_alu instid0(VALU_DEP_1) | instskip(NEXT) | instid1(VALU_DEP_1)
	v_and_b32_e32 v1, 0xff, v1
	v_cmp_ne_u32_e32 vcc_lo, 0, v1
	s_and_b32 s54, vcc_lo, exec_lo
	s_delay_alu instid0(SALU_CYCLE_1)
	s_or_b32 s52, s52, s54
	s_or_b32 exec_lo, exec_lo, s53
	v_mov_b32_e32 v3, 0
	s_and_saveexec_b32 s53, s52
	s_cbranch_execnz .LBB77_1128
	s_branch .LBB77_1129
.LBB77_2312:
	s_mov_b32 s15, -1
	s_mov_b32 s17, 0
.LBB77_2313:
                                        ; implicit-def: $vgpr1
.LBB77_2314:
	s_and_b32 vcc_lo, exec_lo, s18
	s_cbranch_vccz .LBB77_2318
; %bb.2315:
	s_cmp_eq_u32 s14, 44
	s_cbranch_scc0 .LBB77_2317
; %bb.2316:
	global_load_u8 v1, v[18:19], off
	s_mov_b32 s15, 0
	s_mov_b32 s17, -1
	s_wait_loadcnt 0x0
	v_lshlrev_b32_e32 v3, 23, v1
	v_cmp_ne_u32_e32 vcc_lo, 0xff, v1
	s_delay_alu instid0(VALU_DEP_2) | instskip(SKIP_1) | instid1(VALU_DEP_2)
	v_cndmask_b32_e32 v3, 0x7f800001, v3, vcc_lo
	v_cmp_ne_u32_e32 vcc_lo, 0, v1
	v_cndmask_b32_e32 v1, 0x400000, v3, vcc_lo
	s_branch .LBB77_2318
.LBB77_2317:
	s_mov_b32 s15, -1
                                        ; implicit-def: $vgpr1
.LBB77_2318:
	s_mov_b32 s18, 0
.LBB77_2319:
	s_delay_alu instid0(SALU_CYCLE_1)
	s_and_b32 vcc_lo, exec_lo, s18
	s_cbranch_vccz .LBB77_2323
; %bb.2320:
	s_cmp_eq_u32 s14, 29
	s_cbranch_scc0 .LBB77_2322
; %bb.2321:
	global_load_b64 v[20:21], v[18:19], off
	s_mov_b32 s15, 0
	s_mov_b32 s17, -1
	s_mov_b32 s18, 0
	s_wait_loadcnt 0x0
	v_clz_i32_u32_e32 v1, v21
	s_delay_alu instid0(VALU_DEP_1) | instskip(NEXT) | instid1(VALU_DEP_1)
	v_min_u32_e32 v1, 32, v1
	v_lshlrev_b64_e32 v[20:21], v1, v[20:21]
	v_sub_nc_u32_e32 v1, 32, v1
	s_delay_alu instid0(VALU_DEP_2) | instskip(NEXT) | instid1(VALU_DEP_1)
	v_min_u32_e32 v3, 1, v20
	v_or_b32_e32 v3, v21, v3
	s_delay_alu instid0(VALU_DEP_1) | instskip(NEXT) | instid1(VALU_DEP_1)
	v_cvt_f32_u32_e32 v3, v3
	v_ldexp_f32 v1, v3, v1
	s_branch .LBB77_2324
.LBB77_2322:
	s_mov_b32 s15, -1
                                        ; implicit-def: $vgpr1
.LBB77_2323:
	s_mov_b32 s18, 0
.LBB77_2324:
	s_delay_alu instid0(SALU_CYCLE_1)
	s_and_b32 vcc_lo, exec_lo, s18
	s_cbranch_vccz .LBB77_2342
; %bb.2325:
	s_cmp_lt_i32 s14, 27
	s_cbranch_scc1 .LBB77_2328
; %bb.2326:
	s_cmp_gt_i32 s14, 27
	s_cbranch_scc0 .LBB77_2329
; %bb.2327:
	global_load_b32 v1, v[18:19], off
	s_mov_b32 s17, 0
	s_wait_loadcnt 0x0
	v_cvt_f32_u32_e32 v1, v1
	s_branch .LBB77_2330
.LBB77_2328:
	s_mov_b32 s17, -1
                                        ; implicit-def: $vgpr1
	s_branch .LBB77_2333
.LBB77_2329:
	s_mov_b32 s17, -1
                                        ; implicit-def: $vgpr1
.LBB77_2330:
	s_delay_alu instid0(SALU_CYCLE_1)
	s_and_not1_b32 vcc_lo, exec_lo, s17
	s_cbranch_vccnz .LBB77_2332
; %bb.2331:
	global_load_u16 v1, v[18:19], off
	s_wait_loadcnt 0x0
	v_cvt_f32_u32_e32 v1, v1
.LBB77_2332:
	s_mov_b32 s17, 0
.LBB77_2333:
	s_delay_alu instid0(SALU_CYCLE_1)
	s_and_not1_b32 vcc_lo, exec_lo, s17
	s_cbranch_vccnz .LBB77_2341
; %bb.2334:
	global_load_u8 v3, v[18:19], off
	s_mov_b32 s17, 0
	s_mov_b32 s18, exec_lo
	s_wait_loadcnt 0x0
	v_cmpx_lt_i16_e32 0x7f, v3
	s_xor_b32 s18, exec_lo, s18
	s_cbranch_execz .LBB77_2355
; %bb.2335:
	s_mov_b32 s17, -1
	s_mov_b32 s19, exec_lo
	v_cmpx_eq_u16_e32 0x80, v3
; %bb.2336:
	s_xor_b32 s17, exec_lo, -1
; %bb.2337:
	s_or_b32 exec_lo, exec_lo, s19
	s_delay_alu instid0(SALU_CYCLE_1)
	s_and_b32 s17, s17, exec_lo
	s_or_saveexec_b32 s18, s18
	v_mov_b32_e32 v1, 0x7f800001
	s_xor_b32 exec_lo, exec_lo, s18
	s_cbranch_execnz .LBB77_2356
.LBB77_2338:
	s_or_b32 exec_lo, exec_lo, s18
	s_and_saveexec_b32 s18, s17
	s_cbranch_execz .LBB77_2340
.LBB77_2339:
	v_and_b32_e32 v1, 0xffff, v3
	s_delay_alu instid0(VALU_DEP_1) | instskip(SKIP_1) | instid1(VALU_DEP_2)
	v_and_b32_e32 v5, 7, v1
	v_bfe_u32 v11, v1, 3, 4
	v_clz_i32_u32_e32 v7, v5
	s_delay_alu instid0(VALU_DEP_2) | instskip(NEXT) | instid1(VALU_DEP_2)
	v_cmp_eq_u32_e32 vcc_lo, 0, v11
	v_min_u32_e32 v7, 32, v7
	s_delay_alu instid0(VALU_DEP_1) | instskip(NEXT) | instid1(VALU_DEP_1)
	v_subrev_nc_u32_e32 v9, 28, v7
	v_dual_lshlrev_b32 v1, v9, v1 :: v_dual_sub_nc_u32 v7, 29, v7
	s_delay_alu instid0(VALU_DEP_1) | instskip(NEXT) | instid1(VALU_DEP_1)
	v_dual_lshlrev_b32 v3, 24, v3 :: v_dual_bitop2_b32 v1, 7, v1 bitop3:0x40
	v_dual_cndmask_b32 v1, v5, v1, vcc_lo :: v_dual_cndmask_b32 v7, v11, v7, vcc_lo
	s_delay_alu instid0(VALU_DEP_2) | instskip(NEXT) | instid1(VALU_DEP_2)
	v_and_b32_e32 v3, 0x80000000, v3
	v_lshlrev_b32_e32 v1, 20, v1
	s_delay_alu instid0(VALU_DEP_3) | instskip(NEXT) | instid1(VALU_DEP_1)
	v_lshl_add_u32 v5, v7, 23, 0x3b800000
	v_or3_b32 v1, v3, v5, v1
.LBB77_2340:
	s_or_b32 exec_lo, exec_lo, s18
.LBB77_2341:
	s_mov_b32 s17, -1
.LBB77_2342:
	s_mov_b32 s18, 0
.LBB77_2343:
	s_delay_alu instid0(SALU_CYCLE_1)
	s_and_b32 vcc_lo, exec_lo, s18
	s_cbranch_vccz .LBB77_2376
; %bb.2344:
	s_cmp_gt_i32 s14, 22
	s_cbranch_scc0 .LBB77_2354
; %bb.2345:
	s_cmp_lt_i32 s14, 24
	s_cbranch_scc1 .LBB77_2357
; %bb.2346:
	s_cmp_gt_i32 s14, 24
	s_cbranch_scc0 .LBB77_2358
; %bb.2347:
	global_load_u8 v3, v[18:19], off
	s_mov_b32 s17, exec_lo
	s_wait_loadcnt 0x0
	v_cmpx_lt_i16_e32 0x7f, v3
	s_xor_b32 s17, exec_lo, s17
	s_cbranch_execz .LBB77_2370
; %bb.2348:
	s_mov_b32 s16, -1
	s_mov_b32 s18, exec_lo
	v_cmpx_eq_u16_e32 0x80, v3
; %bb.2349:
	s_xor_b32 s16, exec_lo, -1
; %bb.2350:
	s_or_b32 exec_lo, exec_lo, s18
	s_delay_alu instid0(SALU_CYCLE_1)
	s_and_b32 s16, s16, exec_lo
	s_or_saveexec_b32 s17, s17
	v_mov_b32_e32 v1, 0x7f800001
	s_xor_b32 exec_lo, exec_lo, s17
	s_cbranch_execnz .LBB77_2371
.LBB77_2351:
	s_or_b32 exec_lo, exec_lo, s17
	s_and_saveexec_b32 s17, s16
	s_cbranch_execz .LBB77_2353
.LBB77_2352:
	v_and_b32_e32 v1, 0xffff, v3
	s_delay_alu instid0(VALU_DEP_1) | instskip(SKIP_1) | instid1(VALU_DEP_2)
	v_and_b32_e32 v5, 3, v1
	v_bfe_u32 v11, v1, 2, 5
	v_clz_i32_u32_e32 v7, v5
	s_delay_alu instid0(VALU_DEP_2) | instskip(NEXT) | instid1(VALU_DEP_2)
	v_cmp_eq_u32_e32 vcc_lo, 0, v11
	v_min_u32_e32 v7, 32, v7
	s_delay_alu instid0(VALU_DEP_1) | instskip(NEXT) | instid1(VALU_DEP_1)
	v_subrev_nc_u32_e32 v9, 29, v7
	v_dual_lshlrev_b32 v1, v9, v1 :: v_dual_sub_nc_u32 v7, 30, v7
	s_delay_alu instid0(VALU_DEP_1) | instskip(NEXT) | instid1(VALU_DEP_1)
	v_dual_lshlrev_b32 v3, 24, v3 :: v_dual_bitop2_b32 v1, 3, v1 bitop3:0x40
	v_dual_cndmask_b32 v1, v5, v1, vcc_lo :: v_dual_cndmask_b32 v7, v11, v7, vcc_lo
	s_delay_alu instid0(VALU_DEP_2) | instskip(NEXT) | instid1(VALU_DEP_2)
	v_and_b32_e32 v3, 0x80000000, v3
	v_lshlrev_b32_e32 v1, 21, v1
	s_delay_alu instid0(VALU_DEP_3) | instskip(NEXT) | instid1(VALU_DEP_1)
	v_lshl_add_u32 v5, v7, 23, 0x37800000
	v_or3_b32 v1, v3, v5, v1
.LBB77_2353:
	s_or_b32 exec_lo, exec_lo, s17
	s_mov_b32 s16, 0
	s_branch .LBB77_2359
.LBB77_2354:
	s_mov_b32 s16, -1
                                        ; implicit-def: $vgpr1
	s_branch .LBB77_2365
.LBB77_2355:
	s_or_saveexec_b32 s18, s18
	v_mov_b32_e32 v1, 0x7f800001
	s_xor_b32 exec_lo, exec_lo, s18
	s_cbranch_execz .LBB77_2338
.LBB77_2356:
	v_cmp_ne_u16_e32 vcc_lo, 0, v3
	v_mov_b32_e32 v1, 0
	s_and_not1_b32 s17, s17, exec_lo
	s_and_b32 s19, vcc_lo, exec_lo
	s_delay_alu instid0(SALU_CYCLE_1)
	s_or_b32 s17, s17, s19
	s_or_b32 exec_lo, exec_lo, s18
	s_and_saveexec_b32 s18, s17
	s_cbranch_execnz .LBB77_2339
	s_branch .LBB77_2340
.LBB77_2357:
	s_mov_b32 s16, -1
                                        ; implicit-def: $vgpr1
	s_branch .LBB77_2362
.LBB77_2358:
	s_mov_b32 s16, -1
                                        ; implicit-def: $vgpr1
.LBB77_2359:
	s_delay_alu instid0(SALU_CYCLE_1)
	s_and_b32 vcc_lo, exec_lo, s16
	s_cbranch_vccz .LBB77_2361
; %bb.2360:
	global_load_u8 v1, v[18:19], off
	s_wait_loadcnt 0x0
	v_lshlrev_b32_e32 v1, 24, v1
	s_delay_alu instid0(VALU_DEP_1) | instskip(NEXT) | instid1(VALU_DEP_1)
	v_and_b32_e32 v3, 0x7f000000, v1
	v_clz_i32_u32_e32 v5, v3
	v_add_nc_u32_e32 v9, 0x1000000, v3
	v_cmp_ne_u32_e32 vcc_lo, 0, v3
	s_delay_alu instid0(VALU_DEP_3) | instskip(NEXT) | instid1(VALU_DEP_1)
	v_min_u32_e32 v5, 32, v5
	v_sub_nc_u32_e64 v5, v5, 4 clamp
	s_delay_alu instid0(VALU_DEP_1) | instskip(NEXT) | instid1(VALU_DEP_1)
	v_dual_lshlrev_b32 v7, v5, v3 :: v_dual_lshlrev_b32 v5, 23, v5
	v_lshrrev_b32_e32 v7, 4, v7
	s_delay_alu instid0(VALU_DEP_1) | instskip(SKIP_1) | instid1(VALU_DEP_2)
	v_sub_nc_u32_e32 v5, v7, v5
	v_ashrrev_i32_e32 v7, 8, v9
	v_add_nc_u32_e32 v5, 0x3c000000, v5
	s_delay_alu instid0(VALU_DEP_1) | instskip(NEXT) | instid1(VALU_DEP_1)
	v_and_or_b32 v5, 0x7f800000, v7, v5
	v_cndmask_b32_e32 v3, 0, v5, vcc_lo
	s_delay_alu instid0(VALU_DEP_1)
	v_and_or_b32 v1, 0x80000000, v1, v3
.LBB77_2361:
	s_mov_b32 s16, 0
.LBB77_2362:
	s_delay_alu instid0(SALU_CYCLE_1)
	s_and_not1_b32 vcc_lo, exec_lo, s16
	s_cbranch_vccnz .LBB77_2364
; %bb.2363:
	global_load_u8 v1, v[18:19], off
	s_wait_loadcnt 0x0
	v_lshlrev_b32_e32 v3, 25, v1
	v_lshlrev_b16 v1, 8, v1
	s_delay_alu instid0(VALU_DEP_1) | instskip(SKIP_1) | instid1(VALU_DEP_2)
	v_and_or_b32 v7, 0x7f00, v1, 0.5
	v_bfe_i32 v1, v1, 0, 16
	v_add_f32_e32 v7, -0.5, v7
	v_lshrrev_b32_e32 v5, 4, v3
	v_cmp_gt_u32_e32 vcc_lo, 0x8000000, v3
	s_delay_alu instid0(VALU_DEP_2) | instskip(NEXT) | instid1(VALU_DEP_1)
	v_or_b32_e32 v5, 0x70000000, v5
	v_mul_f32_e32 v5, 0x7800000, v5
	s_delay_alu instid0(VALU_DEP_1) | instskip(NEXT) | instid1(VALU_DEP_1)
	v_cndmask_b32_e32 v3, v5, v7, vcc_lo
	v_and_or_b32 v1, 0x80000000, v1, v3
.LBB77_2364:
	s_mov_b32 s16, 0
	s_mov_b32 s17, -1
.LBB77_2365:
	s_and_not1_b32 vcc_lo, exec_lo, s16
	s_mov_b32 s16, 0
	s_cbranch_vccnz .LBB77_2376
; %bb.2366:
	s_cmp_gt_i32 s14, 14
	s_cbranch_scc0 .LBB77_2369
; %bb.2367:
	s_cmp_eq_u32 s14, 15
	s_cbranch_scc0 .LBB77_2372
; %bb.2368:
	global_load_u16 v1, v[18:19], off
	s_mov_b32 s15, 0
	s_mov_b32 s17, -1
	s_wait_loadcnt 0x0
	v_lshlrev_b32_e32 v1, 16, v1
	s_branch .LBB77_2374
.LBB77_2369:
	s_mov_b32 s16, -1
	s_branch .LBB77_2373
.LBB77_2370:
	s_or_saveexec_b32 s17, s17
	v_mov_b32_e32 v1, 0x7f800001
	s_xor_b32 exec_lo, exec_lo, s17
	s_cbranch_execz .LBB77_2351
.LBB77_2371:
	v_cmp_ne_u16_e32 vcc_lo, 0, v3
	v_mov_b32_e32 v1, 0
	s_and_not1_b32 s16, s16, exec_lo
	s_and_b32 s18, vcc_lo, exec_lo
	s_delay_alu instid0(SALU_CYCLE_1)
	s_or_b32 s16, s16, s18
	s_or_b32 exec_lo, exec_lo, s17
	s_and_saveexec_b32 s17, s16
	s_cbranch_execnz .LBB77_2352
	s_branch .LBB77_2353
.LBB77_2372:
	s_mov_b32 s15, -1
.LBB77_2373:
                                        ; implicit-def: $vgpr1
.LBB77_2374:
	s_and_b32 vcc_lo, exec_lo, s16
	s_mov_b32 s16, 0
	s_cbranch_vccz .LBB77_2376
; %bb.2375:
	s_cmp_lg_u32 s14, 11
	s_mov_b32 s16, -1
	s_cselect_b32 s15, -1, 0
.LBB77_2376:
	s_delay_alu instid0(SALU_CYCLE_1)
	s_and_b32 vcc_lo, exec_lo, s15
	s_cbranch_vccnz .LBB77_2443
; %bb.2377:
	s_and_not1_b32 vcc_lo, exec_lo, s16
	s_cbranch_vccnz .LBB77_2379
.LBB77_2378:
	global_load_u8 v1, v[18:19], off
	s_mov_b32 s17, -1
	s_wait_loadcnt 0x0
	v_cmp_ne_u16_e32 vcc_lo, 0, v1
	v_cndmask_b32_e64 v1, 0, 1.0, vcc_lo
.LBB77_2379:
	s_mov_b32 s15, 0
.LBB77_2380:
	s_delay_alu instid0(SALU_CYCLE_1)
	s_and_b32 vcc_lo, exec_lo, s15
	s_cbranch_vccz .LBB77_2429
; %bb.2381:
	s_cmp_lt_i32 s14, 5
	s_cbranch_scc1 .LBB77_2386
; %bb.2382:
	s_cmp_lt_i32 s14, 8
	s_cbranch_scc1 .LBB77_2387
	;; [unrolled: 3-line block ×3, first 2 shown]
; %bb.2384:
	s_cmp_gt_i32 s14, 9
	s_cbranch_scc0 .LBB77_2389
; %bb.2385:
	global_load_b64 v[20:21], v[18:19], off
	s_mov_b32 s15, 0
	s_wait_loadcnt 0x0
	v_cvt_f32_f64_e32 v1, v[20:21]
	s_branch .LBB77_2390
.LBB77_2386:
	s_mov_b32 s15, -1
                                        ; implicit-def: $vgpr1
	s_branch .LBB77_2408
.LBB77_2387:
	s_mov_b32 s15, -1
                                        ; implicit-def: $vgpr1
	s_branch .LBB77_2396
.LBB77_2388:
	s_mov_b32 s15, -1
                                        ; implicit-def: $vgpr1
	s_branch .LBB77_2393
.LBB77_2389:
	s_mov_b32 s15, -1
                                        ; implicit-def: $vgpr1
.LBB77_2390:
	s_delay_alu instid0(SALU_CYCLE_1)
	s_and_not1_b32 vcc_lo, exec_lo, s15
	s_cbranch_vccnz .LBB77_2392
; %bb.2391:
	global_load_b32 v1, v[18:19], off
.LBB77_2392:
	s_mov_b32 s15, 0
.LBB77_2393:
	s_delay_alu instid0(SALU_CYCLE_1)
	s_and_not1_b32 vcc_lo, exec_lo, s15
	s_cbranch_vccnz .LBB77_2395
; %bb.2394:
	s_wait_loadcnt 0x0
	global_load_b32 v1, v[18:19], off
	s_wait_loadcnt 0x0
	v_cvt_f32_f16_e32 v1, v1
.LBB77_2395:
	s_mov_b32 s15, 0
.LBB77_2396:
	s_delay_alu instid0(SALU_CYCLE_1)
	s_and_not1_b32 vcc_lo, exec_lo, s15
	s_cbranch_vccnz .LBB77_2407
; %bb.2397:
	s_cmp_lt_i32 s14, 6
	s_cbranch_scc1 .LBB77_2400
; %bb.2398:
	s_cmp_gt_i32 s14, 6
	s_cbranch_scc0 .LBB77_2401
; %bb.2399:
	global_load_b64 v[20:21], v[18:19], off
	s_mov_b32 s15, 0
	s_wait_loadcnt 0x0
	v_cvt_f32_f64_e32 v1, v[20:21]
	s_branch .LBB77_2402
.LBB77_2400:
	s_mov_b32 s15, -1
                                        ; implicit-def: $vgpr1
	s_branch .LBB77_2405
.LBB77_2401:
	s_mov_b32 s15, -1
                                        ; implicit-def: $vgpr1
.LBB77_2402:
	s_delay_alu instid0(SALU_CYCLE_1)
	s_and_not1_b32 vcc_lo, exec_lo, s15
	s_cbranch_vccnz .LBB77_2404
; %bb.2403:
	s_wait_loadcnt 0x0
	global_load_b32 v1, v[18:19], off
.LBB77_2404:
	s_mov_b32 s15, 0
.LBB77_2405:
	s_delay_alu instid0(SALU_CYCLE_1)
	s_and_not1_b32 vcc_lo, exec_lo, s15
	s_cbranch_vccnz .LBB77_2407
; %bb.2406:
	s_wait_loadcnt 0x0
	global_load_u16 v1, v[18:19], off
	s_wait_loadcnt 0x0
	v_cvt_f32_f16_e32 v1, v1
.LBB77_2407:
	s_mov_b32 s15, 0
.LBB77_2408:
	s_delay_alu instid0(SALU_CYCLE_1)
	s_and_not1_b32 vcc_lo, exec_lo, s15
	s_cbranch_vccnz .LBB77_2428
; %bb.2409:
	s_cmp_lt_i32 s14, 2
	s_cbranch_scc1 .LBB77_2413
; %bb.2410:
	s_cmp_lt_i32 s14, 3
	s_cbranch_scc1 .LBB77_2414
; %bb.2411:
	s_cmp_gt_i32 s14, 3
	s_cbranch_scc0 .LBB77_2415
; %bb.2412:
	global_load_b64 v[20:21], v[18:19], off
	s_mov_b32 s15, 0
	s_wait_loadcnt 0x0
	v_xor_b32_e32 v1, v20, v21
	v_cls_i32_e32 v3, v21
	s_delay_alu instid0(VALU_DEP_2) | instskip(NEXT) | instid1(VALU_DEP_1)
	v_ashrrev_i32_e32 v1, 31, v1
	v_add_nc_u32_e32 v1, 32, v1
	s_delay_alu instid0(VALU_DEP_1) | instskip(NEXT) | instid1(VALU_DEP_1)
	v_add_min_u32_e64 v1, v3, -1, v1
	v_lshlrev_b64_e32 v[20:21], v1, v[20:21]
	v_sub_nc_u32_e32 v1, 32, v1
	s_delay_alu instid0(VALU_DEP_2) | instskip(NEXT) | instid1(VALU_DEP_1)
	v_min_u32_e32 v3, 1, v20
	v_or_b32_e32 v3, v21, v3
	s_delay_alu instid0(VALU_DEP_1) | instskip(NEXT) | instid1(VALU_DEP_1)
	v_cvt_f32_i32_e32 v3, v3
	v_ldexp_f32 v1, v3, v1
	s_branch .LBB77_2416
.LBB77_2413:
	s_mov_b32 s15, -1
                                        ; implicit-def: $vgpr1
	s_branch .LBB77_2422
.LBB77_2414:
	s_mov_b32 s15, -1
                                        ; implicit-def: $vgpr1
	s_branch .LBB77_2419
.LBB77_2415:
	s_mov_b32 s15, -1
                                        ; implicit-def: $vgpr1
.LBB77_2416:
	s_delay_alu instid0(SALU_CYCLE_1)
	s_and_not1_b32 vcc_lo, exec_lo, s15
	s_cbranch_vccnz .LBB77_2418
; %bb.2417:
	s_wait_loadcnt 0x0
	global_load_b32 v1, v[18:19], off
	s_wait_loadcnt 0x0
	v_cvt_f32_i32_e32 v1, v1
.LBB77_2418:
	s_mov_b32 s15, 0
.LBB77_2419:
	s_delay_alu instid0(SALU_CYCLE_1)
	s_and_not1_b32 vcc_lo, exec_lo, s15
	s_cbranch_vccnz .LBB77_2421
; %bb.2420:
	s_wait_loadcnt 0x0
	global_load_i16 v1, v[18:19], off
	s_wait_loadcnt 0x0
	v_cvt_f32_i32_e32 v1, v1
.LBB77_2421:
	s_mov_b32 s15, 0
.LBB77_2422:
	s_delay_alu instid0(SALU_CYCLE_1)
	s_and_not1_b32 vcc_lo, exec_lo, s15
	s_cbranch_vccnz .LBB77_2428
; %bb.2423:
	s_cmp_gt_i32 s14, 0
	s_mov_b32 s15, 0
	s_cbranch_scc0 .LBB77_2425
; %bb.2424:
	s_wait_loadcnt 0x0
	global_load_i8 v1, v[18:19], off
	s_wait_loadcnt 0x0
	v_cvt_f32_i32_e32 v1, v1
	s_branch .LBB77_2426
.LBB77_2425:
	s_mov_b32 s15, -1
                                        ; implicit-def: $vgpr1
.LBB77_2426:
	s_delay_alu instid0(SALU_CYCLE_1)
	s_and_not1_b32 vcc_lo, exec_lo, s15
	s_cbranch_vccnz .LBB77_2428
; %bb.2427:
	s_wait_loadcnt 0x0
	global_load_u8 v1, v[18:19], off
	s_wait_loadcnt 0x0
	v_cvt_f32_ubyte0_e32 v1, v1
.LBB77_2428:
	s_mov_b32 s17, -1
.LBB77_2429:
	s_delay_alu instid0(SALU_CYCLE_1)
	s_and_not1_b32 vcc_lo, exec_lo, s17
	s_cbranch_vccnz .LBB77_2774
; %bb.2430:
	s_wait_loadcnt 0x0
	s_delay_alu instid0(VALU_DEP_1) | instskip(SKIP_2) | instid1(VALU_DEP_1)
	v_mul_f32_e32 v1, s8, v1
	s_mov_b32 s15, exec_lo
	s_wait_xcnt 0x0
	v_cmpx_nlt_f32_e32 s9, v1
	s_cbranch_execz .LBB77_2432
; %bb.2431:
	v_mul_f32_e32 v3, 0x3fb8aa3b, v1
	v_cmp_ngt_f32_e32 vcc_lo, 0xc2ce8ed0, v1
	s_delay_alu instid0(VALU_DEP_2) | instskip(SKIP_1) | instid1(VALU_DEP_2)
	v_rndne_f32_e32 v5, v3
	v_fma_f32 v7, 0x3fb8aa3b, v1, -v3
	v_sub_f32_e32 v3, v3, v5
	s_delay_alu instid0(VALU_DEP_2) | instskip(SKIP_1) | instid1(VALU_DEP_2)
	v_fmamk_f32 v7, v1, 0x32a5705f, v7
	v_cvt_i32_f32_e32 v5, v5
	v_add_f32_e32 v3, v3, v7
	s_delay_alu instid0(VALU_DEP_1) | instskip(SKIP_1) | instid1(TRANS32_DEP_1)
	v_exp_f32_e32 v3, v3
	v_nop
	v_ldexp_f32 v3, v3, v5
	s_delay_alu instid0(VALU_DEP_1) | instskip(SKIP_1) | instid1(VALU_DEP_2)
	v_cndmask_b32_e32 v3, 0, v3, vcc_lo
	v_cmp_nlt_f32_e32 vcc_lo, 0x42b17218, v1
	v_cndmask_b32_e32 v1, 0x7f800000, v3, vcc_lo
	s_delay_alu instid0(VALU_DEP_1) | instskip(NEXT) | instid1(VALU_DEP_1)
	v_dual_mul_f32 v3, v14, v1 :: v_dual_add_f32 v1, 1.0, v1
	v_div_scale_f32 v5, null, v1, v1, v3
	s_delay_alu instid0(VALU_DEP_1) | instskip(SKIP_1) | instid1(TRANS32_DEP_1)
	v_rcp_f32_e32 v7, v5
	v_nop
	v_fma_f32 v9, -v5, v7, 1.0
	s_delay_alu instid0(VALU_DEP_1) | instskip(SKIP_1) | instid1(VALU_DEP_1)
	v_fmac_f32_e32 v7, v9, v7
	v_div_scale_f32 v9, vcc_lo, v3, v1, v3
	v_mul_f32_e32 v11, v9, v7
	s_delay_alu instid0(VALU_DEP_1) | instskip(NEXT) | instid1(VALU_DEP_1)
	v_fma_f32 v13, -v5, v11, v9
	v_fmac_f32_e32 v11, v13, v7
	s_delay_alu instid0(VALU_DEP_1) | instskip(NEXT) | instid1(VALU_DEP_1)
	v_fma_f32 v5, -v5, v11, v9
	v_div_fmas_f32 v5, v5, v7, v11
	s_delay_alu instid0(VALU_DEP_1)
	v_div_fixup_f32 v14, v5, v1, v3
.LBB77_2432:
	s_or_b32 exec_lo, exec_lo, s15
	v_mov_b32_e32 v17, 0
	s_cmp_lt_i32 s13, 11
	s_delay_alu instid0(VALU_DEP_1)
	v_add_nc_u64_e32 v[18:19], s[6:7], v[16:17]
	s_cbranch_scc1 .LBB77_2439
; %bb.2433:
	s_cmp_gt_i32 s13, 25
	s_mov_b32 s7, 0
	s_cbranch_scc0 .LBB77_2440
; %bb.2434:
	s_cmp_gt_i32 s13, 28
	s_cbranch_scc0 .LBB77_2441
; %bb.2435:
	s_cmp_gt_i32 s13, 43
	;; [unrolled: 3-line block ×3, first 2 shown]
	s_cbranch_scc0 .LBB77_2444
; %bb.2437:
	s_cmp_eq_u32 s13, 46
	s_mov_b32 s16, 0
	s_cbranch_scc0 .LBB77_2445
; %bb.2438:
	global_load_b32 v1, v[18:19], off
	s_mov_b32 s6, 0
	s_mov_b32 s15, -1
	s_wait_loadcnt 0x0
	v_lshlrev_b32_e32 v16, 16, v1
	s_branch .LBB77_2447
.LBB77_2439:
	s_mov_b32 s6, -1
	s_mov_b32 s15, 0
                                        ; implicit-def: $vgpr16
	s_branch .LBB77_2513
.LBB77_2440:
	s_mov_b32 s16, -1
	s_mov_b32 s15, 0
	s_mov_b32 s6, 0
                                        ; implicit-def: $vgpr16
	s_branch .LBB77_2476
.LBB77_2441:
	s_mov_b32 s16, -1
	s_mov_b32 s15, 0
	s_mov_b32 s6, 0
                                        ; implicit-def: $vgpr16
	s_branch .LBB77_2457
.LBB77_2442:
	s_mov_b32 s16, -1
	s_mov_b32 s15, 0
	s_mov_b32 s6, 0
                                        ; implicit-def: $vgpr16
	s_branch .LBB77_2452
.LBB77_2443:
	s_or_b32 s12, s12, exec_lo
	s_trap 2
	s_cbranch_execz .LBB77_2378
	s_branch .LBB77_2379
.LBB77_2444:
	s_mov_b32 s16, -1
	s_mov_b32 s15, 0
	s_mov_b32 s6, 0
	s_branch .LBB77_2446
.LBB77_2445:
	s_mov_b32 s6, -1
	s_mov_b32 s15, 0
.LBB77_2446:
                                        ; implicit-def: $vgpr16
.LBB77_2447:
	s_and_b32 vcc_lo, exec_lo, s16
	s_cbranch_vccz .LBB77_2451
; %bb.2448:
	s_cmp_eq_u32 s13, 44
	s_cbranch_scc0 .LBB77_2450
; %bb.2449:
	global_load_u8 v1, v[18:19], off
	s_mov_b32 s6, 0
	s_mov_b32 s15, -1
	s_wait_loadcnt 0x0
	v_lshlrev_b32_e32 v3, 23, v1
	v_cmp_ne_u32_e32 vcc_lo, 0xff, v1
	s_delay_alu instid0(VALU_DEP_2) | instskip(SKIP_1) | instid1(VALU_DEP_2)
	v_cndmask_b32_e32 v3, 0x7f800001, v3, vcc_lo
	v_cmp_ne_u32_e32 vcc_lo, 0, v1
	v_cndmask_b32_e32 v16, 0x400000, v3, vcc_lo
	s_branch .LBB77_2451
.LBB77_2450:
	s_mov_b32 s6, -1
                                        ; implicit-def: $vgpr16
.LBB77_2451:
	s_mov_b32 s16, 0
.LBB77_2452:
	s_delay_alu instid0(SALU_CYCLE_1)
	s_and_b32 vcc_lo, exec_lo, s16
	s_cbranch_vccz .LBB77_2456
; %bb.2453:
	s_cmp_eq_u32 s13, 29
	s_cbranch_scc0 .LBB77_2455
; %bb.2454:
	global_load_b64 v[16:17], v[18:19], off
	s_mov_b32 s6, 0
	s_mov_b32 s15, -1
	s_mov_b32 s16, 0
	s_wait_loadcnt 0x0
	v_clz_i32_u32_e32 v1, v17
	s_delay_alu instid0(VALU_DEP_1) | instskip(NEXT) | instid1(VALU_DEP_1)
	v_min_u32_e32 v1, 32, v1
	v_lshlrev_b64_e32 v[16:17], v1, v[16:17]
	v_sub_nc_u32_e32 v1, 32, v1
	s_delay_alu instid0(VALU_DEP_2) | instskip(NEXT) | instid1(VALU_DEP_1)
	v_min_u32_e32 v3, 1, v16
	v_or_b32_e32 v3, v17, v3
	s_delay_alu instid0(VALU_DEP_1) | instskip(NEXT) | instid1(VALU_DEP_1)
	v_cvt_f32_u32_e32 v3, v3
	v_ldexp_f32 v16, v3, v1
	s_branch .LBB77_2457
.LBB77_2455:
	s_mov_b32 s6, -1
                                        ; implicit-def: $vgpr16
.LBB77_2456:
	s_mov_b32 s16, 0
.LBB77_2457:
	s_delay_alu instid0(SALU_CYCLE_1)
	s_and_b32 vcc_lo, exec_lo, s16
	s_cbranch_vccz .LBB77_2475
; %bb.2458:
	s_cmp_lt_i32 s13, 27
	s_cbranch_scc1 .LBB77_2461
; %bb.2459:
	s_cmp_gt_i32 s13, 27
	s_cbranch_scc0 .LBB77_2462
; %bb.2460:
	global_load_b32 v1, v[18:19], off
	s_mov_b32 s15, 0
	s_wait_loadcnt 0x0
	v_cvt_f32_u32_e32 v16, v1
	s_branch .LBB77_2463
.LBB77_2461:
	s_mov_b32 s15, -1
                                        ; implicit-def: $vgpr16
	s_branch .LBB77_2466
.LBB77_2462:
	s_mov_b32 s15, -1
                                        ; implicit-def: $vgpr16
.LBB77_2463:
	s_delay_alu instid0(SALU_CYCLE_1)
	s_and_not1_b32 vcc_lo, exec_lo, s15
	s_cbranch_vccnz .LBB77_2465
; %bb.2464:
	global_load_u16 v1, v[18:19], off
	s_wait_loadcnt 0x0
	v_cvt_f32_u32_e32 v16, v1
.LBB77_2465:
	s_mov_b32 s15, 0
.LBB77_2466:
	s_delay_alu instid0(SALU_CYCLE_1)
	s_and_not1_b32 vcc_lo, exec_lo, s15
	s_cbranch_vccnz .LBB77_2474
; %bb.2467:
	global_load_u8 v1, v[18:19], off
	s_mov_b32 s15, 0
	s_mov_b32 s16, exec_lo
	s_wait_loadcnt 0x0
	v_cmpx_lt_i16_e32 0x7f, v1
	s_xor_b32 s16, exec_lo, s16
	s_cbranch_execz .LBB77_2488
; %bb.2468:
	s_mov_b32 s15, -1
	s_mov_b32 s17, exec_lo
	v_cmpx_eq_u16_e32 0x80, v1
; %bb.2469:
	s_xor_b32 s15, exec_lo, -1
; %bb.2470:
	s_or_b32 exec_lo, exec_lo, s17
	s_delay_alu instid0(SALU_CYCLE_1)
	s_and_b32 s15, s15, exec_lo
	s_or_saveexec_b32 s16, s16
	v_mov_b32_e32 v16, 0x7f800001
	s_xor_b32 exec_lo, exec_lo, s16
	s_cbranch_execnz .LBB77_2489
.LBB77_2471:
	s_or_b32 exec_lo, exec_lo, s16
	s_and_saveexec_b32 s16, s15
	s_cbranch_execz .LBB77_2473
.LBB77_2472:
	v_and_b32_e32 v3, 0xffff, v1
	s_delay_alu instid0(VALU_DEP_1) | instskip(SKIP_1) | instid1(VALU_DEP_2)
	v_dual_lshlrev_b32 v1, 24, v1 :: v_dual_bitop2_b32 v5, 7, v3 bitop3:0x40
	v_bfe_u32 v11, v3, 3, 4
	v_and_b32_e32 v1, 0x80000000, v1
	s_delay_alu instid0(VALU_DEP_3) | instskip(NEXT) | instid1(VALU_DEP_3)
	v_clz_i32_u32_e32 v7, v5
	v_cmp_eq_u32_e32 vcc_lo, 0, v11
	s_delay_alu instid0(VALU_DEP_2) | instskip(NEXT) | instid1(VALU_DEP_1)
	v_min_u32_e32 v7, 32, v7
	v_subrev_nc_u32_e32 v9, 28, v7
	v_sub_nc_u32_e32 v7, 29, v7
	s_delay_alu instid0(VALU_DEP_2) | instskip(NEXT) | instid1(VALU_DEP_2)
	v_lshlrev_b32_e32 v3, v9, v3
	v_cndmask_b32_e32 v7, v11, v7, vcc_lo
	s_delay_alu instid0(VALU_DEP_2) | instskip(NEXT) | instid1(VALU_DEP_1)
	v_and_b32_e32 v3, 7, v3
	v_cndmask_b32_e32 v3, v5, v3, vcc_lo
	s_delay_alu instid0(VALU_DEP_3) | instskip(NEXT) | instid1(VALU_DEP_2)
	v_lshl_add_u32 v5, v7, 23, 0x3b800000
	v_lshlrev_b32_e32 v3, 20, v3
	s_delay_alu instid0(VALU_DEP_1)
	v_or3_b32 v16, v1, v5, v3
.LBB77_2473:
	s_or_b32 exec_lo, exec_lo, s16
.LBB77_2474:
	s_mov_b32 s15, -1
.LBB77_2475:
	s_mov_b32 s16, 0
.LBB77_2476:
	s_delay_alu instid0(SALU_CYCLE_1)
	s_and_b32 vcc_lo, exec_lo, s16
	s_cbranch_vccz .LBB77_2509
; %bb.2477:
	s_cmp_gt_i32 s13, 22
	s_cbranch_scc0 .LBB77_2487
; %bb.2478:
	s_cmp_lt_i32 s13, 24
	s_cbranch_scc1 .LBB77_2490
; %bb.2479:
	s_cmp_gt_i32 s13, 24
	s_cbranch_scc0 .LBB77_2491
; %bb.2480:
	global_load_u8 v1, v[18:19], off
	s_mov_b32 s15, exec_lo
	s_wait_loadcnt 0x0
	v_cmpx_lt_i16_e32 0x7f, v1
	s_xor_b32 s15, exec_lo, s15
	s_cbranch_execz .LBB77_2503
; %bb.2481:
	s_mov_b32 s7, -1
	s_mov_b32 s16, exec_lo
	v_cmpx_eq_u16_e32 0x80, v1
; %bb.2482:
	s_xor_b32 s7, exec_lo, -1
; %bb.2483:
	s_or_b32 exec_lo, exec_lo, s16
	s_delay_alu instid0(SALU_CYCLE_1)
	s_and_b32 s7, s7, exec_lo
	s_or_saveexec_b32 s15, s15
	v_mov_b32_e32 v16, 0x7f800001
	s_xor_b32 exec_lo, exec_lo, s15
	s_cbranch_execnz .LBB77_2504
.LBB77_2484:
	s_or_b32 exec_lo, exec_lo, s15
	s_and_saveexec_b32 s15, s7
	s_cbranch_execz .LBB77_2486
.LBB77_2485:
	v_and_b32_e32 v3, 0xffff, v1
	s_delay_alu instid0(VALU_DEP_1) | instskip(SKIP_1) | instid1(VALU_DEP_2)
	v_dual_lshlrev_b32 v1, 24, v1 :: v_dual_bitop2_b32 v5, 3, v3 bitop3:0x40
	v_bfe_u32 v11, v3, 2, 5
	v_and_b32_e32 v1, 0x80000000, v1
	s_delay_alu instid0(VALU_DEP_3) | instskip(NEXT) | instid1(VALU_DEP_3)
	v_clz_i32_u32_e32 v7, v5
	v_cmp_eq_u32_e32 vcc_lo, 0, v11
	s_delay_alu instid0(VALU_DEP_2) | instskip(NEXT) | instid1(VALU_DEP_1)
	v_min_u32_e32 v7, 32, v7
	v_subrev_nc_u32_e32 v9, 29, v7
	v_sub_nc_u32_e32 v7, 30, v7
	s_delay_alu instid0(VALU_DEP_2) | instskip(NEXT) | instid1(VALU_DEP_2)
	v_lshlrev_b32_e32 v3, v9, v3
	v_cndmask_b32_e32 v7, v11, v7, vcc_lo
	s_delay_alu instid0(VALU_DEP_2) | instskip(NEXT) | instid1(VALU_DEP_1)
	v_and_b32_e32 v3, 3, v3
	v_cndmask_b32_e32 v3, v5, v3, vcc_lo
	s_delay_alu instid0(VALU_DEP_3) | instskip(NEXT) | instid1(VALU_DEP_2)
	v_lshl_add_u32 v5, v7, 23, 0x37800000
	v_lshlrev_b32_e32 v3, 21, v3
	s_delay_alu instid0(VALU_DEP_1)
	v_or3_b32 v16, v1, v5, v3
.LBB77_2486:
	s_or_b32 exec_lo, exec_lo, s15
	s_mov_b32 s7, 0
	s_branch .LBB77_2492
.LBB77_2487:
	s_mov_b32 s7, -1
                                        ; implicit-def: $vgpr16
	s_branch .LBB77_2498
.LBB77_2488:
	s_or_saveexec_b32 s16, s16
	v_mov_b32_e32 v16, 0x7f800001
	s_xor_b32 exec_lo, exec_lo, s16
	s_cbranch_execz .LBB77_2471
.LBB77_2489:
	v_cmp_ne_u16_e32 vcc_lo, 0, v1
	v_mov_b32_e32 v16, 0
	s_and_not1_b32 s15, s15, exec_lo
	s_and_b32 s17, vcc_lo, exec_lo
	s_delay_alu instid0(SALU_CYCLE_1)
	s_or_b32 s15, s15, s17
	s_or_b32 exec_lo, exec_lo, s16
	s_and_saveexec_b32 s16, s15
	s_cbranch_execnz .LBB77_2472
	s_branch .LBB77_2473
.LBB77_2490:
	s_mov_b32 s7, -1
                                        ; implicit-def: $vgpr16
	s_branch .LBB77_2495
.LBB77_2491:
	s_mov_b32 s7, -1
                                        ; implicit-def: $vgpr16
.LBB77_2492:
	s_delay_alu instid0(SALU_CYCLE_1)
	s_and_b32 vcc_lo, exec_lo, s7
	s_cbranch_vccz .LBB77_2494
; %bb.2493:
	global_load_u8 v1, v[18:19], off
	s_wait_loadcnt 0x0
	v_lshlrev_b32_e32 v1, 24, v1
	s_delay_alu instid0(VALU_DEP_1) | instskip(NEXT) | instid1(VALU_DEP_1)
	v_and_b32_e32 v3, 0x7f000000, v1
	v_clz_i32_u32_e32 v5, v3
	v_add_nc_u32_e32 v9, 0x1000000, v3
	v_cmp_ne_u32_e32 vcc_lo, 0, v3
	s_delay_alu instid0(VALU_DEP_3) | instskip(NEXT) | instid1(VALU_DEP_1)
	v_min_u32_e32 v5, 32, v5
	v_sub_nc_u32_e64 v5, v5, 4 clamp
	s_delay_alu instid0(VALU_DEP_1) | instskip(NEXT) | instid1(VALU_DEP_1)
	v_dual_lshlrev_b32 v7, v5, v3 :: v_dual_lshlrev_b32 v5, 23, v5
	v_lshrrev_b32_e32 v7, 4, v7
	s_delay_alu instid0(VALU_DEP_1) | instskip(SKIP_1) | instid1(VALU_DEP_2)
	v_sub_nc_u32_e32 v5, v7, v5
	v_ashrrev_i32_e32 v7, 8, v9
	v_add_nc_u32_e32 v5, 0x3c000000, v5
	s_delay_alu instid0(VALU_DEP_1) | instskip(NEXT) | instid1(VALU_DEP_1)
	v_and_or_b32 v5, 0x7f800000, v7, v5
	v_cndmask_b32_e32 v3, 0, v5, vcc_lo
	s_delay_alu instid0(VALU_DEP_1)
	v_and_or_b32 v16, 0x80000000, v1, v3
.LBB77_2494:
	s_mov_b32 s7, 0
.LBB77_2495:
	s_delay_alu instid0(SALU_CYCLE_1)
	s_and_not1_b32 vcc_lo, exec_lo, s7
	s_cbranch_vccnz .LBB77_2497
; %bb.2496:
	global_load_u8 v1, v[18:19], off
	s_wait_loadcnt 0x0
	v_lshlrev_b32_e32 v3, 25, v1
	v_lshlrev_b16 v1, 8, v1
	s_delay_alu instid0(VALU_DEP_1) | instskip(SKIP_1) | instid1(VALU_DEP_2)
	v_and_or_b32 v7, 0x7f00, v1, 0.5
	v_bfe_i32 v1, v1, 0, 16
	v_add_f32_e32 v7, -0.5, v7
	v_lshrrev_b32_e32 v5, 4, v3
	v_cmp_gt_u32_e32 vcc_lo, 0x8000000, v3
	s_delay_alu instid0(VALU_DEP_2) | instskip(NEXT) | instid1(VALU_DEP_1)
	v_or_b32_e32 v5, 0x70000000, v5
	v_mul_f32_e32 v5, 0x7800000, v5
	s_delay_alu instid0(VALU_DEP_1) | instskip(NEXT) | instid1(VALU_DEP_1)
	v_cndmask_b32_e32 v3, v5, v7, vcc_lo
	v_and_or_b32 v16, 0x80000000, v1, v3
.LBB77_2497:
	s_mov_b32 s7, 0
	s_mov_b32 s15, -1
.LBB77_2498:
	s_and_not1_b32 vcc_lo, exec_lo, s7
	s_mov_b32 s7, 0
	s_cbranch_vccnz .LBB77_2509
; %bb.2499:
	s_cmp_gt_i32 s13, 14
	s_cbranch_scc0 .LBB77_2502
; %bb.2500:
	s_cmp_eq_u32 s13, 15
	s_cbranch_scc0 .LBB77_2505
; %bb.2501:
	global_load_u16 v1, v[18:19], off
	s_mov_b32 s6, 0
	s_mov_b32 s15, -1
	s_wait_loadcnt 0x0
	v_lshlrev_b32_e32 v16, 16, v1
	s_branch .LBB77_2507
.LBB77_2502:
	s_mov_b32 s7, -1
	s_branch .LBB77_2506
.LBB77_2503:
	s_or_saveexec_b32 s15, s15
	v_mov_b32_e32 v16, 0x7f800001
	s_xor_b32 exec_lo, exec_lo, s15
	s_cbranch_execz .LBB77_2484
.LBB77_2504:
	v_cmp_ne_u16_e32 vcc_lo, 0, v1
	v_mov_b32_e32 v16, 0
	s_and_not1_b32 s7, s7, exec_lo
	s_and_b32 s16, vcc_lo, exec_lo
	s_delay_alu instid0(SALU_CYCLE_1)
	s_or_b32 s7, s7, s16
	s_or_b32 exec_lo, exec_lo, s15
	s_and_saveexec_b32 s15, s7
	s_cbranch_execnz .LBB77_2485
	s_branch .LBB77_2486
.LBB77_2505:
	s_mov_b32 s6, -1
.LBB77_2506:
                                        ; implicit-def: $vgpr16
.LBB77_2507:
	s_and_b32 vcc_lo, exec_lo, s7
	s_mov_b32 s7, 0
	s_cbranch_vccz .LBB77_2509
; %bb.2508:
	s_cmp_lg_u32 s13, 11
	s_mov_b32 s7, -1
	s_cselect_b32 s6, -1, 0
.LBB77_2509:
	s_delay_alu instid0(SALU_CYCLE_1)
	s_and_b32 vcc_lo, exec_lo, s6
	s_cbranch_vccnz .LBB77_2574
; %bb.2510:
	s_and_not1_b32 vcc_lo, exec_lo, s7
	s_cbranch_vccnz .LBB77_2512
.LBB77_2511:
	global_load_u8 v1, v[18:19], off
	s_mov_b32 s15, -1
	s_wait_loadcnt 0x0
	v_cmp_ne_u16_e32 vcc_lo, 0, v1
	v_cndmask_b32_e64 v16, 0, 1.0, vcc_lo
.LBB77_2512:
	s_mov_b32 s6, 0
.LBB77_2513:
	s_delay_alu instid0(SALU_CYCLE_1)
	s_and_b32 vcc_lo, exec_lo, s6
	s_cbranch_vccz .LBB77_2562
; %bb.2514:
	s_cmp_lt_i32 s13, 5
	s_cbranch_scc1 .LBB77_2519
; %bb.2515:
	s_cmp_lt_i32 s13, 8
	s_cbranch_scc1 .LBB77_2520
	;; [unrolled: 3-line block ×3, first 2 shown]
; %bb.2517:
	s_cmp_gt_i32 s13, 9
	s_cbranch_scc0 .LBB77_2522
; %bb.2518:
	global_load_b64 v[16:17], v[18:19], off
	s_mov_b32 s6, 0
	s_wait_loadcnt 0x0
	v_cvt_f32_f64_e32 v16, v[16:17]
	s_branch .LBB77_2523
.LBB77_2519:
	s_mov_b32 s6, -1
                                        ; implicit-def: $vgpr16
	s_branch .LBB77_2541
.LBB77_2520:
	s_mov_b32 s6, -1
                                        ; implicit-def: $vgpr16
	s_branch .LBB77_2529
.LBB77_2521:
	s_mov_b32 s6, -1
                                        ; implicit-def: $vgpr16
	s_branch .LBB77_2526
.LBB77_2522:
	s_mov_b32 s6, -1
                                        ; implicit-def: $vgpr16
.LBB77_2523:
	s_delay_alu instid0(SALU_CYCLE_1)
	s_and_not1_b32 vcc_lo, exec_lo, s6
	s_cbranch_vccnz .LBB77_2525
; %bb.2524:
	global_load_b32 v16, v[18:19], off
.LBB77_2525:
	s_mov_b32 s6, 0
.LBB77_2526:
	s_delay_alu instid0(SALU_CYCLE_1)
	s_and_not1_b32 vcc_lo, exec_lo, s6
	s_cbranch_vccnz .LBB77_2528
; %bb.2527:
	global_load_b32 v1, v[18:19], off
	s_wait_loadcnt 0x0
	v_cvt_f32_f16_e32 v16, v1
.LBB77_2528:
	s_mov_b32 s6, 0
.LBB77_2529:
	s_delay_alu instid0(SALU_CYCLE_1)
	s_and_not1_b32 vcc_lo, exec_lo, s6
	s_cbranch_vccnz .LBB77_2540
; %bb.2530:
	s_cmp_lt_i32 s13, 6
	s_cbranch_scc1 .LBB77_2533
; %bb.2531:
	s_cmp_gt_i32 s13, 6
	s_cbranch_scc0 .LBB77_2534
; %bb.2532:
	s_wait_loadcnt 0x0
	global_load_b64 v[16:17], v[18:19], off
	s_mov_b32 s6, 0
	s_wait_loadcnt 0x0
	v_cvt_f32_f64_e32 v16, v[16:17]
	s_branch .LBB77_2535
.LBB77_2533:
	s_mov_b32 s6, -1
                                        ; implicit-def: $vgpr16
	s_branch .LBB77_2538
.LBB77_2534:
	s_mov_b32 s6, -1
                                        ; implicit-def: $vgpr16
.LBB77_2535:
	s_delay_alu instid0(SALU_CYCLE_1)
	s_and_not1_b32 vcc_lo, exec_lo, s6
	s_cbranch_vccnz .LBB77_2537
; %bb.2536:
	s_wait_loadcnt 0x0
	global_load_b32 v16, v[18:19], off
.LBB77_2537:
	s_mov_b32 s6, 0
.LBB77_2538:
	s_delay_alu instid0(SALU_CYCLE_1)
	s_and_not1_b32 vcc_lo, exec_lo, s6
	s_cbranch_vccnz .LBB77_2540
; %bb.2539:
	global_load_u16 v1, v[18:19], off
	s_wait_loadcnt 0x0
	v_cvt_f32_f16_e32 v16, v1
.LBB77_2540:
	s_mov_b32 s6, 0
.LBB77_2541:
	s_delay_alu instid0(SALU_CYCLE_1)
	s_and_not1_b32 vcc_lo, exec_lo, s6
	s_cbranch_vccnz .LBB77_2561
; %bb.2542:
	s_cmp_lt_i32 s13, 2
	s_cbranch_scc1 .LBB77_2546
; %bb.2543:
	s_cmp_lt_i32 s13, 3
	s_cbranch_scc1 .LBB77_2547
; %bb.2544:
	s_cmp_gt_i32 s13, 3
	s_cbranch_scc0 .LBB77_2548
; %bb.2545:
	s_wait_loadcnt 0x0
	global_load_b64 v[16:17], v[18:19], off
	s_mov_b32 s6, 0
	s_wait_loadcnt 0x0
	v_xor_b32_e32 v1, v16, v17
	v_cls_i32_e32 v3, v17
	s_delay_alu instid0(VALU_DEP_2) | instskip(NEXT) | instid1(VALU_DEP_1)
	v_ashrrev_i32_e32 v1, 31, v1
	v_add_nc_u32_e32 v1, 32, v1
	s_delay_alu instid0(VALU_DEP_1) | instskip(NEXT) | instid1(VALU_DEP_1)
	v_add_min_u32_e64 v1, v3, -1, v1
	v_lshlrev_b64_e32 v[16:17], v1, v[16:17]
	v_sub_nc_u32_e32 v1, 32, v1
	s_delay_alu instid0(VALU_DEP_2) | instskip(NEXT) | instid1(VALU_DEP_1)
	v_min_u32_e32 v3, 1, v16
	v_or_b32_e32 v3, v17, v3
	s_delay_alu instid0(VALU_DEP_1) | instskip(NEXT) | instid1(VALU_DEP_1)
	v_cvt_f32_i32_e32 v3, v3
	v_ldexp_f32 v16, v3, v1
	s_branch .LBB77_2549
.LBB77_2546:
	s_mov_b32 s6, -1
                                        ; implicit-def: $vgpr16
	s_branch .LBB77_2555
.LBB77_2547:
	s_mov_b32 s6, -1
                                        ; implicit-def: $vgpr16
	s_branch .LBB77_2552
.LBB77_2548:
	s_mov_b32 s6, -1
                                        ; implicit-def: $vgpr16
.LBB77_2549:
	s_delay_alu instid0(SALU_CYCLE_1)
	s_and_not1_b32 vcc_lo, exec_lo, s6
	s_cbranch_vccnz .LBB77_2551
; %bb.2550:
	global_load_b32 v1, v[18:19], off
	s_wait_loadcnt 0x0
	v_cvt_f32_i32_e32 v16, v1
.LBB77_2551:
	s_mov_b32 s6, 0
.LBB77_2552:
	s_delay_alu instid0(SALU_CYCLE_1)
	s_and_not1_b32 vcc_lo, exec_lo, s6
	s_cbranch_vccnz .LBB77_2554
; %bb.2553:
	global_load_i16 v1, v[18:19], off
	s_wait_loadcnt 0x0
	v_cvt_f32_i32_e32 v16, v1
.LBB77_2554:
	s_mov_b32 s6, 0
.LBB77_2555:
	s_delay_alu instid0(SALU_CYCLE_1)
	s_and_not1_b32 vcc_lo, exec_lo, s6
	s_cbranch_vccnz .LBB77_2561
; %bb.2556:
	s_cmp_gt_i32 s13, 0
	s_mov_b32 s6, 0
	s_cbranch_scc0 .LBB77_2558
; %bb.2557:
	global_load_i8 v1, v[18:19], off
	s_wait_loadcnt 0x0
	v_cvt_f32_i32_e32 v16, v1
	s_branch .LBB77_2559
.LBB77_2558:
	s_mov_b32 s6, -1
                                        ; implicit-def: $vgpr16
.LBB77_2559:
	s_delay_alu instid0(SALU_CYCLE_1)
	s_and_not1_b32 vcc_lo, exec_lo, s6
	s_cbranch_vccnz .LBB77_2561
; %bb.2560:
	global_load_u8 v1, v[18:19], off
	s_wait_loadcnt 0x0
	v_cvt_f32_ubyte0_e32 v16, v1
.LBB77_2561:
	s_mov_b32 s15, -1
.LBB77_2562:
	s_delay_alu instid0(SALU_CYCLE_1)
	s_and_not1_b32 vcc_lo, exec_lo, s15
	s_cbranch_vccnz .LBB77_2774
; %bb.2563:
	v_mov_b32_e32 v13, 0
	s_cmp_lt_i32 s14, 11
	s_delay_alu instid0(VALU_DEP_1)
	v_add_nc_u64_e32 v[12:13], s[0:1], v[12:13]
	s_cbranch_scc1 .LBB77_2570
; %bb.2564:
	s_cmp_gt_i32 s14, 25
	s_mov_b32 s1, 0
	s_cbranch_scc0 .LBB77_2571
; %bb.2565:
	s_cmp_gt_i32 s14, 28
	s_cbranch_scc0 .LBB77_2572
; %bb.2566:
	s_cmp_gt_i32 s14, 43
	;; [unrolled: 3-line block ×3, first 2 shown]
	s_cbranch_scc0 .LBB77_2575
; %bb.2568:
	s_cmp_eq_u32 s14, 46
	s_mov_b32 s7, 0
	s_cbranch_scc0 .LBB77_2576
; %bb.2569:
	global_load_b32 v1, v[12:13], off
	s_mov_b32 s0, 0
	s_mov_b32 s6, -1
	s_wait_loadcnt 0x0
	v_lshlrev_b32_e32 v1, 16, v1
	s_branch .LBB77_2578
.LBB77_2570:
	s_mov_b32 s0, -1
	s_mov_b32 s6, 0
                                        ; implicit-def: $vgpr1
	s_branch .LBB77_2644
.LBB77_2571:
	s_mov_b32 s7, -1
	s_mov_b32 s6, 0
	s_mov_b32 s0, 0
                                        ; implicit-def: $vgpr1
	s_branch .LBB77_2607
.LBB77_2572:
	s_mov_b32 s7, -1
	s_mov_b32 s6, 0
	s_mov_b32 s0, 0
                                        ; implicit-def: $vgpr1
	s_branch .LBB77_2588
.LBB77_2573:
	s_mov_b32 s7, -1
	s_mov_b32 s6, 0
	s_mov_b32 s0, 0
                                        ; implicit-def: $vgpr1
	s_branch .LBB77_2583
.LBB77_2574:
	s_or_b32 s12, s12, exec_lo
	s_trap 2
	s_cbranch_execz .LBB77_2511
	s_branch .LBB77_2512
.LBB77_2575:
	s_mov_b32 s7, -1
	s_mov_b32 s6, 0
	s_mov_b32 s0, 0
	s_branch .LBB77_2577
.LBB77_2576:
	s_mov_b32 s0, -1
	s_mov_b32 s6, 0
.LBB77_2577:
                                        ; implicit-def: $vgpr1
.LBB77_2578:
	s_and_b32 vcc_lo, exec_lo, s7
	s_cbranch_vccz .LBB77_2582
; %bb.2579:
	s_cmp_eq_u32 s14, 44
	s_cbranch_scc0 .LBB77_2581
; %bb.2580:
	global_load_u8 v1, v[12:13], off
	s_mov_b32 s0, 0
	s_mov_b32 s6, -1
	s_wait_loadcnt 0x0
	v_lshlrev_b32_e32 v3, 23, v1
	v_cmp_ne_u32_e32 vcc_lo, 0xff, v1
	s_delay_alu instid0(VALU_DEP_2) | instskip(SKIP_1) | instid1(VALU_DEP_2)
	v_cndmask_b32_e32 v3, 0x7f800001, v3, vcc_lo
	v_cmp_ne_u32_e32 vcc_lo, 0, v1
	v_cndmask_b32_e32 v1, 0x400000, v3, vcc_lo
	s_branch .LBB77_2582
.LBB77_2581:
	s_mov_b32 s0, -1
                                        ; implicit-def: $vgpr1
.LBB77_2582:
	s_mov_b32 s7, 0
.LBB77_2583:
	s_delay_alu instid0(SALU_CYCLE_1)
	s_and_b32 vcc_lo, exec_lo, s7
	s_cbranch_vccz .LBB77_2587
; %bb.2584:
	s_cmp_eq_u32 s14, 29
	s_cbranch_scc0 .LBB77_2586
; %bb.2585:
	global_load_b64 v[18:19], v[12:13], off
	s_mov_b32 s0, 0
	s_mov_b32 s6, -1
	s_mov_b32 s7, 0
	s_wait_loadcnt 0x0
	v_clz_i32_u32_e32 v1, v19
	s_delay_alu instid0(VALU_DEP_1) | instskip(NEXT) | instid1(VALU_DEP_1)
	v_min_u32_e32 v1, 32, v1
	v_lshlrev_b64_e32 v[18:19], v1, v[18:19]
	v_sub_nc_u32_e32 v1, 32, v1
	s_delay_alu instid0(VALU_DEP_2) | instskip(NEXT) | instid1(VALU_DEP_1)
	v_min_u32_e32 v3, 1, v18
	v_or_b32_e32 v3, v19, v3
	s_delay_alu instid0(VALU_DEP_1) | instskip(NEXT) | instid1(VALU_DEP_1)
	v_cvt_f32_u32_e32 v3, v3
	v_ldexp_f32 v1, v3, v1
	s_branch .LBB77_2588
.LBB77_2586:
	s_mov_b32 s0, -1
                                        ; implicit-def: $vgpr1
.LBB77_2587:
	s_mov_b32 s7, 0
.LBB77_2588:
	s_delay_alu instid0(SALU_CYCLE_1)
	s_and_b32 vcc_lo, exec_lo, s7
	s_cbranch_vccz .LBB77_2606
; %bb.2589:
	s_cmp_lt_i32 s14, 27
	s_cbranch_scc1 .LBB77_2592
; %bb.2590:
	s_cmp_gt_i32 s14, 27
	s_cbranch_scc0 .LBB77_2593
; %bb.2591:
	global_load_b32 v1, v[12:13], off
	s_mov_b32 s6, 0
	s_wait_loadcnt 0x0
	v_cvt_f32_u32_e32 v1, v1
	s_branch .LBB77_2594
.LBB77_2592:
	s_mov_b32 s6, -1
                                        ; implicit-def: $vgpr1
	s_branch .LBB77_2597
.LBB77_2593:
	s_mov_b32 s6, -1
                                        ; implicit-def: $vgpr1
.LBB77_2594:
	s_delay_alu instid0(SALU_CYCLE_1)
	s_and_not1_b32 vcc_lo, exec_lo, s6
	s_cbranch_vccnz .LBB77_2596
; %bb.2595:
	global_load_u16 v1, v[12:13], off
	s_wait_loadcnt 0x0
	v_cvt_f32_u32_e32 v1, v1
.LBB77_2596:
	s_mov_b32 s6, 0
.LBB77_2597:
	s_delay_alu instid0(SALU_CYCLE_1)
	s_and_not1_b32 vcc_lo, exec_lo, s6
	s_cbranch_vccnz .LBB77_2605
; %bb.2598:
	global_load_u8 v3, v[12:13], off
	s_mov_b32 s6, 0
	s_mov_b32 s7, exec_lo
	s_wait_loadcnt 0x0
	v_cmpx_lt_i16_e32 0x7f, v3
	s_xor_b32 s7, exec_lo, s7
	s_cbranch_execz .LBB77_2619
; %bb.2599:
	s_mov_b32 s6, -1
	s_mov_b32 s13, exec_lo
	v_cmpx_eq_u16_e32 0x80, v3
; %bb.2600:
	s_xor_b32 s6, exec_lo, -1
; %bb.2601:
	s_or_b32 exec_lo, exec_lo, s13
	s_delay_alu instid0(SALU_CYCLE_1)
	s_and_b32 s6, s6, exec_lo
	s_or_saveexec_b32 s7, s7
	v_mov_b32_e32 v1, 0x7f800001
	s_xor_b32 exec_lo, exec_lo, s7
	s_cbranch_execnz .LBB77_2620
.LBB77_2602:
	s_or_b32 exec_lo, exec_lo, s7
	s_and_saveexec_b32 s7, s6
	s_cbranch_execz .LBB77_2604
.LBB77_2603:
	v_and_b32_e32 v1, 0xffff, v3
	s_delay_alu instid0(VALU_DEP_1) | instskip(SKIP_1) | instid1(VALU_DEP_2)
	v_and_b32_e32 v5, 7, v1
	v_bfe_u32 v11, v1, 3, 4
	v_clz_i32_u32_e32 v7, v5
	s_delay_alu instid0(VALU_DEP_2) | instskip(NEXT) | instid1(VALU_DEP_2)
	v_cmp_eq_u32_e32 vcc_lo, 0, v11
	v_min_u32_e32 v7, 32, v7
	s_delay_alu instid0(VALU_DEP_1) | instskip(NEXT) | instid1(VALU_DEP_1)
	v_subrev_nc_u32_e32 v9, 28, v7
	v_dual_lshlrev_b32 v1, v9, v1 :: v_dual_sub_nc_u32 v7, 29, v7
	s_delay_alu instid0(VALU_DEP_1) | instskip(NEXT) | instid1(VALU_DEP_1)
	v_dual_lshlrev_b32 v3, 24, v3 :: v_dual_bitop2_b32 v1, 7, v1 bitop3:0x40
	v_dual_cndmask_b32 v1, v5, v1, vcc_lo :: v_dual_cndmask_b32 v7, v11, v7, vcc_lo
	s_delay_alu instid0(VALU_DEP_2) | instskip(NEXT) | instid1(VALU_DEP_2)
	v_and_b32_e32 v3, 0x80000000, v3
	v_lshlrev_b32_e32 v1, 20, v1
	s_delay_alu instid0(VALU_DEP_3) | instskip(NEXT) | instid1(VALU_DEP_1)
	v_lshl_add_u32 v5, v7, 23, 0x3b800000
	v_or3_b32 v1, v3, v5, v1
.LBB77_2604:
	s_or_b32 exec_lo, exec_lo, s7
.LBB77_2605:
	s_mov_b32 s6, -1
.LBB77_2606:
	s_mov_b32 s7, 0
.LBB77_2607:
	s_delay_alu instid0(SALU_CYCLE_1)
	s_and_b32 vcc_lo, exec_lo, s7
	s_cbranch_vccz .LBB77_2640
; %bb.2608:
	s_cmp_gt_i32 s14, 22
	s_cbranch_scc0 .LBB77_2618
; %bb.2609:
	s_cmp_lt_i32 s14, 24
	s_cbranch_scc1 .LBB77_2621
; %bb.2610:
	s_cmp_gt_i32 s14, 24
	s_cbranch_scc0 .LBB77_2622
; %bb.2611:
	global_load_u8 v3, v[12:13], off
	s_mov_b32 s6, exec_lo
	s_wait_loadcnt 0x0
	v_cmpx_lt_i16_e32 0x7f, v3
	s_xor_b32 s6, exec_lo, s6
	s_cbranch_execz .LBB77_2634
; %bb.2612:
	s_mov_b32 s1, -1
	s_mov_b32 s7, exec_lo
	v_cmpx_eq_u16_e32 0x80, v3
; %bb.2613:
	s_xor_b32 s1, exec_lo, -1
; %bb.2614:
	s_or_b32 exec_lo, exec_lo, s7
	s_delay_alu instid0(SALU_CYCLE_1)
	s_and_b32 s1, s1, exec_lo
	s_or_saveexec_b32 s6, s6
	v_mov_b32_e32 v1, 0x7f800001
	s_xor_b32 exec_lo, exec_lo, s6
	s_cbranch_execnz .LBB77_2635
.LBB77_2615:
	s_or_b32 exec_lo, exec_lo, s6
	s_and_saveexec_b32 s6, s1
	s_cbranch_execz .LBB77_2617
.LBB77_2616:
	v_and_b32_e32 v1, 0xffff, v3
	s_delay_alu instid0(VALU_DEP_1) | instskip(SKIP_1) | instid1(VALU_DEP_2)
	v_and_b32_e32 v5, 3, v1
	v_bfe_u32 v11, v1, 2, 5
	v_clz_i32_u32_e32 v7, v5
	s_delay_alu instid0(VALU_DEP_2) | instskip(NEXT) | instid1(VALU_DEP_2)
	v_cmp_eq_u32_e32 vcc_lo, 0, v11
	v_min_u32_e32 v7, 32, v7
	s_delay_alu instid0(VALU_DEP_1) | instskip(NEXT) | instid1(VALU_DEP_1)
	v_subrev_nc_u32_e32 v9, 29, v7
	v_dual_lshlrev_b32 v1, v9, v1 :: v_dual_sub_nc_u32 v7, 30, v7
	s_delay_alu instid0(VALU_DEP_1) | instskip(NEXT) | instid1(VALU_DEP_1)
	v_dual_lshlrev_b32 v3, 24, v3 :: v_dual_bitop2_b32 v1, 3, v1 bitop3:0x40
	v_dual_cndmask_b32 v1, v5, v1, vcc_lo :: v_dual_cndmask_b32 v7, v11, v7, vcc_lo
	s_delay_alu instid0(VALU_DEP_2) | instskip(NEXT) | instid1(VALU_DEP_2)
	v_and_b32_e32 v3, 0x80000000, v3
	v_lshlrev_b32_e32 v1, 21, v1
	s_delay_alu instid0(VALU_DEP_3) | instskip(NEXT) | instid1(VALU_DEP_1)
	v_lshl_add_u32 v5, v7, 23, 0x37800000
	v_or3_b32 v1, v3, v5, v1
.LBB77_2617:
	s_or_b32 exec_lo, exec_lo, s6
	s_mov_b32 s1, 0
	s_branch .LBB77_2623
.LBB77_2618:
	s_mov_b32 s1, -1
                                        ; implicit-def: $vgpr1
	s_branch .LBB77_2629
.LBB77_2619:
	s_or_saveexec_b32 s7, s7
	v_mov_b32_e32 v1, 0x7f800001
	s_xor_b32 exec_lo, exec_lo, s7
	s_cbranch_execz .LBB77_2602
.LBB77_2620:
	v_cmp_ne_u16_e32 vcc_lo, 0, v3
	v_mov_b32_e32 v1, 0
	s_and_not1_b32 s6, s6, exec_lo
	s_and_b32 s13, vcc_lo, exec_lo
	s_delay_alu instid0(SALU_CYCLE_1)
	s_or_b32 s6, s6, s13
	s_or_b32 exec_lo, exec_lo, s7
	s_and_saveexec_b32 s7, s6
	s_cbranch_execnz .LBB77_2603
	s_branch .LBB77_2604
.LBB77_2621:
	s_mov_b32 s1, -1
                                        ; implicit-def: $vgpr1
	s_branch .LBB77_2626
.LBB77_2622:
	s_mov_b32 s1, -1
                                        ; implicit-def: $vgpr1
.LBB77_2623:
	s_delay_alu instid0(SALU_CYCLE_1)
	s_and_b32 vcc_lo, exec_lo, s1
	s_cbranch_vccz .LBB77_2625
; %bb.2624:
	global_load_u8 v1, v[12:13], off
	s_wait_loadcnt 0x0
	v_lshlrev_b32_e32 v1, 24, v1
	s_delay_alu instid0(VALU_DEP_1) | instskip(NEXT) | instid1(VALU_DEP_1)
	v_and_b32_e32 v3, 0x7f000000, v1
	v_clz_i32_u32_e32 v5, v3
	v_add_nc_u32_e32 v9, 0x1000000, v3
	v_cmp_ne_u32_e32 vcc_lo, 0, v3
	s_delay_alu instid0(VALU_DEP_3) | instskip(NEXT) | instid1(VALU_DEP_1)
	v_min_u32_e32 v5, 32, v5
	v_sub_nc_u32_e64 v5, v5, 4 clamp
	s_delay_alu instid0(VALU_DEP_1) | instskip(NEXT) | instid1(VALU_DEP_1)
	v_dual_lshlrev_b32 v7, v5, v3 :: v_dual_lshlrev_b32 v5, 23, v5
	v_lshrrev_b32_e32 v7, 4, v7
	s_delay_alu instid0(VALU_DEP_1) | instskip(SKIP_1) | instid1(VALU_DEP_2)
	v_sub_nc_u32_e32 v5, v7, v5
	v_ashrrev_i32_e32 v7, 8, v9
	v_add_nc_u32_e32 v5, 0x3c000000, v5
	s_delay_alu instid0(VALU_DEP_1) | instskip(NEXT) | instid1(VALU_DEP_1)
	v_and_or_b32 v5, 0x7f800000, v7, v5
	v_cndmask_b32_e32 v3, 0, v5, vcc_lo
	s_delay_alu instid0(VALU_DEP_1)
	v_and_or_b32 v1, 0x80000000, v1, v3
.LBB77_2625:
	s_mov_b32 s1, 0
.LBB77_2626:
	s_delay_alu instid0(SALU_CYCLE_1)
	s_and_not1_b32 vcc_lo, exec_lo, s1
	s_cbranch_vccnz .LBB77_2628
; %bb.2627:
	global_load_u8 v1, v[12:13], off
	s_wait_loadcnt 0x0
	v_lshlrev_b32_e32 v3, 25, v1
	v_lshlrev_b16 v1, 8, v1
	s_delay_alu instid0(VALU_DEP_1) | instskip(SKIP_1) | instid1(VALU_DEP_2)
	v_and_or_b32 v7, 0x7f00, v1, 0.5
	v_bfe_i32 v1, v1, 0, 16
	v_add_f32_e32 v7, -0.5, v7
	v_lshrrev_b32_e32 v5, 4, v3
	v_cmp_gt_u32_e32 vcc_lo, 0x8000000, v3
	s_delay_alu instid0(VALU_DEP_2) | instskip(NEXT) | instid1(VALU_DEP_1)
	v_or_b32_e32 v5, 0x70000000, v5
	v_mul_f32_e32 v5, 0x7800000, v5
	s_delay_alu instid0(VALU_DEP_1) | instskip(NEXT) | instid1(VALU_DEP_1)
	v_cndmask_b32_e32 v3, v5, v7, vcc_lo
	v_and_or_b32 v1, 0x80000000, v1, v3
.LBB77_2628:
	s_mov_b32 s1, 0
	s_mov_b32 s6, -1
.LBB77_2629:
	s_and_not1_b32 vcc_lo, exec_lo, s1
	s_mov_b32 s1, 0
	s_cbranch_vccnz .LBB77_2640
; %bb.2630:
	s_cmp_gt_i32 s14, 14
	s_cbranch_scc0 .LBB77_2633
; %bb.2631:
	s_cmp_eq_u32 s14, 15
	s_cbranch_scc0 .LBB77_2636
; %bb.2632:
	global_load_u16 v1, v[12:13], off
	s_mov_b32 s0, 0
	s_mov_b32 s6, -1
	s_wait_loadcnt 0x0
	v_lshlrev_b32_e32 v1, 16, v1
	s_branch .LBB77_2638
.LBB77_2633:
	s_mov_b32 s1, -1
	s_branch .LBB77_2637
.LBB77_2634:
	s_or_saveexec_b32 s6, s6
	v_mov_b32_e32 v1, 0x7f800001
	s_xor_b32 exec_lo, exec_lo, s6
	s_cbranch_execz .LBB77_2615
.LBB77_2635:
	v_cmp_ne_u16_e32 vcc_lo, 0, v3
	v_mov_b32_e32 v1, 0
	s_and_not1_b32 s1, s1, exec_lo
	s_and_b32 s7, vcc_lo, exec_lo
	s_delay_alu instid0(SALU_CYCLE_1)
	s_or_b32 s1, s1, s7
	s_or_b32 exec_lo, exec_lo, s6
	s_and_saveexec_b32 s6, s1
	s_cbranch_execnz .LBB77_2616
	s_branch .LBB77_2617
.LBB77_2636:
	s_mov_b32 s0, -1
.LBB77_2637:
                                        ; implicit-def: $vgpr1
.LBB77_2638:
	s_and_b32 vcc_lo, exec_lo, s1
	s_mov_b32 s1, 0
	s_cbranch_vccz .LBB77_2640
; %bb.2639:
	s_cmp_lg_u32 s14, 11
	s_mov_b32 s1, -1
	s_cselect_b32 s0, -1, 0
.LBB77_2640:
	s_delay_alu instid0(SALU_CYCLE_1)
	s_and_b32 vcc_lo, exec_lo, s0
	s_cbranch_vccnz .LBB77_3176
; %bb.2641:
	s_and_not1_b32 vcc_lo, exec_lo, s1
	s_cbranch_vccnz .LBB77_2643
.LBB77_2642:
	global_load_u8 v1, v[12:13], off
	s_mov_b32 s6, -1
	s_wait_loadcnt 0x0
	v_cmp_ne_u16_e32 vcc_lo, 0, v1
	v_cndmask_b32_e64 v1, 0, 1.0, vcc_lo
.LBB77_2643:
	s_mov_b32 s0, 0
.LBB77_2644:
	s_delay_alu instid0(SALU_CYCLE_1)
	s_and_b32 vcc_lo, exec_lo, s0
	s_cbranch_vccz .LBB77_2693
; %bb.2645:
	s_cmp_lt_i32 s14, 5
	s_cbranch_scc1 .LBB77_2650
; %bb.2646:
	s_cmp_lt_i32 s14, 8
	s_cbranch_scc1 .LBB77_2651
	;; [unrolled: 3-line block ×3, first 2 shown]
; %bb.2648:
	s_cmp_gt_i32 s14, 9
	s_cbranch_scc0 .LBB77_2653
; %bb.2649:
	global_load_b64 v[18:19], v[12:13], off
	s_mov_b32 s0, 0
	s_wait_loadcnt 0x0
	v_cvt_f32_f64_e32 v1, v[18:19]
	s_branch .LBB77_2654
.LBB77_2650:
	s_mov_b32 s0, -1
                                        ; implicit-def: $vgpr1
	s_branch .LBB77_2672
.LBB77_2651:
	s_mov_b32 s0, -1
                                        ; implicit-def: $vgpr1
	s_branch .LBB77_2660
.LBB77_2652:
	s_mov_b32 s0, -1
                                        ; implicit-def: $vgpr1
	s_branch .LBB77_2657
.LBB77_2653:
	s_mov_b32 s0, -1
                                        ; implicit-def: $vgpr1
.LBB77_2654:
	s_delay_alu instid0(SALU_CYCLE_1)
	s_and_not1_b32 vcc_lo, exec_lo, s0
	s_cbranch_vccnz .LBB77_2656
; %bb.2655:
	global_load_b32 v1, v[12:13], off
.LBB77_2656:
	s_mov_b32 s0, 0
.LBB77_2657:
	s_delay_alu instid0(SALU_CYCLE_1)
	s_and_not1_b32 vcc_lo, exec_lo, s0
	s_cbranch_vccnz .LBB77_2659
; %bb.2658:
	s_wait_loadcnt 0x0
	global_load_b32 v1, v[12:13], off
	s_wait_loadcnt 0x0
	v_cvt_f32_f16_e32 v1, v1
.LBB77_2659:
	s_mov_b32 s0, 0
.LBB77_2660:
	s_delay_alu instid0(SALU_CYCLE_1)
	s_and_not1_b32 vcc_lo, exec_lo, s0
	s_cbranch_vccnz .LBB77_2671
; %bb.2661:
	s_cmp_lt_i32 s14, 6
	s_cbranch_scc1 .LBB77_2664
; %bb.2662:
	s_cmp_gt_i32 s14, 6
	s_cbranch_scc0 .LBB77_2665
; %bb.2663:
	global_load_b64 v[18:19], v[12:13], off
	s_mov_b32 s0, 0
	s_wait_loadcnt 0x0
	v_cvt_f32_f64_e32 v1, v[18:19]
	s_branch .LBB77_2666
.LBB77_2664:
	s_mov_b32 s0, -1
                                        ; implicit-def: $vgpr1
	s_branch .LBB77_2669
.LBB77_2665:
	s_mov_b32 s0, -1
                                        ; implicit-def: $vgpr1
.LBB77_2666:
	s_delay_alu instid0(SALU_CYCLE_1)
	s_and_not1_b32 vcc_lo, exec_lo, s0
	s_cbranch_vccnz .LBB77_2668
; %bb.2667:
	s_wait_loadcnt 0x0
	global_load_b32 v1, v[12:13], off
.LBB77_2668:
	s_mov_b32 s0, 0
.LBB77_2669:
	s_delay_alu instid0(SALU_CYCLE_1)
	s_and_not1_b32 vcc_lo, exec_lo, s0
	s_cbranch_vccnz .LBB77_2671
; %bb.2670:
	s_wait_loadcnt 0x0
	global_load_u16 v1, v[12:13], off
	s_wait_loadcnt 0x0
	v_cvt_f32_f16_e32 v1, v1
.LBB77_2671:
	s_mov_b32 s0, 0
.LBB77_2672:
	s_delay_alu instid0(SALU_CYCLE_1)
	s_and_not1_b32 vcc_lo, exec_lo, s0
	s_cbranch_vccnz .LBB77_2692
; %bb.2673:
	s_cmp_lt_i32 s14, 2
	s_cbranch_scc1 .LBB77_2677
; %bb.2674:
	s_cmp_lt_i32 s14, 3
	s_cbranch_scc1 .LBB77_2678
; %bb.2675:
	s_cmp_gt_i32 s14, 3
	s_cbranch_scc0 .LBB77_2679
; %bb.2676:
	global_load_b64 v[18:19], v[12:13], off
	s_mov_b32 s0, 0
	s_wait_loadcnt 0x0
	v_xor_b32_e32 v1, v18, v19
	v_cls_i32_e32 v3, v19
	s_delay_alu instid0(VALU_DEP_2) | instskip(NEXT) | instid1(VALU_DEP_1)
	v_ashrrev_i32_e32 v1, 31, v1
	v_add_nc_u32_e32 v1, 32, v1
	s_delay_alu instid0(VALU_DEP_1) | instskip(NEXT) | instid1(VALU_DEP_1)
	v_add_min_u32_e64 v1, v3, -1, v1
	v_lshlrev_b64_e32 v[18:19], v1, v[18:19]
	v_sub_nc_u32_e32 v1, 32, v1
	s_delay_alu instid0(VALU_DEP_2) | instskip(NEXT) | instid1(VALU_DEP_1)
	v_min_u32_e32 v3, 1, v18
	v_or_b32_e32 v3, v19, v3
	s_delay_alu instid0(VALU_DEP_1) | instskip(NEXT) | instid1(VALU_DEP_1)
	v_cvt_f32_i32_e32 v3, v3
	v_ldexp_f32 v1, v3, v1
	s_branch .LBB77_2680
.LBB77_2677:
	s_mov_b32 s0, -1
                                        ; implicit-def: $vgpr1
	s_branch .LBB77_2686
.LBB77_2678:
	s_mov_b32 s0, -1
                                        ; implicit-def: $vgpr1
	s_branch .LBB77_2683
.LBB77_2679:
	s_mov_b32 s0, -1
                                        ; implicit-def: $vgpr1
.LBB77_2680:
	s_delay_alu instid0(SALU_CYCLE_1)
	s_and_not1_b32 vcc_lo, exec_lo, s0
	s_cbranch_vccnz .LBB77_2682
; %bb.2681:
	s_wait_loadcnt 0x0
	global_load_b32 v1, v[12:13], off
	s_wait_loadcnt 0x0
	v_cvt_f32_i32_e32 v1, v1
.LBB77_2682:
	s_mov_b32 s0, 0
.LBB77_2683:
	s_delay_alu instid0(SALU_CYCLE_1)
	s_and_not1_b32 vcc_lo, exec_lo, s0
	s_cbranch_vccnz .LBB77_2685
; %bb.2684:
	s_wait_loadcnt 0x0
	global_load_i16 v1, v[12:13], off
	s_wait_loadcnt 0x0
	v_cvt_f32_i32_e32 v1, v1
.LBB77_2685:
	s_mov_b32 s0, 0
.LBB77_2686:
	s_delay_alu instid0(SALU_CYCLE_1)
	s_and_not1_b32 vcc_lo, exec_lo, s0
	s_cbranch_vccnz .LBB77_2692
; %bb.2687:
	s_cmp_gt_i32 s14, 0
	s_mov_b32 s0, 0
	s_cbranch_scc0 .LBB77_2689
; %bb.2688:
	s_wait_loadcnt 0x0
	global_load_i8 v1, v[12:13], off
	s_wait_loadcnt 0x0
	v_cvt_f32_i32_e32 v1, v1
	s_branch .LBB77_2690
.LBB77_2689:
	s_mov_b32 s0, -1
                                        ; implicit-def: $vgpr1
.LBB77_2690:
	s_delay_alu instid0(SALU_CYCLE_1)
	s_and_not1_b32 vcc_lo, exec_lo, s0
	s_cbranch_vccnz .LBB77_2692
; %bb.2691:
	s_wait_loadcnt 0x0
	global_load_u8 v1, v[12:13], off
	s_wait_loadcnt 0x0
	v_cvt_f32_ubyte0_e32 v1, v1
.LBB77_2692:
	s_mov_b32 s6, -1
.LBB77_2693:
	s_delay_alu instid0(SALU_CYCLE_1)
	s_and_not1_b32 vcc_lo, exec_lo, s6
	s_cbranch_vccnz .LBB77_2774
; %bb.2694:
	s_wait_loadcnt 0x0
	s_delay_alu instid0(VALU_DEP_1) | instskip(SKIP_2) | instid1(VALU_DEP_1)
	v_mul_f32_e32 v1, s8, v1
	s_mov_b32 s0, exec_lo
	s_wait_xcnt 0x0
	v_cmpx_nlt_f32_e32 s9, v1
	s_cbranch_execz .LBB77_2696
; %bb.2695:
	v_mul_f32_e32 v3, 0x3fb8aa3b, v1
	v_cmp_ngt_f32_e32 vcc_lo, 0xc2ce8ed0, v1
	s_delay_alu instid0(VALU_DEP_2) | instskip(SKIP_1) | instid1(VALU_DEP_2)
	v_rndne_f32_e32 v5, v3
	v_fma_f32 v7, 0x3fb8aa3b, v1, -v3
	v_sub_f32_e32 v3, v3, v5
	s_delay_alu instid0(VALU_DEP_2) | instskip(SKIP_1) | instid1(VALU_DEP_2)
	v_fmamk_f32 v7, v1, 0x32a5705f, v7
	v_cvt_i32_f32_e32 v5, v5
	v_add_f32_e32 v3, v3, v7
	s_delay_alu instid0(VALU_DEP_1) | instskip(SKIP_1) | instid1(TRANS32_DEP_1)
	v_exp_f32_e32 v3, v3
	v_nop
	v_ldexp_f32 v3, v3, v5
	s_delay_alu instid0(VALU_DEP_1) | instskip(SKIP_1) | instid1(VALU_DEP_2)
	v_cndmask_b32_e32 v3, 0, v3, vcc_lo
	v_cmp_nlt_f32_e32 vcc_lo, 0x42b17218, v1
	v_cndmask_b32_e32 v1, 0x7f800000, v3, vcc_lo
	s_delay_alu instid0(VALU_DEP_1) | instskip(NEXT) | instid1(VALU_DEP_1)
	v_dual_mul_f32 v3, v16, v1 :: v_dual_add_f32 v1, 1.0, v1
	v_div_scale_f32 v5, null, v1, v1, v3
	s_delay_alu instid0(VALU_DEP_1) | instskip(SKIP_1) | instid1(TRANS32_DEP_1)
	v_rcp_f32_e32 v7, v5
	v_nop
	v_fma_f32 v9, -v5, v7, 1.0
	s_delay_alu instid0(VALU_DEP_1) | instskip(SKIP_1) | instid1(VALU_DEP_1)
	v_fmac_f32_e32 v7, v9, v7
	v_div_scale_f32 v9, vcc_lo, v3, v1, v3
	v_mul_f32_e32 v11, v9, v7
	s_delay_alu instid0(VALU_DEP_1) | instskip(NEXT) | instid1(VALU_DEP_1)
	v_fma_f32 v12, -v5, v11, v9
	v_fmac_f32_e32 v11, v12, v7
	s_delay_alu instid0(VALU_DEP_1) | instskip(NEXT) | instid1(VALU_DEP_1)
	v_fma_f32 v5, -v5, v11, v9
	v_div_fmas_f32 v5, v5, v7, v11
	s_delay_alu instid0(VALU_DEP_1)
	v_div_fixup_f32 v16, v5, v1, v3
.LBB77_2696:
	s_or_b32 exec_lo, exec_lo, s0
	s_load_b32 s0, s[2:3], 0x1a8
	v_mov_b32_e32 v7, 0
	s_delay_alu instid0(VALU_DEP_1) | instskip(SKIP_2) | instid1(SALU_CYCLE_1)
	v_add_nc_u64_e32 v[6:7], s[4:5], v[6:7]
	s_wait_kmcnt 0x0
	s_and_b32 s1, s0, 0xff
	s_cmp_lt_i32 s1, 11
	s_cbranch_scc1 .LBB77_2819
; %bb.2697:
	s_and_b32 s2, 0xffff, s1
	s_mov_b32 s7, -1
	s_mov_b32 s3, 0
	s_cmp_gt_i32 s2, 25
	s_mov_b32 s6, 0
	s_mov_b32 s0, 0
	s_cbranch_scc0 .LBB77_2730
; %bb.2698:
	s_cmp_gt_i32 s2, 28
	s_cbranch_scc0 .LBB77_2713
; %bb.2699:
	s_cmp_gt_i32 s2, 43
	;; [unrolled: 3-line block ×3, first 2 shown]
	s_cbranch_scc0 .LBB77_2703
; %bb.2701:
	s_mov_b32 s0, -1
	s_mov_b32 s7, 0
	s_cmp_eq_u32 s2, 46
	s_cbranch_scc0 .LBB77_2703
; %bb.2702:
	v_bfe_u32 v1, v8, 16, 1
	v_cmp_o_f32_e32 vcc_lo, v8, v8
	s_mov_b32 s0, 0
	s_mov_b32 s6, -1
	s_delay_alu instid0(VALU_DEP_2) | instskip(NEXT) | instid1(VALU_DEP_1)
	v_add3_u32 v1, v8, v1, 0x7fff
	v_lshrrev_b32_e32 v1, 16, v1
	s_delay_alu instid0(VALU_DEP_1)
	v_cndmask_b32_e32 v1, 0x7fc0, v1, vcc_lo
	global_store_b32 v[6:7], v1, off
.LBB77_2703:
	s_and_b32 vcc_lo, exec_lo, s7
	s_cbranch_vccz .LBB77_2708
; %bb.2704:
	s_cmp_eq_u32 s2, 44
	s_mov_b32 s0, -1
	s_cbranch_scc0 .LBB77_2708
; %bb.2705:
	v_bfe_u32 v3, v8, 23, 8
	s_wait_xcnt 0x0
	v_mov_b32_e32 v1, 0xff
	s_mov_b32 s6, exec_lo
	s_delay_alu instid0(VALU_DEP_2)
	v_cmpx_ne_u32_e32 0xff, v3
	s_cbranch_execz .LBB77_2707
; %bb.2706:
	v_and_b32_e32 v1, 0x400000, v8
	v_and_or_b32 v3, 0x3fffff, v8, v3
	s_delay_alu instid0(VALU_DEP_2) | instskip(NEXT) | instid1(VALU_DEP_2)
	v_cmp_ne_u32_e32 vcc_lo, 0, v1
	v_cmp_ne_u32_e64 s0, 0, v3
	v_lshrrev_b32_e32 v1, 23, v8
	s_and_b32 s0, vcc_lo, s0
	s_delay_alu instid0(SALU_CYCLE_1) | instskip(NEXT) | instid1(VALU_DEP_1)
	v_cndmask_b32_e64 v3, 0, 1, s0
	v_add_nc_u32_e32 v1, v1, v3
.LBB77_2707:
	s_or_b32 exec_lo, exec_lo, s6
	s_mov_b32 s0, 0
	s_mov_b32 s6, -1
	global_store_b8 v[6:7], v1, off
.LBB77_2708:
	s_mov_b32 s7, 0
.LBB77_2709:
	s_delay_alu instid0(SALU_CYCLE_1)
	s_and_b32 vcc_lo, exec_lo, s7
	s_cbranch_vccz .LBB77_2712
; %bb.2710:
	s_cmp_eq_u32 s2, 29
	s_mov_b32 s0, -1
	s_cbranch_scc0 .LBB77_2712
; %bb.2711:
	s_wait_xcnt 0x0
	v_trunc_f32_e32 v1, v8
	s_mov_b32 s0, 0
	s_mov_b32 s6, -1
	s_delay_alu instid0(VALU_DEP_1) | instskip(NEXT) | instid1(VALU_DEP_1)
	v_mul_f32_e32 v3, 0x2f800000, v1
	v_floor_f32_e32 v3, v3
	s_delay_alu instid0(VALU_DEP_1) | instskip(SKIP_1) | instid1(VALU_DEP_2)
	v_fmamk_f32 v1, v3, 0xcf800000, v1
	v_cvt_u32_f32_e32 v13, v3
	v_cvt_u32_f32_e32 v12, v1
	global_store_b64 v[6:7], v[12:13], off
.LBB77_2712:
	s_mov_b32 s7, 0
.LBB77_2713:
	s_delay_alu instid0(SALU_CYCLE_1)
	s_and_b32 vcc_lo, exec_lo, s7
	s_cbranch_vccz .LBB77_2729
; %bb.2714:
	s_cmp_lt_i32 s2, 27
	s_mov_b32 s6, -1
	s_cbranch_scc1 .LBB77_2720
; %bb.2715:
	s_wait_xcnt 0x0
	v_cvt_u32_f32_e32 v1, v8
	s_cmp_gt_i32 s2, 27
	s_cbranch_scc0 .LBB77_2717
; %bb.2716:
	s_mov_b32 s6, 0
	global_store_b32 v[6:7], v1, off
.LBB77_2717:
	s_and_not1_b32 vcc_lo, exec_lo, s6
	s_cbranch_vccnz .LBB77_2719
; %bb.2718:
	global_store_b16 v[6:7], v1, off
.LBB77_2719:
	s_mov_b32 s6, 0
.LBB77_2720:
	s_delay_alu instid0(SALU_CYCLE_1)
	s_and_not1_b32 vcc_lo, exec_lo, s6
	s_cbranch_vccnz .LBB77_2728
; %bb.2721:
	s_wait_xcnt 0x0
	v_and_b32_e32 v1, 0x7fffffff, v8
	v_mov_b32_e32 v3, 0x80
	s_mov_b32 s6, exec_lo
	s_delay_alu instid0(VALU_DEP_2)
	v_cmpx_gt_u32_e32 0x43800000, v1
	s_cbranch_execz .LBB77_2727
; %bb.2722:
	v_cmp_lt_u32_e32 vcc_lo, 0x3bffffff, v1
	s_mov_b32 s7, 0
                                        ; implicit-def: $vgpr1
	s_and_saveexec_b32 s8, vcc_lo
	s_delay_alu instid0(SALU_CYCLE_1)
	s_xor_b32 s8, exec_lo, s8
	s_cbranch_execz .LBB77_3177
; %bb.2723:
	v_bfe_u32 v1, v8, 20, 1
	s_mov_b32 s7, exec_lo
	s_delay_alu instid0(VALU_DEP_1) | instskip(NEXT) | instid1(VALU_DEP_1)
	v_add3_u32 v1, v8, v1, 0x487ffff
	v_lshrrev_b32_e32 v1, 20, v1
	s_and_not1_saveexec_b32 s8, s8
	s_cbranch_execnz .LBB77_3178
.LBB77_2724:
	s_or_b32 exec_lo, exec_lo, s8
	v_mov_b32_e32 v3, 0
	s_and_saveexec_b32 s8, s7
.LBB77_2725:
	v_lshrrev_b32_e32 v3, 24, v8
	s_delay_alu instid0(VALU_DEP_1)
	v_and_or_b32 v3, 0x80, v3, v1
.LBB77_2726:
	s_or_b32 exec_lo, exec_lo, s8
.LBB77_2727:
	s_delay_alu instid0(SALU_CYCLE_1)
	s_or_b32 exec_lo, exec_lo, s6
	global_store_b8 v[6:7], v3, off
.LBB77_2728:
	s_mov_b32 s6, -1
.LBB77_2729:
	s_mov_b32 s7, 0
.LBB77_2730:
	s_delay_alu instid0(SALU_CYCLE_1)
	s_and_b32 vcc_lo, exec_lo, s7
	s_cbranch_vccz .LBB77_2770
; %bb.2731:
	s_cmp_gt_i32 s2, 22
	s_mov_b32 s3, -1
	s_cbranch_scc0 .LBB77_2763
; %bb.2732:
	s_cmp_lt_i32 s2, 24
	s_cbranch_scc1 .LBB77_2752
; %bb.2733:
	s_cmp_gt_i32 s2, 24
	s_cbranch_scc0 .LBB77_2741
; %bb.2734:
	s_wait_xcnt 0x0
	v_and_b32_e32 v1, 0x7fffffff, v8
	v_mov_b32_e32 v3, 0x80
	s_mov_b32 s3, exec_lo
	s_delay_alu instid0(VALU_DEP_2)
	v_cmpx_gt_u32_e32 0x47800000, v1
	s_cbranch_execz .LBB77_2740
; %bb.2735:
	v_cmp_lt_u32_e32 vcc_lo, 0x37ffffff, v1
	s_mov_b32 s6, 0
                                        ; implicit-def: $vgpr1
	s_and_saveexec_b32 s7, vcc_lo
	s_delay_alu instid0(SALU_CYCLE_1)
	s_xor_b32 s7, exec_lo, s7
	s_cbranch_execz .LBB77_3180
; %bb.2736:
	v_bfe_u32 v1, v8, 21, 1
	s_mov_b32 s6, exec_lo
	s_delay_alu instid0(VALU_DEP_1) | instskip(NEXT) | instid1(VALU_DEP_1)
	v_add3_u32 v1, v8, v1, 0x88fffff
	v_lshrrev_b32_e32 v1, 21, v1
	s_and_not1_saveexec_b32 s7, s7
	s_cbranch_execnz .LBB77_3181
.LBB77_2737:
	s_or_b32 exec_lo, exec_lo, s7
	v_mov_b32_e32 v3, 0
	s_and_saveexec_b32 s7, s6
.LBB77_2738:
	v_lshrrev_b32_e32 v3, 24, v8
	s_delay_alu instid0(VALU_DEP_1)
	v_and_or_b32 v3, 0x80, v3, v1
.LBB77_2739:
	s_or_b32 exec_lo, exec_lo, s7
.LBB77_2740:
	s_delay_alu instid0(SALU_CYCLE_1)
	s_or_b32 exec_lo, exec_lo, s3
	s_mov_b32 s3, 0
	global_store_b8 v[6:7], v3, off
.LBB77_2741:
	s_and_b32 vcc_lo, exec_lo, s3
	s_cbranch_vccz .LBB77_2751
; %bb.2742:
	s_wait_xcnt 0x0
	v_and_b32_e32 v3, 0x7fffffff, v8
	s_mov_b32 s3, exec_lo
                                        ; implicit-def: $vgpr1
	s_delay_alu instid0(VALU_DEP_1)
	v_cmpx_gt_u32_e32 0x43f00000, v3
	s_xor_b32 s3, exec_lo, s3
	s_cbranch_execz .LBB77_2748
; %bb.2743:
	s_mov_b32 s6, exec_lo
                                        ; implicit-def: $vgpr1
	v_cmpx_lt_u32_e32 0x3c7fffff, v3
	s_xor_b32 s6, exec_lo, s6
; %bb.2744:
	v_bfe_u32 v1, v8, 20, 1
	s_delay_alu instid0(VALU_DEP_1) | instskip(NEXT) | instid1(VALU_DEP_1)
	v_add3_u32 v1, v8, v1, 0x407ffff
	v_and_b32_e32 v3, 0xff00000, v1
	v_lshrrev_b32_e32 v1, 20, v1
	s_delay_alu instid0(VALU_DEP_2) | instskip(NEXT) | instid1(VALU_DEP_2)
	v_cmp_ne_u32_e32 vcc_lo, 0x7f00000, v3
	v_cndmask_b32_e32 v1, 0x7e, v1, vcc_lo
; %bb.2745:
	s_and_not1_saveexec_b32 s6, s6
; %bb.2746:
	v_add_f32_e64 v1, 0x46800000, |v8|
; %bb.2747:
	s_or_b32 exec_lo, exec_lo, s6
                                        ; implicit-def: $vgpr3
.LBB77_2748:
	s_and_not1_saveexec_b32 s3, s3
; %bb.2749:
	v_mov_b32_e32 v1, 0x7f
	v_cmp_lt_u32_e32 vcc_lo, 0x7f800000, v3
	s_delay_alu instid0(VALU_DEP_2)
	v_cndmask_b32_e32 v1, 0x7e, v1, vcc_lo
; %bb.2750:
	s_or_b32 exec_lo, exec_lo, s3
	v_lshrrev_b32_e32 v3, 24, v8
	s_delay_alu instid0(VALU_DEP_1)
	v_and_or_b32 v1, 0x80, v3, v1
	global_store_b8 v[6:7], v1, off
.LBB77_2751:
	s_mov_b32 s3, 0
.LBB77_2752:
	s_delay_alu instid0(SALU_CYCLE_1)
	s_and_not1_b32 vcc_lo, exec_lo, s3
	s_cbranch_vccnz .LBB77_2762
; %bb.2753:
	s_wait_xcnt 0x0
	v_and_b32_e32 v3, 0x7fffffff, v8
	s_mov_b32 s3, exec_lo
                                        ; implicit-def: $vgpr1
	s_delay_alu instid0(VALU_DEP_1)
	v_cmpx_gt_u32_e32 0x47800000, v3
	s_xor_b32 s3, exec_lo, s3
	s_cbranch_execz .LBB77_2759
; %bb.2754:
	s_mov_b32 s6, exec_lo
                                        ; implicit-def: $vgpr1
	v_cmpx_lt_u32_e32 0x387fffff, v3
	s_xor_b32 s6, exec_lo, s6
; %bb.2755:
	v_bfe_u32 v1, v8, 21, 1
	s_delay_alu instid0(VALU_DEP_1) | instskip(NEXT) | instid1(VALU_DEP_1)
	v_add3_u32 v1, v8, v1, 0x80fffff
	v_lshrrev_b32_e32 v1, 21, v1
; %bb.2756:
	s_and_not1_saveexec_b32 s6, s6
; %bb.2757:
	v_add_f32_e64 v1, 0x43000000, |v8|
; %bb.2758:
	s_or_b32 exec_lo, exec_lo, s6
                                        ; implicit-def: $vgpr3
.LBB77_2759:
	s_and_not1_saveexec_b32 s3, s3
; %bb.2760:
	v_mov_b32_e32 v1, 0x7f
	v_cmp_lt_u32_e32 vcc_lo, 0x7f800000, v3
	s_delay_alu instid0(VALU_DEP_2)
	v_cndmask_b32_e32 v1, 0x7c, v1, vcc_lo
; %bb.2761:
	s_or_b32 exec_lo, exec_lo, s3
	v_lshrrev_b32_e32 v3, 24, v8
	s_delay_alu instid0(VALU_DEP_1)
	v_and_or_b32 v1, 0x80, v3, v1
	global_store_b8 v[6:7], v1, off
.LBB77_2762:
	s_mov_b32 s3, 0
	s_mov_b32 s6, -1
.LBB77_2763:
	s_and_not1_b32 vcc_lo, exec_lo, s3
	s_mov_b32 s3, 0
	s_cbranch_vccnz .LBB77_2770
; %bb.2764:
	s_cmp_gt_i32 s2, 14
	s_mov_b32 s3, -1
	s_cbranch_scc0 .LBB77_2768
; %bb.2765:
	s_cmp_eq_u32 s2, 15
	s_mov_b32 s0, -1
	s_cbranch_scc0 .LBB77_2767
; %bb.2766:
	s_wait_xcnt 0x0
	v_bfe_u32 v1, v8, 16, 1
	v_cmp_o_f32_e32 vcc_lo, v8, v8
	s_mov_b32 s0, 0
	s_mov_b32 s6, -1
	s_delay_alu instid0(VALU_DEP_2) | instskip(NEXT) | instid1(VALU_DEP_1)
	v_add3_u32 v1, v8, v1, 0x7fff
	v_lshrrev_b32_e32 v1, 16, v1
	s_delay_alu instid0(VALU_DEP_1)
	v_cndmask_b32_e32 v1, 0x7fc0, v1, vcc_lo
	global_store_b16 v[6:7], v1, off
.LBB77_2767:
	s_mov_b32 s3, 0
.LBB77_2768:
	s_delay_alu instid0(SALU_CYCLE_1)
	s_and_b32 vcc_lo, exec_lo, s3
	s_mov_b32 s3, 0
	s_cbranch_vccz .LBB77_2770
; %bb.2769:
	s_cmp_lg_u32 s2, 11
	s_mov_b32 s3, -1
	s_cselect_b32 s0, -1, 0
.LBB77_2770:
	s_delay_alu instid0(SALU_CYCLE_1)
	s_and_b32 vcc_lo, exec_lo, s0
	s_cbranch_vccnz .LBB77_3179
; %bb.2771:
	s_and_not1_b32 vcc_lo, exec_lo, s3
	s_cbranch_vccnz .LBB77_2773
.LBB77_2772:
	v_cmp_neq_f32_e32 vcc_lo, 0, v8
	s_mov_b32 s6, -1
	s_wait_xcnt 0x0
	v_cndmask_b32_e64 v1, 0, 1, vcc_lo
	global_store_b8 v[6:7], v1, off
.LBB77_2773:
	s_mov_b32 s0, 0
	s_branch .LBB77_2820
.LBB77_2774:
	s_mov_b32 s0, 0
	s_wait_xcnt 0x0
	s_mov_b32 s3, 0
                                        ; implicit-def: $vgpr2_vgpr3
                                        ; implicit-def: $sgpr1
                                        ; implicit-def: $vgpr16
.LBB77_2775:
	s_and_not1_b32 s2, s10, exec_lo
	s_and_b32 s4, s12, exec_lo
	s_and_b32 s0, s0, exec_lo
	;; [unrolled: 1-line block ×3, first 2 shown]
	s_or_b32 s10, s2, s4
.LBB77_2776:
	s_wait_xcnt 0x0
	s_or_b32 exec_lo, exec_lo, s11
	s_and_saveexec_b32 s2, s10
	s_cbranch_execz .LBB77_2779
; %bb.2777:
	; divergent unreachable
	s_or_b32 exec_lo, exec_lo, s2
	s_and_saveexec_b32 s2, s30
	s_delay_alu instid0(SALU_CYCLE_1)
	s_xor_b32 s2, exec_lo, s2
	s_cbranch_execnz .LBB77_2780
.LBB77_2778:
	s_or_b32 exec_lo, exec_lo, s2
	s_and_saveexec_b32 s2, s0
	s_cbranch_execnz .LBB77_2781
	s_branch .LBB77_2818
.LBB77_2779:
	s_or_b32 exec_lo, exec_lo, s2
	s_and_saveexec_b32 s2, s30
	s_delay_alu instid0(SALU_CYCLE_1)
	s_xor_b32 s2, exec_lo, s2
	s_cbranch_execz .LBB77_2778
.LBB77_2780:
	s_wait_loadcnt 0x0
	s_delay_alu instid0(VALU_DEP_1)
	v_cmp_neq_f32_e32 vcc_lo, 0, v16
	v_cndmask_b32_e64 v0, 0, 1, vcc_lo
	global_store_b8 v[2:3], v0, off
	s_wait_xcnt 0x0
	s_or_b32 exec_lo, exec_lo, s2
	s_and_saveexec_b32 s2, s0
	s_cbranch_execz .LBB77_2818
.LBB77_2781:
	s_sext_i32_i16 s2, s1
	s_mov_b32 s0, -1
	s_cmp_lt_i32 s2, 5
	s_cbranch_scc1 .LBB77_2802
; %bb.2782:
	s_cmp_lt_i32 s2, 8
	s_cbranch_scc1 .LBB77_2792
; %bb.2783:
	;; [unrolled: 3-line block ×3, first 2 shown]
	s_cmp_gt_i32 s2, 9
	s_cbranch_scc0 .LBB77_2786
; %bb.2785:
	s_wait_loadcnt 0x0
	v_cvt_f64_f32_e32 v[4:5], v16
	v_mov_b32_e32 v6, 0
	s_mov_b32 s0, 0
	s_delay_alu instid0(VALU_DEP_1)
	v_mov_b32_e32 v7, v6
	global_store_b128 v[2:3], v[4:7], off
.LBB77_2786:
	s_and_not1_b32 vcc_lo, exec_lo, s0
	s_cbranch_vccnz .LBB77_2788
; %bb.2787:
	v_mov_b32_e32 v17, 0
	s_wait_loadcnt 0x0
	global_store_b64 v[2:3], v[16:17], off
.LBB77_2788:
	s_mov_b32 s0, 0
.LBB77_2789:
	s_delay_alu instid0(SALU_CYCLE_1)
	s_and_not1_b32 vcc_lo, exec_lo, s0
	s_cbranch_vccnz .LBB77_2791
; %bb.2790:
	s_wait_loadcnt 0x0
	v_cvt_f16_f32_e32 v0, v16
	s_delay_alu instid0(VALU_DEP_1)
	v_and_b32_e32 v0, 0xffff, v0
	global_store_b32 v[2:3], v0, off
.LBB77_2791:
	s_mov_b32 s0, 0
.LBB77_2792:
	s_delay_alu instid0(SALU_CYCLE_1)
	s_and_not1_b32 vcc_lo, exec_lo, s0
	s_cbranch_vccnz .LBB77_2801
; %bb.2793:
	s_sext_i32_i16 s2, s1
	s_mov_b32 s0, -1
	s_cmp_lt_i32 s2, 6
	s_cbranch_scc1 .LBB77_2799
; %bb.2794:
	s_cmp_gt_i32 s2, 6
	s_cbranch_scc0 .LBB77_2796
; %bb.2795:
	s_wait_loadcnt 0x0
	v_cvt_f64_f32_e32 v[0:1], v16
	s_mov_b32 s0, 0
	global_store_b64 v[2:3], v[0:1], off
.LBB77_2796:
	s_and_not1_b32 vcc_lo, exec_lo, s0
	s_cbranch_vccnz .LBB77_2798
; %bb.2797:
	s_wait_loadcnt 0x0
	global_store_b32 v[2:3], v16, off
.LBB77_2798:
	s_mov_b32 s0, 0
.LBB77_2799:
	s_delay_alu instid0(SALU_CYCLE_1)
	s_and_not1_b32 vcc_lo, exec_lo, s0
	s_cbranch_vccnz .LBB77_2801
; %bb.2800:
	s_wait_loadcnt 0x0
	v_cvt_f16_f32_e32 v0, v16
	global_store_b16 v[2:3], v0, off
.LBB77_2801:
	s_mov_b32 s0, 0
.LBB77_2802:
	s_delay_alu instid0(SALU_CYCLE_1)
	s_and_not1_b32 vcc_lo, exec_lo, s0
	s_cbranch_vccnz .LBB77_2818
; %bb.2803:
	s_sext_i32_i16 s2, s1
	s_mov_b32 s0, -1
	s_cmp_lt_i32 s2, 2
	s_cbranch_scc1 .LBB77_2813
; %bb.2804:
	s_cmp_lt_i32 s2, 3
	s_cbranch_scc1 .LBB77_2810
; %bb.2805:
	s_cmp_gt_i32 s2, 3
	s_cbranch_scc0 .LBB77_2807
; %bb.2806:
	s_wait_loadcnt 0x0
	v_trunc_f32_e32 v0, v16
	s_mov_b32 s0, 0
	s_delay_alu instid0(VALU_DEP_1) | instskip(NEXT) | instid1(VALU_DEP_1)
	v_mul_f32_e64 v1, 0x2f800000, |v0|
	v_floor_f32_e32 v1, v1
	s_delay_alu instid0(VALU_DEP_1) | instskip(SKIP_2) | instid1(VALU_DEP_3)
	v_fma_f32 v4, 0xcf800000, v1, |v0|
	v_ashrrev_i32_e32 v0, 31, v0
	v_cvt_u32_f32_e32 v5, v1
	v_cvt_u32_f32_e32 v4, v4
	s_delay_alu instid0(VALU_DEP_2) | instskip(NEXT) | instid1(VALU_DEP_2)
	v_dual_mov_b32 v1, v0 :: v_dual_bitop2_b32 v5, v5, v0 bitop3:0x14
	v_xor_b32_e32 v4, v4, v0
	s_delay_alu instid0(VALU_DEP_1)
	v_sub_nc_u64_e32 v[0:1], v[4:5], v[0:1]
	global_store_b64 v[2:3], v[0:1], off
.LBB77_2807:
	s_and_not1_b32 vcc_lo, exec_lo, s0
	s_cbranch_vccnz .LBB77_2809
; %bb.2808:
	s_wait_loadcnt 0x0
	v_cvt_i32_f32_e32 v0, v16
	global_store_b32 v[2:3], v0, off
.LBB77_2809:
	s_mov_b32 s0, 0
.LBB77_2810:
	s_delay_alu instid0(SALU_CYCLE_1)
	s_and_not1_b32 vcc_lo, exec_lo, s0
	s_cbranch_vccnz .LBB77_2812
; %bb.2811:
	s_wait_loadcnt 0x0
	v_cvt_i32_f32_e32 v0, v16
	global_store_b16 v[2:3], v0, off
.LBB77_2812:
	s_mov_b32 s0, 0
.LBB77_2813:
	s_delay_alu instid0(SALU_CYCLE_1)
	s_and_not1_b32 vcc_lo, exec_lo, s0
	s_cbranch_vccnz .LBB77_2818
; %bb.2814:
	s_sext_i32_i16 s0, s1
	s_delay_alu instid0(SALU_CYCLE_1)
	s_cmp_gt_i32 s0, 0
	s_mov_b32 s0, -1
	s_cbranch_scc0 .LBB77_2816
; %bb.2815:
	s_wait_loadcnt 0x0
	v_cvt_i32_f32_e32 v0, v16
	s_mov_b32 s0, 0
	global_store_b8 v[2:3], v0, off
.LBB77_2816:
	s_and_not1_b32 vcc_lo, exec_lo, s0
	s_cbranch_vccnz .LBB77_2818
; %bb.2817:
	s_wait_loadcnt 0x0
	v_trunc_f32_e32 v0, v16
	s_delay_alu instid0(VALU_DEP_1) | instskip(NEXT) | instid1(VALU_DEP_1)
	v_mul_f32_e64 v1, 0x2f800000, |v0|
	v_floor_f32_e32 v1, v1
	s_delay_alu instid0(VALU_DEP_1) | instskip(SKIP_1) | instid1(VALU_DEP_2)
	v_fma_f32 v1, 0xcf800000, v1, |v0|
	v_ashrrev_i32_e32 v0, 31, v0
	v_cvt_u32_f32_e32 v1, v1
	s_delay_alu instid0(VALU_DEP_1) | instskip(NEXT) | instid1(VALU_DEP_1)
	v_xor_b32_e32 v1, v1, v0
	v_sub_nc_u32_e32 v0, v1, v0
	global_store_b8 v[2:3], v0, off
	s_endpgm
.LBB77_2818:
	s_endpgm
.LBB77_2819:
	s_mov_b32 s0, -1
	s_mov_b32 s6, 0
.LBB77_2820:
	s_and_b32 vcc_lo, exec_lo, s0
	s_cbranch_vccz .LBB77_2859
; %bb.2821:
	s_and_b32 s0, 0xffff, s1
	s_mov_b32 s2, -1
	s_cmp_lt_i32 s0, 5
	s_cbranch_scc1 .LBB77_2842
; %bb.2822:
	s_cmp_lt_i32 s0, 8
	s_cbranch_scc1 .LBB77_2832
; %bb.2823:
	;; [unrolled: 3-line block ×3, first 2 shown]
	s_cmp_gt_i32 s0, 9
	s_cbranch_scc0 .LBB77_2826
; %bb.2825:
	v_cvt_f64_f32_e32 v[18:19], v8
	v_mov_b32_e32 v20, 0
	s_mov_b32 s2, 0
	s_delay_alu instid0(VALU_DEP_1)
	v_mov_b32_e32 v21, v20
	global_store_b128 v[6:7], v[18:21], off
.LBB77_2826:
	s_and_not1_b32 vcc_lo, exec_lo, s2
	s_cbranch_vccnz .LBB77_2828
; %bb.2827:
	v_mov_b32_e32 v9, 0
	global_store_b64 v[6:7], v[8:9], off
.LBB77_2828:
	s_mov_b32 s2, 0
.LBB77_2829:
	s_delay_alu instid0(SALU_CYCLE_1)
	s_and_not1_b32 vcc_lo, exec_lo, s2
	s_cbranch_vccnz .LBB77_2831
; %bb.2830:
	s_wait_xcnt 0x0
	v_cvt_f16_f32_e32 v1, v8
	s_delay_alu instid0(VALU_DEP_1)
	v_and_b32_e32 v1, 0xffff, v1
	global_store_b32 v[6:7], v1, off
.LBB77_2831:
	s_mov_b32 s2, 0
.LBB77_2832:
	s_delay_alu instid0(SALU_CYCLE_1)
	s_and_not1_b32 vcc_lo, exec_lo, s2
	s_cbranch_vccnz .LBB77_2841
; %bb.2833:
	s_cmp_lt_i32 s0, 6
	s_mov_b32 s2, -1
	s_cbranch_scc1 .LBB77_2839
; %bb.2834:
	s_cmp_gt_i32 s0, 6
	s_cbranch_scc0 .LBB77_2836
; %bb.2835:
	s_wait_xcnt 0x0
	v_cvt_f64_f32_e32 v[12:13], v8
	s_mov_b32 s2, 0
	global_store_b64 v[6:7], v[12:13], off
.LBB77_2836:
	s_and_not1_b32 vcc_lo, exec_lo, s2
	s_cbranch_vccnz .LBB77_2838
; %bb.2837:
	global_store_b32 v[6:7], v8, off
.LBB77_2838:
	s_mov_b32 s2, 0
.LBB77_2839:
	s_delay_alu instid0(SALU_CYCLE_1)
	s_and_not1_b32 vcc_lo, exec_lo, s2
	s_cbranch_vccnz .LBB77_2841
; %bb.2840:
	s_wait_xcnt 0x0
	v_cvt_f16_f32_e32 v1, v8
	global_store_b16 v[6:7], v1, off
.LBB77_2841:
	s_mov_b32 s2, 0
.LBB77_2842:
	s_delay_alu instid0(SALU_CYCLE_1)
	s_and_not1_b32 vcc_lo, exec_lo, s2
	s_cbranch_vccnz .LBB77_2858
; %bb.2843:
	s_cmp_lt_i32 s0, 2
	s_mov_b32 s2, -1
	s_cbranch_scc1 .LBB77_2853
; %bb.2844:
	s_cmp_lt_i32 s0, 3
	s_cbranch_scc1 .LBB77_2850
; %bb.2845:
	s_cmp_gt_i32 s0, 3
	s_cbranch_scc0 .LBB77_2847
; %bb.2846:
	s_wait_xcnt 0x0
	v_trunc_f32_e32 v1, v8
	s_mov_b32 s2, 0
	s_delay_alu instid0(VALU_DEP_1) | instskip(SKIP_1) | instid1(VALU_DEP_2)
	v_mul_f32_e64 v3, 0x2f800000, |v1|
	v_ashrrev_i32_e32 v12, 31, v1
	v_floor_f32_e32 v3, v3
	s_delay_alu instid0(VALU_DEP_1) | instskip(SKIP_1) | instid1(VALU_DEP_4)
	v_fma_f32 v5, 0xcf800000, v3, |v1|
	v_cvt_u32_f32_e32 v1, v3
	v_mov_b32_e32 v13, v12
	s_delay_alu instid0(VALU_DEP_3) | instskip(NEXT) | instid1(VALU_DEP_3)
	v_cvt_u32_f32_e32 v3, v5
	v_xor_b32_e32 v19, v1, v12
	s_delay_alu instid0(VALU_DEP_2) | instskip(NEXT) | instid1(VALU_DEP_1)
	v_xor_b32_e32 v18, v3, v12
	v_sub_nc_u64_e32 v[12:13], v[18:19], v[12:13]
	global_store_b64 v[6:7], v[12:13], off
.LBB77_2847:
	s_and_not1_b32 vcc_lo, exec_lo, s2
	s_cbranch_vccnz .LBB77_2849
; %bb.2848:
	s_wait_xcnt 0x0
	v_cvt_i32_f32_e32 v1, v8
	global_store_b32 v[6:7], v1, off
.LBB77_2849:
	s_mov_b32 s2, 0
.LBB77_2850:
	s_delay_alu instid0(SALU_CYCLE_1)
	s_and_not1_b32 vcc_lo, exec_lo, s2
	s_cbranch_vccnz .LBB77_2852
; %bb.2851:
	s_wait_xcnt 0x0
	v_cvt_i32_f32_e32 v1, v8
	global_store_b16 v[6:7], v1, off
.LBB77_2852:
	s_mov_b32 s2, 0
.LBB77_2853:
	s_delay_alu instid0(SALU_CYCLE_1)
	s_and_not1_b32 vcc_lo, exec_lo, s2
	s_cbranch_vccnz .LBB77_2858
; %bb.2854:
	s_cmp_gt_i32 s0, 0
	s_mov_b32 s0, -1
	s_cbranch_scc0 .LBB77_2856
; %bb.2855:
	s_wait_xcnt 0x0
	v_cvt_i32_f32_e32 v1, v8
	s_mov_b32 s0, 0
	global_store_b8 v[6:7], v1, off
.LBB77_2856:
	s_and_not1_b32 vcc_lo, exec_lo, s0
	s_cbranch_vccnz .LBB77_2858
; %bb.2857:
	s_wait_xcnt 0x0
	v_trunc_f32_e32 v1, v8
	s_delay_alu instid0(VALU_DEP_1) | instskip(NEXT) | instid1(VALU_DEP_1)
	v_mul_f32_e64 v3, 0x2f800000, |v1|
	v_floor_f32_e32 v3, v3
	s_delay_alu instid0(VALU_DEP_1) | instskip(SKIP_1) | instid1(VALU_DEP_2)
	v_fma_f32 v3, 0xcf800000, v3, |v1|
	v_ashrrev_i32_e32 v1, 31, v1
	v_cvt_u32_f32_e32 v3, v3
	s_delay_alu instid0(VALU_DEP_1) | instskip(NEXT) | instid1(VALU_DEP_1)
	v_xor_b32_e32 v3, v3, v1
	v_sub_nc_u32_e32 v1, v3, v1
	global_store_b8 v[6:7], v1, off
.LBB77_2858:
	s_mov_b32 s6, -1
.LBB77_2859:
	s_delay_alu instid0(SALU_CYCLE_1)
	s_and_not1_b32 vcc_lo, exec_lo, s6
	s_cbranch_vccnz .LBB77_3174
; %bb.2860:
	v_mov_b32_e32 v5, 0
	s_and_b32 s2, 0xffff, s1
	s_delay_alu instid0(SALU_CYCLE_1) | instskip(NEXT) | instid1(VALU_DEP_1)
	s_cmp_lt_i32 s2, 11
	v_add_nc_u64_e32 v[4:5], s[4:5], v[4:5]
	s_cbranch_scc1 .LBB77_2938
; %bb.2861:
	s_mov_b32 s7, -1
	s_mov_b32 s3, 0
	s_cmp_gt_i32 s2, 25
	s_mov_b32 s6, 0
	s_mov_b32 s0, 0
	s_cbranch_scc0 .LBB77_2894
; %bb.2862:
	s_cmp_gt_i32 s2, 28
	s_cbranch_scc0 .LBB77_2877
; %bb.2863:
	s_cmp_gt_i32 s2, 43
	;; [unrolled: 3-line block ×3, first 2 shown]
	s_cbranch_scc0 .LBB77_2867
; %bb.2865:
	s_mov_b32 s0, -1
	s_mov_b32 s7, 0
	s_cmp_eq_u32 s2, 46
	s_cbranch_scc0 .LBB77_2867
; %bb.2866:
	s_wait_xcnt 0x0
	v_bfe_u32 v1, v10, 16, 1
	v_cmp_o_f32_e32 vcc_lo, v10, v10
	s_mov_b32 s0, 0
	s_mov_b32 s6, -1
	s_delay_alu instid0(VALU_DEP_2) | instskip(NEXT) | instid1(VALU_DEP_1)
	v_add3_u32 v1, v10, v1, 0x7fff
	v_lshrrev_b32_e32 v1, 16, v1
	s_delay_alu instid0(VALU_DEP_1)
	v_cndmask_b32_e32 v1, 0x7fc0, v1, vcc_lo
	global_store_b32 v[4:5], v1, off
.LBB77_2867:
	s_and_b32 vcc_lo, exec_lo, s7
	s_cbranch_vccz .LBB77_2872
; %bb.2868:
	s_cmp_eq_u32 s2, 44
	s_mov_b32 s0, -1
	s_cbranch_scc0 .LBB77_2872
; %bb.2869:
	s_wait_xcnt 0x0
	v_bfe_u32 v3, v10, 23, 8
	v_mov_b32_e32 v1, 0xff
	s_mov_b32 s6, exec_lo
	s_delay_alu instid0(VALU_DEP_2)
	v_cmpx_ne_u32_e32 0xff, v3
	s_cbranch_execz .LBB77_2871
; %bb.2870:
	v_and_b32_e32 v1, 0x400000, v10
	v_and_or_b32 v3, 0x3fffff, v10, v3
	s_delay_alu instid0(VALU_DEP_2) | instskip(NEXT) | instid1(VALU_DEP_2)
	v_cmp_ne_u32_e32 vcc_lo, 0, v1
	v_cmp_ne_u32_e64 s0, 0, v3
	v_lshrrev_b32_e32 v1, 23, v10
	s_and_b32 s0, vcc_lo, s0
	s_delay_alu instid0(SALU_CYCLE_1) | instskip(NEXT) | instid1(VALU_DEP_1)
	v_cndmask_b32_e64 v3, 0, 1, s0
	v_add_nc_u32_e32 v1, v1, v3
.LBB77_2871:
	s_or_b32 exec_lo, exec_lo, s6
	s_mov_b32 s0, 0
	s_mov_b32 s6, -1
	global_store_b8 v[4:5], v1, off
.LBB77_2872:
	s_mov_b32 s7, 0
.LBB77_2873:
	s_delay_alu instid0(SALU_CYCLE_1)
	s_and_b32 vcc_lo, exec_lo, s7
	s_cbranch_vccz .LBB77_2876
; %bb.2874:
	s_cmp_eq_u32 s2, 29
	s_mov_b32 s0, -1
	s_cbranch_scc0 .LBB77_2876
; %bb.2875:
	s_wait_xcnt 0x0
	v_trunc_f32_e32 v1, v10
	s_mov_b32 s0, 0
	s_mov_b32 s6, -1
	s_delay_alu instid0(VALU_DEP_1) | instskip(NEXT) | instid1(VALU_DEP_1)
	v_mul_f32_e32 v3, 0x2f800000, v1
	v_floor_f32_e32 v3, v3
	s_delay_alu instid0(VALU_DEP_1) | instskip(SKIP_1) | instid1(VALU_DEP_2)
	v_fmamk_f32 v1, v3, 0xcf800000, v1
	v_cvt_u32_f32_e32 v7, v3
	v_cvt_u32_f32_e32 v6, v1
	global_store_b64 v[4:5], v[6:7], off
.LBB77_2876:
	s_mov_b32 s7, 0
.LBB77_2877:
	s_delay_alu instid0(SALU_CYCLE_1)
	s_and_b32 vcc_lo, exec_lo, s7
	s_cbranch_vccz .LBB77_2893
; %bb.2878:
	s_cmp_lt_i32 s2, 27
	s_mov_b32 s6, -1
	s_cbranch_scc1 .LBB77_2884
; %bb.2879:
	s_cmp_gt_i32 s2, 27
	s_cbranch_scc0 .LBB77_2881
; %bb.2880:
	s_wait_xcnt 0x0
	v_cvt_u32_f32_e32 v1, v10
	s_mov_b32 s6, 0
	global_store_b32 v[4:5], v1, off
.LBB77_2881:
	s_and_not1_b32 vcc_lo, exec_lo, s6
	s_cbranch_vccnz .LBB77_2883
; %bb.2882:
	s_wait_xcnt 0x0
	v_cvt_u32_f32_e32 v1, v10
	global_store_b16 v[4:5], v1, off
.LBB77_2883:
	s_mov_b32 s6, 0
.LBB77_2884:
	s_delay_alu instid0(SALU_CYCLE_1)
	s_and_not1_b32 vcc_lo, exec_lo, s6
	s_cbranch_vccnz .LBB77_2892
; %bb.2885:
	s_wait_xcnt 0x0
	v_and_b32_e32 v1, 0x7fffffff, v10
	v_mov_b32_e32 v3, 0x80
	s_mov_b32 s6, exec_lo
	s_delay_alu instid0(VALU_DEP_2)
	v_cmpx_gt_u32_e32 0x43800000, v1
	s_cbranch_execz .LBB77_2891
; %bb.2886:
	v_cmp_lt_u32_e32 vcc_lo, 0x3bffffff, v1
	s_mov_b32 s7, 0
                                        ; implicit-def: $vgpr1
	s_and_saveexec_b32 s8, vcc_lo
	s_delay_alu instid0(SALU_CYCLE_1)
	s_xor_b32 s8, exec_lo, s8
	s_cbranch_execz .LBB77_3182
; %bb.2887:
	v_bfe_u32 v1, v10, 20, 1
	s_mov_b32 s7, exec_lo
	s_delay_alu instid0(VALU_DEP_1) | instskip(NEXT) | instid1(VALU_DEP_1)
	v_add3_u32 v1, v10, v1, 0x487ffff
	v_lshrrev_b32_e32 v1, 20, v1
	s_and_not1_saveexec_b32 s8, s8
	s_cbranch_execnz .LBB77_3183
.LBB77_2888:
	s_or_b32 exec_lo, exec_lo, s8
	v_mov_b32_e32 v3, 0
	s_and_saveexec_b32 s8, s7
.LBB77_2889:
	v_lshrrev_b32_e32 v3, 24, v10
	s_delay_alu instid0(VALU_DEP_1)
	v_and_or_b32 v3, 0x80, v3, v1
.LBB77_2890:
	s_or_b32 exec_lo, exec_lo, s8
.LBB77_2891:
	s_delay_alu instid0(SALU_CYCLE_1)
	s_or_b32 exec_lo, exec_lo, s6
	global_store_b8 v[4:5], v3, off
.LBB77_2892:
	s_mov_b32 s6, -1
.LBB77_2893:
	s_mov_b32 s7, 0
.LBB77_2894:
	s_delay_alu instid0(SALU_CYCLE_1)
	s_and_b32 vcc_lo, exec_lo, s7
	s_cbranch_vccz .LBB77_2934
; %bb.2895:
	s_cmp_gt_i32 s2, 22
	s_mov_b32 s3, -1
	s_cbranch_scc0 .LBB77_2927
; %bb.2896:
	s_cmp_lt_i32 s2, 24
	s_cbranch_scc1 .LBB77_2916
; %bb.2897:
	s_cmp_gt_i32 s2, 24
	s_cbranch_scc0 .LBB77_2905
; %bb.2898:
	s_wait_xcnt 0x0
	v_and_b32_e32 v1, 0x7fffffff, v10
	v_mov_b32_e32 v3, 0x80
	s_mov_b32 s3, exec_lo
	s_delay_alu instid0(VALU_DEP_2)
	v_cmpx_gt_u32_e32 0x47800000, v1
	s_cbranch_execz .LBB77_2904
; %bb.2899:
	v_cmp_lt_u32_e32 vcc_lo, 0x37ffffff, v1
	s_mov_b32 s6, 0
                                        ; implicit-def: $vgpr1
	s_and_saveexec_b32 s7, vcc_lo
	s_delay_alu instid0(SALU_CYCLE_1)
	s_xor_b32 s7, exec_lo, s7
	s_cbranch_execz .LBB77_3185
; %bb.2900:
	v_bfe_u32 v1, v10, 21, 1
	s_mov_b32 s6, exec_lo
	s_delay_alu instid0(VALU_DEP_1) | instskip(NEXT) | instid1(VALU_DEP_1)
	v_add3_u32 v1, v10, v1, 0x88fffff
	v_lshrrev_b32_e32 v1, 21, v1
	s_and_not1_saveexec_b32 s7, s7
	s_cbranch_execnz .LBB77_3186
.LBB77_2901:
	s_or_b32 exec_lo, exec_lo, s7
	v_mov_b32_e32 v3, 0
	s_and_saveexec_b32 s7, s6
.LBB77_2902:
	v_lshrrev_b32_e32 v3, 24, v10
	s_delay_alu instid0(VALU_DEP_1)
	v_and_or_b32 v3, 0x80, v3, v1
.LBB77_2903:
	s_or_b32 exec_lo, exec_lo, s7
.LBB77_2904:
	s_delay_alu instid0(SALU_CYCLE_1)
	s_or_b32 exec_lo, exec_lo, s3
	s_mov_b32 s3, 0
	global_store_b8 v[4:5], v3, off
.LBB77_2905:
	s_and_b32 vcc_lo, exec_lo, s3
	s_cbranch_vccz .LBB77_2915
; %bb.2906:
	s_wait_xcnt 0x0
	v_and_b32_e32 v3, 0x7fffffff, v10
	s_mov_b32 s3, exec_lo
                                        ; implicit-def: $vgpr1
	s_delay_alu instid0(VALU_DEP_1)
	v_cmpx_gt_u32_e32 0x43f00000, v3
	s_xor_b32 s3, exec_lo, s3
	s_cbranch_execz .LBB77_2912
; %bb.2907:
	s_mov_b32 s6, exec_lo
                                        ; implicit-def: $vgpr1
	v_cmpx_lt_u32_e32 0x3c7fffff, v3
	s_xor_b32 s6, exec_lo, s6
; %bb.2908:
	v_bfe_u32 v1, v10, 20, 1
	s_delay_alu instid0(VALU_DEP_1) | instskip(NEXT) | instid1(VALU_DEP_1)
	v_add3_u32 v1, v10, v1, 0x407ffff
	v_and_b32_e32 v3, 0xff00000, v1
	v_lshrrev_b32_e32 v1, 20, v1
	s_delay_alu instid0(VALU_DEP_2) | instskip(NEXT) | instid1(VALU_DEP_2)
	v_cmp_ne_u32_e32 vcc_lo, 0x7f00000, v3
	v_cndmask_b32_e32 v1, 0x7e, v1, vcc_lo
; %bb.2909:
	s_and_not1_saveexec_b32 s6, s6
; %bb.2910:
	v_add_f32_e64 v1, 0x46800000, |v10|
; %bb.2911:
	s_or_b32 exec_lo, exec_lo, s6
                                        ; implicit-def: $vgpr3
.LBB77_2912:
	s_and_not1_saveexec_b32 s3, s3
; %bb.2913:
	v_mov_b32_e32 v1, 0x7f
	v_cmp_lt_u32_e32 vcc_lo, 0x7f800000, v3
	s_delay_alu instid0(VALU_DEP_2)
	v_cndmask_b32_e32 v1, 0x7e, v1, vcc_lo
; %bb.2914:
	s_or_b32 exec_lo, exec_lo, s3
	v_lshrrev_b32_e32 v3, 24, v10
	s_delay_alu instid0(VALU_DEP_1)
	v_and_or_b32 v1, 0x80, v3, v1
	global_store_b8 v[4:5], v1, off
.LBB77_2915:
	s_mov_b32 s3, 0
.LBB77_2916:
	s_delay_alu instid0(SALU_CYCLE_1)
	s_and_not1_b32 vcc_lo, exec_lo, s3
	s_cbranch_vccnz .LBB77_2926
; %bb.2917:
	s_wait_xcnt 0x0
	v_and_b32_e32 v3, 0x7fffffff, v10
	s_mov_b32 s3, exec_lo
                                        ; implicit-def: $vgpr1
	s_delay_alu instid0(VALU_DEP_1)
	v_cmpx_gt_u32_e32 0x47800000, v3
	s_xor_b32 s3, exec_lo, s3
	s_cbranch_execz .LBB77_2923
; %bb.2918:
	s_mov_b32 s6, exec_lo
                                        ; implicit-def: $vgpr1
	v_cmpx_lt_u32_e32 0x387fffff, v3
	s_xor_b32 s6, exec_lo, s6
; %bb.2919:
	v_bfe_u32 v1, v10, 21, 1
	s_delay_alu instid0(VALU_DEP_1) | instskip(NEXT) | instid1(VALU_DEP_1)
	v_add3_u32 v1, v10, v1, 0x80fffff
	v_lshrrev_b32_e32 v1, 21, v1
; %bb.2920:
	s_and_not1_saveexec_b32 s6, s6
; %bb.2921:
	v_add_f32_e64 v1, 0x43000000, |v10|
; %bb.2922:
	s_or_b32 exec_lo, exec_lo, s6
                                        ; implicit-def: $vgpr3
.LBB77_2923:
	s_and_not1_saveexec_b32 s3, s3
; %bb.2924:
	v_mov_b32_e32 v1, 0x7f
	v_cmp_lt_u32_e32 vcc_lo, 0x7f800000, v3
	s_delay_alu instid0(VALU_DEP_2)
	v_cndmask_b32_e32 v1, 0x7c, v1, vcc_lo
; %bb.2925:
	s_or_b32 exec_lo, exec_lo, s3
	v_lshrrev_b32_e32 v3, 24, v10
	s_delay_alu instid0(VALU_DEP_1)
	v_and_or_b32 v1, 0x80, v3, v1
	global_store_b8 v[4:5], v1, off
.LBB77_2926:
	s_mov_b32 s3, 0
	s_mov_b32 s6, -1
.LBB77_2927:
	s_and_not1_b32 vcc_lo, exec_lo, s3
	s_mov_b32 s3, 0
	s_cbranch_vccnz .LBB77_2934
; %bb.2928:
	s_cmp_gt_i32 s2, 14
	s_mov_b32 s3, -1
	s_cbranch_scc0 .LBB77_2932
; %bb.2929:
	s_cmp_eq_u32 s2, 15
	s_mov_b32 s0, -1
	s_cbranch_scc0 .LBB77_2931
; %bb.2930:
	s_wait_xcnt 0x0
	v_bfe_u32 v1, v10, 16, 1
	v_cmp_o_f32_e32 vcc_lo, v10, v10
	s_mov_b32 s0, 0
	s_mov_b32 s6, -1
	s_delay_alu instid0(VALU_DEP_2) | instskip(NEXT) | instid1(VALU_DEP_1)
	v_add3_u32 v1, v10, v1, 0x7fff
	v_lshrrev_b32_e32 v1, 16, v1
	s_delay_alu instid0(VALU_DEP_1)
	v_cndmask_b32_e32 v1, 0x7fc0, v1, vcc_lo
	global_store_b16 v[4:5], v1, off
.LBB77_2931:
	s_mov_b32 s3, 0
.LBB77_2932:
	s_delay_alu instid0(SALU_CYCLE_1)
	s_and_b32 vcc_lo, exec_lo, s3
	s_mov_b32 s3, 0
	s_cbranch_vccz .LBB77_2934
; %bb.2933:
	s_cmp_lg_u32 s2, 11
	s_mov_b32 s3, -1
	s_cselect_b32 s0, -1, 0
.LBB77_2934:
	s_delay_alu instid0(SALU_CYCLE_1)
	s_and_b32 vcc_lo, exec_lo, s0
	s_cbranch_vccnz .LBB77_3184
; %bb.2935:
	s_and_not1_b32 vcc_lo, exec_lo, s3
	s_cbranch_vccnz .LBB77_2937
.LBB77_2936:
	v_cmp_neq_f32_e32 vcc_lo, 0, v10
	s_mov_b32 s6, -1
	s_wait_xcnt 0x0
	v_cndmask_b32_e64 v1, 0, 1, vcc_lo
	global_store_b8 v[4:5], v1, off
.LBB77_2937:
	s_mov_b32 s0, 0
	s_branch .LBB77_2939
.LBB77_2938:
	s_mov_b32 s0, -1
	s_mov_b32 s6, 0
.LBB77_2939:
	s_and_b32 vcc_lo, exec_lo, s0
	s_cbranch_vccz .LBB77_2978
; %bb.2940:
	s_cmp_lt_i32 s2, 5
	s_mov_b32 s0, -1
	s_cbranch_scc1 .LBB77_2961
; %bb.2941:
	s_cmp_lt_i32 s2, 8
	s_cbranch_scc1 .LBB77_2951
; %bb.2942:
	s_cmp_lt_i32 s2, 9
	s_cbranch_scc1 .LBB77_2948
; %bb.2943:
	s_cmp_gt_i32 s2, 9
	s_cbranch_scc0 .LBB77_2945
; %bb.2944:
	s_wait_xcnt 0x0
	v_cvt_f64_f32_e32 v[6:7], v10
	v_mov_b32_e32 v8, 0
	s_mov_b32 s0, 0
	s_delay_alu instid0(VALU_DEP_1)
	v_mov_b32_e32 v9, v8
	global_store_b128 v[4:5], v[6:9], off
.LBB77_2945:
	s_and_not1_b32 vcc_lo, exec_lo, s0
	s_cbranch_vccnz .LBB77_2947
; %bb.2946:
	v_mov_b32_e32 v11, 0
	global_store_b64 v[4:5], v[10:11], off
.LBB77_2947:
	s_mov_b32 s0, 0
.LBB77_2948:
	s_delay_alu instid0(SALU_CYCLE_1)
	s_and_not1_b32 vcc_lo, exec_lo, s0
	s_cbranch_vccnz .LBB77_2950
; %bb.2949:
	s_wait_xcnt 0x0
	v_cvt_f16_f32_e32 v1, v10
	s_delay_alu instid0(VALU_DEP_1)
	v_and_b32_e32 v1, 0xffff, v1
	global_store_b32 v[4:5], v1, off
.LBB77_2950:
	s_mov_b32 s0, 0
.LBB77_2951:
	s_delay_alu instid0(SALU_CYCLE_1)
	s_and_not1_b32 vcc_lo, exec_lo, s0
	s_cbranch_vccnz .LBB77_2960
; %bb.2952:
	s_cmp_lt_i32 s2, 6
	s_mov_b32 s0, -1
	s_cbranch_scc1 .LBB77_2958
; %bb.2953:
	s_cmp_gt_i32 s2, 6
	s_cbranch_scc0 .LBB77_2955
; %bb.2954:
	s_wait_xcnt 0x0
	v_cvt_f64_f32_e32 v[6:7], v10
	s_mov_b32 s0, 0
	global_store_b64 v[4:5], v[6:7], off
.LBB77_2955:
	s_and_not1_b32 vcc_lo, exec_lo, s0
	s_cbranch_vccnz .LBB77_2957
; %bb.2956:
	global_store_b32 v[4:5], v10, off
.LBB77_2957:
	s_mov_b32 s0, 0
.LBB77_2958:
	s_delay_alu instid0(SALU_CYCLE_1)
	s_and_not1_b32 vcc_lo, exec_lo, s0
	s_cbranch_vccnz .LBB77_2960
; %bb.2959:
	s_wait_xcnt 0x0
	v_cvt_f16_f32_e32 v1, v10
	global_store_b16 v[4:5], v1, off
.LBB77_2960:
	s_mov_b32 s0, 0
.LBB77_2961:
	s_delay_alu instid0(SALU_CYCLE_1)
	s_and_not1_b32 vcc_lo, exec_lo, s0
	s_cbranch_vccnz .LBB77_2977
; %bb.2962:
	s_cmp_lt_i32 s2, 2
	s_mov_b32 s0, -1
	s_cbranch_scc1 .LBB77_2972
; %bb.2963:
	s_cmp_lt_i32 s2, 3
	s_cbranch_scc1 .LBB77_2969
; %bb.2964:
	s_cmp_gt_i32 s2, 3
	s_cbranch_scc0 .LBB77_2966
; %bb.2965:
	s_wait_xcnt 0x0
	v_trunc_f32_e32 v1, v10
	s_mov_b32 s0, 0
	s_delay_alu instid0(VALU_DEP_1) | instskip(SKIP_1) | instid1(VALU_DEP_2)
	v_mul_f32_e64 v3, 0x2f800000, |v1|
	v_ashrrev_i32_e32 v6, 31, v1
	v_floor_f32_e32 v3, v3
	s_delay_alu instid0(VALU_DEP_1) | instskip(SKIP_1) | instid1(VALU_DEP_2)
	v_fma_f32 v7, 0xcf800000, v3, |v1|
	v_cvt_u32_f32_e32 v1, v3
	v_cvt_u32_f32_e32 v3, v7
	s_delay_alu instid0(VALU_DEP_2) | instskip(NEXT) | instid1(VALU_DEP_2)
	v_dual_mov_b32 v7, v6 :: v_dual_bitop2_b32 v9, v1, v6 bitop3:0x14
	v_xor_b32_e32 v8, v3, v6
	s_delay_alu instid0(VALU_DEP_1)
	v_sub_nc_u64_e32 v[6:7], v[8:9], v[6:7]
	global_store_b64 v[4:5], v[6:7], off
.LBB77_2966:
	s_and_not1_b32 vcc_lo, exec_lo, s0
	s_cbranch_vccnz .LBB77_2968
; %bb.2967:
	s_wait_xcnt 0x0
	v_cvt_i32_f32_e32 v1, v10
	global_store_b32 v[4:5], v1, off
.LBB77_2968:
	s_mov_b32 s0, 0
.LBB77_2969:
	s_delay_alu instid0(SALU_CYCLE_1)
	s_and_not1_b32 vcc_lo, exec_lo, s0
	s_cbranch_vccnz .LBB77_2971
; %bb.2970:
	s_wait_xcnt 0x0
	v_cvt_i32_f32_e32 v1, v10
	global_store_b16 v[4:5], v1, off
.LBB77_2971:
	s_mov_b32 s0, 0
.LBB77_2972:
	s_delay_alu instid0(SALU_CYCLE_1)
	s_and_not1_b32 vcc_lo, exec_lo, s0
	s_cbranch_vccnz .LBB77_2977
; %bb.2973:
	s_cmp_gt_i32 s2, 0
	s_mov_b32 s0, -1
	s_cbranch_scc0 .LBB77_2975
; %bb.2974:
	s_wait_xcnt 0x0
	v_cvt_i32_f32_e32 v1, v10
	s_mov_b32 s0, 0
	global_store_b8 v[4:5], v1, off
.LBB77_2975:
	s_and_not1_b32 vcc_lo, exec_lo, s0
	s_cbranch_vccnz .LBB77_2977
; %bb.2976:
	s_wait_xcnt 0x0
	v_trunc_f32_e32 v1, v10
	s_delay_alu instid0(VALU_DEP_1) | instskip(NEXT) | instid1(VALU_DEP_1)
	v_mul_f32_e64 v3, 0x2f800000, |v1|
	v_floor_f32_e32 v3, v3
	s_delay_alu instid0(VALU_DEP_1) | instskip(SKIP_1) | instid1(VALU_DEP_2)
	v_fma_f32 v3, 0xcf800000, v3, |v1|
	v_ashrrev_i32_e32 v1, 31, v1
	v_cvt_u32_f32_e32 v3, v3
	s_delay_alu instid0(VALU_DEP_1) | instskip(NEXT) | instid1(VALU_DEP_1)
	v_xor_b32_e32 v3, v3, v1
	v_sub_nc_u32_e32 v1, v3, v1
	global_store_b8 v[4:5], v1, off
.LBB77_2977:
	s_mov_b32 s6, -1
.LBB77_2978:
	s_delay_alu instid0(SALU_CYCLE_1)
	s_and_not1_b32 vcc_lo, exec_lo, s6
	s_cbranch_vccnz .LBB77_3174
; %bb.2979:
	s_wait_xcnt 0x0
	v_mov_b32_e32 v3, 0
	s_cmp_lt_i32 s2, 11
	s_delay_alu instid0(VALU_DEP_1)
	v_add_nc_u64_e32 v[2:3], s[4:5], v[2:3]
	s_cbranch_scc1 .LBB77_3057
; %bb.2980:
	s_mov_b32 s7, -1
	s_mov_b32 s3, 0
	s_cmp_gt_i32 s2, 25
	s_mov_b32 s6, 0
	s_mov_b32 s0, 0
	s_cbranch_scc0 .LBB77_3013
; %bb.2981:
	s_cmp_gt_i32 s2, 28
	s_cbranch_scc0 .LBB77_2996
; %bb.2982:
	s_cmp_gt_i32 s2, 43
	;; [unrolled: 3-line block ×3, first 2 shown]
	s_cbranch_scc0 .LBB77_2986
; %bb.2984:
	s_mov_b32 s0, -1
	s_mov_b32 s7, 0
	s_cmp_eq_u32 s2, 46
	s_cbranch_scc0 .LBB77_2986
; %bb.2985:
	v_bfe_u32 v1, v14, 16, 1
	v_cmp_o_f32_e32 vcc_lo, v14, v14
	s_mov_b32 s0, 0
	s_mov_b32 s6, -1
	s_delay_alu instid0(VALU_DEP_2) | instskip(NEXT) | instid1(VALU_DEP_1)
	v_add3_u32 v1, v14, v1, 0x7fff
	v_lshrrev_b32_e32 v1, 16, v1
	s_delay_alu instid0(VALU_DEP_1)
	v_cndmask_b32_e32 v1, 0x7fc0, v1, vcc_lo
	global_store_b32 v[2:3], v1, off
.LBB77_2986:
	s_and_b32 vcc_lo, exec_lo, s7
	s_cbranch_vccz .LBB77_2991
; %bb.2987:
	s_cmp_eq_u32 s2, 44
	s_mov_b32 s0, -1
	s_cbranch_scc0 .LBB77_2991
; %bb.2988:
	v_bfe_u32 v4, v14, 23, 8
	s_wait_xcnt 0x0
	v_mov_b32_e32 v1, 0xff
	s_mov_b32 s6, exec_lo
	s_delay_alu instid0(VALU_DEP_2)
	v_cmpx_ne_u32_e32 0xff, v4
	s_cbranch_execz .LBB77_2990
; %bb.2989:
	v_and_b32_e32 v1, 0x400000, v14
	v_and_or_b32 v4, 0x3fffff, v14, v4
	s_delay_alu instid0(VALU_DEP_2) | instskip(NEXT) | instid1(VALU_DEP_2)
	v_cmp_ne_u32_e32 vcc_lo, 0, v1
	v_cmp_ne_u32_e64 s0, 0, v4
	v_lshrrev_b32_e32 v1, 23, v14
	s_and_b32 s0, vcc_lo, s0
	s_delay_alu instid0(SALU_CYCLE_1) | instskip(NEXT) | instid1(VALU_DEP_1)
	v_cndmask_b32_e64 v4, 0, 1, s0
	v_add_nc_u32_e32 v1, v1, v4
.LBB77_2990:
	s_or_b32 exec_lo, exec_lo, s6
	s_mov_b32 s0, 0
	s_mov_b32 s6, -1
	global_store_b8 v[2:3], v1, off
.LBB77_2991:
	s_mov_b32 s7, 0
.LBB77_2992:
	s_delay_alu instid0(SALU_CYCLE_1)
	s_and_b32 vcc_lo, exec_lo, s7
	s_cbranch_vccz .LBB77_2995
; %bb.2993:
	s_cmp_eq_u32 s2, 29
	s_mov_b32 s0, -1
	s_cbranch_scc0 .LBB77_2995
; %bb.2994:
	s_wait_xcnt 0x0
	v_trunc_f32_e32 v1, v14
	s_mov_b32 s0, 0
	s_mov_b32 s6, -1
	s_delay_alu instid0(VALU_DEP_1) | instskip(NEXT) | instid1(VALU_DEP_1)
	v_mul_f32_e32 v4, 0x2f800000, v1
	v_floor_f32_e32 v4, v4
	s_delay_alu instid0(VALU_DEP_1) | instskip(SKIP_1) | instid1(VALU_DEP_2)
	v_fmamk_f32 v1, v4, 0xcf800000, v1
	v_cvt_u32_f32_e32 v5, v4
	v_cvt_u32_f32_e32 v4, v1
	global_store_b64 v[2:3], v[4:5], off
.LBB77_2995:
	s_mov_b32 s7, 0
.LBB77_2996:
	s_delay_alu instid0(SALU_CYCLE_1)
	s_and_b32 vcc_lo, exec_lo, s7
	s_cbranch_vccz .LBB77_3012
; %bb.2997:
	s_cmp_lt_i32 s2, 27
	s_mov_b32 s6, -1
	s_cbranch_scc1 .LBB77_3003
; %bb.2998:
	s_cmp_gt_i32 s2, 27
	s_cbranch_scc0 .LBB77_3000
; %bb.2999:
	s_wait_xcnt 0x0
	v_cvt_u32_f32_e32 v1, v14
	s_mov_b32 s6, 0
	global_store_b32 v[2:3], v1, off
.LBB77_3000:
	s_and_not1_b32 vcc_lo, exec_lo, s6
	s_cbranch_vccnz .LBB77_3002
; %bb.3001:
	s_wait_xcnt 0x0
	v_cvt_u32_f32_e32 v1, v14
	global_store_b16 v[2:3], v1, off
.LBB77_3002:
	s_mov_b32 s6, 0
.LBB77_3003:
	s_delay_alu instid0(SALU_CYCLE_1)
	s_and_not1_b32 vcc_lo, exec_lo, s6
	s_cbranch_vccnz .LBB77_3011
; %bb.3004:
	s_wait_xcnt 0x0
	v_and_b32_e32 v1, 0x7fffffff, v14
	v_mov_b32_e32 v4, 0x80
	s_mov_b32 s6, exec_lo
	s_delay_alu instid0(VALU_DEP_2)
	v_cmpx_gt_u32_e32 0x43800000, v1
	s_cbranch_execz .LBB77_3010
; %bb.3005:
	v_cmp_lt_u32_e32 vcc_lo, 0x3bffffff, v1
	s_mov_b32 s7, 0
                                        ; implicit-def: $vgpr1
	s_and_saveexec_b32 s8, vcc_lo
	s_delay_alu instid0(SALU_CYCLE_1)
	s_xor_b32 s8, exec_lo, s8
	s_cbranch_execz .LBB77_3187
; %bb.3006:
	v_bfe_u32 v1, v14, 20, 1
	s_mov_b32 s7, exec_lo
	s_delay_alu instid0(VALU_DEP_1) | instskip(NEXT) | instid1(VALU_DEP_1)
	v_add3_u32 v1, v14, v1, 0x487ffff
	v_lshrrev_b32_e32 v1, 20, v1
	s_and_not1_saveexec_b32 s8, s8
	s_cbranch_execnz .LBB77_3188
.LBB77_3007:
	s_or_b32 exec_lo, exec_lo, s8
	v_mov_b32_e32 v4, 0
	s_and_saveexec_b32 s8, s7
.LBB77_3008:
	v_lshrrev_b32_e32 v4, 24, v14
	s_delay_alu instid0(VALU_DEP_1)
	v_and_or_b32 v4, 0x80, v4, v1
.LBB77_3009:
	s_or_b32 exec_lo, exec_lo, s8
.LBB77_3010:
	s_delay_alu instid0(SALU_CYCLE_1)
	s_or_b32 exec_lo, exec_lo, s6
	global_store_b8 v[2:3], v4, off
.LBB77_3011:
	s_mov_b32 s6, -1
.LBB77_3012:
	s_mov_b32 s7, 0
.LBB77_3013:
	s_delay_alu instid0(SALU_CYCLE_1)
	s_and_b32 vcc_lo, exec_lo, s7
	s_cbranch_vccz .LBB77_3053
; %bb.3014:
	s_cmp_gt_i32 s2, 22
	s_mov_b32 s3, -1
	s_cbranch_scc0 .LBB77_3046
; %bb.3015:
	s_cmp_lt_i32 s2, 24
	s_cbranch_scc1 .LBB77_3035
; %bb.3016:
	s_cmp_gt_i32 s2, 24
	s_cbranch_scc0 .LBB77_3024
; %bb.3017:
	s_wait_xcnt 0x0
	v_and_b32_e32 v1, 0x7fffffff, v14
	v_mov_b32_e32 v4, 0x80
	s_mov_b32 s3, exec_lo
	s_delay_alu instid0(VALU_DEP_2)
	v_cmpx_gt_u32_e32 0x47800000, v1
	s_cbranch_execz .LBB77_3023
; %bb.3018:
	v_cmp_lt_u32_e32 vcc_lo, 0x37ffffff, v1
	s_mov_b32 s6, 0
                                        ; implicit-def: $vgpr1
	s_and_saveexec_b32 s7, vcc_lo
	s_delay_alu instid0(SALU_CYCLE_1)
	s_xor_b32 s7, exec_lo, s7
	s_cbranch_execz .LBB77_3190
; %bb.3019:
	v_bfe_u32 v1, v14, 21, 1
	s_mov_b32 s6, exec_lo
	s_delay_alu instid0(VALU_DEP_1) | instskip(NEXT) | instid1(VALU_DEP_1)
	v_add3_u32 v1, v14, v1, 0x88fffff
	v_lshrrev_b32_e32 v1, 21, v1
	s_and_not1_saveexec_b32 s7, s7
	s_cbranch_execnz .LBB77_3191
.LBB77_3020:
	s_or_b32 exec_lo, exec_lo, s7
	v_mov_b32_e32 v4, 0
	s_and_saveexec_b32 s7, s6
.LBB77_3021:
	v_lshrrev_b32_e32 v4, 24, v14
	s_delay_alu instid0(VALU_DEP_1)
	v_and_or_b32 v4, 0x80, v4, v1
.LBB77_3022:
	s_or_b32 exec_lo, exec_lo, s7
.LBB77_3023:
	s_delay_alu instid0(SALU_CYCLE_1)
	s_or_b32 exec_lo, exec_lo, s3
	s_mov_b32 s3, 0
	global_store_b8 v[2:3], v4, off
.LBB77_3024:
	s_and_b32 vcc_lo, exec_lo, s3
	s_cbranch_vccz .LBB77_3034
; %bb.3025:
	s_wait_xcnt 0x0
	v_and_b32_e32 v4, 0x7fffffff, v14
	s_mov_b32 s3, exec_lo
                                        ; implicit-def: $vgpr1
	s_delay_alu instid0(VALU_DEP_1)
	v_cmpx_gt_u32_e32 0x43f00000, v4
	s_xor_b32 s3, exec_lo, s3
	s_cbranch_execz .LBB77_3031
; %bb.3026:
	s_mov_b32 s6, exec_lo
                                        ; implicit-def: $vgpr1
	v_cmpx_lt_u32_e32 0x3c7fffff, v4
	s_xor_b32 s6, exec_lo, s6
; %bb.3027:
	v_bfe_u32 v1, v14, 20, 1
	s_delay_alu instid0(VALU_DEP_1) | instskip(NEXT) | instid1(VALU_DEP_1)
	v_add3_u32 v1, v14, v1, 0x407ffff
	v_and_b32_e32 v4, 0xff00000, v1
	v_lshrrev_b32_e32 v1, 20, v1
	s_delay_alu instid0(VALU_DEP_2) | instskip(NEXT) | instid1(VALU_DEP_2)
	v_cmp_ne_u32_e32 vcc_lo, 0x7f00000, v4
	v_cndmask_b32_e32 v1, 0x7e, v1, vcc_lo
; %bb.3028:
	s_and_not1_saveexec_b32 s6, s6
; %bb.3029:
	v_add_f32_e64 v1, 0x46800000, |v14|
; %bb.3030:
	s_or_b32 exec_lo, exec_lo, s6
                                        ; implicit-def: $vgpr4
.LBB77_3031:
	s_and_not1_saveexec_b32 s3, s3
; %bb.3032:
	v_mov_b32_e32 v1, 0x7f
	v_cmp_lt_u32_e32 vcc_lo, 0x7f800000, v4
	s_delay_alu instid0(VALU_DEP_2)
	v_cndmask_b32_e32 v1, 0x7e, v1, vcc_lo
; %bb.3033:
	s_or_b32 exec_lo, exec_lo, s3
	v_lshrrev_b32_e32 v4, 24, v14
	s_delay_alu instid0(VALU_DEP_1)
	v_and_or_b32 v1, 0x80, v4, v1
	global_store_b8 v[2:3], v1, off
.LBB77_3034:
	s_mov_b32 s3, 0
.LBB77_3035:
	s_delay_alu instid0(SALU_CYCLE_1)
	s_and_not1_b32 vcc_lo, exec_lo, s3
	s_cbranch_vccnz .LBB77_3045
; %bb.3036:
	s_wait_xcnt 0x0
	v_and_b32_e32 v4, 0x7fffffff, v14
	s_mov_b32 s3, exec_lo
                                        ; implicit-def: $vgpr1
	s_delay_alu instid0(VALU_DEP_1)
	v_cmpx_gt_u32_e32 0x47800000, v4
	s_xor_b32 s3, exec_lo, s3
	s_cbranch_execz .LBB77_3042
; %bb.3037:
	s_mov_b32 s6, exec_lo
                                        ; implicit-def: $vgpr1
	v_cmpx_lt_u32_e32 0x387fffff, v4
	s_xor_b32 s6, exec_lo, s6
; %bb.3038:
	v_bfe_u32 v1, v14, 21, 1
	s_delay_alu instid0(VALU_DEP_1) | instskip(NEXT) | instid1(VALU_DEP_1)
	v_add3_u32 v1, v14, v1, 0x80fffff
	v_lshrrev_b32_e32 v1, 21, v1
; %bb.3039:
	s_and_not1_saveexec_b32 s6, s6
; %bb.3040:
	v_add_f32_e64 v1, 0x43000000, |v14|
; %bb.3041:
	s_or_b32 exec_lo, exec_lo, s6
                                        ; implicit-def: $vgpr4
.LBB77_3042:
	s_and_not1_saveexec_b32 s3, s3
; %bb.3043:
	v_mov_b32_e32 v1, 0x7f
	v_cmp_lt_u32_e32 vcc_lo, 0x7f800000, v4
	s_delay_alu instid0(VALU_DEP_2)
	v_cndmask_b32_e32 v1, 0x7c, v1, vcc_lo
; %bb.3044:
	s_or_b32 exec_lo, exec_lo, s3
	v_lshrrev_b32_e32 v4, 24, v14
	s_delay_alu instid0(VALU_DEP_1)
	v_and_or_b32 v1, 0x80, v4, v1
	global_store_b8 v[2:3], v1, off
.LBB77_3045:
	s_mov_b32 s3, 0
	s_mov_b32 s6, -1
.LBB77_3046:
	s_and_not1_b32 vcc_lo, exec_lo, s3
	s_mov_b32 s3, 0
	s_cbranch_vccnz .LBB77_3053
; %bb.3047:
	s_cmp_gt_i32 s2, 14
	s_mov_b32 s3, -1
	s_cbranch_scc0 .LBB77_3051
; %bb.3048:
	s_cmp_eq_u32 s2, 15
	s_mov_b32 s0, -1
	s_cbranch_scc0 .LBB77_3050
; %bb.3049:
	s_wait_xcnt 0x0
	v_bfe_u32 v1, v14, 16, 1
	v_cmp_o_f32_e32 vcc_lo, v14, v14
	s_mov_b32 s0, 0
	s_mov_b32 s6, -1
	s_delay_alu instid0(VALU_DEP_2) | instskip(NEXT) | instid1(VALU_DEP_1)
	v_add3_u32 v1, v14, v1, 0x7fff
	v_lshrrev_b32_e32 v1, 16, v1
	s_delay_alu instid0(VALU_DEP_1)
	v_cndmask_b32_e32 v1, 0x7fc0, v1, vcc_lo
	global_store_b16 v[2:3], v1, off
.LBB77_3050:
	s_mov_b32 s3, 0
.LBB77_3051:
	s_delay_alu instid0(SALU_CYCLE_1)
	s_and_b32 vcc_lo, exec_lo, s3
	s_mov_b32 s3, 0
	s_cbranch_vccz .LBB77_3053
; %bb.3052:
	s_cmp_lg_u32 s2, 11
	s_mov_b32 s3, -1
	s_cselect_b32 s0, -1, 0
.LBB77_3053:
	s_delay_alu instid0(SALU_CYCLE_1)
	s_and_b32 vcc_lo, exec_lo, s0
	s_cbranch_vccnz .LBB77_3189
; %bb.3054:
	s_and_not1_b32 vcc_lo, exec_lo, s3
	s_cbranch_vccnz .LBB77_3056
.LBB77_3055:
	v_cmp_neq_f32_e32 vcc_lo, 0, v14
	s_mov_b32 s6, -1
	s_wait_xcnt 0x0
	v_cndmask_b32_e64 v1, 0, 1, vcc_lo
	global_store_b8 v[2:3], v1, off
.LBB77_3056:
	s_mov_b32 s0, 0
	s_branch .LBB77_3058
.LBB77_3057:
	s_mov_b32 s0, -1
	s_mov_b32 s6, 0
.LBB77_3058:
	s_and_b32 vcc_lo, exec_lo, s0
	s_cbranch_vccz .LBB77_3097
; %bb.3059:
	s_cmp_lt_i32 s2, 5
	s_mov_b32 s0, -1
	s_cbranch_scc1 .LBB77_3080
; %bb.3060:
	s_cmp_lt_i32 s2, 8
	s_cbranch_scc1 .LBB77_3070
; %bb.3061:
	s_cmp_lt_i32 s2, 9
	s_cbranch_scc1 .LBB77_3067
; %bb.3062:
	s_cmp_gt_i32 s2, 9
	s_cbranch_scc0 .LBB77_3064
; %bb.3063:
	s_wait_xcnt 0x0
	v_cvt_f64_f32_e32 v[4:5], v14
	v_mov_b32_e32 v6, 0
	s_mov_b32 s0, 0
	s_delay_alu instid0(VALU_DEP_1)
	v_mov_b32_e32 v7, v6
	global_store_b128 v[2:3], v[4:7], off
.LBB77_3064:
	s_and_not1_b32 vcc_lo, exec_lo, s0
	s_cbranch_vccnz .LBB77_3066
; %bb.3065:
	v_mov_b32_e32 v15, 0
	global_store_b64 v[2:3], v[14:15], off
.LBB77_3066:
	s_mov_b32 s0, 0
.LBB77_3067:
	s_delay_alu instid0(SALU_CYCLE_1)
	s_and_not1_b32 vcc_lo, exec_lo, s0
	s_cbranch_vccnz .LBB77_3069
; %bb.3068:
	s_wait_xcnt 0x0
	v_cvt_f16_f32_e32 v1, v14
	s_delay_alu instid0(VALU_DEP_1)
	v_and_b32_e32 v1, 0xffff, v1
	global_store_b32 v[2:3], v1, off
.LBB77_3069:
	s_mov_b32 s0, 0
.LBB77_3070:
	s_delay_alu instid0(SALU_CYCLE_1)
	s_and_not1_b32 vcc_lo, exec_lo, s0
	s_cbranch_vccnz .LBB77_3079
; %bb.3071:
	s_cmp_lt_i32 s2, 6
	s_mov_b32 s0, -1
	s_cbranch_scc1 .LBB77_3077
; %bb.3072:
	s_cmp_gt_i32 s2, 6
	s_cbranch_scc0 .LBB77_3074
; %bb.3073:
	s_wait_xcnt 0x0
	v_cvt_f64_f32_e32 v[4:5], v14
	s_mov_b32 s0, 0
	global_store_b64 v[2:3], v[4:5], off
.LBB77_3074:
	s_and_not1_b32 vcc_lo, exec_lo, s0
	s_cbranch_vccnz .LBB77_3076
; %bb.3075:
	global_store_b32 v[2:3], v14, off
.LBB77_3076:
	s_mov_b32 s0, 0
.LBB77_3077:
	s_delay_alu instid0(SALU_CYCLE_1)
	s_and_not1_b32 vcc_lo, exec_lo, s0
	s_cbranch_vccnz .LBB77_3079
; %bb.3078:
	s_wait_xcnt 0x0
	v_cvt_f16_f32_e32 v1, v14
	global_store_b16 v[2:3], v1, off
.LBB77_3079:
	s_mov_b32 s0, 0
.LBB77_3080:
	s_delay_alu instid0(SALU_CYCLE_1)
	s_and_not1_b32 vcc_lo, exec_lo, s0
	s_cbranch_vccnz .LBB77_3096
; %bb.3081:
	s_cmp_lt_i32 s2, 2
	s_mov_b32 s0, -1
	s_cbranch_scc1 .LBB77_3091
; %bb.3082:
	s_cmp_lt_i32 s2, 3
	s_cbranch_scc1 .LBB77_3088
; %bb.3083:
	s_cmp_gt_i32 s2, 3
	s_cbranch_scc0 .LBB77_3085
; %bb.3084:
	s_wait_xcnt 0x0
	v_trunc_f32_e32 v1, v14
	s_mov_b32 s0, 0
	s_delay_alu instid0(VALU_DEP_1) | instskip(NEXT) | instid1(VALU_DEP_1)
	v_mul_f32_e64 v4, 0x2f800000, |v1|
	v_floor_f32_e32 v5, v4
	v_ashrrev_i32_e32 v4, 31, v1
	s_delay_alu instid0(VALU_DEP_2) | instskip(SKIP_1) | instid1(VALU_DEP_3)
	v_fma_f32 v6, 0xcf800000, v5, |v1|
	v_cvt_u32_f32_e32 v1, v5
	v_mov_b32_e32 v5, v4
	s_delay_alu instid0(VALU_DEP_3) | instskip(NEXT) | instid1(VALU_DEP_3)
	v_cvt_u32_f32_e32 v6, v6
	v_xor_b32_e32 v7, v1, v4
	s_delay_alu instid0(VALU_DEP_2) | instskip(NEXT) | instid1(VALU_DEP_1)
	v_xor_b32_e32 v6, v6, v4
	v_sub_nc_u64_e32 v[4:5], v[6:7], v[4:5]
	global_store_b64 v[2:3], v[4:5], off
.LBB77_3085:
	s_and_not1_b32 vcc_lo, exec_lo, s0
	s_cbranch_vccnz .LBB77_3087
; %bb.3086:
	s_wait_xcnt 0x0
	v_cvt_i32_f32_e32 v1, v14
	global_store_b32 v[2:3], v1, off
.LBB77_3087:
	s_mov_b32 s0, 0
.LBB77_3088:
	s_delay_alu instid0(SALU_CYCLE_1)
	s_and_not1_b32 vcc_lo, exec_lo, s0
	s_cbranch_vccnz .LBB77_3090
; %bb.3089:
	s_wait_xcnt 0x0
	v_cvt_i32_f32_e32 v1, v14
	global_store_b16 v[2:3], v1, off
.LBB77_3090:
	s_mov_b32 s0, 0
.LBB77_3091:
	s_delay_alu instid0(SALU_CYCLE_1)
	s_and_not1_b32 vcc_lo, exec_lo, s0
	s_cbranch_vccnz .LBB77_3096
; %bb.3092:
	s_cmp_gt_i32 s2, 0
	s_mov_b32 s0, -1
	s_cbranch_scc0 .LBB77_3094
; %bb.3093:
	s_wait_xcnt 0x0
	v_cvt_i32_f32_e32 v1, v14
	s_mov_b32 s0, 0
	global_store_b8 v[2:3], v1, off
.LBB77_3094:
	s_and_not1_b32 vcc_lo, exec_lo, s0
	s_cbranch_vccnz .LBB77_3096
; %bb.3095:
	s_wait_xcnt 0x0
	v_trunc_f32_e32 v1, v14
	s_delay_alu instid0(VALU_DEP_1) | instskip(NEXT) | instid1(VALU_DEP_1)
	v_mul_f32_e64 v4, 0x2f800000, |v1|
	v_floor_f32_e32 v4, v4
	s_delay_alu instid0(VALU_DEP_1) | instskip(SKIP_1) | instid1(VALU_DEP_2)
	v_fma_f32 v4, 0xcf800000, v4, |v1|
	v_ashrrev_i32_e32 v1, 31, v1
	v_cvt_u32_f32_e32 v4, v4
	s_delay_alu instid0(VALU_DEP_1) | instskip(NEXT) | instid1(VALU_DEP_1)
	v_xor_b32_e32 v4, v4, v1
	v_sub_nc_u32_e32 v1, v4, v1
	global_store_b8 v[2:3], v1, off
.LBB77_3096:
	s_mov_b32 s6, -1
.LBB77_3097:
	s_delay_alu instid0(SALU_CYCLE_1)
	s_and_not1_b32 vcc_lo, exec_lo, s6
	s_cbranch_vccnz .LBB77_3174
; %bb.3098:
	s_wait_xcnt 0x0
	v_mov_b32_e32 v1, 0
	s_cmp_lt_i32 s2, 11
	s_delay_alu instid0(VALU_DEP_1)
	v_add_nc_u64_e32 v[2:3], s[4:5], v[0:1]
	s_cbranch_scc1 .LBB77_3175
; %bb.3099:
	s_mov_b32 s4, -1
	s_mov_b32 s3, 0
	s_cmp_gt_i32 s2, 25
	s_mov_b32 s0, 0
	s_cbranch_scc0 .LBB77_3132
; %bb.3100:
	s_cmp_gt_i32 s2, 28
	s_cbranch_scc0 .LBB77_3116
; %bb.3101:
	s_cmp_gt_i32 s2, 43
	;; [unrolled: 3-line block ×3, first 2 shown]
	s_cbranch_scc0 .LBB77_3106
; %bb.3103:
	s_cmp_eq_u32 s2, 46
	s_mov_b32 s0, -1
	s_cbranch_scc0 .LBB77_3105
; %bb.3104:
	v_bfe_u32 v0, v16, 16, 1
	v_cmp_o_f32_e32 vcc_lo, v16, v16
	s_mov_b32 s0, 0
	s_delay_alu instid0(VALU_DEP_2) | instskip(NEXT) | instid1(VALU_DEP_1)
	v_add3_u32 v0, v16, v0, 0x7fff
	v_lshrrev_b32_e32 v0, 16, v0
	s_delay_alu instid0(VALU_DEP_1)
	v_cndmask_b32_e32 v0, 0x7fc0, v0, vcc_lo
	global_store_b32 v[2:3], v0, off
.LBB77_3105:
	s_mov_b32 s4, 0
.LBB77_3106:
	s_delay_alu instid0(SALU_CYCLE_1)
	s_and_b32 vcc_lo, exec_lo, s4
	s_cbranch_vccz .LBB77_3111
; %bb.3107:
	s_cmp_eq_u32 s2, 44
	s_mov_b32 s0, -1
	s_cbranch_scc0 .LBB77_3111
; %bb.3108:
	v_bfe_u32 v1, v16, 23, 8
	s_wait_xcnt 0x0
	v_mov_b32_e32 v0, 0xff
	s_mov_b32 s4, exec_lo
	s_delay_alu instid0(VALU_DEP_2)
	v_cmpx_ne_u32_e32 0xff, v1
	s_cbranch_execz .LBB77_3110
; %bb.3109:
	v_and_b32_e32 v0, 0x400000, v16
	v_and_or_b32 v1, 0x3fffff, v16, v1
	s_delay_alu instid0(VALU_DEP_2) | instskip(NEXT) | instid1(VALU_DEP_2)
	v_cmp_ne_u32_e32 vcc_lo, 0, v0
	v_cmp_ne_u32_e64 s0, 0, v1
	v_lshrrev_b32_e32 v0, 23, v16
	s_and_b32 s0, vcc_lo, s0
	s_delay_alu instid0(SALU_CYCLE_1) | instskip(NEXT) | instid1(VALU_DEP_1)
	v_cndmask_b32_e64 v1, 0, 1, s0
	v_add_nc_u32_e32 v0, v0, v1
.LBB77_3110:
	s_or_b32 exec_lo, exec_lo, s4
	s_mov_b32 s0, 0
	global_store_b8 v[2:3], v0, off
.LBB77_3111:
	s_mov_b32 s4, 0
.LBB77_3112:
	s_delay_alu instid0(SALU_CYCLE_1)
	s_and_b32 vcc_lo, exec_lo, s4
	s_cbranch_vccz .LBB77_3115
; %bb.3113:
	s_cmp_eq_u32 s2, 29
	s_mov_b32 s0, -1
	s_cbranch_scc0 .LBB77_3115
; %bb.3114:
	s_wait_xcnt 0x0
	v_trunc_f32_e32 v0, v16
	s_mov_b32 s0, 0
	s_delay_alu instid0(VALU_DEP_1) | instskip(NEXT) | instid1(VALU_DEP_1)
	v_mul_f32_e32 v1, 0x2f800000, v0
	v_floor_f32_e32 v1, v1
	s_delay_alu instid0(VALU_DEP_1) | instskip(SKIP_1) | instid1(VALU_DEP_2)
	v_fmamk_f32 v0, v1, 0xcf800000, v0
	v_cvt_u32_f32_e32 v1, v1
	v_cvt_u32_f32_e32 v0, v0
	global_store_b64 v[2:3], v[0:1], off
.LBB77_3115:
	s_mov_b32 s4, 0
.LBB77_3116:
	s_delay_alu instid0(SALU_CYCLE_1)
	s_and_b32 vcc_lo, exec_lo, s4
	s_cbranch_vccz .LBB77_3131
; %bb.3117:
	s_cmp_lt_i32 s2, 27
	s_mov_b32 s4, -1
	s_cbranch_scc1 .LBB77_3123
; %bb.3118:
	s_wait_xcnt 0x0
	v_cvt_u32_f32_e32 v0, v16
	s_cmp_gt_i32 s2, 27
	s_cbranch_scc0 .LBB77_3120
; %bb.3119:
	s_mov_b32 s4, 0
	global_store_b32 v[2:3], v0, off
.LBB77_3120:
	s_and_not1_b32 vcc_lo, exec_lo, s4
	s_cbranch_vccnz .LBB77_3122
; %bb.3121:
	global_store_b16 v[2:3], v0, off
.LBB77_3122:
	s_mov_b32 s4, 0
.LBB77_3123:
	s_delay_alu instid0(SALU_CYCLE_1)
	s_and_not1_b32 vcc_lo, exec_lo, s4
	s_cbranch_vccnz .LBB77_3131
; %bb.3124:
	s_wait_xcnt 0x0
	v_and_b32_e32 v0, 0x7fffffff, v16
	v_mov_b32_e32 v1, 0x80
	s_mov_b32 s4, exec_lo
	s_delay_alu instid0(VALU_DEP_2)
	v_cmpx_gt_u32_e32 0x43800000, v0
	s_cbranch_execz .LBB77_3130
; %bb.3125:
	v_cmp_lt_u32_e32 vcc_lo, 0x3bffffff, v0
	s_mov_b32 s5, 0
                                        ; implicit-def: $vgpr0
	s_and_saveexec_b32 s6, vcc_lo
	s_delay_alu instid0(SALU_CYCLE_1)
	s_xor_b32 s6, exec_lo, s6
	s_cbranch_execz .LBB77_3192
; %bb.3126:
	v_bfe_u32 v0, v16, 20, 1
	s_mov_b32 s5, exec_lo
	s_delay_alu instid0(VALU_DEP_1) | instskip(NEXT) | instid1(VALU_DEP_1)
	v_add3_u32 v0, v16, v0, 0x487ffff
	v_lshrrev_b32_e32 v0, 20, v0
	s_and_not1_saveexec_b32 s6, s6
	s_cbranch_execnz .LBB77_3193
.LBB77_3127:
	s_or_b32 exec_lo, exec_lo, s6
	v_mov_b32_e32 v1, 0
	s_and_saveexec_b32 s6, s5
.LBB77_3128:
	v_lshrrev_b32_e32 v1, 24, v16
	s_delay_alu instid0(VALU_DEP_1)
	v_and_or_b32 v1, 0x80, v1, v0
.LBB77_3129:
	s_or_b32 exec_lo, exec_lo, s6
.LBB77_3130:
	s_delay_alu instid0(SALU_CYCLE_1)
	s_or_b32 exec_lo, exec_lo, s4
	global_store_b8 v[2:3], v1, off
.LBB77_3131:
	s_mov_b32 s4, 0
.LBB77_3132:
	s_delay_alu instid0(SALU_CYCLE_1)
	s_and_b32 vcc_lo, exec_lo, s4
	s_cbranch_vccz .LBB77_3172
; %bb.3133:
	s_cmp_gt_i32 s2, 22
	s_mov_b32 s3, -1
	s_cbranch_scc0 .LBB77_3165
; %bb.3134:
	s_cmp_lt_i32 s2, 24
	s_cbranch_scc1 .LBB77_3154
; %bb.3135:
	s_cmp_gt_i32 s2, 24
	s_cbranch_scc0 .LBB77_3143
; %bb.3136:
	s_wait_xcnt 0x0
	v_and_b32_e32 v0, 0x7fffffff, v16
	v_mov_b32_e32 v1, 0x80
	s_mov_b32 s3, exec_lo
	s_delay_alu instid0(VALU_DEP_2)
	v_cmpx_gt_u32_e32 0x47800000, v0
	s_cbranch_execz .LBB77_3142
; %bb.3137:
	v_cmp_lt_u32_e32 vcc_lo, 0x37ffffff, v0
	s_mov_b32 s4, 0
                                        ; implicit-def: $vgpr0
	s_and_saveexec_b32 s5, vcc_lo
	s_delay_alu instid0(SALU_CYCLE_1)
	s_xor_b32 s5, exec_lo, s5
	s_cbranch_execz .LBB77_3195
; %bb.3138:
	v_bfe_u32 v0, v16, 21, 1
	s_mov_b32 s4, exec_lo
	s_delay_alu instid0(VALU_DEP_1) | instskip(NEXT) | instid1(VALU_DEP_1)
	v_add3_u32 v0, v16, v0, 0x88fffff
	v_lshrrev_b32_e32 v0, 21, v0
	s_and_not1_saveexec_b32 s5, s5
	s_cbranch_execnz .LBB77_3196
.LBB77_3139:
	s_or_b32 exec_lo, exec_lo, s5
	v_mov_b32_e32 v1, 0
	s_and_saveexec_b32 s5, s4
.LBB77_3140:
	v_lshrrev_b32_e32 v1, 24, v16
	s_delay_alu instid0(VALU_DEP_1)
	v_and_or_b32 v1, 0x80, v1, v0
.LBB77_3141:
	s_or_b32 exec_lo, exec_lo, s5
.LBB77_3142:
	s_delay_alu instid0(SALU_CYCLE_1)
	s_or_b32 exec_lo, exec_lo, s3
	s_mov_b32 s3, 0
	global_store_b8 v[2:3], v1, off
.LBB77_3143:
	s_and_b32 vcc_lo, exec_lo, s3
	s_cbranch_vccz .LBB77_3153
; %bb.3144:
	s_wait_xcnt 0x0
	v_and_b32_e32 v1, 0x7fffffff, v16
	s_mov_b32 s3, exec_lo
                                        ; implicit-def: $vgpr0
	s_delay_alu instid0(VALU_DEP_1)
	v_cmpx_gt_u32_e32 0x43f00000, v1
	s_xor_b32 s3, exec_lo, s3
	s_cbranch_execz .LBB77_3150
; %bb.3145:
	s_mov_b32 s4, exec_lo
                                        ; implicit-def: $vgpr0
	v_cmpx_lt_u32_e32 0x3c7fffff, v1
	s_xor_b32 s4, exec_lo, s4
; %bb.3146:
	v_bfe_u32 v0, v16, 20, 1
	s_delay_alu instid0(VALU_DEP_1) | instskip(NEXT) | instid1(VALU_DEP_1)
	v_add3_u32 v0, v16, v0, 0x407ffff
	v_and_b32_e32 v1, 0xff00000, v0
	v_lshrrev_b32_e32 v0, 20, v0
	s_delay_alu instid0(VALU_DEP_2) | instskip(NEXT) | instid1(VALU_DEP_2)
	v_cmp_ne_u32_e32 vcc_lo, 0x7f00000, v1
	v_cndmask_b32_e32 v0, 0x7e, v0, vcc_lo
; %bb.3147:
	s_and_not1_saveexec_b32 s4, s4
; %bb.3148:
	v_add_f32_e64 v0, 0x46800000, |v16|
; %bb.3149:
	s_or_b32 exec_lo, exec_lo, s4
                                        ; implicit-def: $vgpr1
.LBB77_3150:
	s_and_not1_saveexec_b32 s3, s3
; %bb.3151:
	v_mov_b32_e32 v0, 0x7f
	v_cmp_lt_u32_e32 vcc_lo, 0x7f800000, v1
	s_delay_alu instid0(VALU_DEP_2)
	v_cndmask_b32_e32 v0, 0x7e, v0, vcc_lo
; %bb.3152:
	s_or_b32 exec_lo, exec_lo, s3
	v_lshrrev_b32_e32 v1, 24, v16
	s_delay_alu instid0(VALU_DEP_1)
	v_and_or_b32 v0, 0x80, v1, v0
	global_store_b8 v[2:3], v0, off
.LBB77_3153:
	s_mov_b32 s3, 0
.LBB77_3154:
	s_delay_alu instid0(SALU_CYCLE_1)
	s_and_not1_b32 vcc_lo, exec_lo, s3
	s_cbranch_vccnz .LBB77_3164
; %bb.3155:
	s_wait_xcnt 0x0
	v_and_b32_e32 v1, 0x7fffffff, v16
	s_mov_b32 s3, exec_lo
                                        ; implicit-def: $vgpr0
	s_delay_alu instid0(VALU_DEP_1)
	v_cmpx_gt_u32_e32 0x47800000, v1
	s_xor_b32 s3, exec_lo, s3
	s_cbranch_execz .LBB77_3161
; %bb.3156:
	s_mov_b32 s4, exec_lo
                                        ; implicit-def: $vgpr0
	v_cmpx_lt_u32_e32 0x387fffff, v1
	s_xor_b32 s4, exec_lo, s4
; %bb.3157:
	v_bfe_u32 v0, v16, 21, 1
	s_delay_alu instid0(VALU_DEP_1) | instskip(NEXT) | instid1(VALU_DEP_1)
	v_add3_u32 v0, v16, v0, 0x80fffff
	v_lshrrev_b32_e32 v0, 21, v0
; %bb.3158:
	s_and_not1_saveexec_b32 s4, s4
; %bb.3159:
	v_add_f32_e64 v0, 0x43000000, |v16|
; %bb.3160:
	s_or_b32 exec_lo, exec_lo, s4
                                        ; implicit-def: $vgpr1
.LBB77_3161:
	s_and_not1_saveexec_b32 s3, s3
; %bb.3162:
	v_mov_b32_e32 v0, 0x7f
	v_cmp_lt_u32_e32 vcc_lo, 0x7f800000, v1
	s_delay_alu instid0(VALU_DEP_2)
	v_cndmask_b32_e32 v0, 0x7c, v0, vcc_lo
; %bb.3163:
	s_or_b32 exec_lo, exec_lo, s3
	v_lshrrev_b32_e32 v1, 24, v16
	s_delay_alu instid0(VALU_DEP_1)
	v_and_or_b32 v0, 0x80, v1, v0
	global_store_b8 v[2:3], v0, off
.LBB77_3164:
	s_mov_b32 s3, 0
.LBB77_3165:
	s_delay_alu instid0(SALU_CYCLE_1)
	s_and_not1_b32 vcc_lo, exec_lo, s3
	s_mov_b32 s3, 0
	s_cbranch_vccnz .LBB77_3172
; %bb.3166:
	s_cmp_gt_i32 s2, 14
	s_mov_b32 s3, -1
	s_cbranch_scc0 .LBB77_3170
; %bb.3167:
	s_cmp_eq_u32 s2, 15
	s_mov_b32 s0, -1
	s_cbranch_scc0 .LBB77_3169
; %bb.3168:
	s_wait_xcnt 0x0
	v_bfe_u32 v0, v16, 16, 1
	v_cmp_o_f32_e32 vcc_lo, v16, v16
	s_mov_b32 s0, 0
	s_delay_alu instid0(VALU_DEP_2) | instskip(NEXT) | instid1(VALU_DEP_1)
	v_add3_u32 v0, v16, v0, 0x7fff
	v_lshrrev_b32_e32 v0, 16, v0
	s_delay_alu instid0(VALU_DEP_1)
	v_cndmask_b32_e32 v0, 0x7fc0, v0, vcc_lo
	global_store_b16 v[2:3], v0, off
.LBB77_3169:
	s_mov_b32 s3, 0
.LBB77_3170:
	s_delay_alu instid0(SALU_CYCLE_1)
	s_and_b32 vcc_lo, exec_lo, s3
	s_mov_b32 s3, 0
	s_cbranch_vccz .LBB77_3172
; %bb.3171:
	s_cmp_lg_u32 s2, 11
	s_mov_b32 s3, -1
	s_cselect_b32 s0, -1, 0
.LBB77_3172:
	s_delay_alu instid0(SALU_CYCLE_1)
	s_and_b32 vcc_lo, exec_lo, s0
	s_cbranch_vccnz .LBB77_3194
.LBB77_3173:
	s_mov_b32 s0, 0
	s_branch .LBB77_2775
.LBB77_3174:
	s_mov_b32 s0, 0
	s_mov_b32 s3, 0
                                        ; implicit-def: $vgpr2_vgpr3
                                        ; implicit-def: $sgpr1
	s_branch .LBB77_2775
.LBB77_3175:
	s_mov_b32 s3, 0
	s_mov_b32 s0, -1
	s_branch .LBB77_2775
.LBB77_3176:
	s_or_b32 s12, s12, exec_lo
	s_trap 2
	s_cbranch_execz .LBB77_2642
	s_branch .LBB77_2643
.LBB77_3177:
	s_and_not1_saveexec_b32 s8, s8
	s_cbranch_execz .LBB77_2724
.LBB77_3178:
	v_add_f32_e64 v1, 0x46000000, |v8|
	s_and_not1_b32 s7, s7, exec_lo
	s_delay_alu instid0(VALU_DEP_1) | instskip(NEXT) | instid1(VALU_DEP_1)
	v_and_b32_e32 v1, 0xff, v1
	v_cmp_ne_u32_e32 vcc_lo, 0, v1
	s_and_b32 s9, vcc_lo, exec_lo
	s_delay_alu instid0(SALU_CYCLE_1)
	s_or_b32 s7, s7, s9
	s_or_b32 exec_lo, exec_lo, s8
	v_mov_b32_e32 v3, 0
	s_and_saveexec_b32 s8, s7
	s_cbranch_execnz .LBB77_2725
	s_branch .LBB77_2726
.LBB77_3179:
	s_or_b32 s12, s12, exec_lo
	s_trap 2
	s_cbranch_execz .LBB77_2772
	s_branch .LBB77_2773
.LBB77_3180:
	s_and_not1_saveexec_b32 s7, s7
	s_cbranch_execz .LBB77_2737
.LBB77_3181:
	v_add_f32_e64 v1, 0x42800000, |v8|
	s_and_not1_b32 s6, s6, exec_lo
	s_delay_alu instid0(VALU_DEP_1) | instskip(NEXT) | instid1(VALU_DEP_1)
	v_and_b32_e32 v1, 0xff, v1
	v_cmp_ne_u32_e32 vcc_lo, 0, v1
	s_and_b32 s8, vcc_lo, exec_lo
	s_delay_alu instid0(SALU_CYCLE_1)
	s_or_b32 s6, s6, s8
	s_or_b32 exec_lo, exec_lo, s7
	v_mov_b32_e32 v3, 0
	s_and_saveexec_b32 s7, s6
	s_cbranch_execnz .LBB77_2738
	s_branch .LBB77_2739
.LBB77_3182:
	s_and_not1_saveexec_b32 s8, s8
	s_cbranch_execz .LBB77_2888
.LBB77_3183:
	v_add_f32_e64 v1, 0x46000000, |v10|
	s_and_not1_b32 s7, s7, exec_lo
	s_delay_alu instid0(VALU_DEP_1) | instskip(NEXT) | instid1(VALU_DEP_1)
	v_and_b32_e32 v1, 0xff, v1
	v_cmp_ne_u32_e32 vcc_lo, 0, v1
	s_and_b32 s9, vcc_lo, exec_lo
	s_delay_alu instid0(SALU_CYCLE_1)
	s_or_b32 s7, s7, s9
	s_or_b32 exec_lo, exec_lo, s8
	v_mov_b32_e32 v3, 0
	s_and_saveexec_b32 s8, s7
	s_cbranch_execnz .LBB77_2889
	s_branch .LBB77_2890
.LBB77_3184:
	s_or_b32 s12, s12, exec_lo
	s_trap 2
	s_cbranch_execz .LBB77_2936
	s_branch .LBB77_2937
.LBB77_3185:
	s_and_not1_saveexec_b32 s7, s7
	s_cbranch_execz .LBB77_2901
.LBB77_3186:
	v_add_f32_e64 v1, 0x42800000, |v10|
	s_and_not1_b32 s6, s6, exec_lo
	s_delay_alu instid0(VALU_DEP_1) | instskip(NEXT) | instid1(VALU_DEP_1)
	v_and_b32_e32 v1, 0xff, v1
	v_cmp_ne_u32_e32 vcc_lo, 0, v1
	s_and_b32 s8, vcc_lo, exec_lo
	s_delay_alu instid0(SALU_CYCLE_1)
	s_or_b32 s6, s6, s8
	s_or_b32 exec_lo, exec_lo, s7
	v_mov_b32_e32 v3, 0
	s_and_saveexec_b32 s7, s6
	s_cbranch_execnz .LBB77_2902
	s_branch .LBB77_2903
.LBB77_3187:
	s_and_not1_saveexec_b32 s8, s8
	s_cbranch_execz .LBB77_3007
.LBB77_3188:
	v_add_f32_e64 v1, 0x46000000, |v14|
	s_and_not1_b32 s7, s7, exec_lo
	s_delay_alu instid0(VALU_DEP_1) | instskip(NEXT) | instid1(VALU_DEP_1)
	v_and_b32_e32 v1, 0xff, v1
	v_cmp_ne_u32_e32 vcc_lo, 0, v1
	s_and_b32 s9, vcc_lo, exec_lo
	s_delay_alu instid0(SALU_CYCLE_1)
	s_or_b32 s7, s7, s9
	s_or_b32 exec_lo, exec_lo, s8
	v_mov_b32_e32 v4, 0
	s_and_saveexec_b32 s8, s7
	s_cbranch_execnz .LBB77_3008
	s_branch .LBB77_3009
.LBB77_3189:
	s_or_b32 s12, s12, exec_lo
	s_trap 2
	s_cbranch_execz .LBB77_3055
	s_branch .LBB77_3056
.LBB77_3190:
	s_and_not1_saveexec_b32 s7, s7
	s_cbranch_execz .LBB77_3020
.LBB77_3191:
	v_add_f32_e64 v1, 0x42800000, |v14|
	s_and_not1_b32 s6, s6, exec_lo
	s_delay_alu instid0(VALU_DEP_1) | instskip(NEXT) | instid1(VALU_DEP_1)
	v_and_b32_e32 v1, 0xff, v1
	v_cmp_ne_u32_e32 vcc_lo, 0, v1
	s_and_b32 s8, vcc_lo, exec_lo
	s_delay_alu instid0(SALU_CYCLE_1)
	s_or_b32 s6, s6, s8
	s_or_b32 exec_lo, exec_lo, s7
	v_mov_b32_e32 v4, 0
	s_and_saveexec_b32 s7, s6
	s_cbranch_execnz .LBB77_3021
	s_branch .LBB77_3022
.LBB77_3192:
	s_and_not1_saveexec_b32 s6, s6
	s_cbranch_execz .LBB77_3127
.LBB77_3193:
	v_add_f32_e64 v0, 0x46000000, |v16|
	s_and_not1_b32 s5, s5, exec_lo
	s_delay_alu instid0(VALU_DEP_1) | instskip(NEXT) | instid1(VALU_DEP_1)
	v_and_b32_e32 v0, 0xff, v0
	v_cmp_ne_u32_e32 vcc_lo, 0, v0
	s_and_b32 s7, vcc_lo, exec_lo
	s_delay_alu instid0(SALU_CYCLE_1)
	s_or_b32 s5, s5, s7
	s_or_b32 exec_lo, exec_lo, s6
	v_mov_b32_e32 v1, 0
	s_and_saveexec_b32 s6, s5
	s_cbranch_execnz .LBB77_3128
	s_branch .LBB77_3129
.LBB77_3194:
	s_mov_b32 s3, 0
	s_or_b32 s12, s12, exec_lo
	s_trap 2
	s_branch .LBB77_3173
.LBB77_3195:
	s_and_not1_saveexec_b32 s5, s5
	s_cbranch_execz .LBB77_3139
.LBB77_3196:
	v_add_f32_e64 v0, 0x42800000, |v16|
	s_and_not1_b32 s4, s4, exec_lo
	s_delay_alu instid0(VALU_DEP_1) | instskip(NEXT) | instid1(VALU_DEP_1)
	v_and_b32_e32 v0, 0xff, v0
	v_cmp_ne_u32_e32 vcc_lo, 0, v0
	s_and_b32 s6, vcc_lo, exec_lo
	s_delay_alu instid0(SALU_CYCLE_1)
	s_or_b32 s4, s4, s6
	s_or_b32 exec_lo, exec_lo, s5
	v_mov_b32_e32 v1, 0
	s_and_saveexec_b32 s5, s4
	s_cbranch_execnz .LBB77_3140
	s_branch .LBB77_3141
	.section	.rodata,"a",@progbits
	.p2align	6, 0x0
	.amdhsa_kernel _ZN2at6native32elementwise_kernel_manual_unrollILi128ELi4EZNS0_15gpu_kernel_implIZZZNS0_12_GLOBAL__N_124softplus_backward_kernelERNS_18TensorIteratorBaseERKN3c106ScalarES9_ENKUlvE_clEvENKUlvE0_clEvEUlffE_EEvS5_RKT_EUlibE0_EEviT1_
		.amdhsa_group_segment_fixed_size 0
		.amdhsa_private_segment_fixed_size 0
		.amdhsa_kernarg_size 440
		.amdhsa_user_sgpr_count 2
		.amdhsa_user_sgpr_dispatch_ptr 0
		.amdhsa_user_sgpr_queue_ptr 0
		.amdhsa_user_sgpr_kernarg_segment_ptr 1
		.amdhsa_user_sgpr_dispatch_id 0
		.amdhsa_user_sgpr_kernarg_preload_length 0
		.amdhsa_user_sgpr_kernarg_preload_offset 0
		.amdhsa_user_sgpr_private_segment_size 0
		.amdhsa_wavefront_size32 1
		.amdhsa_uses_dynamic_stack 0
		.amdhsa_enable_private_segment 0
		.amdhsa_system_sgpr_workgroup_id_x 1
		.amdhsa_system_sgpr_workgroup_id_y 0
		.amdhsa_system_sgpr_workgroup_id_z 0
		.amdhsa_system_sgpr_workgroup_info 0
		.amdhsa_system_vgpr_workitem_id 0
		.amdhsa_next_free_vgpr 26
		.amdhsa_next_free_sgpr 62
		.amdhsa_named_barrier_count 0
		.amdhsa_reserve_vcc 1
		.amdhsa_float_round_mode_32 0
		.amdhsa_float_round_mode_16_64 0
		.amdhsa_float_denorm_mode_32 3
		.amdhsa_float_denorm_mode_16_64 3
		.amdhsa_fp16_overflow 0
		.amdhsa_memory_ordered 1
		.amdhsa_forward_progress 1
		.amdhsa_inst_pref_size 255
		.amdhsa_round_robin_scheduling 0
		.amdhsa_exception_fp_ieee_invalid_op 0
		.amdhsa_exception_fp_denorm_src 0
		.amdhsa_exception_fp_ieee_div_zero 0
		.amdhsa_exception_fp_ieee_overflow 0
		.amdhsa_exception_fp_ieee_underflow 0
		.amdhsa_exception_fp_ieee_inexact 0
		.amdhsa_exception_int_div_zero 0
	.end_amdhsa_kernel
	.section	.text._ZN2at6native32elementwise_kernel_manual_unrollILi128ELi4EZNS0_15gpu_kernel_implIZZZNS0_12_GLOBAL__N_124softplus_backward_kernelERNS_18TensorIteratorBaseERKN3c106ScalarES9_ENKUlvE_clEvENKUlvE0_clEvEUlffE_EEvS5_RKT_EUlibE0_EEviT1_,"axG",@progbits,_ZN2at6native32elementwise_kernel_manual_unrollILi128ELi4EZNS0_15gpu_kernel_implIZZZNS0_12_GLOBAL__N_124softplus_backward_kernelERNS_18TensorIteratorBaseERKN3c106ScalarES9_ENKUlvE_clEvENKUlvE0_clEvEUlffE_EEvS5_RKT_EUlibE0_EEviT1_,comdat
.Lfunc_end77:
	.size	_ZN2at6native32elementwise_kernel_manual_unrollILi128ELi4EZNS0_15gpu_kernel_implIZZZNS0_12_GLOBAL__N_124softplus_backward_kernelERNS_18TensorIteratorBaseERKN3c106ScalarES9_ENKUlvE_clEvENKUlvE0_clEvEUlffE_EEvS5_RKT_EUlibE0_EEviT1_, .Lfunc_end77-_ZN2at6native32elementwise_kernel_manual_unrollILi128ELi4EZNS0_15gpu_kernel_implIZZZNS0_12_GLOBAL__N_124softplus_backward_kernelERNS_18TensorIteratorBaseERKN3c106ScalarES9_ENKUlvE_clEvENKUlvE0_clEvEUlffE_EEvS5_RKT_EUlibE0_EEviT1_
                                        ; -- End function
	.set _ZN2at6native32elementwise_kernel_manual_unrollILi128ELi4EZNS0_15gpu_kernel_implIZZZNS0_12_GLOBAL__N_124softplus_backward_kernelERNS_18TensorIteratorBaseERKN3c106ScalarES9_ENKUlvE_clEvENKUlvE0_clEvEUlffE_EEvS5_RKT_EUlibE0_EEviT1_.num_vgpr, 26
	.set _ZN2at6native32elementwise_kernel_manual_unrollILi128ELi4EZNS0_15gpu_kernel_implIZZZNS0_12_GLOBAL__N_124softplus_backward_kernelERNS_18TensorIteratorBaseERKN3c106ScalarES9_ENKUlvE_clEvENKUlvE0_clEvEUlffE_EEvS5_RKT_EUlibE0_EEviT1_.num_agpr, 0
	.set _ZN2at6native32elementwise_kernel_manual_unrollILi128ELi4EZNS0_15gpu_kernel_implIZZZNS0_12_GLOBAL__N_124softplus_backward_kernelERNS_18TensorIteratorBaseERKN3c106ScalarES9_ENKUlvE_clEvENKUlvE0_clEvEUlffE_EEvS5_RKT_EUlibE0_EEviT1_.numbered_sgpr, 62
	.set _ZN2at6native32elementwise_kernel_manual_unrollILi128ELi4EZNS0_15gpu_kernel_implIZZZNS0_12_GLOBAL__N_124softplus_backward_kernelERNS_18TensorIteratorBaseERKN3c106ScalarES9_ENKUlvE_clEvENKUlvE0_clEvEUlffE_EEvS5_RKT_EUlibE0_EEviT1_.num_named_barrier, 0
	.set _ZN2at6native32elementwise_kernel_manual_unrollILi128ELi4EZNS0_15gpu_kernel_implIZZZNS0_12_GLOBAL__N_124softplus_backward_kernelERNS_18TensorIteratorBaseERKN3c106ScalarES9_ENKUlvE_clEvENKUlvE0_clEvEUlffE_EEvS5_RKT_EUlibE0_EEviT1_.private_seg_size, 0
	.set _ZN2at6native32elementwise_kernel_manual_unrollILi128ELi4EZNS0_15gpu_kernel_implIZZZNS0_12_GLOBAL__N_124softplus_backward_kernelERNS_18TensorIteratorBaseERKN3c106ScalarES9_ENKUlvE_clEvENKUlvE0_clEvEUlffE_EEvS5_RKT_EUlibE0_EEviT1_.uses_vcc, 1
	.set _ZN2at6native32elementwise_kernel_manual_unrollILi128ELi4EZNS0_15gpu_kernel_implIZZZNS0_12_GLOBAL__N_124softplus_backward_kernelERNS_18TensorIteratorBaseERKN3c106ScalarES9_ENKUlvE_clEvENKUlvE0_clEvEUlffE_EEvS5_RKT_EUlibE0_EEviT1_.uses_flat_scratch, 0
	.set _ZN2at6native32elementwise_kernel_manual_unrollILi128ELi4EZNS0_15gpu_kernel_implIZZZNS0_12_GLOBAL__N_124softplus_backward_kernelERNS_18TensorIteratorBaseERKN3c106ScalarES9_ENKUlvE_clEvENKUlvE0_clEvEUlffE_EEvS5_RKT_EUlibE0_EEviT1_.has_dyn_sized_stack, 0
	.set _ZN2at6native32elementwise_kernel_manual_unrollILi128ELi4EZNS0_15gpu_kernel_implIZZZNS0_12_GLOBAL__N_124softplus_backward_kernelERNS_18TensorIteratorBaseERKN3c106ScalarES9_ENKUlvE_clEvENKUlvE0_clEvEUlffE_EEvS5_RKT_EUlibE0_EEviT1_.has_recursion, 0
	.set _ZN2at6native32elementwise_kernel_manual_unrollILi128ELi4EZNS0_15gpu_kernel_implIZZZNS0_12_GLOBAL__N_124softplus_backward_kernelERNS_18TensorIteratorBaseERKN3c106ScalarES9_ENKUlvE_clEvENKUlvE0_clEvEUlffE_EEvS5_RKT_EUlibE0_EEviT1_.has_indirect_call, 0
	.section	.AMDGPU.csdata,"",@progbits
; Kernel info:
; codeLenInByte = 62032
; TotalNumSgprs: 64
; NumVgprs: 26
; ScratchSize: 0
; MemoryBound: 1
; FloatMode: 240
; IeeeMode: 1
; LDSByteSize: 0 bytes/workgroup (compile time only)
; SGPRBlocks: 0
; VGPRBlocks: 1
; NumSGPRsForWavesPerEU: 64
; NumVGPRsForWavesPerEU: 26
; NamedBarCnt: 0
; Occupancy: 16
; WaveLimiterHint : 1
; COMPUTE_PGM_RSRC2:SCRATCH_EN: 0
; COMPUTE_PGM_RSRC2:USER_SGPR: 2
; COMPUTE_PGM_RSRC2:TRAP_HANDLER: 0
; COMPUTE_PGM_RSRC2:TGID_X_EN: 1
; COMPUTE_PGM_RSRC2:TGID_Y_EN: 0
; COMPUTE_PGM_RSRC2:TGID_Z_EN: 0
; COMPUTE_PGM_RSRC2:TIDIG_COMP_CNT: 0
	.section	.text._ZN2at6native29vectorized_elementwise_kernelILi16EZZZNS0_12_GLOBAL__N_124softplus_backward_kernelERNS_18TensorIteratorBaseERKN3c106ScalarES8_ENKUlvE_clEvENKUlvE1_clEvEUlNS5_4HalfESB_E_St5arrayIPcLm3EEEEviT0_T1_,"axG",@progbits,_ZN2at6native29vectorized_elementwise_kernelILi16EZZZNS0_12_GLOBAL__N_124softplus_backward_kernelERNS_18TensorIteratorBaseERKN3c106ScalarES8_ENKUlvE_clEvENKUlvE1_clEvEUlNS5_4HalfESB_E_St5arrayIPcLm3EEEEviT0_T1_,comdat
	.globl	_ZN2at6native29vectorized_elementwise_kernelILi16EZZZNS0_12_GLOBAL__N_124softplus_backward_kernelERNS_18TensorIteratorBaseERKN3c106ScalarES8_ENKUlvE_clEvENKUlvE1_clEvEUlNS5_4HalfESB_E_St5arrayIPcLm3EEEEviT0_T1_ ; -- Begin function _ZN2at6native29vectorized_elementwise_kernelILi16EZZZNS0_12_GLOBAL__N_124softplus_backward_kernelERNS_18TensorIteratorBaseERKN3c106ScalarES8_ENKUlvE_clEvENKUlvE1_clEvEUlNS5_4HalfESB_E_St5arrayIPcLm3EEEEviT0_T1_
	.p2align	8
	.type	_ZN2at6native29vectorized_elementwise_kernelILi16EZZZNS0_12_GLOBAL__N_124softplus_backward_kernelERNS_18TensorIteratorBaseERKN3c106ScalarES8_ENKUlvE_clEvENKUlvE1_clEvEUlNS5_4HalfESB_E_St5arrayIPcLm3EEEEviT0_T1_,@function
_ZN2at6native29vectorized_elementwise_kernelILi16EZZZNS0_12_GLOBAL__N_124softplus_backward_kernelERNS_18TensorIteratorBaseERKN3c106ScalarES8_ENKUlvE_clEvENKUlvE1_clEvEUlNS5_4HalfESB_E_St5arrayIPcLm3EEEEviT0_T1_: ; @_ZN2at6native29vectorized_elementwise_kernelILi16EZZZNS0_12_GLOBAL__N_124softplus_backward_kernelERNS_18TensorIteratorBaseERKN3c106ScalarES8_ENKUlvE_clEvENKUlvE1_clEvEUlNS5_4HalfESB_E_St5arrayIPcLm3EEEEviT0_T1_
; %bb.0:
	s_clause 0x2
	s_load_b96 s[8:10], s[0:1], 0x0
	s_load_b128 s[4:7], s[0:1], 0x10
	s_load_b64 s[12:13], s[0:1], 0x20
	s_wait_xcnt 0x0
	s_bfe_u32 s0, ttmp6, 0x4000c
	s_and_b32 s1, ttmp6, 15
	s_add_co_i32 s0, s0, 1
	s_getreg_b32 s2, hwreg(HW_REG_IB_STS2, 6, 4)
	s_mul_i32 s0, ttmp9, s0
	s_delay_alu instid0(SALU_CYCLE_1) | instskip(SKIP_2) | instid1(SALU_CYCLE_1)
	s_add_co_i32 s1, s1, s0
	s_cmp_eq_u32 s2, 0
	s_cselect_b32 s0, ttmp9, s1
	s_lshl_b32 s2, s0, 11
	s_mov_b32 s0, -1
	s_wait_kmcnt 0x0
	s_sub_co_i32 s8, s8, s2
	s_delay_alu instid0(SALU_CYCLE_1)
	s_cmp_gt_i32 s8, 0x7ff
	s_cbranch_scc0 .LBB78_18
; %bb.1:
	s_ashr_i32 s3, s2, 31
	s_delay_alu instid0(SALU_CYCLE_1)
	s_lshl_b64 s[0:1], s[2:3], 1
	s_mov_b32 s3, exec_lo
	s_add_nc_u64 s[14:15], s[12:13], s[0:1]
	global_load_b128 v[6:9], v0, s[14:15] scale_offset
	s_wait_xcnt 0x0
	s_add_nc_u64 s[14:15], s[6:7], s[0:1]
	global_load_b128 v[2:5], v0, s[14:15] scale_offset
	s_wait_loadcnt 0x1
	v_cvt_f32_f16_e32 v1, v6
	s_wait_loadcnt 0x0
	s_delay_alu instid0(VALU_DEP_1) | instskip(NEXT) | instid1(VALU_DEP_1)
	v_dual_mul_f32 v10, s9, v1 :: v_dual_mov_b32 v1, v2
	v_cmpx_nlt_f32_e32 s10, v10
	s_cbranch_execz .LBB78_3
; %bb.2:
	v_mul_f32_e32 v1, 0x3fb8aa3b, v10
	v_cmp_ngt_f32_e32 vcc_lo, 0xc2ce8ed0, v10
	s_delay_alu instid0(VALU_DEP_2) | instskip(SKIP_1) | instid1(VALU_DEP_1)
	v_rndne_f32_e32 v11, v1
	v_fma_f32 v12, 0x3fb8aa3b, v10, -v1
	v_dual_sub_f32 v1, v1, v11 :: v_dual_fmamk_f32 v12, v10, 0x32a5705f, v12
	v_cvt_i32_f32_e32 v11, v11
	s_delay_alu instid0(VALU_DEP_2) | instskip(NEXT) | instid1(VALU_DEP_1)
	v_add_f32_e32 v1, v1, v12
	v_exp_f32_e32 v1, v1
	v_nop
	s_delay_alu instid0(TRANS32_DEP_1) | instskip(SKIP_1) | instid1(VALU_DEP_2)
	v_ldexp_f32 v1, v1, v11
	v_cvt_f32_f16_e32 v11, v2
	v_cndmask_b32_e32 v1, 0, v1, vcc_lo
	v_cmp_nlt_f32_e32 vcc_lo, 0x42b17218, v10
	s_delay_alu instid0(VALU_DEP_2) | instskip(NEXT) | instid1(VALU_DEP_1)
	v_cndmask_b32_e32 v1, 0x7f800000, v1, vcc_lo
	v_dual_mul_f32 v10, v1, v11 :: v_dual_add_f32 v1, 1.0, v1
	s_delay_alu instid0(VALU_DEP_1) | instskip(NEXT) | instid1(VALU_DEP_1)
	v_div_scale_f32 v11, null, v1, v1, v10
	v_rcp_f32_e32 v12, v11
	v_nop
	s_delay_alu instid0(TRANS32_DEP_1) | instskip(NEXT) | instid1(VALU_DEP_1)
	v_fma_f32 v13, -v11, v12, 1.0
	v_fmac_f32_e32 v12, v13, v12
	v_div_scale_f32 v13, vcc_lo, v10, v1, v10
	s_delay_alu instid0(VALU_DEP_1) | instskip(NEXT) | instid1(VALU_DEP_1)
	v_mul_f32_e32 v14, v13, v12
	v_fma_f32 v15, -v11, v14, v13
	s_delay_alu instid0(VALU_DEP_1) | instskip(NEXT) | instid1(VALU_DEP_1)
	v_fmac_f32_e32 v14, v15, v12
	v_fma_f32 v11, -v11, v14, v13
	s_delay_alu instid0(VALU_DEP_1) | instskip(NEXT) | instid1(VALU_DEP_1)
	v_div_fmas_f32 v11, v11, v12, v14
	v_div_fixup_f32 v1, v11, v1, v10
	s_delay_alu instid0(VALU_DEP_1)
	v_cvt_f16_f32_e32 v1, v1
.LBB78_3:
	s_or_b32 exec_lo, exec_lo, s3
	v_lshrrev_b32_e32 v6, 16, v6
	v_lshrrev_b32_e32 v2, 16, v2
	s_mov_b32 s3, exec_lo
	s_delay_alu instid0(VALU_DEP_2) | instskip(NEXT) | instid1(VALU_DEP_1)
	v_cvt_f32_f16_e32 v6, v6
	v_mul_f32_e32 v6, s9, v6
	s_delay_alu instid0(VALU_DEP_1)
	v_cmpx_nlt_f32_e32 s10, v6
	s_cbranch_execz .LBB78_5
; %bb.4:
	v_mul_f32_e32 v10, 0x3fb8aa3b, v6
	v_cmp_ngt_f32_e32 vcc_lo, 0xc2ce8ed0, v6
	v_cvt_f32_f16_e32 v2, v2
	s_delay_alu instid0(VALU_DEP_3) | instskip(SKIP_1) | instid1(VALU_DEP_2)
	v_rndne_f32_e32 v11, v10
	v_fma_f32 v12, 0x3fb8aa3b, v6, -v10
	v_sub_f32_e32 v10, v10, v11
	s_delay_alu instid0(VALU_DEP_2) | instskip(SKIP_1) | instid1(VALU_DEP_2)
	v_fmamk_f32 v12, v6, 0x32a5705f, v12
	v_cvt_i32_f32_e32 v11, v11
	v_add_f32_e32 v10, v10, v12
	s_delay_alu instid0(VALU_DEP_1) | instskip(SKIP_1) | instid1(TRANS32_DEP_1)
	v_exp_f32_e32 v10, v10
	v_nop
	v_ldexp_f32 v10, v10, v11
	s_delay_alu instid0(VALU_DEP_1) | instskip(SKIP_1) | instid1(VALU_DEP_2)
	v_cndmask_b32_e32 v10, 0, v10, vcc_lo
	v_cmp_nlt_f32_e32 vcc_lo, 0x42b17218, v6
	v_cndmask_b32_e32 v6, 0x7f800000, v10, vcc_lo
	s_delay_alu instid0(VALU_DEP_1) | instskip(SKIP_1) | instid1(VALU_DEP_1)
	v_mul_f32_e32 v2, v6, v2
	v_add_f32_e32 v6, 1.0, v6
	v_div_scale_f32 v10, null, v6, v6, v2
	s_delay_alu instid0(VALU_DEP_1) | instskip(SKIP_1) | instid1(TRANS32_DEP_1)
	v_rcp_f32_e32 v11, v10
	v_nop
	v_fma_f32 v12, -v10, v11, 1.0
	s_delay_alu instid0(VALU_DEP_1) | instskip(SKIP_1) | instid1(VALU_DEP_1)
	v_fmac_f32_e32 v11, v12, v11
	v_div_scale_f32 v12, vcc_lo, v2, v6, v2
	v_mul_f32_e32 v13, v12, v11
	s_delay_alu instid0(VALU_DEP_1) | instskip(NEXT) | instid1(VALU_DEP_1)
	v_fma_f32 v14, -v10, v13, v12
	v_fmac_f32_e32 v13, v14, v11
	s_delay_alu instid0(VALU_DEP_1) | instskip(NEXT) | instid1(VALU_DEP_1)
	v_fma_f32 v10, -v10, v13, v12
	v_div_fmas_f32 v10, v10, v11, v13
	s_delay_alu instid0(VALU_DEP_1) | instskip(NEXT) | instid1(VALU_DEP_1)
	v_div_fixup_f32 v2, v10, v6, v2
	v_cvt_f16_f32_e32 v2, v2
.LBB78_5:
	s_or_b32 exec_lo, exec_lo, s3
	v_cvt_f32_f16_e32 v6, v7
	s_mov_b32 s3, exec_lo
	s_delay_alu instid0(VALU_DEP_1) | instskip(NEXT) | instid1(VALU_DEP_1)
	v_dual_mul_f32 v10, s9, v6 :: v_dual_mov_b32 v6, v3
	v_cmpx_nlt_f32_e32 s10, v10
	s_cbranch_execz .LBB78_7
; %bb.6:
	v_mul_f32_e32 v6, 0x3fb8aa3b, v10
	v_cmp_ngt_f32_e32 vcc_lo, 0xc2ce8ed0, v10
	s_delay_alu instid0(VALU_DEP_2) | instskip(SKIP_1) | instid1(VALU_DEP_2)
	v_rndne_f32_e32 v11, v6
	v_fma_f32 v12, 0x3fb8aa3b, v10, -v6
	v_sub_f32_e32 v6, v6, v11
	s_delay_alu instid0(VALU_DEP_2) | instskip(SKIP_1) | instid1(VALU_DEP_2)
	v_fmamk_f32 v12, v10, 0x32a5705f, v12
	v_cvt_i32_f32_e32 v11, v11
	v_add_f32_e32 v6, v6, v12
	s_delay_alu instid0(VALU_DEP_1) | instskip(SKIP_1) | instid1(TRANS32_DEP_1)
	v_exp_f32_e32 v6, v6
	v_nop
	v_ldexp_f32 v6, v6, v11
	v_cvt_f32_f16_e32 v11, v3
	s_delay_alu instid0(VALU_DEP_2) | instskip(SKIP_1) | instid1(VALU_DEP_2)
	v_cndmask_b32_e32 v6, 0, v6, vcc_lo
	v_cmp_nlt_f32_e32 vcc_lo, 0x42b17218, v10
	v_cndmask_b32_e32 v6, 0x7f800000, v6, vcc_lo
	s_delay_alu instid0(VALU_DEP_1) | instskip(NEXT) | instid1(VALU_DEP_1)
	v_dual_mul_f32 v10, v6, v11 :: v_dual_add_f32 v6, 1.0, v6
	v_div_scale_f32 v11, null, v6, v6, v10
	s_delay_alu instid0(VALU_DEP_1) | instskip(SKIP_1) | instid1(TRANS32_DEP_1)
	v_rcp_f32_e32 v12, v11
	v_nop
	v_fma_f32 v13, -v11, v12, 1.0
	s_delay_alu instid0(VALU_DEP_1) | instskip(SKIP_1) | instid1(VALU_DEP_1)
	v_fmac_f32_e32 v12, v13, v12
	v_div_scale_f32 v13, vcc_lo, v10, v6, v10
	v_mul_f32_e32 v14, v13, v12
	s_delay_alu instid0(VALU_DEP_1) | instskip(NEXT) | instid1(VALU_DEP_1)
	v_fma_f32 v15, -v11, v14, v13
	v_fmac_f32_e32 v14, v15, v12
	s_delay_alu instid0(VALU_DEP_1) | instskip(NEXT) | instid1(VALU_DEP_1)
	v_fma_f32 v11, -v11, v14, v13
	v_div_fmas_f32 v11, v11, v12, v14
	s_delay_alu instid0(VALU_DEP_1) | instskip(NEXT) | instid1(VALU_DEP_1)
	v_div_fixup_f32 v6, v11, v6, v10
	v_cvt_f16_f32_e32 v6, v6
.LBB78_7:
	s_or_b32 exec_lo, exec_lo, s3
	v_lshrrev_b32_e32 v7, 16, v7
	v_lshrrev_b32_e32 v3, 16, v3
	s_mov_b32 s3, exec_lo
	s_delay_alu instid0(VALU_DEP_2) | instskip(NEXT) | instid1(VALU_DEP_1)
	v_cvt_f32_f16_e32 v7, v7
	v_mul_f32_e32 v7, s9, v7
	s_delay_alu instid0(VALU_DEP_1)
	v_cmpx_nlt_f32_e32 s10, v7
	s_cbranch_execz .LBB78_9
; %bb.8:
	v_mul_f32_e32 v10, 0x3fb8aa3b, v7
	v_cvt_f32_f16_e32 v3, v3
	v_cmp_ngt_f32_e32 vcc_lo, 0xc2ce8ed0, v7
	s_delay_alu instid0(VALU_DEP_3) | instskip(SKIP_1) | instid1(VALU_DEP_2)
	v_rndne_f32_e32 v11, v10
	v_fma_f32 v12, 0x3fb8aa3b, v7, -v10
	v_sub_f32_e32 v10, v10, v11
	s_delay_alu instid0(VALU_DEP_2) | instskip(SKIP_1) | instid1(VALU_DEP_2)
	v_fmamk_f32 v12, v7, 0x32a5705f, v12
	v_cvt_i32_f32_e32 v11, v11
	v_add_f32_e32 v10, v10, v12
	s_delay_alu instid0(VALU_DEP_1) | instskip(SKIP_1) | instid1(TRANS32_DEP_1)
	v_exp_f32_e32 v10, v10
	v_nop
	v_ldexp_f32 v10, v10, v11
	s_delay_alu instid0(VALU_DEP_1) | instskip(SKIP_1) | instid1(VALU_DEP_2)
	v_cndmask_b32_e32 v10, 0, v10, vcc_lo
	v_cmp_nlt_f32_e32 vcc_lo, 0x42b17218, v7
	v_cndmask_b32_e32 v7, 0x7f800000, v10, vcc_lo
	s_delay_alu instid0(VALU_DEP_1) | instskip(SKIP_1) | instid1(VALU_DEP_1)
	v_mul_f32_e32 v3, v7, v3
	v_add_f32_e32 v7, 1.0, v7
	v_div_scale_f32 v10, null, v7, v7, v3
	s_delay_alu instid0(VALU_DEP_1) | instskip(SKIP_1) | instid1(TRANS32_DEP_1)
	v_rcp_f32_e32 v11, v10
	v_nop
	v_fma_f32 v12, -v10, v11, 1.0
	s_delay_alu instid0(VALU_DEP_1) | instskip(SKIP_1) | instid1(VALU_DEP_1)
	v_fmac_f32_e32 v11, v12, v11
	v_div_scale_f32 v12, vcc_lo, v3, v7, v3
	v_mul_f32_e32 v13, v12, v11
	s_delay_alu instid0(VALU_DEP_1) | instskip(NEXT) | instid1(VALU_DEP_1)
	v_fma_f32 v14, -v10, v13, v12
	v_fmac_f32_e32 v13, v14, v11
	s_delay_alu instid0(VALU_DEP_1) | instskip(NEXT) | instid1(VALU_DEP_1)
	v_fma_f32 v10, -v10, v13, v12
	v_div_fmas_f32 v10, v10, v11, v13
	s_delay_alu instid0(VALU_DEP_1) | instskip(NEXT) | instid1(VALU_DEP_1)
	v_div_fixup_f32 v3, v10, v7, v3
	v_cvt_f16_f32_e32 v3, v3
.LBB78_9:
	s_or_b32 exec_lo, exec_lo, s3
	v_cvt_f32_f16_e32 v7, v8
	s_mov_b32 s3, exec_lo
	s_delay_alu instid0(VALU_DEP_1) | instskip(NEXT) | instid1(VALU_DEP_1)
	v_dual_mul_f32 v10, s9, v7 :: v_dual_mov_b32 v7, v4
	v_cmpx_nlt_f32_e32 s10, v10
	s_cbranch_execz .LBB78_11
; %bb.10:
	v_mul_f32_e32 v7, 0x3fb8aa3b, v10
	v_cmp_ngt_f32_e32 vcc_lo, 0xc2ce8ed0, v10
	s_delay_alu instid0(VALU_DEP_2) | instskip(SKIP_1) | instid1(VALU_DEP_1)
	v_rndne_f32_e32 v11, v7
	v_fma_f32 v12, 0x3fb8aa3b, v10, -v7
	v_dual_sub_f32 v7, v7, v11 :: v_dual_fmamk_f32 v12, v10, 0x32a5705f, v12
	v_cvt_i32_f32_e32 v11, v11
	s_delay_alu instid0(VALU_DEP_2) | instskip(NEXT) | instid1(VALU_DEP_1)
	v_add_f32_e32 v7, v7, v12
	v_exp_f32_e32 v7, v7
	v_nop
	s_delay_alu instid0(TRANS32_DEP_1) | instskip(SKIP_1) | instid1(VALU_DEP_2)
	v_ldexp_f32 v7, v7, v11
	v_cvt_f32_f16_e32 v11, v4
	v_cndmask_b32_e32 v7, 0, v7, vcc_lo
	v_cmp_nlt_f32_e32 vcc_lo, 0x42b17218, v10
	s_delay_alu instid0(VALU_DEP_2) | instskip(NEXT) | instid1(VALU_DEP_1)
	v_cndmask_b32_e32 v7, 0x7f800000, v7, vcc_lo
	v_mul_f32_e32 v10, v7, v11
	v_add_f32_e32 v7, 1.0, v7
	s_delay_alu instid0(VALU_DEP_1) | instskip(NEXT) | instid1(VALU_DEP_1)
	v_div_scale_f32 v11, null, v7, v7, v10
	v_rcp_f32_e32 v12, v11
	v_nop
	s_delay_alu instid0(TRANS32_DEP_1) | instskip(NEXT) | instid1(VALU_DEP_1)
	v_fma_f32 v13, -v11, v12, 1.0
	v_fmac_f32_e32 v12, v13, v12
	v_div_scale_f32 v13, vcc_lo, v10, v7, v10
	s_delay_alu instid0(VALU_DEP_1) | instskip(NEXT) | instid1(VALU_DEP_1)
	v_mul_f32_e32 v14, v13, v12
	v_fma_f32 v15, -v11, v14, v13
	s_delay_alu instid0(VALU_DEP_1) | instskip(NEXT) | instid1(VALU_DEP_1)
	v_fmac_f32_e32 v14, v15, v12
	v_fma_f32 v11, -v11, v14, v13
	s_delay_alu instid0(VALU_DEP_1) | instskip(NEXT) | instid1(VALU_DEP_1)
	v_div_fmas_f32 v11, v11, v12, v14
	v_div_fixup_f32 v7, v11, v7, v10
	s_delay_alu instid0(VALU_DEP_1)
	v_cvt_f16_f32_e32 v7, v7
.LBB78_11:
	s_or_b32 exec_lo, exec_lo, s3
	v_lshrrev_b32_e32 v8, 16, v8
	v_lshrrev_b32_e32 v4, 16, v4
	s_mov_b32 s3, exec_lo
	s_delay_alu instid0(VALU_DEP_2) | instskip(NEXT) | instid1(VALU_DEP_1)
	v_cvt_f32_f16_e32 v8, v8
	v_mul_f32_e32 v8, s9, v8
	s_delay_alu instid0(VALU_DEP_1)
	v_cmpx_nlt_f32_e32 s10, v8
	s_cbranch_execz .LBB78_13
; %bb.12:
	v_mul_f32_e32 v10, 0x3fb8aa3b, v8
	v_cvt_f32_f16_e32 v4, v4
	v_cmp_ngt_f32_e32 vcc_lo, 0xc2ce8ed0, v8
	s_delay_alu instid0(VALU_DEP_3) | instskip(SKIP_1) | instid1(VALU_DEP_2)
	v_rndne_f32_e32 v11, v10
	v_fma_f32 v12, 0x3fb8aa3b, v8, -v10
	v_sub_f32_e32 v10, v10, v11
	s_delay_alu instid0(VALU_DEP_2) | instskip(SKIP_1) | instid1(VALU_DEP_2)
	v_fmamk_f32 v12, v8, 0x32a5705f, v12
	v_cvt_i32_f32_e32 v11, v11
	v_add_f32_e32 v10, v10, v12
	s_delay_alu instid0(VALU_DEP_1) | instskip(SKIP_1) | instid1(TRANS32_DEP_1)
	v_exp_f32_e32 v10, v10
	v_nop
	v_ldexp_f32 v10, v10, v11
	s_delay_alu instid0(VALU_DEP_1) | instskip(SKIP_1) | instid1(VALU_DEP_2)
	v_cndmask_b32_e32 v10, 0, v10, vcc_lo
	v_cmp_nlt_f32_e32 vcc_lo, 0x42b17218, v8
	v_cndmask_b32_e32 v8, 0x7f800000, v10, vcc_lo
	s_delay_alu instid0(VALU_DEP_1) | instskip(SKIP_1) | instid1(VALU_DEP_1)
	v_mul_f32_e32 v4, v8, v4
	v_add_f32_e32 v8, 1.0, v8
	v_div_scale_f32 v10, null, v8, v8, v4
	s_delay_alu instid0(VALU_DEP_1) | instskip(SKIP_1) | instid1(TRANS32_DEP_1)
	v_rcp_f32_e32 v11, v10
	v_nop
	v_fma_f32 v12, -v10, v11, 1.0
	s_delay_alu instid0(VALU_DEP_1) | instskip(SKIP_1) | instid1(VALU_DEP_1)
	v_fmac_f32_e32 v11, v12, v11
	v_div_scale_f32 v12, vcc_lo, v4, v8, v4
	v_mul_f32_e32 v13, v12, v11
	s_delay_alu instid0(VALU_DEP_1) | instskip(NEXT) | instid1(VALU_DEP_1)
	v_fma_f32 v14, -v10, v13, v12
	v_fmac_f32_e32 v13, v14, v11
	s_delay_alu instid0(VALU_DEP_1) | instskip(NEXT) | instid1(VALU_DEP_1)
	v_fma_f32 v10, -v10, v13, v12
	v_div_fmas_f32 v10, v10, v11, v13
	s_delay_alu instid0(VALU_DEP_1) | instskip(NEXT) | instid1(VALU_DEP_1)
	v_div_fixup_f32 v4, v10, v8, v4
	v_cvt_f16_f32_e32 v4, v4
.LBB78_13:
	s_or_b32 exec_lo, exec_lo, s3
	v_cvt_f32_f16_e32 v8, v9
	s_mov_b32 s3, exec_lo
	s_delay_alu instid0(VALU_DEP_1) | instskip(NEXT) | instid1(VALU_DEP_1)
	v_dual_mul_f32 v10, s9, v8 :: v_dual_mov_b32 v8, v5
	v_cmpx_nlt_f32_e32 s10, v10
	s_cbranch_execz .LBB78_15
; %bb.14:
	v_mul_f32_e32 v8, 0x3fb8aa3b, v10
	v_cmp_ngt_f32_e32 vcc_lo, 0xc2ce8ed0, v10
	s_delay_alu instid0(VALU_DEP_2) | instskip(SKIP_1) | instid1(VALU_DEP_2)
	v_rndne_f32_e32 v11, v8
	v_fma_f32 v12, 0x3fb8aa3b, v10, -v8
	v_sub_f32_e32 v8, v8, v11
	s_delay_alu instid0(VALU_DEP_2) | instskip(SKIP_1) | instid1(VALU_DEP_2)
	v_fmamk_f32 v12, v10, 0x32a5705f, v12
	v_cvt_i32_f32_e32 v11, v11
	v_add_f32_e32 v8, v8, v12
	s_delay_alu instid0(VALU_DEP_1) | instskip(SKIP_1) | instid1(TRANS32_DEP_1)
	v_exp_f32_e32 v8, v8
	v_nop
	v_ldexp_f32 v8, v8, v11
	v_cvt_f32_f16_e32 v11, v5
	s_delay_alu instid0(VALU_DEP_2) | instskip(SKIP_1) | instid1(VALU_DEP_2)
	v_cndmask_b32_e32 v8, 0, v8, vcc_lo
	v_cmp_nlt_f32_e32 vcc_lo, 0x42b17218, v10
	v_cndmask_b32_e32 v8, 0x7f800000, v8, vcc_lo
	s_delay_alu instid0(VALU_DEP_1) | instskip(NEXT) | instid1(VALU_DEP_1)
	v_dual_mul_f32 v10, v8, v11 :: v_dual_add_f32 v8, 1.0, v8
	v_div_scale_f32 v11, null, v8, v8, v10
	s_delay_alu instid0(VALU_DEP_1) | instskip(SKIP_1) | instid1(TRANS32_DEP_1)
	v_rcp_f32_e32 v12, v11
	v_nop
	v_fma_f32 v13, -v11, v12, 1.0
	s_delay_alu instid0(VALU_DEP_1) | instskip(SKIP_1) | instid1(VALU_DEP_1)
	v_fmac_f32_e32 v12, v13, v12
	v_div_scale_f32 v13, vcc_lo, v10, v8, v10
	v_mul_f32_e32 v14, v13, v12
	s_delay_alu instid0(VALU_DEP_1) | instskip(NEXT) | instid1(VALU_DEP_1)
	v_fma_f32 v15, -v11, v14, v13
	v_fmac_f32_e32 v14, v15, v12
	s_delay_alu instid0(VALU_DEP_1) | instskip(NEXT) | instid1(VALU_DEP_1)
	v_fma_f32 v11, -v11, v14, v13
	v_div_fmas_f32 v11, v11, v12, v14
	s_delay_alu instid0(VALU_DEP_1) | instskip(NEXT) | instid1(VALU_DEP_1)
	v_div_fixup_f32 v8, v11, v8, v10
	v_cvt_f16_f32_e32 v8, v8
.LBB78_15:
	s_or_b32 exec_lo, exec_lo, s3
	v_lshrrev_b32_e32 v9, 16, v9
	v_lshrrev_b32_e32 v5, 16, v5
	s_mov_b32 s3, exec_lo
	s_delay_alu instid0(VALU_DEP_2) | instskip(NEXT) | instid1(VALU_DEP_1)
	v_cvt_f32_f16_e32 v9, v9
	v_mul_f32_e32 v9, s9, v9
	s_delay_alu instid0(VALU_DEP_1)
	v_cmpx_nlt_f32_e32 s10, v9
	s_cbranch_execz .LBB78_17
; %bb.16:
	v_mul_f32_e32 v10, 0x3fb8aa3b, v9
	v_cvt_f32_f16_e32 v5, v5
	v_cmp_ngt_f32_e32 vcc_lo, 0xc2ce8ed0, v9
	s_delay_alu instid0(VALU_DEP_3) | instskip(SKIP_1) | instid1(VALU_DEP_2)
	v_rndne_f32_e32 v11, v10
	v_fma_f32 v12, 0x3fb8aa3b, v9, -v10
	v_sub_f32_e32 v10, v10, v11
	s_delay_alu instid0(VALU_DEP_2) | instskip(SKIP_1) | instid1(VALU_DEP_2)
	v_fmamk_f32 v12, v9, 0x32a5705f, v12
	v_cvt_i32_f32_e32 v11, v11
	v_add_f32_e32 v10, v10, v12
	s_delay_alu instid0(VALU_DEP_1) | instskip(SKIP_1) | instid1(TRANS32_DEP_1)
	v_exp_f32_e32 v10, v10
	v_nop
	v_ldexp_f32 v10, v10, v11
	s_delay_alu instid0(VALU_DEP_1) | instskip(SKIP_1) | instid1(VALU_DEP_2)
	v_cndmask_b32_e32 v10, 0, v10, vcc_lo
	v_cmp_nlt_f32_e32 vcc_lo, 0x42b17218, v9
	v_cndmask_b32_e32 v9, 0x7f800000, v10, vcc_lo
	s_delay_alu instid0(VALU_DEP_1) | instskip(SKIP_1) | instid1(VALU_DEP_1)
	v_mul_f32_e32 v5, v9, v5
	v_add_f32_e32 v9, 1.0, v9
	v_div_scale_f32 v10, null, v9, v9, v5
	s_delay_alu instid0(VALU_DEP_1) | instskip(SKIP_1) | instid1(TRANS32_DEP_1)
	v_rcp_f32_e32 v11, v10
	v_nop
	v_fma_f32 v12, -v10, v11, 1.0
	s_delay_alu instid0(VALU_DEP_1) | instskip(SKIP_1) | instid1(VALU_DEP_1)
	v_fmac_f32_e32 v11, v12, v11
	v_div_scale_f32 v12, vcc_lo, v5, v9, v5
	v_mul_f32_e32 v13, v12, v11
	s_delay_alu instid0(VALU_DEP_1) | instskip(NEXT) | instid1(VALU_DEP_1)
	v_fma_f32 v14, -v10, v13, v12
	v_fmac_f32_e32 v13, v14, v11
	s_delay_alu instid0(VALU_DEP_1) | instskip(NEXT) | instid1(VALU_DEP_1)
	v_fma_f32 v10, -v10, v13, v12
	v_div_fmas_f32 v10, v10, v11, v13
	s_delay_alu instid0(VALU_DEP_1) | instskip(NEXT) | instid1(VALU_DEP_1)
	v_div_fixup_f32 v5, v10, v9, v5
	v_cvt_f16_f32_e32 v5, v5
.LBB78_17:
	s_or_b32 exec_lo, exec_lo, s3
	s_delay_alu instid0(VALU_DEP_1)
	v_perm_b32 v5, v5, v8, 0x5040100
	v_perm_b32 v4, v4, v7, 0x5040100
	;; [unrolled: 1-line block ×4, first 2 shown]
	s_add_nc_u64 s[14:15], s[4:5], s[0:1]
	s_mov_b32 s0, 0
	global_store_b128 v0, v[2:5], s[14:15] scale_offset
.LBB78_18:
	s_and_b32 vcc_lo, exec_lo, s0
	s_cbranch_vccz .LBB78_73
; %bb.19:
	v_cmp_gt_i32_e64 s0, s8, v0
	s_wait_xcnt 0x0
	v_dual_mov_b32 v18, 0 :: v_dual_mov_b32 v3, 0
	v_dual_mov_b32 v4, 0 :: v_dual_bitop2_b32 v1, s2, v0 bitop3:0x54
	v_or_b32_e32 v2, 0x100, v0
	v_mov_b32_e32 v19, v0
	s_and_saveexec_b32 s1, s0
	s_cbranch_execz .LBB78_21
; %bb.20:
	s_clause 0x1
	global_load_u16 v5, v1, s[12:13] scale_offset
	global_load_u16 v4, v1, s[6:7] scale_offset
	v_or_b32_e32 v19, 0x100, v0
	s_wait_loadcnt 0x1
	v_cvt_f32_f16_e32 v18, v5
.LBB78_21:
	s_wait_xcnt 0x0
	s_or_b32 exec_lo, exec_lo, s1
	v_mov_b32_e32 v17, 0
	s_mov_b32 s1, exec_lo
	v_cmpx_gt_i32_e64 s8, v19
	s_cbranch_execz .LBB78_23
; %bb.22:
	v_add_nc_u32_e32 v5, s2, v19
	v_add_nc_u32_e32 v19, 0x100, v19
	s_clause 0x1
	global_load_u16 v6, v5, s[12:13] scale_offset
	global_load_u16 v3, v5, s[6:7] scale_offset
	s_wait_loadcnt 0x1
	v_cvt_f32_f16_e32 v17, v6
.LBB78_23:
	s_wait_xcnt 0x0
	s_or_b32 exec_lo, exec_lo, s1
	v_dual_mov_b32 v16, 0 :: v_dual_mov_b32 v5, 0
	v_mov_b32_e32 v6, 0
	s_mov_b32 s1, exec_lo
	v_cmpx_gt_i32_e64 s8, v19
	s_cbranch_execz .LBB78_25
; %bb.24:
	v_add_nc_u32_e32 v7, s2, v19
	v_add_nc_u32_e32 v19, 0x100, v19
	s_clause 0x1
	global_load_u16 v8, v7, s[12:13] scale_offset
	global_load_u16 v6, v7, s[6:7] scale_offset
	s_wait_loadcnt 0x1
	v_cvt_f32_f16_e32 v16, v8
.LBB78_25:
	s_wait_xcnt 0x0
	s_or_b32 exec_lo, exec_lo, s1
	v_mov_b32_e32 v15, 0
	s_mov_b32 s1, exec_lo
	v_cmpx_gt_i32_e64 s8, v19
	s_cbranch_execz .LBB78_27
; %bb.26:
	v_add_nc_u32_e32 v7, s2, v19
	v_add_nc_u32_e32 v19, 0x100, v19
	s_clause 0x1
	global_load_u16 v8, v7, s[12:13] scale_offset
	global_load_u16 v5, v7, s[6:7] scale_offset
	s_wait_loadcnt 0x1
	v_cvt_f32_f16_e32 v15, v8
.LBB78_27:
	s_wait_xcnt 0x0
	s_or_b32 exec_lo, exec_lo, s1
	v_dual_mov_b32 v14, 0 :: v_dual_mov_b32 v7, 0
	v_mov_b32_e32 v8, 0
	s_mov_b32 s1, exec_lo
	v_cmpx_gt_i32_e64 s8, v19
	s_cbranch_execz .LBB78_29
; %bb.28:
	v_add_nc_u32_e32 v9, s2, v19
	v_add_nc_u32_e32 v19, 0x100, v19
	s_clause 0x1
	global_load_u16 v10, v9, s[12:13] scale_offset
	global_load_u16 v8, v9, s[6:7] scale_offset
	s_wait_loadcnt 0x1
	v_cvt_f32_f16_e32 v14, v10
.LBB78_29:
	;; [unrolled: 31-line block ×3, first 2 shown]
	s_wait_xcnt 0x0
	s_or_b32 exec_lo, exec_lo, s1
	v_mov_b32_e32 v11, 0
	s_mov_b32 s1, exec_lo
	v_cmpx_gt_i32_e64 s8, v19
	s_cbranch_execnz .LBB78_36
; %bb.34:
	s_or_b32 exec_lo, exec_lo, s1
	s_and_saveexec_b32 s1, s0
	s_cbranch_execnz .LBB78_37
.LBB78_35:
	s_or_b32 exec_lo, exec_lo, s1
	s_delay_alu instid0(SALU_CYCLE_1)
	s_mov_b32 s1, exec_lo
	v_cmpx_gt_i32_e64 s8, v2
	s_cbranch_execnz .LBB78_40
	s_branch .LBB78_43
.LBB78_36:
	v_add_nc_u32_e32 v11, s2, v19
	s_clause 0x1
	global_load_u16 v19, v11, s[12:13] scale_offset
	global_load_u16 v9, v11, s[6:7] scale_offset
	s_wait_loadcnt 0x1
	s_wait_xcnt 0x0
	v_cvt_f32_f16_e32 v11, v19
	s_or_b32 exec_lo, exec_lo, s1
	s_and_saveexec_b32 s1, s0
	s_cbranch_execz .LBB78_35
.LBB78_37:
	v_mul_f32_e32 v18, s9, v18
	s_mov_b32 s3, exec_lo
	s_delay_alu instid0(VALU_DEP_1)
	v_cmpx_nlt_f32_e32 s10, v18
	s_cbranch_execz .LBB78_39
; %bb.38:
	s_wait_loadcnt 0x0
	v_cvt_f32_f16_e32 v4, v4
	v_mul_f32_e32 v19, 0x3fb8aa3b, v18
	v_cmp_ngt_f32_e32 vcc_lo, 0xc2ce8ed0, v18
	s_delay_alu instid0(VALU_DEP_2) | instskip(SKIP_1) | instid1(VALU_DEP_2)
	v_rndne_f32_e32 v20, v19
	v_fma_f32 v21, 0x3fb8aa3b, v18, -v19
	v_sub_f32_e32 v19, v19, v20
	s_delay_alu instid0(VALU_DEP_2) | instskip(SKIP_1) | instid1(VALU_DEP_2)
	v_fmamk_f32 v21, v18, 0x32a5705f, v21
	v_cvt_i32_f32_e32 v20, v20
	v_add_f32_e32 v19, v19, v21
	s_delay_alu instid0(VALU_DEP_1) | instskip(SKIP_1) | instid1(TRANS32_DEP_1)
	v_exp_f32_e32 v19, v19
	v_nop
	v_ldexp_f32 v19, v19, v20
	s_delay_alu instid0(VALU_DEP_1) | instskip(SKIP_1) | instid1(VALU_DEP_2)
	v_cndmask_b32_e32 v19, 0, v19, vcc_lo
	v_cmp_nlt_f32_e32 vcc_lo, 0x42b17218, v18
	v_cndmask_b32_e32 v18, 0x7f800000, v19, vcc_lo
	s_delay_alu instid0(VALU_DEP_1) | instskip(NEXT) | instid1(VALU_DEP_1)
	v_dual_mul_f32 v4, v18, v4 :: v_dual_add_f32 v18, 1.0, v18
	v_div_scale_f32 v19, null, v18, v18, v4
	s_delay_alu instid0(VALU_DEP_1) | instskip(SKIP_1) | instid1(TRANS32_DEP_1)
	v_rcp_f32_e32 v20, v19
	v_nop
	v_fma_f32 v21, -v19, v20, 1.0
	s_delay_alu instid0(VALU_DEP_1) | instskip(SKIP_1) | instid1(VALU_DEP_1)
	v_fmac_f32_e32 v20, v21, v20
	v_div_scale_f32 v21, vcc_lo, v4, v18, v4
	v_mul_f32_e32 v22, v21, v20
	s_delay_alu instid0(VALU_DEP_1) | instskip(NEXT) | instid1(VALU_DEP_1)
	v_fma_f32 v23, -v19, v22, v21
	v_fmac_f32_e32 v22, v23, v20
	s_delay_alu instid0(VALU_DEP_1) | instskip(NEXT) | instid1(VALU_DEP_1)
	v_fma_f32 v19, -v19, v22, v21
	v_div_fmas_f32 v19, v19, v20, v22
	s_delay_alu instid0(VALU_DEP_1) | instskip(NEXT) | instid1(VALU_DEP_1)
	v_div_fixup_f32 v4, v19, v18, v4
	v_cvt_f16_f32_e32 v4, v4
.LBB78_39:
	s_or_b32 exec_lo, exec_lo, s3
	s_delay_alu instid0(SALU_CYCLE_1) | instskip(NEXT) | instid1(SALU_CYCLE_1)
	s_or_b32 exec_lo, exec_lo, s1
	s_mov_b32 s1, exec_lo
	v_cmpx_gt_i32_e64 s8, v2
	s_cbranch_execz .LBB78_43
.LBB78_40:
	v_mul_f32_e32 v17, s9, v17
	s_mov_b32 s3, exec_lo
	s_delay_alu instid0(VALU_DEP_1)
	v_cmpx_nlt_f32_e32 s10, v17
	s_cbranch_execz .LBB78_42
; %bb.41:
	s_wait_loadcnt 0x0
	v_cvt_f32_f16_e32 v3, v3
	v_mul_f32_e32 v18, 0x3fb8aa3b, v17
	v_cmp_ngt_f32_e32 vcc_lo, 0xc2ce8ed0, v17
	s_delay_alu instid0(VALU_DEP_2) | instskip(SKIP_1) | instid1(VALU_DEP_2)
	v_rndne_f32_e32 v19, v18
	v_fma_f32 v20, 0x3fb8aa3b, v17, -v18
	v_sub_f32_e32 v18, v18, v19
	s_delay_alu instid0(VALU_DEP_2) | instskip(SKIP_1) | instid1(VALU_DEP_2)
	v_fmamk_f32 v20, v17, 0x32a5705f, v20
	v_cvt_i32_f32_e32 v19, v19
	v_add_f32_e32 v18, v18, v20
	s_delay_alu instid0(VALU_DEP_1) | instskip(SKIP_1) | instid1(TRANS32_DEP_1)
	v_exp_f32_e32 v18, v18
	v_nop
	v_ldexp_f32 v18, v18, v19
	s_delay_alu instid0(VALU_DEP_1) | instskip(SKIP_1) | instid1(VALU_DEP_2)
	v_cndmask_b32_e32 v18, 0, v18, vcc_lo
	v_cmp_nlt_f32_e32 vcc_lo, 0x42b17218, v17
	v_cndmask_b32_e32 v17, 0x7f800000, v18, vcc_lo
	s_delay_alu instid0(VALU_DEP_1) | instskip(NEXT) | instid1(VALU_DEP_1)
	v_dual_mul_f32 v3, v17, v3 :: v_dual_add_f32 v17, 1.0, v17
	v_div_scale_f32 v18, null, v17, v17, v3
	s_delay_alu instid0(VALU_DEP_1) | instskip(SKIP_1) | instid1(TRANS32_DEP_1)
	v_rcp_f32_e32 v19, v18
	v_nop
	v_fma_f32 v20, -v18, v19, 1.0
	s_delay_alu instid0(VALU_DEP_1) | instskip(SKIP_1) | instid1(VALU_DEP_1)
	v_fmac_f32_e32 v19, v20, v19
	v_div_scale_f32 v20, vcc_lo, v3, v17, v3
	v_mul_f32_e32 v21, v20, v19
	s_delay_alu instid0(VALU_DEP_1) | instskip(NEXT) | instid1(VALU_DEP_1)
	v_fma_f32 v22, -v18, v21, v20
	v_fmac_f32_e32 v21, v22, v19
	s_delay_alu instid0(VALU_DEP_1) | instskip(NEXT) | instid1(VALU_DEP_1)
	v_fma_f32 v18, -v18, v21, v20
	v_div_fmas_f32 v18, v18, v19, v21
	s_delay_alu instid0(VALU_DEP_1) | instskip(NEXT) | instid1(VALU_DEP_1)
	v_div_fixup_f32 v3, v18, v17, v3
	v_cvt_f16_f32_e32 v3, v3
.LBB78_42:
	s_or_b32 exec_lo, exec_lo, s3
.LBB78_43:
	s_delay_alu instid0(SALU_CYCLE_1) | instskip(SKIP_2) | instid1(VALU_DEP_1)
	s_or_b32 exec_lo, exec_lo, s1
	v_or_b32_e32 v17, 0x200, v0
	s_mov_b32 s1, exec_lo
	v_cmpx_gt_i32_e64 s8, v17
	s_cbranch_execz .LBB78_47
; %bb.44:
	v_mul_f32_e32 v16, s9, v16
	s_mov_b32 s3, exec_lo
	s_delay_alu instid0(VALU_DEP_1)
	v_cmpx_nlt_f32_e32 s10, v16
	s_cbranch_execz .LBB78_46
; %bb.45:
	s_wait_loadcnt 0x0
	v_cvt_f32_f16_e32 v6, v6
	v_mul_f32_e32 v17, 0x3fb8aa3b, v16
	v_cmp_ngt_f32_e32 vcc_lo, 0xc2ce8ed0, v16
	s_delay_alu instid0(VALU_DEP_2) | instskip(SKIP_1) | instid1(VALU_DEP_2)
	v_rndne_f32_e32 v18, v17
	v_fma_f32 v19, 0x3fb8aa3b, v16, -v17
	v_sub_f32_e32 v17, v17, v18
	s_delay_alu instid0(VALU_DEP_2) | instskip(SKIP_1) | instid1(VALU_DEP_2)
	v_fmamk_f32 v19, v16, 0x32a5705f, v19
	v_cvt_i32_f32_e32 v18, v18
	v_add_f32_e32 v17, v17, v19
	s_delay_alu instid0(VALU_DEP_1) | instskip(SKIP_1) | instid1(TRANS32_DEP_1)
	v_exp_f32_e32 v17, v17
	v_nop
	v_ldexp_f32 v17, v17, v18
	s_delay_alu instid0(VALU_DEP_1) | instskip(SKIP_1) | instid1(VALU_DEP_2)
	v_cndmask_b32_e32 v17, 0, v17, vcc_lo
	v_cmp_nlt_f32_e32 vcc_lo, 0x42b17218, v16
	v_cndmask_b32_e32 v16, 0x7f800000, v17, vcc_lo
	s_delay_alu instid0(VALU_DEP_1) | instskip(NEXT) | instid1(VALU_DEP_1)
	v_dual_mul_f32 v6, v16, v6 :: v_dual_add_f32 v16, 1.0, v16
	v_div_scale_f32 v17, null, v16, v16, v6
	s_delay_alu instid0(VALU_DEP_1) | instskip(SKIP_1) | instid1(TRANS32_DEP_1)
	v_rcp_f32_e32 v18, v17
	v_nop
	v_fma_f32 v19, -v17, v18, 1.0
	s_delay_alu instid0(VALU_DEP_1) | instskip(SKIP_1) | instid1(VALU_DEP_1)
	v_fmac_f32_e32 v18, v19, v18
	v_div_scale_f32 v19, vcc_lo, v6, v16, v6
	v_mul_f32_e32 v20, v19, v18
	s_delay_alu instid0(VALU_DEP_1) | instskip(NEXT) | instid1(VALU_DEP_1)
	v_fma_f32 v21, -v17, v20, v19
	v_fmac_f32_e32 v20, v21, v18
	s_delay_alu instid0(VALU_DEP_1) | instskip(NEXT) | instid1(VALU_DEP_1)
	v_fma_f32 v17, -v17, v20, v19
	v_div_fmas_f32 v17, v17, v18, v20
	s_delay_alu instid0(VALU_DEP_1) | instskip(NEXT) | instid1(VALU_DEP_1)
	v_div_fixup_f32 v6, v17, v16, v6
	v_cvt_f16_f32_e32 v6, v6
.LBB78_46:
	s_or_b32 exec_lo, exec_lo, s3
.LBB78_47:
	s_delay_alu instid0(SALU_CYCLE_1) | instskip(SKIP_2) | instid1(VALU_DEP_1)
	s_or_b32 exec_lo, exec_lo, s1
	v_or_b32_e32 v16, 0x300, v0
	s_mov_b32 s1, exec_lo
	v_cmpx_gt_i32_e64 s8, v16
	s_cbranch_execz .LBB78_51
; %bb.48:
	v_mul_f32_e32 v15, s9, v15
	s_mov_b32 s3, exec_lo
	s_delay_alu instid0(VALU_DEP_1)
	v_cmpx_nlt_f32_e32 s10, v15
	s_cbranch_execz .LBB78_50
; %bb.49:
	s_wait_loadcnt 0x0
	v_cvt_f32_f16_e32 v5, v5
	v_mul_f32_e32 v16, 0x3fb8aa3b, v15
	v_cmp_ngt_f32_e32 vcc_lo, 0xc2ce8ed0, v15
	s_delay_alu instid0(VALU_DEP_2) | instskip(SKIP_1) | instid1(VALU_DEP_2)
	v_rndne_f32_e32 v17, v16
	v_fma_f32 v18, 0x3fb8aa3b, v15, -v16
	v_sub_f32_e32 v16, v16, v17
	s_delay_alu instid0(VALU_DEP_2) | instskip(SKIP_1) | instid1(VALU_DEP_2)
	v_fmamk_f32 v18, v15, 0x32a5705f, v18
	v_cvt_i32_f32_e32 v17, v17
	v_add_f32_e32 v16, v16, v18
	s_delay_alu instid0(VALU_DEP_1) | instskip(SKIP_1) | instid1(TRANS32_DEP_1)
	v_exp_f32_e32 v16, v16
	v_nop
	v_ldexp_f32 v16, v16, v17
	s_delay_alu instid0(VALU_DEP_1) | instskip(SKIP_1) | instid1(VALU_DEP_2)
	v_cndmask_b32_e32 v16, 0, v16, vcc_lo
	v_cmp_nlt_f32_e32 vcc_lo, 0x42b17218, v15
	v_cndmask_b32_e32 v15, 0x7f800000, v16, vcc_lo
	s_delay_alu instid0(VALU_DEP_1) | instskip(NEXT) | instid1(VALU_DEP_1)
	v_dual_mul_f32 v5, v15, v5 :: v_dual_add_f32 v15, 1.0, v15
	v_div_scale_f32 v16, null, v15, v15, v5
	s_delay_alu instid0(VALU_DEP_1) | instskip(SKIP_1) | instid1(TRANS32_DEP_1)
	v_rcp_f32_e32 v17, v16
	v_nop
	v_fma_f32 v18, -v16, v17, 1.0
	s_delay_alu instid0(VALU_DEP_1) | instskip(SKIP_1) | instid1(VALU_DEP_1)
	v_fmac_f32_e32 v17, v18, v17
	v_div_scale_f32 v18, vcc_lo, v5, v15, v5
	v_mul_f32_e32 v19, v18, v17
	s_delay_alu instid0(VALU_DEP_1) | instskip(NEXT) | instid1(VALU_DEP_1)
	v_fma_f32 v20, -v16, v19, v18
	v_fmac_f32_e32 v19, v20, v17
	s_delay_alu instid0(VALU_DEP_1) | instskip(NEXT) | instid1(VALU_DEP_1)
	v_fma_f32 v16, -v16, v19, v18
	v_div_fmas_f32 v16, v16, v17, v19
	s_delay_alu instid0(VALU_DEP_1) | instskip(NEXT) | instid1(VALU_DEP_1)
	v_div_fixup_f32 v5, v16, v15, v5
	v_cvt_f16_f32_e32 v5, v5
.LBB78_50:
	s_or_b32 exec_lo, exec_lo, s3
.LBB78_51:
	;; [unrolled: 56-line block ×5, first 2 shown]
	s_delay_alu instid0(SALU_CYCLE_1) | instskip(SKIP_2) | instid1(VALU_DEP_1)
	s_or_b32 exec_lo, exec_lo, s1
	v_or_b32_e32 v12, 0x700, v0
	s_mov_b32 s1, exec_lo
	v_cmpx_gt_i32_e64 s8, v12
	s_cbranch_execnz .LBB78_74
; %bb.64:
	s_or_b32 exec_lo, exec_lo, s1
	s_and_saveexec_b32 s1, s0
	s_delay_alu instid0(SALU_CYCLE_1)
	s_xor_b32 s0, exec_lo, s1
	s_cbranch_execnz .LBB78_77
.LBB78_65:
	s_or_b32 exec_lo, exec_lo, s0
	s_delay_alu instid0(SALU_CYCLE_1)
	s_mov_b32 s0, exec_lo
	v_cmpx_gt_i32_e64 s8, v0
	s_cbranch_execnz .LBB78_78
.LBB78_66:
	s_or_b32 exec_lo, exec_lo, s0
	s_delay_alu instid0(SALU_CYCLE_1)
	s_mov_b32 s0, exec_lo
	v_cmpx_gt_i32_e64 s8, v0
	s_cbranch_execnz .LBB78_79
.LBB78_67:
	s_or_b32 exec_lo, exec_lo, s0
	s_delay_alu instid0(SALU_CYCLE_1)
	s_mov_b32 s0, exec_lo
	v_cmpx_gt_i32_e64 s8, v0
	s_cbranch_execnz .LBB78_80
.LBB78_68:
	s_or_b32 exec_lo, exec_lo, s0
	s_delay_alu instid0(SALU_CYCLE_1)
	s_mov_b32 s0, exec_lo
	v_cmpx_gt_i32_e64 s8, v0
	s_cbranch_execnz .LBB78_81
.LBB78_69:
	s_or_b32 exec_lo, exec_lo, s0
	s_delay_alu instid0(SALU_CYCLE_1)
	s_mov_b32 s0, exec_lo
	v_cmpx_gt_i32_e64 s8, v0
	s_cbranch_execnz .LBB78_82
.LBB78_70:
	s_or_b32 exec_lo, exec_lo, s0
	s_delay_alu instid0(SALU_CYCLE_1)
	s_mov_b32 s0, exec_lo
	v_cmpx_gt_i32_e64 s8, v0
	s_cbranch_execnz .LBB78_83
.LBB78_71:
	s_or_b32 exec_lo, exec_lo, s0
	s_delay_alu instid0(SALU_CYCLE_1)
	s_mov_b32 s0, exec_lo
	v_cmpx_gt_i32_e64 s8, v0
	s_cbranch_execz .LBB78_73
.LBB78_72:
	v_add_nc_u32_e32 v0, s2, v0
	s_wait_loadcnt 0x0
	global_store_b16 v0, v9, s[4:5] scale_offset
.LBB78_73:
	s_endpgm
.LBB78_74:
	v_mul_f32_e32 v11, s9, v11
	s_mov_b32 s3, exec_lo
	s_delay_alu instid0(VALU_DEP_1)
	v_cmpx_nlt_f32_e32 s10, v11
	s_cbranch_execz .LBB78_76
; %bb.75:
	s_wait_loadcnt 0x0
	v_cvt_f32_f16_e32 v9, v9
	v_mul_f32_e32 v12, 0x3fb8aa3b, v11
	v_cmp_ngt_f32_e32 vcc_lo, 0xc2ce8ed0, v11
	s_delay_alu instid0(VALU_DEP_2) | instskip(SKIP_1) | instid1(VALU_DEP_2)
	v_rndne_f32_e32 v13, v12
	v_fma_f32 v14, 0x3fb8aa3b, v11, -v12
	v_sub_f32_e32 v12, v12, v13
	s_delay_alu instid0(VALU_DEP_2) | instskip(SKIP_1) | instid1(VALU_DEP_2)
	v_fmamk_f32 v14, v11, 0x32a5705f, v14
	v_cvt_i32_f32_e32 v13, v13
	v_add_f32_e32 v12, v12, v14
	s_delay_alu instid0(VALU_DEP_1) | instskip(SKIP_1) | instid1(TRANS32_DEP_1)
	v_exp_f32_e32 v12, v12
	v_nop
	v_ldexp_f32 v12, v12, v13
	s_delay_alu instid0(VALU_DEP_1) | instskip(SKIP_1) | instid1(VALU_DEP_2)
	v_cndmask_b32_e32 v12, 0, v12, vcc_lo
	v_cmp_nlt_f32_e32 vcc_lo, 0x42b17218, v11
	v_cndmask_b32_e32 v11, 0x7f800000, v12, vcc_lo
	s_delay_alu instid0(VALU_DEP_1) | instskip(NEXT) | instid1(VALU_DEP_1)
	v_dual_mul_f32 v9, v11, v9 :: v_dual_add_f32 v11, 1.0, v11
	v_div_scale_f32 v12, null, v11, v11, v9
	s_delay_alu instid0(VALU_DEP_1) | instskip(SKIP_1) | instid1(TRANS32_DEP_1)
	v_rcp_f32_e32 v13, v12
	v_nop
	v_fma_f32 v14, -v12, v13, 1.0
	s_delay_alu instid0(VALU_DEP_1) | instskip(SKIP_1) | instid1(VALU_DEP_1)
	v_fmac_f32_e32 v13, v14, v13
	v_div_scale_f32 v14, vcc_lo, v9, v11, v9
	v_mul_f32_e32 v15, v14, v13
	s_delay_alu instid0(VALU_DEP_1) | instskip(NEXT) | instid1(VALU_DEP_1)
	v_fma_f32 v16, -v12, v15, v14
	v_fmac_f32_e32 v15, v16, v13
	s_delay_alu instid0(VALU_DEP_1) | instskip(NEXT) | instid1(VALU_DEP_1)
	v_fma_f32 v12, -v12, v15, v14
	v_div_fmas_f32 v12, v12, v13, v15
	s_delay_alu instid0(VALU_DEP_1) | instskip(NEXT) | instid1(VALU_DEP_1)
	v_div_fixup_f32 v9, v12, v11, v9
	v_cvt_f16_f32_e32 v9, v9
.LBB78_76:
	s_or_b32 exec_lo, exec_lo, s3
	s_delay_alu instid0(SALU_CYCLE_1) | instskip(SKIP_1) | instid1(SALU_CYCLE_1)
	s_or_b32 exec_lo, exec_lo, s1
	s_and_saveexec_b32 s1, s0
	s_xor_b32 s0, exec_lo, s1
	s_cbranch_execz .LBB78_65
.LBB78_77:
	v_mov_b32_e32 v0, v2
	s_wait_loadcnt 0x0
	global_store_b16 v1, v4, s[4:5] scale_offset
	s_wait_xcnt 0x0
	s_or_b32 exec_lo, exec_lo, s0
	s_delay_alu instid0(SALU_CYCLE_1)
	s_mov_b32 s0, exec_lo
	v_cmpx_gt_i32_e64 s8, v0
	s_cbranch_execz .LBB78_66
.LBB78_78:
	v_add_nc_u32_e32 v1, s2, v0
	v_add_nc_u32_e32 v0, 0x100, v0
	s_wait_loadcnt 0x0
	global_store_b16 v1, v3, s[4:5] scale_offset
	s_wait_xcnt 0x0
	s_or_b32 exec_lo, exec_lo, s0
	s_delay_alu instid0(SALU_CYCLE_1)
	s_mov_b32 s0, exec_lo
	v_cmpx_gt_i32_e64 s8, v0
	s_cbranch_execz .LBB78_67
.LBB78_79:
	v_add_nc_u32_e32 v1, s2, v0
	v_add_nc_u32_e32 v0, 0x100, v0
	s_wait_loadcnt 0x0
	global_store_b16 v1, v6, s[4:5] scale_offset
	s_wait_xcnt 0x0
	s_or_b32 exec_lo, exec_lo, s0
	s_delay_alu instid0(SALU_CYCLE_1)
	s_mov_b32 s0, exec_lo
	v_cmpx_gt_i32_e64 s8, v0
	s_cbranch_execz .LBB78_68
.LBB78_80:
	v_add_nc_u32_e32 v1, s2, v0
	v_add_nc_u32_e32 v0, 0x100, v0
	s_wait_loadcnt 0x0
	global_store_b16 v1, v5, s[4:5] scale_offset
	s_wait_xcnt 0x0
	s_or_b32 exec_lo, exec_lo, s0
	s_delay_alu instid0(SALU_CYCLE_1)
	s_mov_b32 s0, exec_lo
	v_cmpx_gt_i32_e64 s8, v0
	s_cbranch_execz .LBB78_69
.LBB78_81:
	v_add_nc_u32_e32 v1, s2, v0
	v_add_nc_u32_e32 v0, 0x100, v0
	s_wait_loadcnt 0x0
	global_store_b16 v1, v8, s[4:5] scale_offset
	s_wait_xcnt 0x0
	s_or_b32 exec_lo, exec_lo, s0
	s_delay_alu instid0(SALU_CYCLE_1)
	s_mov_b32 s0, exec_lo
	v_cmpx_gt_i32_e64 s8, v0
	s_cbranch_execz .LBB78_70
.LBB78_82:
	v_add_nc_u32_e32 v1, s2, v0
	v_add_nc_u32_e32 v0, 0x100, v0
	s_wait_loadcnt 0x0
	global_store_b16 v1, v7, s[4:5] scale_offset
	s_wait_xcnt 0x0
	s_or_b32 exec_lo, exec_lo, s0
	s_delay_alu instid0(SALU_CYCLE_1)
	s_mov_b32 s0, exec_lo
	v_cmpx_gt_i32_e64 s8, v0
	s_cbranch_execz .LBB78_71
.LBB78_83:
	v_add_nc_u32_e32 v1, s2, v0
	v_add_nc_u32_e32 v0, 0x100, v0
	s_wait_loadcnt 0x0
	global_store_b16 v1, v10, s[4:5] scale_offset
	s_wait_xcnt 0x0
	s_or_b32 exec_lo, exec_lo, s0
	s_delay_alu instid0(SALU_CYCLE_1)
	s_mov_b32 s0, exec_lo
	v_cmpx_gt_i32_e64 s8, v0
	s_cbranch_execnz .LBB78_72
	s_branch .LBB78_73
	.section	.rodata,"a",@progbits
	.p2align	6, 0x0
	.amdhsa_kernel _ZN2at6native29vectorized_elementwise_kernelILi16EZZZNS0_12_GLOBAL__N_124softplus_backward_kernelERNS_18TensorIteratorBaseERKN3c106ScalarES8_ENKUlvE_clEvENKUlvE1_clEvEUlNS5_4HalfESB_E_St5arrayIPcLm3EEEEviT0_T1_
		.amdhsa_group_segment_fixed_size 0
		.amdhsa_private_segment_fixed_size 0
		.amdhsa_kernarg_size 40
		.amdhsa_user_sgpr_count 2
		.amdhsa_user_sgpr_dispatch_ptr 0
		.amdhsa_user_sgpr_queue_ptr 0
		.amdhsa_user_sgpr_kernarg_segment_ptr 1
		.amdhsa_user_sgpr_dispatch_id 0
		.amdhsa_user_sgpr_kernarg_preload_length 0
		.amdhsa_user_sgpr_kernarg_preload_offset 0
		.amdhsa_user_sgpr_private_segment_size 0
		.amdhsa_wavefront_size32 1
		.amdhsa_uses_dynamic_stack 0
		.amdhsa_enable_private_segment 0
		.amdhsa_system_sgpr_workgroup_id_x 1
		.amdhsa_system_sgpr_workgroup_id_y 0
		.amdhsa_system_sgpr_workgroup_id_z 0
		.amdhsa_system_sgpr_workgroup_info 0
		.amdhsa_system_vgpr_workitem_id 0
		.amdhsa_next_free_vgpr 24
		.amdhsa_next_free_sgpr 16
		.amdhsa_named_barrier_count 0
		.amdhsa_reserve_vcc 1
		.amdhsa_float_round_mode_32 0
		.amdhsa_float_round_mode_16_64 0
		.amdhsa_float_denorm_mode_32 3
		.amdhsa_float_denorm_mode_16_64 3
		.amdhsa_fp16_overflow 0
		.amdhsa_memory_ordered 1
		.amdhsa_forward_progress 1
		.amdhsa_inst_pref_size 46
		.amdhsa_round_robin_scheduling 0
		.amdhsa_exception_fp_ieee_invalid_op 0
		.amdhsa_exception_fp_denorm_src 0
		.amdhsa_exception_fp_ieee_div_zero 0
		.amdhsa_exception_fp_ieee_overflow 0
		.amdhsa_exception_fp_ieee_underflow 0
		.amdhsa_exception_fp_ieee_inexact 0
		.amdhsa_exception_int_div_zero 0
	.end_amdhsa_kernel
	.section	.text._ZN2at6native29vectorized_elementwise_kernelILi16EZZZNS0_12_GLOBAL__N_124softplus_backward_kernelERNS_18TensorIteratorBaseERKN3c106ScalarES8_ENKUlvE_clEvENKUlvE1_clEvEUlNS5_4HalfESB_E_St5arrayIPcLm3EEEEviT0_T1_,"axG",@progbits,_ZN2at6native29vectorized_elementwise_kernelILi16EZZZNS0_12_GLOBAL__N_124softplus_backward_kernelERNS_18TensorIteratorBaseERKN3c106ScalarES8_ENKUlvE_clEvENKUlvE1_clEvEUlNS5_4HalfESB_E_St5arrayIPcLm3EEEEviT0_T1_,comdat
.Lfunc_end78:
	.size	_ZN2at6native29vectorized_elementwise_kernelILi16EZZZNS0_12_GLOBAL__N_124softplus_backward_kernelERNS_18TensorIteratorBaseERKN3c106ScalarES8_ENKUlvE_clEvENKUlvE1_clEvEUlNS5_4HalfESB_E_St5arrayIPcLm3EEEEviT0_T1_, .Lfunc_end78-_ZN2at6native29vectorized_elementwise_kernelILi16EZZZNS0_12_GLOBAL__N_124softplus_backward_kernelERNS_18TensorIteratorBaseERKN3c106ScalarES8_ENKUlvE_clEvENKUlvE1_clEvEUlNS5_4HalfESB_E_St5arrayIPcLm3EEEEviT0_T1_
                                        ; -- End function
	.set _ZN2at6native29vectorized_elementwise_kernelILi16EZZZNS0_12_GLOBAL__N_124softplus_backward_kernelERNS_18TensorIteratorBaseERKN3c106ScalarES8_ENKUlvE_clEvENKUlvE1_clEvEUlNS5_4HalfESB_E_St5arrayIPcLm3EEEEviT0_T1_.num_vgpr, 24
	.set _ZN2at6native29vectorized_elementwise_kernelILi16EZZZNS0_12_GLOBAL__N_124softplus_backward_kernelERNS_18TensorIteratorBaseERKN3c106ScalarES8_ENKUlvE_clEvENKUlvE1_clEvEUlNS5_4HalfESB_E_St5arrayIPcLm3EEEEviT0_T1_.num_agpr, 0
	.set _ZN2at6native29vectorized_elementwise_kernelILi16EZZZNS0_12_GLOBAL__N_124softplus_backward_kernelERNS_18TensorIteratorBaseERKN3c106ScalarES8_ENKUlvE_clEvENKUlvE1_clEvEUlNS5_4HalfESB_E_St5arrayIPcLm3EEEEviT0_T1_.numbered_sgpr, 16
	.set _ZN2at6native29vectorized_elementwise_kernelILi16EZZZNS0_12_GLOBAL__N_124softplus_backward_kernelERNS_18TensorIteratorBaseERKN3c106ScalarES8_ENKUlvE_clEvENKUlvE1_clEvEUlNS5_4HalfESB_E_St5arrayIPcLm3EEEEviT0_T1_.num_named_barrier, 0
	.set _ZN2at6native29vectorized_elementwise_kernelILi16EZZZNS0_12_GLOBAL__N_124softplus_backward_kernelERNS_18TensorIteratorBaseERKN3c106ScalarES8_ENKUlvE_clEvENKUlvE1_clEvEUlNS5_4HalfESB_E_St5arrayIPcLm3EEEEviT0_T1_.private_seg_size, 0
	.set _ZN2at6native29vectorized_elementwise_kernelILi16EZZZNS0_12_GLOBAL__N_124softplus_backward_kernelERNS_18TensorIteratorBaseERKN3c106ScalarES8_ENKUlvE_clEvENKUlvE1_clEvEUlNS5_4HalfESB_E_St5arrayIPcLm3EEEEviT0_T1_.uses_vcc, 1
	.set _ZN2at6native29vectorized_elementwise_kernelILi16EZZZNS0_12_GLOBAL__N_124softplus_backward_kernelERNS_18TensorIteratorBaseERKN3c106ScalarES8_ENKUlvE_clEvENKUlvE1_clEvEUlNS5_4HalfESB_E_St5arrayIPcLm3EEEEviT0_T1_.uses_flat_scratch, 0
	.set _ZN2at6native29vectorized_elementwise_kernelILi16EZZZNS0_12_GLOBAL__N_124softplus_backward_kernelERNS_18TensorIteratorBaseERKN3c106ScalarES8_ENKUlvE_clEvENKUlvE1_clEvEUlNS5_4HalfESB_E_St5arrayIPcLm3EEEEviT0_T1_.has_dyn_sized_stack, 0
	.set _ZN2at6native29vectorized_elementwise_kernelILi16EZZZNS0_12_GLOBAL__N_124softplus_backward_kernelERNS_18TensorIteratorBaseERKN3c106ScalarES8_ENKUlvE_clEvENKUlvE1_clEvEUlNS5_4HalfESB_E_St5arrayIPcLm3EEEEviT0_T1_.has_recursion, 0
	.set _ZN2at6native29vectorized_elementwise_kernelILi16EZZZNS0_12_GLOBAL__N_124softplus_backward_kernelERNS_18TensorIteratorBaseERKN3c106ScalarES8_ENKUlvE_clEvENKUlvE1_clEvEUlNS5_4HalfESB_E_St5arrayIPcLm3EEEEviT0_T1_.has_indirect_call, 0
	.section	.AMDGPU.csdata,"",@progbits
; Kernel info:
; codeLenInByte = 5856
; TotalNumSgprs: 18
; NumVgprs: 24
; ScratchSize: 0
; MemoryBound: 0
; FloatMode: 240
; IeeeMode: 1
; LDSByteSize: 0 bytes/workgroup (compile time only)
; SGPRBlocks: 0
; VGPRBlocks: 1
; NumSGPRsForWavesPerEU: 18
; NumVGPRsForWavesPerEU: 24
; NamedBarCnt: 0
; Occupancy: 16
; WaveLimiterHint : 0
; COMPUTE_PGM_RSRC2:SCRATCH_EN: 0
; COMPUTE_PGM_RSRC2:USER_SGPR: 2
; COMPUTE_PGM_RSRC2:TRAP_HANDLER: 0
; COMPUTE_PGM_RSRC2:TGID_X_EN: 1
; COMPUTE_PGM_RSRC2:TGID_Y_EN: 0
; COMPUTE_PGM_RSRC2:TGID_Z_EN: 0
; COMPUTE_PGM_RSRC2:TIDIG_COMP_CNT: 0
	.section	.text._ZN2at6native29vectorized_elementwise_kernelILi8EZZZNS0_12_GLOBAL__N_124softplus_backward_kernelERNS_18TensorIteratorBaseERKN3c106ScalarES8_ENKUlvE_clEvENKUlvE1_clEvEUlNS5_4HalfESB_E_St5arrayIPcLm3EEEEviT0_T1_,"axG",@progbits,_ZN2at6native29vectorized_elementwise_kernelILi8EZZZNS0_12_GLOBAL__N_124softplus_backward_kernelERNS_18TensorIteratorBaseERKN3c106ScalarES8_ENKUlvE_clEvENKUlvE1_clEvEUlNS5_4HalfESB_E_St5arrayIPcLm3EEEEviT0_T1_,comdat
	.globl	_ZN2at6native29vectorized_elementwise_kernelILi8EZZZNS0_12_GLOBAL__N_124softplus_backward_kernelERNS_18TensorIteratorBaseERKN3c106ScalarES8_ENKUlvE_clEvENKUlvE1_clEvEUlNS5_4HalfESB_E_St5arrayIPcLm3EEEEviT0_T1_ ; -- Begin function _ZN2at6native29vectorized_elementwise_kernelILi8EZZZNS0_12_GLOBAL__N_124softplus_backward_kernelERNS_18TensorIteratorBaseERKN3c106ScalarES8_ENKUlvE_clEvENKUlvE1_clEvEUlNS5_4HalfESB_E_St5arrayIPcLm3EEEEviT0_T1_
	.p2align	8
	.type	_ZN2at6native29vectorized_elementwise_kernelILi8EZZZNS0_12_GLOBAL__N_124softplus_backward_kernelERNS_18TensorIteratorBaseERKN3c106ScalarES8_ENKUlvE_clEvENKUlvE1_clEvEUlNS5_4HalfESB_E_St5arrayIPcLm3EEEEviT0_T1_,@function
_ZN2at6native29vectorized_elementwise_kernelILi8EZZZNS0_12_GLOBAL__N_124softplus_backward_kernelERNS_18TensorIteratorBaseERKN3c106ScalarES8_ENKUlvE_clEvENKUlvE1_clEvEUlNS5_4HalfESB_E_St5arrayIPcLm3EEEEviT0_T1_: ; @_ZN2at6native29vectorized_elementwise_kernelILi8EZZZNS0_12_GLOBAL__N_124softplus_backward_kernelERNS_18TensorIteratorBaseERKN3c106ScalarES8_ENKUlvE_clEvENKUlvE1_clEvEUlNS5_4HalfESB_E_St5arrayIPcLm3EEEEviT0_T1_
; %bb.0:
	s_clause 0x2
	s_load_b96 s[8:10], s[0:1], 0x0
	s_load_b128 s[4:7], s[0:1], 0x10
	s_load_b64 s[12:13], s[0:1], 0x20
	s_wait_xcnt 0x0
	s_bfe_u32 s0, ttmp6, 0x4000c
	s_and_b32 s1, ttmp6, 15
	s_add_co_i32 s0, s0, 1
	s_getreg_b32 s2, hwreg(HW_REG_IB_STS2, 6, 4)
	s_mul_i32 s0, ttmp9, s0
	s_delay_alu instid0(SALU_CYCLE_1) | instskip(SKIP_2) | instid1(SALU_CYCLE_1)
	s_add_co_i32 s1, s1, s0
	s_cmp_eq_u32 s2, 0
	s_cselect_b32 s0, ttmp9, s1
	s_lshl_b32 s2, s0, 11
	s_mov_b32 s0, -1
	s_wait_kmcnt 0x0
	s_sub_co_i32 s8, s8, s2
	s_delay_alu instid0(SALU_CYCLE_1)
	s_cmp_gt_i32 s8, 0x7ff
	s_cbranch_scc0 .LBB79_18
; %bb.1:
	s_ashr_i32 s3, s2, 31
	s_delay_alu instid0(SALU_CYCLE_1)
	s_lshl_b64 s[0:1], s[2:3], 1
	s_mov_b32 s3, exec_lo
	s_add_nc_u64 s[14:15], s[12:13], s[0:1]
	global_load_b128 v[6:9], v0, s[14:15] scale_offset
	s_wait_xcnt 0x0
	s_add_nc_u64 s[14:15], s[6:7], s[0:1]
	global_load_b128 v[2:5], v0, s[14:15] scale_offset
	s_wait_loadcnt 0x1
	v_cvt_f32_f16_e32 v1, v6
	s_wait_loadcnt 0x0
	s_delay_alu instid0(VALU_DEP_1) | instskip(NEXT) | instid1(VALU_DEP_1)
	v_dual_mul_f32 v10, s9, v1 :: v_dual_mov_b32 v1, v2
	v_cmpx_nlt_f32_e32 s10, v10
	s_cbranch_execz .LBB79_3
; %bb.2:
	v_mul_f32_e32 v1, 0x3fb8aa3b, v10
	v_cmp_ngt_f32_e32 vcc_lo, 0xc2ce8ed0, v10
	s_delay_alu instid0(VALU_DEP_2) | instskip(SKIP_1) | instid1(VALU_DEP_1)
	v_rndne_f32_e32 v11, v1
	v_fma_f32 v12, 0x3fb8aa3b, v10, -v1
	v_dual_sub_f32 v1, v1, v11 :: v_dual_fmamk_f32 v12, v10, 0x32a5705f, v12
	v_cvt_i32_f32_e32 v11, v11
	s_delay_alu instid0(VALU_DEP_2) | instskip(NEXT) | instid1(VALU_DEP_1)
	v_add_f32_e32 v1, v1, v12
	v_exp_f32_e32 v1, v1
	v_nop
	s_delay_alu instid0(TRANS32_DEP_1) | instskip(SKIP_1) | instid1(VALU_DEP_2)
	v_ldexp_f32 v1, v1, v11
	v_cvt_f32_f16_e32 v11, v2
	v_cndmask_b32_e32 v1, 0, v1, vcc_lo
	v_cmp_nlt_f32_e32 vcc_lo, 0x42b17218, v10
	s_delay_alu instid0(VALU_DEP_2) | instskip(NEXT) | instid1(VALU_DEP_1)
	v_cndmask_b32_e32 v1, 0x7f800000, v1, vcc_lo
	v_dual_mul_f32 v10, v1, v11 :: v_dual_add_f32 v1, 1.0, v1
	s_delay_alu instid0(VALU_DEP_1) | instskip(NEXT) | instid1(VALU_DEP_1)
	v_div_scale_f32 v11, null, v1, v1, v10
	v_rcp_f32_e32 v12, v11
	v_nop
	s_delay_alu instid0(TRANS32_DEP_1) | instskip(NEXT) | instid1(VALU_DEP_1)
	v_fma_f32 v13, -v11, v12, 1.0
	v_fmac_f32_e32 v12, v13, v12
	v_div_scale_f32 v13, vcc_lo, v10, v1, v10
	s_delay_alu instid0(VALU_DEP_1) | instskip(NEXT) | instid1(VALU_DEP_1)
	v_mul_f32_e32 v14, v13, v12
	v_fma_f32 v15, -v11, v14, v13
	s_delay_alu instid0(VALU_DEP_1) | instskip(NEXT) | instid1(VALU_DEP_1)
	v_fmac_f32_e32 v14, v15, v12
	v_fma_f32 v11, -v11, v14, v13
	s_delay_alu instid0(VALU_DEP_1) | instskip(NEXT) | instid1(VALU_DEP_1)
	v_div_fmas_f32 v11, v11, v12, v14
	v_div_fixup_f32 v1, v11, v1, v10
	s_delay_alu instid0(VALU_DEP_1)
	v_cvt_f16_f32_e32 v1, v1
.LBB79_3:
	s_or_b32 exec_lo, exec_lo, s3
	v_lshrrev_b32_e32 v6, 16, v6
	v_lshrrev_b32_e32 v2, 16, v2
	s_mov_b32 s3, exec_lo
	s_delay_alu instid0(VALU_DEP_2) | instskip(NEXT) | instid1(VALU_DEP_1)
	v_cvt_f32_f16_e32 v6, v6
	v_mul_f32_e32 v6, s9, v6
	s_delay_alu instid0(VALU_DEP_1)
	v_cmpx_nlt_f32_e32 s10, v6
	s_cbranch_execz .LBB79_5
; %bb.4:
	v_mul_f32_e32 v10, 0x3fb8aa3b, v6
	v_cmp_ngt_f32_e32 vcc_lo, 0xc2ce8ed0, v6
	v_cvt_f32_f16_e32 v2, v2
	s_delay_alu instid0(VALU_DEP_3) | instskip(SKIP_1) | instid1(VALU_DEP_2)
	v_rndne_f32_e32 v11, v10
	v_fma_f32 v12, 0x3fb8aa3b, v6, -v10
	v_sub_f32_e32 v10, v10, v11
	s_delay_alu instid0(VALU_DEP_2) | instskip(SKIP_1) | instid1(VALU_DEP_2)
	v_fmamk_f32 v12, v6, 0x32a5705f, v12
	v_cvt_i32_f32_e32 v11, v11
	v_add_f32_e32 v10, v10, v12
	s_delay_alu instid0(VALU_DEP_1) | instskip(SKIP_1) | instid1(TRANS32_DEP_1)
	v_exp_f32_e32 v10, v10
	v_nop
	v_ldexp_f32 v10, v10, v11
	s_delay_alu instid0(VALU_DEP_1) | instskip(SKIP_1) | instid1(VALU_DEP_2)
	v_cndmask_b32_e32 v10, 0, v10, vcc_lo
	v_cmp_nlt_f32_e32 vcc_lo, 0x42b17218, v6
	v_cndmask_b32_e32 v6, 0x7f800000, v10, vcc_lo
	s_delay_alu instid0(VALU_DEP_1) | instskip(SKIP_1) | instid1(VALU_DEP_1)
	v_mul_f32_e32 v2, v6, v2
	v_add_f32_e32 v6, 1.0, v6
	v_div_scale_f32 v10, null, v6, v6, v2
	s_delay_alu instid0(VALU_DEP_1) | instskip(SKIP_1) | instid1(TRANS32_DEP_1)
	v_rcp_f32_e32 v11, v10
	v_nop
	v_fma_f32 v12, -v10, v11, 1.0
	s_delay_alu instid0(VALU_DEP_1) | instskip(SKIP_1) | instid1(VALU_DEP_1)
	v_fmac_f32_e32 v11, v12, v11
	v_div_scale_f32 v12, vcc_lo, v2, v6, v2
	v_mul_f32_e32 v13, v12, v11
	s_delay_alu instid0(VALU_DEP_1) | instskip(NEXT) | instid1(VALU_DEP_1)
	v_fma_f32 v14, -v10, v13, v12
	v_fmac_f32_e32 v13, v14, v11
	s_delay_alu instid0(VALU_DEP_1) | instskip(NEXT) | instid1(VALU_DEP_1)
	v_fma_f32 v10, -v10, v13, v12
	v_div_fmas_f32 v10, v10, v11, v13
	s_delay_alu instid0(VALU_DEP_1) | instskip(NEXT) | instid1(VALU_DEP_1)
	v_div_fixup_f32 v2, v10, v6, v2
	v_cvt_f16_f32_e32 v2, v2
.LBB79_5:
	s_or_b32 exec_lo, exec_lo, s3
	v_cvt_f32_f16_e32 v6, v7
	s_mov_b32 s3, exec_lo
	s_delay_alu instid0(VALU_DEP_1) | instskip(NEXT) | instid1(VALU_DEP_1)
	v_dual_mul_f32 v10, s9, v6 :: v_dual_mov_b32 v6, v3
	v_cmpx_nlt_f32_e32 s10, v10
	s_cbranch_execz .LBB79_7
; %bb.6:
	v_mul_f32_e32 v6, 0x3fb8aa3b, v10
	v_cmp_ngt_f32_e32 vcc_lo, 0xc2ce8ed0, v10
	s_delay_alu instid0(VALU_DEP_2) | instskip(SKIP_1) | instid1(VALU_DEP_2)
	v_rndne_f32_e32 v11, v6
	v_fma_f32 v12, 0x3fb8aa3b, v10, -v6
	v_sub_f32_e32 v6, v6, v11
	s_delay_alu instid0(VALU_DEP_2) | instskip(SKIP_1) | instid1(VALU_DEP_2)
	v_fmamk_f32 v12, v10, 0x32a5705f, v12
	v_cvt_i32_f32_e32 v11, v11
	v_add_f32_e32 v6, v6, v12
	s_delay_alu instid0(VALU_DEP_1) | instskip(SKIP_1) | instid1(TRANS32_DEP_1)
	v_exp_f32_e32 v6, v6
	v_nop
	v_ldexp_f32 v6, v6, v11
	v_cvt_f32_f16_e32 v11, v3
	s_delay_alu instid0(VALU_DEP_2) | instskip(SKIP_1) | instid1(VALU_DEP_2)
	v_cndmask_b32_e32 v6, 0, v6, vcc_lo
	v_cmp_nlt_f32_e32 vcc_lo, 0x42b17218, v10
	v_cndmask_b32_e32 v6, 0x7f800000, v6, vcc_lo
	s_delay_alu instid0(VALU_DEP_1) | instskip(NEXT) | instid1(VALU_DEP_1)
	v_dual_mul_f32 v10, v6, v11 :: v_dual_add_f32 v6, 1.0, v6
	v_div_scale_f32 v11, null, v6, v6, v10
	s_delay_alu instid0(VALU_DEP_1) | instskip(SKIP_1) | instid1(TRANS32_DEP_1)
	v_rcp_f32_e32 v12, v11
	v_nop
	v_fma_f32 v13, -v11, v12, 1.0
	s_delay_alu instid0(VALU_DEP_1) | instskip(SKIP_1) | instid1(VALU_DEP_1)
	v_fmac_f32_e32 v12, v13, v12
	v_div_scale_f32 v13, vcc_lo, v10, v6, v10
	v_mul_f32_e32 v14, v13, v12
	s_delay_alu instid0(VALU_DEP_1) | instskip(NEXT) | instid1(VALU_DEP_1)
	v_fma_f32 v15, -v11, v14, v13
	v_fmac_f32_e32 v14, v15, v12
	s_delay_alu instid0(VALU_DEP_1) | instskip(NEXT) | instid1(VALU_DEP_1)
	v_fma_f32 v11, -v11, v14, v13
	v_div_fmas_f32 v11, v11, v12, v14
	s_delay_alu instid0(VALU_DEP_1) | instskip(NEXT) | instid1(VALU_DEP_1)
	v_div_fixup_f32 v6, v11, v6, v10
	v_cvt_f16_f32_e32 v6, v6
.LBB79_7:
	s_or_b32 exec_lo, exec_lo, s3
	v_lshrrev_b32_e32 v7, 16, v7
	v_lshrrev_b32_e32 v3, 16, v3
	s_mov_b32 s3, exec_lo
	s_delay_alu instid0(VALU_DEP_2) | instskip(NEXT) | instid1(VALU_DEP_1)
	v_cvt_f32_f16_e32 v7, v7
	v_mul_f32_e32 v7, s9, v7
	s_delay_alu instid0(VALU_DEP_1)
	v_cmpx_nlt_f32_e32 s10, v7
	s_cbranch_execz .LBB79_9
; %bb.8:
	v_mul_f32_e32 v10, 0x3fb8aa3b, v7
	v_cvt_f32_f16_e32 v3, v3
	v_cmp_ngt_f32_e32 vcc_lo, 0xc2ce8ed0, v7
	s_delay_alu instid0(VALU_DEP_3) | instskip(SKIP_1) | instid1(VALU_DEP_2)
	v_rndne_f32_e32 v11, v10
	v_fma_f32 v12, 0x3fb8aa3b, v7, -v10
	v_sub_f32_e32 v10, v10, v11
	s_delay_alu instid0(VALU_DEP_2) | instskip(SKIP_1) | instid1(VALU_DEP_2)
	v_fmamk_f32 v12, v7, 0x32a5705f, v12
	v_cvt_i32_f32_e32 v11, v11
	v_add_f32_e32 v10, v10, v12
	s_delay_alu instid0(VALU_DEP_1) | instskip(SKIP_1) | instid1(TRANS32_DEP_1)
	v_exp_f32_e32 v10, v10
	v_nop
	v_ldexp_f32 v10, v10, v11
	s_delay_alu instid0(VALU_DEP_1) | instskip(SKIP_1) | instid1(VALU_DEP_2)
	v_cndmask_b32_e32 v10, 0, v10, vcc_lo
	v_cmp_nlt_f32_e32 vcc_lo, 0x42b17218, v7
	v_cndmask_b32_e32 v7, 0x7f800000, v10, vcc_lo
	s_delay_alu instid0(VALU_DEP_1) | instskip(SKIP_1) | instid1(VALU_DEP_1)
	v_mul_f32_e32 v3, v7, v3
	v_add_f32_e32 v7, 1.0, v7
	v_div_scale_f32 v10, null, v7, v7, v3
	s_delay_alu instid0(VALU_DEP_1) | instskip(SKIP_1) | instid1(TRANS32_DEP_1)
	v_rcp_f32_e32 v11, v10
	v_nop
	v_fma_f32 v12, -v10, v11, 1.0
	s_delay_alu instid0(VALU_DEP_1) | instskip(SKIP_1) | instid1(VALU_DEP_1)
	v_fmac_f32_e32 v11, v12, v11
	v_div_scale_f32 v12, vcc_lo, v3, v7, v3
	v_mul_f32_e32 v13, v12, v11
	s_delay_alu instid0(VALU_DEP_1) | instskip(NEXT) | instid1(VALU_DEP_1)
	v_fma_f32 v14, -v10, v13, v12
	v_fmac_f32_e32 v13, v14, v11
	s_delay_alu instid0(VALU_DEP_1) | instskip(NEXT) | instid1(VALU_DEP_1)
	v_fma_f32 v10, -v10, v13, v12
	v_div_fmas_f32 v10, v10, v11, v13
	s_delay_alu instid0(VALU_DEP_1) | instskip(NEXT) | instid1(VALU_DEP_1)
	v_div_fixup_f32 v3, v10, v7, v3
	v_cvt_f16_f32_e32 v3, v3
.LBB79_9:
	s_or_b32 exec_lo, exec_lo, s3
	v_cvt_f32_f16_e32 v7, v8
	s_mov_b32 s3, exec_lo
	s_delay_alu instid0(VALU_DEP_1) | instskip(NEXT) | instid1(VALU_DEP_1)
	v_dual_mul_f32 v10, s9, v7 :: v_dual_mov_b32 v7, v4
	v_cmpx_nlt_f32_e32 s10, v10
	s_cbranch_execz .LBB79_11
; %bb.10:
	v_mul_f32_e32 v7, 0x3fb8aa3b, v10
	v_cmp_ngt_f32_e32 vcc_lo, 0xc2ce8ed0, v10
	s_delay_alu instid0(VALU_DEP_2) | instskip(SKIP_1) | instid1(VALU_DEP_1)
	v_rndne_f32_e32 v11, v7
	v_fma_f32 v12, 0x3fb8aa3b, v10, -v7
	v_dual_sub_f32 v7, v7, v11 :: v_dual_fmamk_f32 v12, v10, 0x32a5705f, v12
	v_cvt_i32_f32_e32 v11, v11
	s_delay_alu instid0(VALU_DEP_2) | instskip(NEXT) | instid1(VALU_DEP_1)
	v_add_f32_e32 v7, v7, v12
	v_exp_f32_e32 v7, v7
	v_nop
	s_delay_alu instid0(TRANS32_DEP_1) | instskip(SKIP_1) | instid1(VALU_DEP_2)
	v_ldexp_f32 v7, v7, v11
	v_cvt_f32_f16_e32 v11, v4
	v_cndmask_b32_e32 v7, 0, v7, vcc_lo
	v_cmp_nlt_f32_e32 vcc_lo, 0x42b17218, v10
	s_delay_alu instid0(VALU_DEP_2) | instskip(NEXT) | instid1(VALU_DEP_1)
	v_cndmask_b32_e32 v7, 0x7f800000, v7, vcc_lo
	v_mul_f32_e32 v10, v7, v11
	v_add_f32_e32 v7, 1.0, v7
	s_delay_alu instid0(VALU_DEP_1) | instskip(NEXT) | instid1(VALU_DEP_1)
	v_div_scale_f32 v11, null, v7, v7, v10
	v_rcp_f32_e32 v12, v11
	v_nop
	s_delay_alu instid0(TRANS32_DEP_1) | instskip(NEXT) | instid1(VALU_DEP_1)
	v_fma_f32 v13, -v11, v12, 1.0
	v_fmac_f32_e32 v12, v13, v12
	v_div_scale_f32 v13, vcc_lo, v10, v7, v10
	s_delay_alu instid0(VALU_DEP_1) | instskip(NEXT) | instid1(VALU_DEP_1)
	v_mul_f32_e32 v14, v13, v12
	v_fma_f32 v15, -v11, v14, v13
	s_delay_alu instid0(VALU_DEP_1) | instskip(NEXT) | instid1(VALU_DEP_1)
	v_fmac_f32_e32 v14, v15, v12
	v_fma_f32 v11, -v11, v14, v13
	s_delay_alu instid0(VALU_DEP_1) | instskip(NEXT) | instid1(VALU_DEP_1)
	v_div_fmas_f32 v11, v11, v12, v14
	v_div_fixup_f32 v7, v11, v7, v10
	s_delay_alu instid0(VALU_DEP_1)
	v_cvt_f16_f32_e32 v7, v7
.LBB79_11:
	s_or_b32 exec_lo, exec_lo, s3
	v_lshrrev_b32_e32 v8, 16, v8
	v_lshrrev_b32_e32 v4, 16, v4
	s_mov_b32 s3, exec_lo
	s_delay_alu instid0(VALU_DEP_2) | instskip(NEXT) | instid1(VALU_DEP_1)
	v_cvt_f32_f16_e32 v8, v8
	v_mul_f32_e32 v8, s9, v8
	s_delay_alu instid0(VALU_DEP_1)
	v_cmpx_nlt_f32_e32 s10, v8
	s_cbranch_execz .LBB79_13
; %bb.12:
	v_mul_f32_e32 v10, 0x3fb8aa3b, v8
	v_cvt_f32_f16_e32 v4, v4
	v_cmp_ngt_f32_e32 vcc_lo, 0xc2ce8ed0, v8
	s_delay_alu instid0(VALU_DEP_3) | instskip(SKIP_1) | instid1(VALU_DEP_2)
	v_rndne_f32_e32 v11, v10
	v_fma_f32 v12, 0x3fb8aa3b, v8, -v10
	v_sub_f32_e32 v10, v10, v11
	s_delay_alu instid0(VALU_DEP_2) | instskip(SKIP_1) | instid1(VALU_DEP_2)
	v_fmamk_f32 v12, v8, 0x32a5705f, v12
	v_cvt_i32_f32_e32 v11, v11
	v_add_f32_e32 v10, v10, v12
	s_delay_alu instid0(VALU_DEP_1) | instskip(SKIP_1) | instid1(TRANS32_DEP_1)
	v_exp_f32_e32 v10, v10
	v_nop
	v_ldexp_f32 v10, v10, v11
	s_delay_alu instid0(VALU_DEP_1) | instskip(SKIP_1) | instid1(VALU_DEP_2)
	v_cndmask_b32_e32 v10, 0, v10, vcc_lo
	v_cmp_nlt_f32_e32 vcc_lo, 0x42b17218, v8
	v_cndmask_b32_e32 v8, 0x7f800000, v10, vcc_lo
	s_delay_alu instid0(VALU_DEP_1) | instskip(SKIP_1) | instid1(VALU_DEP_1)
	v_mul_f32_e32 v4, v8, v4
	v_add_f32_e32 v8, 1.0, v8
	v_div_scale_f32 v10, null, v8, v8, v4
	s_delay_alu instid0(VALU_DEP_1) | instskip(SKIP_1) | instid1(TRANS32_DEP_1)
	v_rcp_f32_e32 v11, v10
	v_nop
	v_fma_f32 v12, -v10, v11, 1.0
	s_delay_alu instid0(VALU_DEP_1) | instskip(SKIP_1) | instid1(VALU_DEP_1)
	v_fmac_f32_e32 v11, v12, v11
	v_div_scale_f32 v12, vcc_lo, v4, v8, v4
	v_mul_f32_e32 v13, v12, v11
	s_delay_alu instid0(VALU_DEP_1) | instskip(NEXT) | instid1(VALU_DEP_1)
	v_fma_f32 v14, -v10, v13, v12
	v_fmac_f32_e32 v13, v14, v11
	s_delay_alu instid0(VALU_DEP_1) | instskip(NEXT) | instid1(VALU_DEP_1)
	v_fma_f32 v10, -v10, v13, v12
	v_div_fmas_f32 v10, v10, v11, v13
	s_delay_alu instid0(VALU_DEP_1) | instskip(NEXT) | instid1(VALU_DEP_1)
	v_div_fixup_f32 v4, v10, v8, v4
	v_cvt_f16_f32_e32 v4, v4
.LBB79_13:
	s_or_b32 exec_lo, exec_lo, s3
	v_cvt_f32_f16_e32 v8, v9
	s_mov_b32 s3, exec_lo
	s_delay_alu instid0(VALU_DEP_1) | instskip(NEXT) | instid1(VALU_DEP_1)
	v_dual_mul_f32 v10, s9, v8 :: v_dual_mov_b32 v8, v5
	v_cmpx_nlt_f32_e32 s10, v10
	s_cbranch_execz .LBB79_15
; %bb.14:
	v_mul_f32_e32 v8, 0x3fb8aa3b, v10
	v_cmp_ngt_f32_e32 vcc_lo, 0xc2ce8ed0, v10
	s_delay_alu instid0(VALU_DEP_2) | instskip(SKIP_1) | instid1(VALU_DEP_2)
	v_rndne_f32_e32 v11, v8
	v_fma_f32 v12, 0x3fb8aa3b, v10, -v8
	v_sub_f32_e32 v8, v8, v11
	s_delay_alu instid0(VALU_DEP_2) | instskip(SKIP_1) | instid1(VALU_DEP_2)
	v_fmamk_f32 v12, v10, 0x32a5705f, v12
	v_cvt_i32_f32_e32 v11, v11
	v_add_f32_e32 v8, v8, v12
	s_delay_alu instid0(VALU_DEP_1) | instskip(SKIP_1) | instid1(TRANS32_DEP_1)
	v_exp_f32_e32 v8, v8
	v_nop
	v_ldexp_f32 v8, v8, v11
	v_cvt_f32_f16_e32 v11, v5
	s_delay_alu instid0(VALU_DEP_2) | instskip(SKIP_1) | instid1(VALU_DEP_2)
	v_cndmask_b32_e32 v8, 0, v8, vcc_lo
	v_cmp_nlt_f32_e32 vcc_lo, 0x42b17218, v10
	v_cndmask_b32_e32 v8, 0x7f800000, v8, vcc_lo
	s_delay_alu instid0(VALU_DEP_1) | instskip(NEXT) | instid1(VALU_DEP_1)
	v_dual_mul_f32 v10, v8, v11 :: v_dual_add_f32 v8, 1.0, v8
	v_div_scale_f32 v11, null, v8, v8, v10
	s_delay_alu instid0(VALU_DEP_1) | instskip(SKIP_1) | instid1(TRANS32_DEP_1)
	v_rcp_f32_e32 v12, v11
	v_nop
	v_fma_f32 v13, -v11, v12, 1.0
	s_delay_alu instid0(VALU_DEP_1) | instskip(SKIP_1) | instid1(VALU_DEP_1)
	v_fmac_f32_e32 v12, v13, v12
	v_div_scale_f32 v13, vcc_lo, v10, v8, v10
	v_mul_f32_e32 v14, v13, v12
	s_delay_alu instid0(VALU_DEP_1) | instskip(NEXT) | instid1(VALU_DEP_1)
	v_fma_f32 v15, -v11, v14, v13
	v_fmac_f32_e32 v14, v15, v12
	s_delay_alu instid0(VALU_DEP_1) | instskip(NEXT) | instid1(VALU_DEP_1)
	v_fma_f32 v11, -v11, v14, v13
	v_div_fmas_f32 v11, v11, v12, v14
	s_delay_alu instid0(VALU_DEP_1) | instskip(NEXT) | instid1(VALU_DEP_1)
	v_div_fixup_f32 v8, v11, v8, v10
	v_cvt_f16_f32_e32 v8, v8
.LBB79_15:
	s_or_b32 exec_lo, exec_lo, s3
	v_lshrrev_b32_e32 v9, 16, v9
	v_lshrrev_b32_e32 v5, 16, v5
	s_mov_b32 s3, exec_lo
	s_delay_alu instid0(VALU_DEP_2) | instskip(NEXT) | instid1(VALU_DEP_1)
	v_cvt_f32_f16_e32 v9, v9
	v_mul_f32_e32 v9, s9, v9
	s_delay_alu instid0(VALU_DEP_1)
	v_cmpx_nlt_f32_e32 s10, v9
	s_cbranch_execz .LBB79_17
; %bb.16:
	v_mul_f32_e32 v10, 0x3fb8aa3b, v9
	v_cvt_f32_f16_e32 v5, v5
	v_cmp_ngt_f32_e32 vcc_lo, 0xc2ce8ed0, v9
	s_delay_alu instid0(VALU_DEP_3) | instskip(SKIP_1) | instid1(VALU_DEP_2)
	v_rndne_f32_e32 v11, v10
	v_fma_f32 v12, 0x3fb8aa3b, v9, -v10
	v_sub_f32_e32 v10, v10, v11
	s_delay_alu instid0(VALU_DEP_2) | instskip(SKIP_1) | instid1(VALU_DEP_2)
	v_fmamk_f32 v12, v9, 0x32a5705f, v12
	v_cvt_i32_f32_e32 v11, v11
	v_add_f32_e32 v10, v10, v12
	s_delay_alu instid0(VALU_DEP_1) | instskip(SKIP_1) | instid1(TRANS32_DEP_1)
	v_exp_f32_e32 v10, v10
	v_nop
	v_ldexp_f32 v10, v10, v11
	s_delay_alu instid0(VALU_DEP_1) | instskip(SKIP_1) | instid1(VALU_DEP_2)
	v_cndmask_b32_e32 v10, 0, v10, vcc_lo
	v_cmp_nlt_f32_e32 vcc_lo, 0x42b17218, v9
	v_cndmask_b32_e32 v9, 0x7f800000, v10, vcc_lo
	s_delay_alu instid0(VALU_DEP_1) | instskip(SKIP_1) | instid1(VALU_DEP_1)
	v_mul_f32_e32 v5, v9, v5
	v_add_f32_e32 v9, 1.0, v9
	v_div_scale_f32 v10, null, v9, v9, v5
	s_delay_alu instid0(VALU_DEP_1) | instskip(SKIP_1) | instid1(TRANS32_DEP_1)
	v_rcp_f32_e32 v11, v10
	v_nop
	v_fma_f32 v12, -v10, v11, 1.0
	s_delay_alu instid0(VALU_DEP_1) | instskip(SKIP_1) | instid1(VALU_DEP_1)
	v_fmac_f32_e32 v11, v12, v11
	v_div_scale_f32 v12, vcc_lo, v5, v9, v5
	v_mul_f32_e32 v13, v12, v11
	s_delay_alu instid0(VALU_DEP_1) | instskip(NEXT) | instid1(VALU_DEP_1)
	v_fma_f32 v14, -v10, v13, v12
	v_fmac_f32_e32 v13, v14, v11
	s_delay_alu instid0(VALU_DEP_1) | instskip(NEXT) | instid1(VALU_DEP_1)
	v_fma_f32 v10, -v10, v13, v12
	v_div_fmas_f32 v10, v10, v11, v13
	s_delay_alu instid0(VALU_DEP_1) | instskip(NEXT) | instid1(VALU_DEP_1)
	v_div_fixup_f32 v5, v10, v9, v5
	v_cvt_f16_f32_e32 v5, v5
.LBB79_17:
	s_or_b32 exec_lo, exec_lo, s3
	s_delay_alu instid0(VALU_DEP_1)
	v_perm_b32 v5, v5, v8, 0x5040100
	v_perm_b32 v4, v4, v7, 0x5040100
	;; [unrolled: 1-line block ×4, first 2 shown]
	s_add_nc_u64 s[14:15], s[4:5], s[0:1]
	s_mov_b32 s0, 0
	global_store_b128 v0, v[2:5], s[14:15] scale_offset
.LBB79_18:
	s_and_b32 vcc_lo, exec_lo, s0
	s_cbranch_vccz .LBB79_73
; %bb.19:
	v_cmp_gt_i32_e64 s0, s8, v0
	s_wait_xcnt 0x0
	v_dual_mov_b32 v18, 0 :: v_dual_mov_b32 v3, 0
	v_dual_mov_b32 v4, 0 :: v_dual_bitop2_b32 v1, s2, v0 bitop3:0x54
	v_or_b32_e32 v2, 0x100, v0
	v_mov_b32_e32 v19, v0
	s_and_saveexec_b32 s1, s0
	s_cbranch_execz .LBB79_21
; %bb.20:
	s_clause 0x1
	global_load_u16 v5, v1, s[12:13] scale_offset
	global_load_u16 v4, v1, s[6:7] scale_offset
	v_or_b32_e32 v19, 0x100, v0
	s_wait_loadcnt 0x1
	v_cvt_f32_f16_e32 v18, v5
.LBB79_21:
	s_wait_xcnt 0x0
	s_or_b32 exec_lo, exec_lo, s1
	v_mov_b32_e32 v17, 0
	s_mov_b32 s1, exec_lo
	v_cmpx_gt_i32_e64 s8, v19
	s_cbranch_execz .LBB79_23
; %bb.22:
	v_add_nc_u32_e32 v5, s2, v19
	v_add_nc_u32_e32 v19, 0x100, v19
	s_clause 0x1
	global_load_u16 v6, v5, s[12:13] scale_offset
	global_load_u16 v3, v5, s[6:7] scale_offset
	s_wait_loadcnt 0x1
	v_cvt_f32_f16_e32 v17, v6
.LBB79_23:
	s_wait_xcnt 0x0
	s_or_b32 exec_lo, exec_lo, s1
	v_dual_mov_b32 v16, 0 :: v_dual_mov_b32 v5, 0
	v_mov_b32_e32 v6, 0
	s_mov_b32 s1, exec_lo
	v_cmpx_gt_i32_e64 s8, v19
	s_cbranch_execz .LBB79_25
; %bb.24:
	v_add_nc_u32_e32 v7, s2, v19
	v_add_nc_u32_e32 v19, 0x100, v19
	s_clause 0x1
	global_load_u16 v8, v7, s[12:13] scale_offset
	global_load_u16 v6, v7, s[6:7] scale_offset
	s_wait_loadcnt 0x1
	v_cvt_f32_f16_e32 v16, v8
.LBB79_25:
	s_wait_xcnt 0x0
	s_or_b32 exec_lo, exec_lo, s1
	v_mov_b32_e32 v15, 0
	s_mov_b32 s1, exec_lo
	v_cmpx_gt_i32_e64 s8, v19
	s_cbranch_execz .LBB79_27
; %bb.26:
	v_add_nc_u32_e32 v7, s2, v19
	v_add_nc_u32_e32 v19, 0x100, v19
	s_clause 0x1
	global_load_u16 v8, v7, s[12:13] scale_offset
	global_load_u16 v5, v7, s[6:7] scale_offset
	s_wait_loadcnt 0x1
	v_cvt_f32_f16_e32 v15, v8
.LBB79_27:
	s_wait_xcnt 0x0
	s_or_b32 exec_lo, exec_lo, s1
	v_dual_mov_b32 v14, 0 :: v_dual_mov_b32 v7, 0
	v_mov_b32_e32 v8, 0
	s_mov_b32 s1, exec_lo
	v_cmpx_gt_i32_e64 s8, v19
	s_cbranch_execz .LBB79_29
; %bb.28:
	v_add_nc_u32_e32 v9, s2, v19
	v_add_nc_u32_e32 v19, 0x100, v19
	s_clause 0x1
	global_load_u16 v10, v9, s[12:13] scale_offset
	global_load_u16 v8, v9, s[6:7] scale_offset
	s_wait_loadcnt 0x1
	v_cvt_f32_f16_e32 v14, v10
.LBB79_29:
	;; [unrolled: 31-line block ×3, first 2 shown]
	s_wait_xcnt 0x0
	s_or_b32 exec_lo, exec_lo, s1
	v_mov_b32_e32 v11, 0
	s_mov_b32 s1, exec_lo
	v_cmpx_gt_i32_e64 s8, v19
	s_cbranch_execnz .LBB79_36
; %bb.34:
	s_or_b32 exec_lo, exec_lo, s1
	s_and_saveexec_b32 s1, s0
	s_cbranch_execnz .LBB79_37
.LBB79_35:
	s_or_b32 exec_lo, exec_lo, s1
	s_delay_alu instid0(SALU_CYCLE_1)
	s_mov_b32 s1, exec_lo
	v_cmpx_gt_i32_e64 s8, v2
	s_cbranch_execnz .LBB79_40
	s_branch .LBB79_43
.LBB79_36:
	v_add_nc_u32_e32 v11, s2, v19
	s_clause 0x1
	global_load_u16 v19, v11, s[12:13] scale_offset
	global_load_u16 v9, v11, s[6:7] scale_offset
	s_wait_loadcnt 0x1
	s_wait_xcnt 0x0
	v_cvt_f32_f16_e32 v11, v19
	s_or_b32 exec_lo, exec_lo, s1
	s_and_saveexec_b32 s1, s0
	s_cbranch_execz .LBB79_35
.LBB79_37:
	v_mul_f32_e32 v18, s9, v18
	s_mov_b32 s3, exec_lo
	s_delay_alu instid0(VALU_DEP_1)
	v_cmpx_nlt_f32_e32 s10, v18
	s_cbranch_execz .LBB79_39
; %bb.38:
	s_wait_loadcnt 0x0
	v_cvt_f32_f16_e32 v4, v4
	v_mul_f32_e32 v19, 0x3fb8aa3b, v18
	v_cmp_ngt_f32_e32 vcc_lo, 0xc2ce8ed0, v18
	s_delay_alu instid0(VALU_DEP_2) | instskip(SKIP_1) | instid1(VALU_DEP_2)
	v_rndne_f32_e32 v20, v19
	v_fma_f32 v21, 0x3fb8aa3b, v18, -v19
	v_sub_f32_e32 v19, v19, v20
	s_delay_alu instid0(VALU_DEP_2) | instskip(SKIP_1) | instid1(VALU_DEP_2)
	v_fmamk_f32 v21, v18, 0x32a5705f, v21
	v_cvt_i32_f32_e32 v20, v20
	v_add_f32_e32 v19, v19, v21
	s_delay_alu instid0(VALU_DEP_1) | instskip(SKIP_1) | instid1(TRANS32_DEP_1)
	v_exp_f32_e32 v19, v19
	v_nop
	v_ldexp_f32 v19, v19, v20
	s_delay_alu instid0(VALU_DEP_1) | instskip(SKIP_1) | instid1(VALU_DEP_2)
	v_cndmask_b32_e32 v19, 0, v19, vcc_lo
	v_cmp_nlt_f32_e32 vcc_lo, 0x42b17218, v18
	v_cndmask_b32_e32 v18, 0x7f800000, v19, vcc_lo
	s_delay_alu instid0(VALU_DEP_1) | instskip(NEXT) | instid1(VALU_DEP_1)
	v_dual_mul_f32 v4, v18, v4 :: v_dual_add_f32 v18, 1.0, v18
	v_div_scale_f32 v19, null, v18, v18, v4
	s_delay_alu instid0(VALU_DEP_1) | instskip(SKIP_1) | instid1(TRANS32_DEP_1)
	v_rcp_f32_e32 v20, v19
	v_nop
	v_fma_f32 v21, -v19, v20, 1.0
	s_delay_alu instid0(VALU_DEP_1) | instskip(SKIP_1) | instid1(VALU_DEP_1)
	v_fmac_f32_e32 v20, v21, v20
	v_div_scale_f32 v21, vcc_lo, v4, v18, v4
	v_mul_f32_e32 v22, v21, v20
	s_delay_alu instid0(VALU_DEP_1) | instskip(NEXT) | instid1(VALU_DEP_1)
	v_fma_f32 v23, -v19, v22, v21
	v_fmac_f32_e32 v22, v23, v20
	s_delay_alu instid0(VALU_DEP_1) | instskip(NEXT) | instid1(VALU_DEP_1)
	v_fma_f32 v19, -v19, v22, v21
	v_div_fmas_f32 v19, v19, v20, v22
	s_delay_alu instid0(VALU_DEP_1) | instskip(NEXT) | instid1(VALU_DEP_1)
	v_div_fixup_f32 v4, v19, v18, v4
	v_cvt_f16_f32_e32 v4, v4
.LBB79_39:
	s_or_b32 exec_lo, exec_lo, s3
	s_delay_alu instid0(SALU_CYCLE_1) | instskip(NEXT) | instid1(SALU_CYCLE_1)
	s_or_b32 exec_lo, exec_lo, s1
	s_mov_b32 s1, exec_lo
	v_cmpx_gt_i32_e64 s8, v2
	s_cbranch_execz .LBB79_43
.LBB79_40:
	v_mul_f32_e32 v17, s9, v17
	s_mov_b32 s3, exec_lo
	s_delay_alu instid0(VALU_DEP_1)
	v_cmpx_nlt_f32_e32 s10, v17
	s_cbranch_execz .LBB79_42
; %bb.41:
	s_wait_loadcnt 0x0
	v_cvt_f32_f16_e32 v3, v3
	v_mul_f32_e32 v18, 0x3fb8aa3b, v17
	v_cmp_ngt_f32_e32 vcc_lo, 0xc2ce8ed0, v17
	s_delay_alu instid0(VALU_DEP_2) | instskip(SKIP_1) | instid1(VALU_DEP_2)
	v_rndne_f32_e32 v19, v18
	v_fma_f32 v20, 0x3fb8aa3b, v17, -v18
	v_sub_f32_e32 v18, v18, v19
	s_delay_alu instid0(VALU_DEP_2) | instskip(SKIP_1) | instid1(VALU_DEP_2)
	v_fmamk_f32 v20, v17, 0x32a5705f, v20
	v_cvt_i32_f32_e32 v19, v19
	v_add_f32_e32 v18, v18, v20
	s_delay_alu instid0(VALU_DEP_1) | instskip(SKIP_1) | instid1(TRANS32_DEP_1)
	v_exp_f32_e32 v18, v18
	v_nop
	v_ldexp_f32 v18, v18, v19
	s_delay_alu instid0(VALU_DEP_1) | instskip(SKIP_1) | instid1(VALU_DEP_2)
	v_cndmask_b32_e32 v18, 0, v18, vcc_lo
	v_cmp_nlt_f32_e32 vcc_lo, 0x42b17218, v17
	v_cndmask_b32_e32 v17, 0x7f800000, v18, vcc_lo
	s_delay_alu instid0(VALU_DEP_1) | instskip(NEXT) | instid1(VALU_DEP_1)
	v_dual_mul_f32 v3, v17, v3 :: v_dual_add_f32 v17, 1.0, v17
	v_div_scale_f32 v18, null, v17, v17, v3
	s_delay_alu instid0(VALU_DEP_1) | instskip(SKIP_1) | instid1(TRANS32_DEP_1)
	v_rcp_f32_e32 v19, v18
	v_nop
	v_fma_f32 v20, -v18, v19, 1.0
	s_delay_alu instid0(VALU_DEP_1) | instskip(SKIP_1) | instid1(VALU_DEP_1)
	v_fmac_f32_e32 v19, v20, v19
	v_div_scale_f32 v20, vcc_lo, v3, v17, v3
	v_mul_f32_e32 v21, v20, v19
	s_delay_alu instid0(VALU_DEP_1) | instskip(NEXT) | instid1(VALU_DEP_1)
	v_fma_f32 v22, -v18, v21, v20
	v_fmac_f32_e32 v21, v22, v19
	s_delay_alu instid0(VALU_DEP_1) | instskip(NEXT) | instid1(VALU_DEP_1)
	v_fma_f32 v18, -v18, v21, v20
	v_div_fmas_f32 v18, v18, v19, v21
	s_delay_alu instid0(VALU_DEP_1) | instskip(NEXT) | instid1(VALU_DEP_1)
	v_div_fixup_f32 v3, v18, v17, v3
	v_cvt_f16_f32_e32 v3, v3
.LBB79_42:
	s_or_b32 exec_lo, exec_lo, s3
.LBB79_43:
	s_delay_alu instid0(SALU_CYCLE_1) | instskip(SKIP_2) | instid1(VALU_DEP_1)
	s_or_b32 exec_lo, exec_lo, s1
	v_or_b32_e32 v17, 0x200, v0
	s_mov_b32 s1, exec_lo
	v_cmpx_gt_i32_e64 s8, v17
	s_cbranch_execz .LBB79_47
; %bb.44:
	v_mul_f32_e32 v16, s9, v16
	s_mov_b32 s3, exec_lo
	s_delay_alu instid0(VALU_DEP_1)
	v_cmpx_nlt_f32_e32 s10, v16
	s_cbranch_execz .LBB79_46
; %bb.45:
	s_wait_loadcnt 0x0
	v_cvt_f32_f16_e32 v6, v6
	v_mul_f32_e32 v17, 0x3fb8aa3b, v16
	v_cmp_ngt_f32_e32 vcc_lo, 0xc2ce8ed0, v16
	s_delay_alu instid0(VALU_DEP_2) | instskip(SKIP_1) | instid1(VALU_DEP_2)
	v_rndne_f32_e32 v18, v17
	v_fma_f32 v19, 0x3fb8aa3b, v16, -v17
	v_sub_f32_e32 v17, v17, v18
	s_delay_alu instid0(VALU_DEP_2) | instskip(SKIP_1) | instid1(VALU_DEP_2)
	v_fmamk_f32 v19, v16, 0x32a5705f, v19
	v_cvt_i32_f32_e32 v18, v18
	v_add_f32_e32 v17, v17, v19
	s_delay_alu instid0(VALU_DEP_1) | instskip(SKIP_1) | instid1(TRANS32_DEP_1)
	v_exp_f32_e32 v17, v17
	v_nop
	v_ldexp_f32 v17, v17, v18
	s_delay_alu instid0(VALU_DEP_1) | instskip(SKIP_1) | instid1(VALU_DEP_2)
	v_cndmask_b32_e32 v17, 0, v17, vcc_lo
	v_cmp_nlt_f32_e32 vcc_lo, 0x42b17218, v16
	v_cndmask_b32_e32 v16, 0x7f800000, v17, vcc_lo
	s_delay_alu instid0(VALU_DEP_1) | instskip(NEXT) | instid1(VALU_DEP_1)
	v_dual_mul_f32 v6, v16, v6 :: v_dual_add_f32 v16, 1.0, v16
	v_div_scale_f32 v17, null, v16, v16, v6
	s_delay_alu instid0(VALU_DEP_1) | instskip(SKIP_1) | instid1(TRANS32_DEP_1)
	v_rcp_f32_e32 v18, v17
	v_nop
	v_fma_f32 v19, -v17, v18, 1.0
	s_delay_alu instid0(VALU_DEP_1) | instskip(SKIP_1) | instid1(VALU_DEP_1)
	v_fmac_f32_e32 v18, v19, v18
	v_div_scale_f32 v19, vcc_lo, v6, v16, v6
	v_mul_f32_e32 v20, v19, v18
	s_delay_alu instid0(VALU_DEP_1) | instskip(NEXT) | instid1(VALU_DEP_1)
	v_fma_f32 v21, -v17, v20, v19
	v_fmac_f32_e32 v20, v21, v18
	s_delay_alu instid0(VALU_DEP_1) | instskip(NEXT) | instid1(VALU_DEP_1)
	v_fma_f32 v17, -v17, v20, v19
	v_div_fmas_f32 v17, v17, v18, v20
	s_delay_alu instid0(VALU_DEP_1) | instskip(NEXT) | instid1(VALU_DEP_1)
	v_div_fixup_f32 v6, v17, v16, v6
	v_cvt_f16_f32_e32 v6, v6
.LBB79_46:
	s_or_b32 exec_lo, exec_lo, s3
.LBB79_47:
	s_delay_alu instid0(SALU_CYCLE_1) | instskip(SKIP_2) | instid1(VALU_DEP_1)
	s_or_b32 exec_lo, exec_lo, s1
	v_or_b32_e32 v16, 0x300, v0
	s_mov_b32 s1, exec_lo
	v_cmpx_gt_i32_e64 s8, v16
	s_cbranch_execz .LBB79_51
; %bb.48:
	v_mul_f32_e32 v15, s9, v15
	s_mov_b32 s3, exec_lo
	s_delay_alu instid0(VALU_DEP_1)
	v_cmpx_nlt_f32_e32 s10, v15
	s_cbranch_execz .LBB79_50
; %bb.49:
	s_wait_loadcnt 0x0
	v_cvt_f32_f16_e32 v5, v5
	v_mul_f32_e32 v16, 0x3fb8aa3b, v15
	v_cmp_ngt_f32_e32 vcc_lo, 0xc2ce8ed0, v15
	s_delay_alu instid0(VALU_DEP_2) | instskip(SKIP_1) | instid1(VALU_DEP_2)
	v_rndne_f32_e32 v17, v16
	v_fma_f32 v18, 0x3fb8aa3b, v15, -v16
	v_sub_f32_e32 v16, v16, v17
	s_delay_alu instid0(VALU_DEP_2) | instskip(SKIP_1) | instid1(VALU_DEP_2)
	v_fmamk_f32 v18, v15, 0x32a5705f, v18
	v_cvt_i32_f32_e32 v17, v17
	v_add_f32_e32 v16, v16, v18
	s_delay_alu instid0(VALU_DEP_1) | instskip(SKIP_1) | instid1(TRANS32_DEP_1)
	v_exp_f32_e32 v16, v16
	v_nop
	v_ldexp_f32 v16, v16, v17
	s_delay_alu instid0(VALU_DEP_1) | instskip(SKIP_1) | instid1(VALU_DEP_2)
	v_cndmask_b32_e32 v16, 0, v16, vcc_lo
	v_cmp_nlt_f32_e32 vcc_lo, 0x42b17218, v15
	v_cndmask_b32_e32 v15, 0x7f800000, v16, vcc_lo
	s_delay_alu instid0(VALU_DEP_1) | instskip(NEXT) | instid1(VALU_DEP_1)
	v_dual_mul_f32 v5, v15, v5 :: v_dual_add_f32 v15, 1.0, v15
	v_div_scale_f32 v16, null, v15, v15, v5
	s_delay_alu instid0(VALU_DEP_1) | instskip(SKIP_1) | instid1(TRANS32_DEP_1)
	v_rcp_f32_e32 v17, v16
	v_nop
	v_fma_f32 v18, -v16, v17, 1.0
	s_delay_alu instid0(VALU_DEP_1) | instskip(SKIP_1) | instid1(VALU_DEP_1)
	v_fmac_f32_e32 v17, v18, v17
	v_div_scale_f32 v18, vcc_lo, v5, v15, v5
	v_mul_f32_e32 v19, v18, v17
	s_delay_alu instid0(VALU_DEP_1) | instskip(NEXT) | instid1(VALU_DEP_1)
	v_fma_f32 v20, -v16, v19, v18
	v_fmac_f32_e32 v19, v20, v17
	s_delay_alu instid0(VALU_DEP_1) | instskip(NEXT) | instid1(VALU_DEP_1)
	v_fma_f32 v16, -v16, v19, v18
	v_div_fmas_f32 v16, v16, v17, v19
	s_delay_alu instid0(VALU_DEP_1) | instskip(NEXT) | instid1(VALU_DEP_1)
	v_div_fixup_f32 v5, v16, v15, v5
	v_cvt_f16_f32_e32 v5, v5
.LBB79_50:
	s_or_b32 exec_lo, exec_lo, s3
.LBB79_51:
	;; [unrolled: 56-line block ×5, first 2 shown]
	s_delay_alu instid0(SALU_CYCLE_1) | instskip(SKIP_2) | instid1(VALU_DEP_1)
	s_or_b32 exec_lo, exec_lo, s1
	v_or_b32_e32 v12, 0x700, v0
	s_mov_b32 s1, exec_lo
	v_cmpx_gt_i32_e64 s8, v12
	s_cbranch_execnz .LBB79_74
; %bb.64:
	s_or_b32 exec_lo, exec_lo, s1
	s_and_saveexec_b32 s1, s0
	s_delay_alu instid0(SALU_CYCLE_1)
	s_xor_b32 s0, exec_lo, s1
	s_cbranch_execnz .LBB79_77
.LBB79_65:
	s_or_b32 exec_lo, exec_lo, s0
	s_delay_alu instid0(SALU_CYCLE_1)
	s_mov_b32 s0, exec_lo
	v_cmpx_gt_i32_e64 s8, v0
	s_cbranch_execnz .LBB79_78
.LBB79_66:
	s_or_b32 exec_lo, exec_lo, s0
	s_delay_alu instid0(SALU_CYCLE_1)
	s_mov_b32 s0, exec_lo
	v_cmpx_gt_i32_e64 s8, v0
	s_cbranch_execnz .LBB79_79
.LBB79_67:
	s_or_b32 exec_lo, exec_lo, s0
	s_delay_alu instid0(SALU_CYCLE_1)
	s_mov_b32 s0, exec_lo
	v_cmpx_gt_i32_e64 s8, v0
	s_cbranch_execnz .LBB79_80
.LBB79_68:
	s_or_b32 exec_lo, exec_lo, s0
	s_delay_alu instid0(SALU_CYCLE_1)
	s_mov_b32 s0, exec_lo
	v_cmpx_gt_i32_e64 s8, v0
	s_cbranch_execnz .LBB79_81
.LBB79_69:
	s_or_b32 exec_lo, exec_lo, s0
	s_delay_alu instid0(SALU_CYCLE_1)
	s_mov_b32 s0, exec_lo
	v_cmpx_gt_i32_e64 s8, v0
	s_cbranch_execnz .LBB79_82
.LBB79_70:
	s_or_b32 exec_lo, exec_lo, s0
	s_delay_alu instid0(SALU_CYCLE_1)
	s_mov_b32 s0, exec_lo
	v_cmpx_gt_i32_e64 s8, v0
	s_cbranch_execnz .LBB79_83
.LBB79_71:
	s_or_b32 exec_lo, exec_lo, s0
	s_delay_alu instid0(SALU_CYCLE_1)
	s_mov_b32 s0, exec_lo
	v_cmpx_gt_i32_e64 s8, v0
	s_cbranch_execz .LBB79_73
.LBB79_72:
	v_add_nc_u32_e32 v0, s2, v0
	s_wait_loadcnt 0x0
	global_store_b16 v0, v9, s[4:5] scale_offset
.LBB79_73:
	s_endpgm
.LBB79_74:
	v_mul_f32_e32 v11, s9, v11
	s_mov_b32 s3, exec_lo
	s_delay_alu instid0(VALU_DEP_1)
	v_cmpx_nlt_f32_e32 s10, v11
	s_cbranch_execz .LBB79_76
; %bb.75:
	s_wait_loadcnt 0x0
	v_cvt_f32_f16_e32 v9, v9
	v_mul_f32_e32 v12, 0x3fb8aa3b, v11
	v_cmp_ngt_f32_e32 vcc_lo, 0xc2ce8ed0, v11
	s_delay_alu instid0(VALU_DEP_2) | instskip(SKIP_1) | instid1(VALU_DEP_2)
	v_rndne_f32_e32 v13, v12
	v_fma_f32 v14, 0x3fb8aa3b, v11, -v12
	v_sub_f32_e32 v12, v12, v13
	s_delay_alu instid0(VALU_DEP_2) | instskip(SKIP_1) | instid1(VALU_DEP_2)
	v_fmamk_f32 v14, v11, 0x32a5705f, v14
	v_cvt_i32_f32_e32 v13, v13
	v_add_f32_e32 v12, v12, v14
	s_delay_alu instid0(VALU_DEP_1) | instskip(SKIP_1) | instid1(TRANS32_DEP_1)
	v_exp_f32_e32 v12, v12
	v_nop
	v_ldexp_f32 v12, v12, v13
	s_delay_alu instid0(VALU_DEP_1) | instskip(SKIP_1) | instid1(VALU_DEP_2)
	v_cndmask_b32_e32 v12, 0, v12, vcc_lo
	v_cmp_nlt_f32_e32 vcc_lo, 0x42b17218, v11
	v_cndmask_b32_e32 v11, 0x7f800000, v12, vcc_lo
	s_delay_alu instid0(VALU_DEP_1) | instskip(NEXT) | instid1(VALU_DEP_1)
	v_dual_mul_f32 v9, v11, v9 :: v_dual_add_f32 v11, 1.0, v11
	v_div_scale_f32 v12, null, v11, v11, v9
	s_delay_alu instid0(VALU_DEP_1) | instskip(SKIP_1) | instid1(TRANS32_DEP_1)
	v_rcp_f32_e32 v13, v12
	v_nop
	v_fma_f32 v14, -v12, v13, 1.0
	s_delay_alu instid0(VALU_DEP_1) | instskip(SKIP_1) | instid1(VALU_DEP_1)
	v_fmac_f32_e32 v13, v14, v13
	v_div_scale_f32 v14, vcc_lo, v9, v11, v9
	v_mul_f32_e32 v15, v14, v13
	s_delay_alu instid0(VALU_DEP_1) | instskip(NEXT) | instid1(VALU_DEP_1)
	v_fma_f32 v16, -v12, v15, v14
	v_fmac_f32_e32 v15, v16, v13
	s_delay_alu instid0(VALU_DEP_1) | instskip(NEXT) | instid1(VALU_DEP_1)
	v_fma_f32 v12, -v12, v15, v14
	v_div_fmas_f32 v12, v12, v13, v15
	s_delay_alu instid0(VALU_DEP_1) | instskip(NEXT) | instid1(VALU_DEP_1)
	v_div_fixup_f32 v9, v12, v11, v9
	v_cvt_f16_f32_e32 v9, v9
.LBB79_76:
	s_or_b32 exec_lo, exec_lo, s3
	s_delay_alu instid0(SALU_CYCLE_1) | instskip(SKIP_1) | instid1(SALU_CYCLE_1)
	s_or_b32 exec_lo, exec_lo, s1
	s_and_saveexec_b32 s1, s0
	s_xor_b32 s0, exec_lo, s1
	s_cbranch_execz .LBB79_65
.LBB79_77:
	v_mov_b32_e32 v0, v2
	s_wait_loadcnt 0x0
	global_store_b16 v1, v4, s[4:5] scale_offset
	s_wait_xcnt 0x0
	s_or_b32 exec_lo, exec_lo, s0
	s_delay_alu instid0(SALU_CYCLE_1)
	s_mov_b32 s0, exec_lo
	v_cmpx_gt_i32_e64 s8, v0
	s_cbranch_execz .LBB79_66
.LBB79_78:
	v_add_nc_u32_e32 v1, s2, v0
	v_add_nc_u32_e32 v0, 0x100, v0
	s_wait_loadcnt 0x0
	global_store_b16 v1, v3, s[4:5] scale_offset
	s_wait_xcnt 0x0
	s_or_b32 exec_lo, exec_lo, s0
	s_delay_alu instid0(SALU_CYCLE_1)
	s_mov_b32 s0, exec_lo
	v_cmpx_gt_i32_e64 s8, v0
	s_cbranch_execz .LBB79_67
.LBB79_79:
	v_add_nc_u32_e32 v1, s2, v0
	v_add_nc_u32_e32 v0, 0x100, v0
	s_wait_loadcnt 0x0
	global_store_b16 v1, v6, s[4:5] scale_offset
	s_wait_xcnt 0x0
	s_or_b32 exec_lo, exec_lo, s0
	s_delay_alu instid0(SALU_CYCLE_1)
	s_mov_b32 s0, exec_lo
	v_cmpx_gt_i32_e64 s8, v0
	s_cbranch_execz .LBB79_68
.LBB79_80:
	v_add_nc_u32_e32 v1, s2, v0
	v_add_nc_u32_e32 v0, 0x100, v0
	s_wait_loadcnt 0x0
	global_store_b16 v1, v5, s[4:5] scale_offset
	s_wait_xcnt 0x0
	s_or_b32 exec_lo, exec_lo, s0
	s_delay_alu instid0(SALU_CYCLE_1)
	s_mov_b32 s0, exec_lo
	v_cmpx_gt_i32_e64 s8, v0
	s_cbranch_execz .LBB79_69
.LBB79_81:
	v_add_nc_u32_e32 v1, s2, v0
	v_add_nc_u32_e32 v0, 0x100, v0
	s_wait_loadcnt 0x0
	global_store_b16 v1, v8, s[4:5] scale_offset
	s_wait_xcnt 0x0
	s_or_b32 exec_lo, exec_lo, s0
	s_delay_alu instid0(SALU_CYCLE_1)
	s_mov_b32 s0, exec_lo
	v_cmpx_gt_i32_e64 s8, v0
	s_cbranch_execz .LBB79_70
.LBB79_82:
	v_add_nc_u32_e32 v1, s2, v0
	v_add_nc_u32_e32 v0, 0x100, v0
	s_wait_loadcnt 0x0
	global_store_b16 v1, v7, s[4:5] scale_offset
	s_wait_xcnt 0x0
	s_or_b32 exec_lo, exec_lo, s0
	s_delay_alu instid0(SALU_CYCLE_1)
	s_mov_b32 s0, exec_lo
	v_cmpx_gt_i32_e64 s8, v0
	s_cbranch_execz .LBB79_71
.LBB79_83:
	v_add_nc_u32_e32 v1, s2, v0
	v_add_nc_u32_e32 v0, 0x100, v0
	s_wait_loadcnt 0x0
	global_store_b16 v1, v10, s[4:5] scale_offset
	s_wait_xcnt 0x0
	s_or_b32 exec_lo, exec_lo, s0
	s_delay_alu instid0(SALU_CYCLE_1)
	s_mov_b32 s0, exec_lo
	v_cmpx_gt_i32_e64 s8, v0
	s_cbranch_execnz .LBB79_72
	s_branch .LBB79_73
	.section	.rodata,"a",@progbits
	.p2align	6, 0x0
	.amdhsa_kernel _ZN2at6native29vectorized_elementwise_kernelILi8EZZZNS0_12_GLOBAL__N_124softplus_backward_kernelERNS_18TensorIteratorBaseERKN3c106ScalarES8_ENKUlvE_clEvENKUlvE1_clEvEUlNS5_4HalfESB_E_St5arrayIPcLm3EEEEviT0_T1_
		.amdhsa_group_segment_fixed_size 0
		.amdhsa_private_segment_fixed_size 0
		.amdhsa_kernarg_size 40
		.amdhsa_user_sgpr_count 2
		.amdhsa_user_sgpr_dispatch_ptr 0
		.amdhsa_user_sgpr_queue_ptr 0
		.amdhsa_user_sgpr_kernarg_segment_ptr 1
		.amdhsa_user_sgpr_dispatch_id 0
		.amdhsa_user_sgpr_kernarg_preload_length 0
		.amdhsa_user_sgpr_kernarg_preload_offset 0
		.amdhsa_user_sgpr_private_segment_size 0
		.amdhsa_wavefront_size32 1
		.amdhsa_uses_dynamic_stack 0
		.amdhsa_enable_private_segment 0
		.amdhsa_system_sgpr_workgroup_id_x 1
		.amdhsa_system_sgpr_workgroup_id_y 0
		.amdhsa_system_sgpr_workgroup_id_z 0
		.amdhsa_system_sgpr_workgroup_info 0
		.amdhsa_system_vgpr_workitem_id 0
		.amdhsa_next_free_vgpr 24
		.amdhsa_next_free_sgpr 16
		.amdhsa_named_barrier_count 0
		.amdhsa_reserve_vcc 1
		.amdhsa_float_round_mode_32 0
		.amdhsa_float_round_mode_16_64 0
		.amdhsa_float_denorm_mode_32 3
		.amdhsa_float_denorm_mode_16_64 3
		.amdhsa_fp16_overflow 0
		.amdhsa_memory_ordered 1
		.amdhsa_forward_progress 1
		.amdhsa_inst_pref_size 46
		.amdhsa_round_robin_scheduling 0
		.amdhsa_exception_fp_ieee_invalid_op 0
		.amdhsa_exception_fp_denorm_src 0
		.amdhsa_exception_fp_ieee_div_zero 0
		.amdhsa_exception_fp_ieee_overflow 0
		.amdhsa_exception_fp_ieee_underflow 0
		.amdhsa_exception_fp_ieee_inexact 0
		.amdhsa_exception_int_div_zero 0
	.end_amdhsa_kernel
	.section	.text._ZN2at6native29vectorized_elementwise_kernelILi8EZZZNS0_12_GLOBAL__N_124softplus_backward_kernelERNS_18TensorIteratorBaseERKN3c106ScalarES8_ENKUlvE_clEvENKUlvE1_clEvEUlNS5_4HalfESB_E_St5arrayIPcLm3EEEEviT0_T1_,"axG",@progbits,_ZN2at6native29vectorized_elementwise_kernelILi8EZZZNS0_12_GLOBAL__N_124softplus_backward_kernelERNS_18TensorIteratorBaseERKN3c106ScalarES8_ENKUlvE_clEvENKUlvE1_clEvEUlNS5_4HalfESB_E_St5arrayIPcLm3EEEEviT0_T1_,comdat
.Lfunc_end79:
	.size	_ZN2at6native29vectorized_elementwise_kernelILi8EZZZNS0_12_GLOBAL__N_124softplus_backward_kernelERNS_18TensorIteratorBaseERKN3c106ScalarES8_ENKUlvE_clEvENKUlvE1_clEvEUlNS5_4HalfESB_E_St5arrayIPcLm3EEEEviT0_T1_, .Lfunc_end79-_ZN2at6native29vectorized_elementwise_kernelILi8EZZZNS0_12_GLOBAL__N_124softplus_backward_kernelERNS_18TensorIteratorBaseERKN3c106ScalarES8_ENKUlvE_clEvENKUlvE1_clEvEUlNS5_4HalfESB_E_St5arrayIPcLm3EEEEviT0_T1_
                                        ; -- End function
	.set _ZN2at6native29vectorized_elementwise_kernelILi8EZZZNS0_12_GLOBAL__N_124softplus_backward_kernelERNS_18TensorIteratorBaseERKN3c106ScalarES8_ENKUlvE_clEvENKUlvE1_clEvEUlNS5_4HalfESB_E_St5arrayIPcLm3EEEEviT0_T1_.num_vgpr, 24
	.set _ZN2at6native29vectorized_elementwise_kernelILi8EZZZNS0_12_GLOBAL__N_124softplus_backward_kernelERNS_18TensorIteratorBaseERKN3c106ScalarES8_ENKUlvE_clEvENKUlvE1_clEvEUlNS5_4HalfESB_E_St5arrayIPcLm3EEEEviT0_T1_.num_agpr, 0
	.set _ZN2at6native29vectorized_elementwise_kernelILi8EZZZNS0_12_GLOBAL__N_124softplus_backward_kernelERNS_18TensorIteratorBaseERKN3c106ScalarES8_ENKUlvE_clEvENKUlvE1_clEvEUlNS5_4HalfESB_E_St5arrayIPcLm3EEEEviT0_T1_.numbered_sgpr, 16
	.set _ZN2at6native29vectorized_elementwise_kernelILi8EZZZNS0_12_GLOBAL__N_124softplus_backward_kernelERNS_18TensorIteratorBaseERKN3c106ScalarES8_ENKUlvE_clEvENKUlvE1_clEvEUlNS5_4HalfESB_E_St5arrayIPcLm3EEEEviT0_T1_.num_named_barrier, 0
	.set _ZN2at6native29vectorized_elementwise_kernelILi8EZZZNS0_12_GLOBAL__N_124softplus_backward_kernelERNS_18TensorIteratorBaseERKN3c106ScalarES8_ENKUlvE_clEvENKUlvE1_clEvEUlNS5_4HalfESB_E_St5arrayIPcLm3EEEEviT0_T1_.private_seg_size, 0
	.set _ZN2at6native29vectorized_elementwise_kernelILi8EZZZNS0_12_GLOBAL__N_124softplus_backward_kernelERNS_18TensorIteratorBaseERKN3c106ScalarES8_ENKUlvE_clEvENKUlvE1_clEvEUlNS5_4HalfESB_E_St5arrayIPcLm3EEEEviT0_T1_.uses_vcc, 1
	.set _ZN2at6native29vectorized_elementwise_kernelILi8EZZZNS0_12_GLOBAL__N_124softplus_backward_kernelERNS_18TensorIteratorBaseERKN3c106ScalarES8_ENKUlvE_clEvENKUlvE1_clEvEUlNS5_4HalfESB_E_St5arrayIPcLm3EEEEviT0_T1_.uses_flat_scratch, 0
	.set _ZN2at6native29vectorized_elementwise_kernelILi8EZZZNS0_12_GLOBAL__N_124softplus_backward_kernelERNS_18TensorIteratorBaseERKN3c106ScalarES8_ENKUlvE_clEvENKUlvE1_clEvEUlNS5_4HalfESB_E_St5arrayIPcLm3EEEEviT0_T1_.has_dyn_sized_stack, 0
	.set _ZN2at6native29vectorized_elementwise_kernelILi8EZZZNS0_12_GLOBAL__N_124softplus_backward_kernelERNS_18TensorIteratorBaseERKN3c106ScalarES8_ENKUlvE_clEvENKUlvE1_clEvEUlNS5_4HalfESB_E_St5arrayIPcLm3EEEEviT0_T1_.has_recursion, 0
	.set _ZN2at6native29vectorized_elementwise_kernelILi8EZZZNS0_12_GLOBAL__N_124softplus_backward_kernelERNS_18TensorIteratorBaseERKN3c106ScalarES8_ENKUlvE_clEvENKUlvE1_clEvEUlNS5_4HalfESB_E_St5arrayIPcLm3EEEEviT0_T1_.has_indirect_call, 0
	.section	.AMDGPU.csdata,"",@progbits
; Kernel info:
; codeLenInByte = 5856
; TotalNumSgprs: 18
; NumVgprs: 24
; ScratchSize: 0
; MemoryBound: 0
; FloatMode: 240
; IeeeMode: 1
; LDSByteSize: 0 bytes/workgroup (compile time only)
; SGPRBlocks: 0
; VGPRBlocks: 1
; NumSGPRsForWavesPerEU: 18
; NumVGPRsForWavesPerEU: 24
; NamedBarCnt: 0
; Occupancy: 16
; WaveLimiterHint : 0
; COMPUTE_PGM_RSRC2:SCRATCH_EN: 0
; COMPUTE_PGM_RSRC2:USER_SGPR: 2
; COMPUTE_PGM_RSRC2:TRAP_HANDLER: 0
; COMPUTE_PGM_RSRC2:TGID_X_EN: 1
; COMPUTE_PGM_RSRC2:TGID_Y_EN: 0
; COMPUTE_PGM_RSRC2:TGID_Z_EN: 0
; COMPUTE_PGM_RSRC2:TIDIG_COMP_CNT: 0
	.section	.text._ZN2at6native29vectorized_elementwise_kernelILi4EZZZNS0_12_GLOBAL__N_124softplus_backward_kernelERNS_18TensorIteratorBaseERKN3c106ScalarES8_ENKUlvE_clEvENKUlvE1_clEvEUlNS5_4HalfESB_E_St5arrayIPcLm3EEEEviT0_T1_,"axG",@progbits,_ZN2at6native29vectorized_elementwise_kernelILi4EZZZNS0_12_GLOBAL__N_124softplus_backward_kernelERNS_18TensorIteratorBaseERKN3c106ScalarES8_ENKUlvE_clEvENKUlvE1_clEvEUlNS5_4HalfESB_E_St5arrayIPcLm3EEEEviT0_T1_,comdat
	.globl	_ZN2at6native29vectorized_elementwise_kernelILi4EZZZNS0_12_GLOBAL__N_124softplus_backward_kernelERNS_18TensorIteratorBaseERKN3c106ScalarES8_ENKUlvE_clEvENKUlvE1_clEvEUlNS5_4HalfESB_E_St5arrayIPcLm3EEEEviT0_T1_ ; -- Begin function _ZN2at6native29vectorized_elementwise_kernelILi4EZZZNS0_12_GLOBAL__N_124softplus_backward_kernelERNS_18TensorIteratorBaseERKN3c106ScalarES8_ENKUlvE_clEvENKUlvE1_clEvEUlNS5_4HalfESB_E_St5arrayIPcLm3EEEEviT0_T1_
	.p2align	8
	.type	_ZN2at6native29vectorized_elementwise_kernelILi4EZZZNS0_12_GLOBAL__N_124softplus_backward_kernelERNS_18TensorIteratorBaseERKN3c106ScalarES8_ENKUlvE_clEvENKUlvE1_clEvEUlNS5_4HalfESB_E_St5arrayIPcLm3EEEEviT0_T1_,@function
_ZN2at6native29vectorized_elementwise_kernelILi4EZZZNS0_12_GLOBAL__N_124softplus_backward_kernelERNS_18TensorIteratorBaseERKN3c106ScalarES8_ENKUlvE_clEvENKUlvE1_clEvEUlNS5_4HalfESB_E_St5arrayIPcLm3EEEEviT0_T1_: ; @_ZN2at6native29vectorized_elementwise_kernelILi4EZZZNS0_12_GLOBAL__N_124softplus_backward_kernelERNS_18TensorIteratorBaseERKN3c106ScalarES8_ENKUlvE_clEvENKUlvE1_clEvEUlNS5_4HalfESB_E_St5arrayIPcLm3EEEEviT0_T1_
; %bb.0:
	s_clause 0x2
	s_load_b96 s[8:10], s[0:1], 0x0
	s_load_b128 s[4:7], s[0:1], 0x10
	s_load_b64 s[12:13], s[0:1], 0x20
	s_wait_xcnt 0x0
	s_bfe_u32 s0, ttmp6, 0x4000c
	s_and_b32 s1, ttmp6, 15
	s_add_co_i32 s0, s0, 1
	s_getreg_b32 s2, hwreg(HW_REG_IB_STS2, 6, 4)
	s_mul_i32 s0, ttmp9, s0
	s_delay_alu instid0(SALU_CYCLE_1) | instskip(SKIP_2) | instid1(SALU_CYCLE_1)
	s_add_co_i32 s1, s1, s0
	s_cmp_eq_u32 s2, 0
	s_cselect_b32 s0, ttmp9, s1
	s_lshl_b32 s2, s0, 11
	s_mov_b32 s0, -1
	s_wait_kmcnt 0x0
	s_sub_co_i32 s8, s8, s2
	s_delay_alu instid0(SALU_CYCLE_1)
	s_cmp_gt_i32 s8, 0x7ff
	s_cbranch_scc0 .LBB80_18
; %bb.1:
	s_ashr_i32 s3, s2, 31
	s_delay_alu instid0(SALU_CYCLE_1)
	s_lshl_b64 s[0:1], s[2:3], 1
	s_mov_b32 s3, exec_lo
	s_add_nc_u64 s[14:15], s[12:13], s[0:1]
	s_add_nc_u64 s[16:17], s[6:7], s[0:1]
	s_clause 0x3
	global_load_b64 v[8:9], v0, s[14:15] scale_offset
	global_load_b64 v[6:7], v0, s[16:17] scale_offset
	global_load_b64 v[2:3], v0, s[16:17] offset:2048 scale_offset
	global_load_b64 v[4:5], v0, s[14:15] offset:2048 scale_offset
	s_wait_loadcnt 0x3
	v_cvt_f32_f16_e32 v1, v8
	s_wait_loadcnt 0x2
	s_delay_alu instid0(VALU_DEP_1) | instskip(SKIP_1) | instid1(VALU_DEP_1)
	v_dual_mul_f32 v10, s9, v1 :: v_dual_mov_b32 v1, v6
	s_wait_xcnt 0x0
	v_cmpx_nlt_f32_e32 s10, v10
	s_cbranch_execz .LBB80_3
; %bb.2:
	v_mul_f32_e32 v1, 0x3fb8aa3b, v10
	v_cmp_ngt_f32_e32 vcc_lo, 0xc2ce8ed0, v10
	s_delay_alu instid0(VALU_DEP_2) | instskip(SKIP_1) | instid1(VALU_DEP_1)
	v_rndne_f32_e32 v11, v1
	v_fma_f32 v12, 0x3fb8aa3b, v10, -v1
	v_dual_sub_f32 v1, v1, v11 :: v_dual_fmamk_f32 v12, v10, 0x32a5705f, v12
	v_cvt_i32_f32_e32 v11, v11
	s_delay_alu instid0(VALU_DEP_2) | instskip(NEXT) | instid1(VALU_DEP_1)
	v_add_f32_e32 v1, v1, v12
	v_exp_f32_e32 v1, v1
	v_nop
	s_delay_alu instid0(TRANS32_DEP_1) | instskip(SKIP_1) | instid1(VALU_DEP_2)
	v_ldexp_f32 v1, v1, v11
	v_cvt_f32_f16_e32 v11, v6
	v_cndmask_b32_e32 v1, 0, v1, vcc_lo
	v_cmp_nlt_f32_e32 vcc_lo, 0x42b17218, v10
	s_delay_alu instid0(VALU_DEP_2) | instskip(NEXT) | instid1(VALU_DEP_1)
	v_cndmask_b32_e32 v1, 0x7f800000, v1, vcc_lo
	v_dual_mul_f32 v10, v1, v11 :: v_dual_add_f32 v1, 1.0, v1
	s_delay_alu instid0(VALU_DEP_1) | instskip(NEXT) | instid1(VALU_DEP_1)
	v_div_scale_f32 v11, null, v1, v1, v10
	v_rcp_f32_e32 v12, v11
	v_nop
	s_delay_alu instid0(TRANS32_DEP_1) | instskip(NEXT) | instid1(VALU_DEP_1)
	v_fma_f32 v13, -v11, v12, 1.0
	v_fmac_f32_e32 v12, v13, v12
	v_div_scale_f32 v13, vcc_lo, v10, v1, v10
	s_delay_alu instid0(VALU_DEP_1) | instskip(NEXT) | instid1(VALU_DEP_1)
	v_mul_f32_e32 v14, v13, v12
	v_fma_f32 v15, -v11, v14, v13
	s_delay_alu instid0(VALU_DEP_1) | instskip(NEXT) | instid1(VALU_DEP_1)
	v_fmac_f32_e32 v14, v15, v12
	v_fma_f32 v11, -v11, v14, v13
	s_delay_alu instid0(VALU_DEP_1) | instskip(NEXT) | instid1(VALU_DEP_1)
	v_div_fmas_f32 v11, v11, v12, v14
	v_div_fixup_f32 v1, v11, v1, v10
	s_delay_alu instid0(VALU_DEP_1)
	v_cvt_f16_f32_e32 v1, v1
.LBB80_3:
	s_or_b32 exec_lo, exec_lo, s3
	v_dual_lshrrev_b32 v8, 16, v8 :: v_dual_lshrrev_b32 v6, 16, v6
	s_mov_b32 s3, exec_lo
	s_delay_alu instid0(VALU_DEP_1) | instskip(NEXT) | instid1(VALU_DEP_1)
	v_cvt_f32_f16_e32 v8, v8
	v_mul_f32_e32 v8, s9, v8
	s_delay_alu instid0(VALU_DEP_1)
	v_cmpx_nlt_f32_e32 s10, v8
	s_cbranch_execz .LBB80_5
; %bb.4:
	v_mul_f32_e32 v10, 0x3fb8aa3b, v8
	v_cvt_f32_f16_e32 v6, v6
	v_cmp_ngt_f32_e32 vcc_lo, 0xc2ce8ed0, v8
	s_delay_alu instid0(VALU_DEP_3) | instskip(SKIP_1) | instid1(VALU_DEP_2)
	v_rndne_f32_e32 v11, v10
	v_fma_f32 v12, 0x3fb8aa3b, v8, -v10
	v_sub_f32_e32 v10, v10, v11
	s_delay_alu instid0(VALU_DEP_2) | instskip(SKIP_1) | instid1(VALU_DEP_2)
	v_fmamk_f32 v12, v8, 0x32a5705f, v12
	v_cvt_i32_f32_e32 v11, v11
	v_add_f32_e32 v10, v10, v12
	s_delay_alu instid0(VALU_DEP_1) | instskip(SKIP_1) | instid1(TRANS32_DEP_1)
	v_exp_f32_e32 v10, v10
	v_nop
	v_ldexp_f32 v10, v10, v11
	s_delay_alu instid0(VALU_DEP_1) | instskip(SKIP_1) | instid1(VALU_DEP_2)
	v_cndmask_b32_e32 v10, 0, v10, vcc_lo
	v_cmp_nlt_f32_e32 vcc_lo, 0x42b17218, v8
	v_cndmask_b32_e32 v8, 0x7f800000, v10, vcc_lo
	s_delay_alu instid0(VALU_DEP_1) | instskip(NEXT) | instid1(VALU_DEP_1)
	v_dual_mul_f32 v6, v8, v6 :: v_dual_add_f32 v8, 1.0, v8
	v_div_scale_f32 v10, null, v8, v8, v6
	s_delay_alu instid0(VALU_DEP_1) | instskip(SKIP_1) | instid1(TRANS32_DEP_1)
	v_rcp_f32_e32 v11, v10
	v_nop
	v_fma_f32 v12, -v10, v11, 1.0
	s_delay_alu instid0(VALU_DEP_1) | instskip(SKIP_1) | instid1(VALU_DEP_1)
	v_fmac_f32_e32 v11, v12, v11
	v_div_scale_f32 v12, vcc_lo, v6, v8, v6
	v_mul_f32_e32 v13, v12, v11
	s_delay_alu instid0(VALU_DEP_1) | instskip(NEXT) | instid1(VALU_DEP_1)
	v_fma_f32 v14, -v10, v13, v12
	v_fmac_f32_e32 v13, v14, v11
	s_delay_alu instid0(VALU_DEP_1) | instskip(NEXT) | instid1(VALU_DEP_1)
	v_fma_f32 v10, -v10, v13, v12
	v_div_fmas_f32 v10, v10, v11, v13
	s_delay_alu instid0(VALU_DEP_1) | instskip(NEXT) | instid1(VALU_DEP_1)
	v_div_fixup_f32 v6, v10, v8, v6
	v_cvt_f16_f32_e32 v6, v6
.LBB80_5:
	s_or_b32 exec_lo, exec_lo, s3
	v_cvt_f32_f16_e32 v8, v9
	s_mov_b32 s3, exec_lo
	s_delay_alu instid0(VALU_DEP_1) | instskip(NEXT) | instid1(VALU_DEP_1)
	v_dual_mul_f32 v10, s9, v8 :: v_dual_mov_b32 v8, v7
	v_cmpx_nlt_f32_e32 s10, v10
	s_cbranch_execz .LBB80_7
; %bb.6:
	v_mul_f32_e32 v8, 0x3fb8aa3b, v10
	v_cmp_ngt_f32_e32 vcc_lo, 0xc2ce8ed0, v10
	s_delay_alu instid0(VALU_DEP_2) | instskip(SKIP_1) | instid1(VALU_DEP_2)
	v_rndne_f32_e32 v11, v8
	v_fma_f32 v12, 0x3fb8aa3b, v10, -v8
	v_sub_f32_e32 v8, v8, v11
	s_delay_alu instid0(VALU_DEP_2) | instskip(SKIP_1) | instid1(VALU_DEP_2)
	v_fmamk_f32 v12, v10, 0x32a5705f, v12
	v_cvt_i32_f32_e32 v11, v11
	v_add_f32_e32 v8, v8, v12
	s_delay_alu instid0(VALU_DEP_1) | instskip(SKIP_1) | instid1(TRANS32_DEP_1)
	v_exp_f32_e32 v8, v8
	v_nop
	v_ldexp_f32 v8, v8, v11
	v_cvt_f32_f16_e32 v11, v7
	s_delay_alu instid0(VALU_DEP_2) | instskip(SKIP_1) | instid1(VALU_DEP_2)
	v_cndmask_b32_e32 v8, 0, v8, vcc_lo
	v_cmp_nlt_f32_e32 vcc_lo, 0x42b17218, v10
	v_cndmask_b32_e32 v8, 0x7f800000, v8, vcc_lo
	s_delay_alu instid0(VALU_DEP_1) | instskip(NEXT) | instid1(VALU_DEP_1)
	v_dual_mul_f32 v10, v8, v11 :: v_dual_add_f32 v8, 1.0, v8
	v_div_scale_f32 v11, null, v8, v8, v10
	s_delay_alu instid0(VALU_DEP_1) | instskip(SKIP_1) | instid1(TRANS32_DEP_1)
	v_rcp_f32_e32 v12, v11
	v_nop
	v_fma_f32 v13, -v11, v12, 1.0
	s_delay_alu instid0(VALU_DEP_1) | instskip(SKIP_1) | instid1(VALU_DEP_1)
	v_fmac_f32_e32 v12, v13, v12
	v_div_scale_f32 v13, vcc_lo, v10, v8, v10
	v_mul_f32_e32 v14, v13, v12
	s_delay_alu instid0(VALU_DEP_1) | instskip(NEXT) | instid1(VALU_DEP_1)
	v_fma_f32 v15, -v11, v14, v13
	v_fmac_f32_e32 v14, v15, v12
	s_delay_alu instid0(VALU_DEP_1) | instskip(NEXT) | instid1(VALU_DEP_1)
	v_fma_f32 v11, -v11, v14, v13
	v_div_fmas_f32 v11, v11, v12, v14
	s_delay_alu instid0(VALU_DEP_1) | instskip(NEXT) | instid1(VALU_DEP_1)
	v_div_fixup_f32 v8, v11, v8, v10
	v_cvt_f16_f32_e32 v8, v8
.LBB80_7:
	s_or_b32 exec_lo, exec_lo, s3
	v_dual_lshrrev_b32 v9, 16, v9 :: v_dual_lshrrev_b32 v7, 16, v7
	s_mov_b32 s3, exec_lo
	s_delay_alu instid0(VALU_DEP_1) | instskip(NEXT) | instid1(VALU_DEP_1)
	v_cvt_f32_f16_e32 v9, v9
	v_mul_f32_e32 v9, s9, v9
	s_delay_alu instid0(VALU_DEP_1)
	v_cmpx_nlt_f32_e32 s10, v9
	s_cbranch_execz .LBB80_9
; %bb.8:
	v_cvt_f32_f16_e32 v7, v7
	v_mul_f32_e32 v10, 0x3fb8aa3b, v9
	v_cmp_ngt_f32_e32 vcc_lo, 0xc2ce8ed0, v9
	s_delay_alu instid0(VALU_DEP_2) | instskip(SKIP_1) | instid1(VALU_DEP_2)
	v_rndne_f32_e32 v11, v10
	v_fma_f32 v12, 0x3fb8aa3b, v9, -v10
	v_sub_f32_e32 v10, v10, v11
	s_delay_alu instid0(VALU_DEP_2) | instskip(SKIP_1) | instid1(VALU_DEP_2)
	v_fmamk_f32 v12, v9, 0x32a5705f, v12
	v_cvt_i32_f32_e32 v11, v11
	v_add_f32_e32 v10, v10, v12
	s_delay_alu instid0(VALU_DEP_1) | instskip(SKIP_1) | instid1(TRANS32_DEP_1)
	v_exp_f32_e32 v10, v10
	v_nop
	v_ldexp_f32 v10, v10, v11
	s_delay_alu instid0(VALU_DEP_1) | instskip(SKIP_1) | instid1(VALU_DEP_2)
	v_cndmask_b32_e32 v10, 0, v10, vcc_lo
	v_cmp_nlt_f32_e32 vcc_lo, 0x42b17218, v9
	v_cndmask_b32_e32 v9, 0x7f800000, v10, vcc_lo
	s_delay_alu instid0(VALU_DEP_1) | instskip(NEXT) | instid1(VALU_DEP_1)
	v_dual_mul_f32 v7, v9, v7 :: v_dual_add_f32 v9, 1.0, v9
	v_div_scale_f32 v10, null, v9, v9, v7
	s_delay_alu instid0(VALU_DEP_1) | instskip(SKIP_1) | instid1(TRANS32_DEP_1)
	v_rcp_f32_e32 v11, v10
	v_nop
	v_fma_f32 v12, -v10, v11, 1.0
	s_delay_alu instid0(VALU_DEP_1) | instskip(SKIP_1) | instid1(VALU_DEP_1)
	v_fmac_f32_e32 v11, v12, v11
	v_div_scale_f32 v12, vcc_lo, v7, v9, v7
	v_mul_f32_e32 v13, v12, v11
	s_delay_alu instid0(VALU_DEP_1) | instskip(NEXT) | instid1(VALU_DEP_1)
	v_fma_f32 v14, -v10, v13, v12
	v_fmac_f32_e32 v13, v14, v11
	s_delay_alu instid0(VALU_DEP_1) | instskip(NEXT) | instid1(VALU_DEP_1)
	v_fma_f32 v10, -v10, v13, v12
	v_div_fmas_f32 v10, v10, v11, v13
	s_delay_alu instid0(VALU_DEP_1) | instskip(NEXT) | instid1(VALU_DEP_1)
	v_div_fixup_f32 v7, v10, v9, v7
	v_cvt_f16_f32_e32 v7, v7
.LBB80_9:
	s_or_b32 exec_lo, exec_lo, s3
	s_wait_loadcnt 0x0
	v_cvt_f32_f16_e32 v9, v4
	s_mov_b32 s3, exec_lo
	s_delay_alu instid0(VALU_DEP_1) | instskip(NEXT) | instid1(VALU_DEP_1)
	v_dual_mul_f32 v10, s9, v9 :: v_dual_mov_b32 v9, v2
	v_cmpx_nlt_f32_e32 s10, v10
	s_cbranch_execz .LBB80_11
; %bb.10:
	v_mul_f32_e32 v9, 0x3fb8aa3b, v10
	v_cmp_ngt_f32_e32 vcc_lo, 0xc2ce8ed0, v10
	s_delay_alu instid0(VALU_DEP_2) | instskip(SKIP_1) | instid1(VALU_DEP_1)
	v_rndne_f32_e32 v11, v9
	v_fma_f32 v12, 0x3fb8aa3b, v10, -v9
	v_dual_sub_f32 v9, v9, v11 :: v_dual_fmamk_f32 v12, v10, 0x32a5705f, v12
	v_cvt_i32_f32_e32 v11, v11
	s_delay_alu instid0(VALU_DEP_2) | instskip(NEXT) | instid1(VALU_DEP_1)
	v_add_f32_e32 v9, v9, v12
	v_exp_f32_e32 v9, v9
	v_nop
	s_delay_alu instid0(TRANS32_DEP_1) | instskip(SKIP_1) | instid1(VALU_DEP_2)
	v_ldexp_f32 v9, v9, v11
	v_cvt_f32_f16_e32 v11, v2
	v_cndmask_b32_e32 v9, 0, v9, vcc_lo
	v_cmp_nlt_f32_e32 vcc_lo, 0x42b17218, v10
	s_delay_alu instid0(VALU_DEP_2) | instskip(NEXT) | instid1(VALU_DEP_1)
	v_cndmask_b32_e32 v9, 0x7f800000, v9, vcc_lo
	v_dual_mul_f32 v10, v9, v11 :: v_dual_add_f32 v9, 1.0, v9
	s_delay_alu instid0(VALU_DEP_1) | instskip(NEXT) | instid1(VALU_DEP_1)
	v_div_scale_f32 v11, null, v9, v9, v10
	v_rcp_f32_e32 v12, v11
	v_nop
	s_delay_alu instid0(TRANS32_DEP_1) | instskip(NEXT) | instid1(VALU_DEP_1)
	v_fma_f32 v13, -v11, v12, 1.0
	v_fmac_f32_e32 v12, v13, v12
	v_div_scale_f32 v13, vcc_lo, v10, v9, v10
	s_delay_alu instid0(VALU_DEP_1) | instskip(NEXT) | instid1(VALU_DEP_1)
	v_mul_f32_e32 v14, v13, v12
	v_fma_f32 v15, -v11, v14, v13
	s_delay_alu instid0(VALU_DEP_1) | instskip(NEXT) | instid1(VALU_DEP_1)
	v_fmac_f32_e32 v14, v15, v12
	v_fma_f32 v11, -v11, v14, v13
	s_delay_alu instid0(VALU_DEP_1) | instskip(NEXT) | instid1(VALU_DEP_1)
	v_div_fmas_f32 v11, v11, v12, v14
	v_div_fixup_f32 v9, v11, v9, v10
	s_delay_alu instid0(VALU_DEP_1)
	v_cvt_f16_f32_e32 v9, v9
.LBB80_11:
	s_or_b32 exec_lo, exec_lo, s3
	v_dual_lshrrev_b32 v4, 16, v4 :: v_dual_lshrrev_b32 v2, 16, v2
	s_mov_b32 s3, exec_lo
	s_delay_alu instid0(VALU_DEP_1) | instskip(NEXT) | instid1(VALU_DEP_1)
	v_cvt_f32_f16_e32 v4, v4
	v_mul_f32_e32 v4, s9, v4
	s_delay_alu instid0(VALU_DEP_1)
	v_cmpx_nlt_f32_e32 s10, v4
	s_cbranch_execz .LBB80_13
; %bb.12:
	v_mul_f32_e32 v10, 0x3fb8aa3b, v4
	v_cvt_f32_f16_e32 v2, v2
	v_cmp_ngt_f32_e32 vcc_lo, 0xc2ce8ed0, v4
	s_delay_alu instid0(VALU_DEP_3) | instskip(SKIP_1) | instid1(VALU_DEP_2)
	v_rndne_f32_e32 v11, v10
	v_fma_f32 v12, 0x3fb8aa3b, v4, -v10
	v_sub_f32_e32 v10, v10, v11
	s_delay_alu instid0(VALU_DEP_2) | instskip(SKIP_1) | instid1(VALU_DEP_2)
	v_fmamk_f32 v12, v4, 0x32a5705f, v12
	v_cvt_i32_f32_e32 v11, v11
	v_add_f32_e32 v10, v10, v12
	s_delay_alu instid0(VALU_DEP_1) | instskip(SKIP_1) | instid1(TRANS32_DEP_1)
	v_exp_f32_e32 v10, v10
	v_nop
	v_ldexp_f32 v10, v10, v11
	s_delay_alu instid0(VALU_DEP_1) | instskip(SKIP_1) | instid1(VALU_DEP_2)
	v_cndmask_b32_e32 v10, 0, v10, vcc_lo
	v_cmp_nlt_f32_e32 vcc_lo, 0x42b17218, v4
	v_cndmask_b32_e32 v4, 0x7f800000, v10, vcc_lo
	s_delay_alu instid0(VALU_DEP_1) | instskip(NEXT) | instid1(VALU_DEP_1)
	v_dual_mul_f32 v2, v4, v2 :: v_dual_add_f32 v4, 1.0, v4
	v_div_scale_f32 v10, null, v4, v4, v2
	s_delay_alu instid0(VALU_DEP_1) | instskip(SKIP_1) | instid1(TRANS32_DEP_1)
	v_rcp_f32_e32 v11, v10
	v_nop
	v_fma_f32 v12, -v10, v11, 1.0
	s_delay_alu instid0(VALU_DEP_1) | instskip(SKIP_1) | instid1(VALU_DEP_1)
	v_fmac_f32_e32 v11, v12, v11
	v_div_scale_f32 v12, vcc_lo, v2, v4, v2
	v_mul_f32_e32 v13, v12, v11
	s_delay_alu instid0(VALU_DEP_1) | instskip(NEXT) | instid1(VALU_DEP_1)
	v_fma_f32 v14, -v10, v13, v12
	v_fmac_f32_e32 v13, v14, v11
	s_delay_alu instid0(VALU_DEP_1) | instskip(NEXT) | instid1(VALU_DEP_1)
	v_fma_f32 v10, -v10, v13, v12
	v_div_fmas_f32 v10, v10, v11, v13
	s_delay_alu instid0(VALU_DEP_1) | instskip(NEXT) | instid1(VALU_DEP_1)
	v_div_fixup_f32 v2, v10, v4, v2
	v_cvt_f16_f32_e32 v2, v2
.LBB80_13:
	s_or_b32 exec_lo, exec_lo, s3
	v_cvt_f32_f16_e32 v4, v5
	s_mov_b32 s3, exec_lo
	s_delay_alu instid0(VALU_DEP_1) | instskip(NEXT) | instid1(VALU_DEP_1)
	v_dual_mul_f32 v10, s9, v4 :: v_dual_mov_b32 v4, v3
	v_cmpx_nlt_f32_e32 s10, v10
	s_cbranch_execz .LBB80_15
; %bb.14:
	v_mul_f32_e32 v4, 0x3fb8aa3b, v10
	v_cmp_ngt_f32_e32 vcc_lo, 0xc2ce8ed0, v10
	s_delay_alu instid0(VALU_DEP_2) | instskip(SKIP_1) | instid1(VALU_DEP_2)
	v_rndne_f32_e32 v11, v4
	v_fma_f32 v12, 0x3fb8aa3b, v10, -v4
	v_sub_f32_e32 v4, v4, v11
	s_delay_alu instid0(VALU_DEP_2) | instskip(SKIP_1) | instid1(VALU_DEP_2)
	v_fmamk_f32 v12, v10, 0x32a5705f, v12
	v_cvt_i32_f32_e32 v11, v11
	v_add_f32_e32 v4, v4, v12
	s_delay_alu instid0(VALU_DEP_1) | instskip(SKIP_1) | instid1(TRANS32_DEP_1)
	v_exp_f32_e32 v4, v4
	v_nop
	v_ldexp_f32 v4, v4, v11
	v_cvt_f32_f16_e32 v11, v3
	s_delay_alu instid0(VALU_DEP_2) | instskip(SKIP_1) | instid1(VALU_DEP_2)
	v_cndmask_b32_e32 v4, 0, v4, vcc_lo
	v_cmp_nlt_f32_e32 vcc_lo, 0x42b17218, v10
	v_cndmask_b32_e32 v4, 0x7f800000, v4, vcc_lo
	s_delay_alu instid0(VALU_DEP_1) | instskip(NEXT) | instid1(VALU_DEP_1)
	v_dual_mul_f32 v10, v4, v11 :: v_dual_add_f32 v4, 1.0, v4
	v_div_scale_f32 v11, null, v4, v4, v10
	s_delay_alu instid0(VALU_DEP_1) | instskip(SKIP_1) | instid1(TRANS32_DEP_1)
	v_rcp_f32_e32 v12, v11
	v_nop
	v_fma_f32 v13, -v11, v12, 1.0
	s_delay_alu instid0(VALU_DEP_1) | instskip(SKIP_1) | instid1(VALU_DEP_1)
	v_fmac_f32_e32 v12, v13, v12
	v_div_scale_f32 v13, vcc_lo, v10, v4, v10
	v_mul_f32_e32 v14, v13, v12
	s_delay_alu instid0(VALU_DEP_1) | instskip(NEXT) | instid1(VALU_DEP_1)
	v_fma_f32 v15, -v11, v14, v13
	v_fmac_f32_e32 v14, v15, v12
	s_delay_alu instid0(VALU_DEP_1) | instskip(NEXT) | instid1(VALU_DEP_1)
	v_fma_f32 v11, -v11, v14, v13
	v_div_fmas_f32 v11, v11, v12, v14
	s_delay_alu instid0(VALU_DEP_1) | instskip(NEXT) | instid1(VALU_DEP_1)
	v_div_fixup_f32 v4, v11, v4, v10
	v_cvt_f16_f32_e32 v4, v4
.LBB80_15:
	s_or_b32 exec_lo, exec_lo, s3
	v_dual_lshrrev_b32 v5, 16, v5 :: v_dual_lshrrev_b32 v3, 16, v3
	s_mov_b32 s3, exec_lo
	s_delay_alu instid0(VALU_DEP_1) | instskip(NEXT) | instid1(VALU_DEP_1)
	v_cvt_f32_f16_e32 v5, v5
	v_mul_f32_e32 v5, s9, v5
	s_delay_alu instid0(VALU_DEP_1)
	v_cmpx_nlt_f32_e32 s10, v5
	s_cbranch_execz .LBB80_17
; %bb.16:
	v_cvt_f32_f16_e32 v3, v3
	v_mul_f32_e32 v10, 0x3fb8aa3b, v5
	v_cmp_ngt_f32_e32 vcc_lo, 0xc2ce8ed0, v5
	s_delay_alu instid0(VALU_DEP_2) | instskip(SKIP_1) | instid1(VALU_DEP_2)
	v_rndne_f32_e32 v11, v10
	v_fma_f32 v12, 0x3fb8aa3b, v5, -v10
	v_sub_f32_e32 v10, v10, v11
	s_delay_alu instid0(VALU_DEP_2) | instskip(SKIP_1) | instid1(VALU_DEP_2)
	v_fmamk_f32 v12, v5, 0x32a5705f, v12
	v_cvt_i32_f32_e32 v11, v11
	v_add_f32_e32 v10, v10, v12
	s_delay_alu instid0(VALU_DEP_1) | instskip(SKIP_1) | instid1(TRANS32_DEP_1)
	v_exp_f32_e32 v10, v10
	v_nop
	v_ldexp_f32 v10, v10, v11
	s_delay_alu instid0(VALU_DEP_1) | instskip(SKIP_1) | instid1(VALU_DEP_2)
	v_cndmask_b32_e32 v10, 0, v10, vcc_lo
	v_cmp_nlt_f32_e32 vcc_lo, 0x42b17218, v5
	v_cndmask_b32_e32 v5, 0x7f800000, v10, vcc_lo
	s_delay_alu instid0(VALU_DEP_1) | instskip(NEXT) | instid1(VALU_DEP_1)
	v_dual_mul_f32 v3, v5, v3 :: v_dual_add_f32 v5, 1.0, v5
	v_div_scale_f32 v10, null, v5, v5, v3
	s_delay_alu instid0(VALU_DEP_1) | instskip(SKIP_1) | instid1(TRANS32_DEP_1)
	v_rcp_f32_e32 v11, v10
	v_nop
	v_fma_f32 v12, -v10, v11, 1.0
	s_delay_alu instid0(VALU_DEP_1) | instskip(SKIP_1) | instid1(VALU_DEP_1)
	v_fmac_f32_e32 v11, v12, v11
	v_div_scale_f32 v12, vcc_lo, v3, v5, v3
	v_mul_f32_e32 v13, v12, v11
	s_delay_alu instid0(VALU_DEP_1) | instskip(NEXT) | instid1(VALU_DEP_1)
	v_fma_f32 v14, -v10, v13, v12
	v_fmac_f32_e32 v13, v14, v11
	s_delay_alu instid0(VALU_DEP_1) | instskip(NEXT) | instid1(VALU_DEP_1)
	v_fma_f32 v10, -v10, v13, v12
	v_div_fmas_f32 v10, v10, v11, v13
	s_delay_alu instid0(VALU_DEP_1) | instskip(NEXT) | instid1(VALU_DEP_1)
	v_div_fixup_f32 v3, v10, v5, v3
	v_cvt_f16_f32_e32 v3, v3
.LBB80_17:
	s_or_b32 exec_lo, exec_lo, s3
	v_dual_lshlrev_b32 v2, 16, v2 :: v_dual_lshlrev_b32 v7, 16, v7
	v_lshlrev_b32_e32 v5, 16, v6
	v_and_b32_e32 v1, 0xffff, v1
	v_and_b32_e32 v6, 0xffff, v9
	;; [unrolled: 1-line block ×4, first 2 shown]
	s_add_nc_u64 s[14:15], s[4:5], s[0:1]
	s_mov_b32 s0, 0
	v_or_b32_e32 v6, v2, v6
	v_dual_lshlrev_b32 v5, 16, v3 :: v_dual_bitop2_b32 v1, v5, v1 bitop3:0x54
	v_or3_b32 v3, v8, 0, v7
	s_delay_alu instid0(VALU_DEP_2) | instskip(NEXT) | instid1(VALU_DEP_3)
	v_or3_b32 v2, 0, v1, 0
	v_or3_b32 v5, v4, 0, v5
	;; [unrolled: 1-line block ×3, first 2 shown]
	s_clause 0x1
	global_store_b64 v0, v[2:3], s[14:15] scale_offset
	global_store_b64 v0, v[4:5], s[14:15] offset:2048 scale_offset
.LBB80_18:
	s_and_b32 vcc_lo, exec_lo, s0
	s_cbranch_vccz .LBB80_73
; %bb.19:
	v_cmp_gt_i32_e64 s0, s8, v0
	s_wait_xcnt 0x1
	v_dual_mov_b32 v18, 0 :: v_dual_mov_b32 v3, 0
	s_wait_xcnt 0x0
	v_dual_mov_b32 v4, 0 :: v_dual_bitop2_b32 v1, s2, v0 bitop3:0x54
	v_or_b32_e32 v2, 0x100, v0
	v_mov_b32_e32 v19, v0
	s_and_saveexec_b32 s1, s0
	s_cbranch_execz .LBB80_21
; %bb.20:
	s_clause 0x1
	global_load_u16 v5, v1, s[12:13] scale_offset
	global_load_u16 v4, v1, s[6:7] scale_offset
	v_or_b32_e32 v19, 0x100, v0
	s_wait_loadcnt 0x1
	v_cvt_f32_f16_e32 v18, v5
.LBB80_21:
	s_wait_xcnt 0x0
	s_or_b32 exec_lo, exec_lo, s1
	v_mov_b32_e32 v17, 0
	s_mov_b32 s1, exec_lo
	v_cmpx_gt_i32_e64 s8, v19
	s_cbranch_execz .LBB80_23
; %bb.22:
	v_add_nc_u32_e32 v5, s2, v19
	v_add_nc_u32_e32 v19, 0x100, v19
	s_clause 0x1
	global_load_u16 v6, v5, s[12:13] scale_offset
	global_load_u16 v3, v5, s[6:7] scale_offset
	s_wait_loadcnt 0x1
	v_cvt_f32_f16_e32 v17, v6
.LBB80_23:
	s_wait_xcnt 0x0
	s_or_b32 exec_lo, exec_lo, s1
	v_dual_mov_b32 v16, 0 :: v_dual_mov_b32 v5, 0
	v_mov_b32_e32 v6, 0
	s_mov_b32 s1, exec_lo
	v_cmpx_gt_i32_e64 s8, v19
	s_cbranch_execz .LBB80_25
; %bb.24:
	v_add_nc_u32_e32 v7, s2, v19
	v_add_nc_u32_e32 v19, 0x100, v19
	s_clause 0x1
	global_load_u16 v8, v7, s[12:13] scale_offset
	global_load_u16 v6, v7, s[6:7] scale_offset
	s_wait_loadcnt 0x1
	v_cvt_f32_f16_e32 v16, v8
.LBB80_25:
	s_wait_xcnt 0x0
	s_or_b32 exec_lo, exec_lo, s1
	v_mov_b32_e32 v15, 0
	s_mov_b32 s1, exec_lo
	v_cmpx_gt_i32_e64 s8, v19
	s_cbranch_execz .LBB80_27
; %bb.26:
	v_add_nc_u32_e32 v7, s2, v19
	v_add_nc_u32_e32 v19, 0x100, v19
	s_clause 0x1
	global_load_u16 v8, v7, s[12:13] scale_offset
	global_load_u16 v5, v7, s[6:7] scale_offset
	s_wait_loadcnt 0x1
	v_cvt_f32_f16_e32 v15, v8
.LBB80_27:
	s_wait_xcnt 0x0
	s_or_b32 exec_lo, exec_lo, s1
	v_dual_mov_b32 v14, 0 :: v_dual_mov_b32 v7, 0
	v_mov_b32_e32 v8, 0
	s_mov_b32 s1, exec_lo
	v_cmpx_gt_i32_e64 s8, v19
	s_cbranch_execz .LBB80_29
; %bb.28:
	v_add_nc_u32_e32 v9, s2, v19
	v_add_nc_u32_e32 v19, 0x100, v19
	s_clause 0x1
	global_load_u16 v10, v9, s[12:13] scale_offset
	global_load_u16 v8, v9, s[6:7] scale_offset
	s_wait_loadcnt 0x1
	v_cvt_f32_f16_e32 v14, v10
.LBB80_29:
	;; [unrolled: 31-line block ×3, first 2 shown]
	s_wait_xcnt 0x0
	s_or_b32 exec_lo, exec_lo, s1
	v_mov_b32_e32 v11, 0
	s_mov_b32 s1, exec_lo
	v_cmpx_gt_i32_e64 s8, v19
	s_cbranch_execnz .LBB80_36
; %bb.34:
	s_or_b32 exec_lo, exec_lo, s1
	s_and_saveexec_b32 s1, s0
	s_cbranch_execnz .LBB80_37
.LBB80_35:
	s_or_b32 exec_lo, exec_lo, s1
	s_delay_alu instid0(SALU_CYCLE_1)
	s_mov_b32 s1, exec_lo
	v_cmpx_gt_i32_e64 s8, v2
	s_cbranch_execnz .LBB80_40
	s_branch .LBB80_43
.LBB80_36:
	v_add_nc_u32_e32 v11, s2, v19
	s_clause 0x1
	global_load_u16 v19, v11, s[12:13] scale_offset
	global_load_u16 v9, v11, s[6:7] scale_offset
	s_wait_loadcnt 0x1
	s_wait_xcnt 0x0
	v_cvt_f32_f16_e32 v11, v19
	s_or_b32 exec_lo, exec_lo, s1
	s_and_saveexec_b32 s1, s0
	s_cbranch_execz .LBB80_35
.LBB80_37:
	v_mul_f32_e32 v18, s9, v18
	s_mov_b32 s3, exec_lo
	s_delay_alu instid0(VALU_DEP_1)
	v_cmpx_nlt_f32_e32 s10, v18
	s_cbranch_execz .LBB80_39
; %bb.38:
	s_wait_loadcnt 0x0
	v_cvt_f32_f16_e32 v4, v4
	v_mul_f32_e32 v19, 0x3fb8aa3b, v18
	v_cmp_ngt_f32_e32 vcc_lo, 0xc2ce8ed0, v18
	s_delay_alu instid0(VALU_DEP_2) | instskip(SKIP_1) | instid1(VALU_DEP_2)
	v_rndne_f32_e32 v20, v19
	v_fma_f32 v21, 0x3fb8aa3b, v18, -v19
	v_sub_f32_e32 v19, v19, v20
	s_delay_alu instid0(VALU_DEP_2) | instskip(SKIP_1) | instid1(VALU_DEP_2)
	v_fmamk_f32 v21, v18, 0x32a5705f, v21
	v_cvt_i32_f32_e32 v20, v20
	v_add_f32_e32 v19, v19, v21
	s_delay_alu instid0(VALU_DEP_1) | instskip(SKIP_1) | instid1(TRANS32_DEP_1)
	v_exp_f32_e32 v19, v19
	v_nop
	v_ldexp_f32 v19, v19, v20
	s_delay_alu instid0(VALU_DEP_1) | instskip(SKIP_1) | instid1(VALU_DEP_2)
	v_cndmask_b32_e32 v19, 0, v19, vcc_lo
	v_cmp_nlt_f32_e32 vcc_lo, 0x42b17218, v18
	v_cndmask_b32_e32 v18, 0x7f800000, v19, vcc_lo
	s_delay_alu instid0(VALU_DEP_1) | instskip(NEXT) | instid1(VALU_DEP_1)
	v_dual_mul_f32 v4, v18, v4 :: v_dual_add_f32 v18, 1.0, v18
	v_div_scale_f32 v19, null, v18, v18, v4
	s_delay_alu instid0(VALU_DEP_1) | instskip(SKIP_1) | instid1(TRANS32_DEP_1)
	v_rcp_f32_e32 v20, v19
	v_nop
	v_fma_f32 v21, -v19, v20, 1.0
	s_delay_alu instid0(VALU_DEP_1) | instskip(SKIP_1) | instid1(VALU_DEP_1)
	v_fmac_f32_e32 v20, v21, v20
	v_div_scale_f32 v21, vcc_lo, v4, v18, v4
	v_mul_f32_e32 v22, v21, v20
	s_delay_alu instid0(VALU_DEP_1) | instskip(NEXT) | instid1(VALU_DEP_1)
	v_fma_f32 v23, -v19, v22, v21
	v_fmac_f32_e32 v22, v23, v20
	s_delay_alu instid0(VALU_DEP_1) | instskip(NEXT) | instid1(VALU_DEP_1)
	v_fma_f32 v19, -v19, v22, v21
	v_div_fmas_f32 v19, v19, v20, v22
	s_delay_alu instid0(VALU_DEP_1) | instskip(NEXT) | instid1(VALU_DEP_1)
	v_div_fixup_f32 v4, v19, v18, v4
	v_cvt_f16_f32_e32 v4, v4
.LBB80_39:
	s_or_b32 exec_lo, exec_lo, s3
	s_delay_alu instid0(SALU_CYCLE_1) | instskip(NEXT) | instid1(SALU_CYCLE_1)
	s_or_b32 exec_lo, exec_lo, s1
	s_mov_b32 s1, exec_lo
	v_cmpx_gt_i32_e64 s8, v2
	s_cbranch_execz .LBB80_43
.LBB80_40:
	v_mul_f32_e32 v17, s9, v17
	s_mov_b32 s3, exec_lo
	s_delay_alu instid0(VALU_DEP_1)
	v_cmpx_nlt_f32_e32 s10, v17
	s_cbranch_execz .LBB80_42
; %bb.41:
	s_wait_loadcnt 0x0
	v_cvt_f32_f16_e32 v3, v3
	v_mul_f32_e32 v18, 0x3fb8aa3b, v17
	v_cmp_ngt_f32_e32 vcc_lo, 0xc2ce8ed0, v17
	s_delay_alu instid0(VALU_DEP_2) | instskip(SKIP_1) | instid1(VALU_DEP_2)
	v_rndne_f32_e32 v19, v18
	v_fma_f32 v20, 0x3fb8aa3b, v17, -v18
	v_sub_f32_e32 v18, v18, v19
	s_delay_alu instid0(VALU_DEP_2) | instskip(SKIP_1) | instid1(VALU_DEP_2)
	v_fmamk_f32 v20, v17, 0x32a5705f, v20
	v_cvt_i32_f32_e32 v19, v19
	v_add_f32_e32 v18, v18, v20
	s_delay_alu instid0(VALU_DEP_1) | instskip(SKIP_1) | instid1(TRANS32_DEP_1)
	v_exp_f32_e32 v18, v18
	v_nop
	v_ldexp_f32 v18, v18, v19
	s_delay_alu instid0(VALU_DEP_1) | instskip(SKIP_1) | instid1(VALU_DEP_2)
	v_cndmask_b32_e32 v18, 0, v18, vcc_lo
	v_cmp_nlt_f32_e32 vcc_lo, 0x42b17218, v17
	v_cndmask_b32_e32 v17, 0x7f800000, v18, vcc_lo
	s_delay_alu instid0(VALU_DEP_1) | instskip(NEXT) | instid1(VALU_DEP_1)
	v_dual_mul_f32 v3, v17, v3 :: v_dual_add_f32 v17, 1.0, v17
	v_div_scale_f32 v18, null, v17, v17, v3
	s_delay_alu instid0(VALU_DEP_1) | instskip(SKIP_1) | instid1(TRANS32_DEP_1)
	v_rcp_f32_e32 v19, v18
	v_nop
	v_fma_f32 v20, -v18, v19, 1.0
	s_delay_alu instid0(VALU_DEP_1) | instskip(SKIP_1) | instid1(VALU_DEP_1)
	v_fmac_f32_e32 v19, v20, v19
	v_div_scale_f32 v20, vcc_lo, v3, v17, v3
	v_mul_f32_e32 v21, v20, v19
	s_delay_alu instid0(VALU_DEP_1) | instskip(NEXT) | instid1(VALU_DEP_1)
	v_fma_f32 v22, -v18, v21, v20
	v_fmac_f32_e32 v21, v22, v19
	s_delay_alu instid0(VALU_DEP_1) | instskip(NEXT) | instid1(VALU_DEP_1)
	v_fma_f32 v18, -v18, v21, v20
	v_div_fmas_f32 v18, v18, v19, v21
	s_delay_alu instid0(VALU_DEP_1) | instskip(NEXT) | instid1(VALU_DEP_1)
	v_div_fixup_f32 v3, v18, v17, v3
	v_cvt_f16_f32_e32 v3, v3
.LBB80_42:
	s_or_b32 exec_lo, exec_lo, s3
.LBB80_43:
	s_delay_alu instid0(SALU_CYCLE_1) | instskip(SKIP_2) | instid1(VALU_DEP_1)
	s_or_b32 exec_lo, exec_lo, s1
	v_or_b32_e32 v17, 0x200, v0
	s_mov_b32 s1, exec_lo
	v_cmpx_gt_i32_e64 s8, v17
	s_cbranch_execz .LBB80_47
; %bb.44:
	v_mul_f32_e32 v16, s9, v16
	s_mov_b32 s3, exec_lo
	s_delay_alu instid0(VALU_DEP_1)
	v_cmpx_nlt_f32_e32 s10, v16
	s_cbranch_execz .LBB80_46
; %bb.45:
	s_wait_loadcnt 0x0
	v_cvt_f32_f16_e32 v6, v6
	v_mul_f32_e32 v17, 0x3fb8aa3b, v16
	v_cmp_ngt_f32_e32 vcc_lo, 0xc2ce8ed0, v16
	s_delay_alu instid0(VALU_DEP_2) | instskip(SKIP_1) | instid1(VALU_DEP_2)
	v_rndne_f32_e32 v18, v17
	v_fma_f32 v19, 0x3fb8aa3b, v16, -v17
	v_sub_f32_e32 v17, v17, v18
	s_delay_alu instid0(VALU_DEP_2) | instskip(SKIP_1) | instid1(VALU_DEP_2)
	v_fmamk_f32 v19, v16, 0x32a5705f, v19
	v_cvt_i32_f32_e32 v18, v18
	v_add_f32_e32 v17, v17, v19
	s_delay_alu instid0(VALU_DEP_1) | instskip(SKIP_1) | instid1(TRANS32_DEP_1)
	v_exp_f32_e32 v17, v17
	v_nop
	v_ldexp_f32 v17, v17, v18
	s_delay_alu instid0(VALU_DEP_1) | instskip(SKIP_1) | instid1(VALU_DEP_2)
	v_cndmask_b32_e32 v17, 0, v17, vcc_lo
	v_cmp_nlt_f32_e32 vcc_lo, 0x42b17218, v16
	v_cndmask_b32_e32 v16, 0x7f800000, v17, vcc_lo
	s_delay_alu instid0(VALU_DEP_1) | instskip(NEXT) | instid1(VALU_DEP_1)
	v_dual_mul_f32 v6, v16, v6 :: v_dual_add_f32 v16, 1.0, v16
	v_div_scale_f32 v17, null, v16, v16, v6
	s_delay_alu instid0(VALU_DEP_1) | instskip(SKIP_1) | instid1(TRANS32_DEP_1)
	v_rcp_f32_e32 v18, v17
	v_nop
	v_fma_f32 v19, -v17, v18, 1.0
	s_delay_alu instid0(VALU_DEP_1) | instskip(SKIP_1) | instid1(VALU_DEP_1)
	v_fmac_f32_e32 v18, v19, v18
	v_div_scale_f32 v19, vcc_lo, v6, v16, v6
	v_mul_f32_e32 v20, v19, v18
	s_delay_alu instid0(VALU_DEP_1) | instskip(NEXT) | instid1(VALU_DEP_1)
	v_fma_f32 v21, -v17, v20, v19
	v_fmac_f32_e32 v20, v21, v18
	s_delay_alu instid0(VALU_DEP_1) | instskip(NEXT) | instid1(VALU_DEP_1)
	v_fma_f32 v17, -v17, v20, v19
	v_div_fmas_f32 v17, v17, v18, v20
	s_delay_alu instid0(VALU_DEP_1) | instskip(NEXT) | instid1(VALU_DEP_1)
	v_div_fixup_f32 v6, v17, v16, v6
	v_cvt_f16_f32_e32 v6, v6
.LBB80_46:
	s_or_b32 exec_lo, exec_lo, s3
.LBB80_47:
	s_delay_alu instid0(SALU_CYCLE_1) | instskip(SKIP_2) | instid1(VALU_DEP_1)
	s_or_b32 exec_lo, exec_lo, s1
	v_or_b32_e32 v16, 0x300, v0
	s_mov_b32 s1, exec_lo
	v_cmpx_gt_i32_e64 s8, v16
	s_cbranch_execz .LBB80_51
; %bb.48:
	v_mul_f32_e32 v15, s9, v15
	s_mov_b32 s3, exec_lo
	s_delay_alu instid0(VALU_DEP_1)
	v_cmpx_nlt_f32_e32 s10, v15
	s_cbranch_execz .LBB80_50
; %bb.49:
	s_wait_loadcnt 0x0
	v_cvt_f32_f16_e32 v5, v5
	v_mul_f32_e32 v16, 0x3fb8aa3b, v15
	v_cmp_ngt_f32_e32 vcc_lo, 0xc2ce8ed0, v15
	s_delay_alu instid0(VALU_DEP_2) | instskip(SKIP_1) | instid1(VALU_DEP_2)
	v_rndne_f32_e32 v17, v16
	v_fma_f32 v18, 0x3fb8aa3b, v15, -v16
	v_sub_f32_e32 v16, v16, v17
	s_delay_alu instid0(VALU_DEP_2) | instskip(SKIP_1) | instid1(VALU_DEP_2)
	v_fmamk_f32 v18, v15, 0x32a5705f, v18
	v_cvt_i32_f32_e32 v17, v17
	v_add_f32_e32 v16, v16, v18
	s_delay_alu instid0(VALU_DEP_1) | instskip(SKIP_1) | instid1(TRANS32_DEP_1)
	v_exp_f32_e32 v16, v16
	v_nop
	v_ldexp_f32 v16, v16, v17
	s_delay_alu instid0(VALU_DEP_1) | instskip(SKIP_1) | instid1(VALU_DEP_2)
	v_cndmask_b32_e32 v16, 0, v16, vcc_lo
	v_cmp_nlt_f32_e32 vcc_lo, 0x42b17218, v15
	v_cndmask_b32_e32 v15, 0x7f800000, v16, vcc_lo
	s_delay_alu instid0(VALU_DEP_1) | instskip(NEXT) | instid1(VALU_DEP_1)
	v_dual_mul_f32 v5, v15, v5 :: v_dual_add_f32 v15, 1.0, v15
	v_div_scale_f32 v16, null, v15, v15, v5
	s_delay_alu instid0(VALU_DEP_1) | instskip(SKIP_1) | instid1(TRANS32_DEP_1)
	v_rcp_f32_e32 v17, v16
	v_nop
	v_fma_f32 v18, -v16, v17, 1.0
	s_delay_alu instid0(VALU_DEP_1) | instskip(SKIP_1) | instid1(VALU_DEP_1)
	v_fmac_f32_e32 v17, v18, v17
	v_div_scale_f32 v18, vcc_lo, v5, v15, v5
	v_mul_f32_e32 v19, v18, v17
	s_delay_alu instid0(VALU_DEP_1) | instskip(NEXT) | instid1(VALU_DEP_1)
	v_fma_f32 v20, -v16, v19, v18
	v_fmac_f32_e32 v19, v20, v17
	s_delay_alu instid0(VALU_DEP_1) | instskip(NEXT) | instid1(VALU_DEP_1)
	v_fma_f32 v16, -v16, v19, v18
	v_div_fmas_f32 v16, v16, v17, v19
	s_delay_alu instid0(VALU_DEP_1) | instskip(NEXT) | instid1(VALU_DEP_1)
	v_div_fixup_f32 v5, v16, v15, v5
	v_cvt_f16_f32_e32 v5, v5
.LBB80_50:
	s_or_b32 exec_lo, exec_lo, s3
.LBB80_51:
	;; [unrolled: 56-line block ×5, first 2 shown]
	s_delay_alu instid0(SALU_CYCLE_1) | instskip(SKIP_2) | instid1(VALU_DEP_1)
	s_or_b32 exec_lo, exec_lo, s1
	v_or_b32_e32 v12, 0x700, v0
	s_mov_b32 s1, exec_lo
	v_cmpx_gt_i32_e64 s8, v12
	s_cbranch_execnz .LBB80_74
; %bb.64:
	s_or_b32 exec_lo, exec_lo, s1
	s_and_saveexec_b32 s1, s0
	s_delay_alu instid0(SALU_CYCLE_1)
	s_xor_b32 s0, exec_lo, s1
	s_cbranch_execnz .LBB80_77
.LBB80_65:
	s_or_b32 exec_lo, exec_lo, s0
	s_delay_alu instid0(SALU_CYCLE_1)
	s_mov_b32 s0, exec_lo
	v_cmpx_gt_i32_e64 s8, v0
	s_cbranch_execnz .LBB80_78
.LBB80_66:
	s_or_b32 exec_lo, exec_lo, s0
	s_delay_alu instid0(SALU_CYCLE_1)
	s_mov_b32 s0, exec_lo
	v_cmpx_gt_i32_e64 s8, v0
	s_cbranch_execnz .LBB80_79
.LBB80_67:
	s_or_b32 exec_lo, exec_lo, s0
	s_delay_alu instid0(SALU_CYCLE_1)
	s_mov_b32 s0, exec_lo
	v_cmpx_gt_i32_e64 s8, v0
	s_cbranch_execnz .LBB80_80
.LBB80_68:
	s_or_b32 exec_lo, exec_lo, s0
	s_delay_alu instid0(SALU_CYCLE_1)
	s_mov_b32 s0, exec_lo
	v_cmpx_gt_i32_e64 s8, v0
	s_cbranch_execnz .LBB80_81
.LBB80_69:
	s_or_b32 exec_lo, exec_lo, s0
	s_delay_alu instid0(SALU_CYCLE_1)
	s_mov_b32 s0, exec_lo
	v_cmpx_gt_i32_e64 s8, v0
	s_cbranch_execnz .LBB80_82
.LBB80_70:
	s_or_b32 exec_lo, exec_lo, s0
	s_delay_alu instid0(SALU_CYCLE_1)
	s_mov_b32 s0, exec_lo
	v_cmpx_gt_i32_e64 s8, v0
	s_cbranch_execnz .LBB80_83
.LBB80_71:
	s_or_b32 exec_lo, exec_lo, s0
	s_delay_alu instid0(SALU_CYCLE_1)
	s_mov_b32 s0, exec_lo
	v_cmpx_gt_i32_e64 s8, v0
	s_cbranch_execz .LBB80_73
.LBB80_72:
	v_add_nc_u32_e32 v0, s2, v0
	s_wait_loadcnt 0x0
	global_store_b16 v0, v9, s[4:5] scale_offset
.LBB80_73:
	s_endpgm
.LBB80_74:
	v_mul_f32_e32 v11, s9, v11
	s_mov_b32 s3, exec_lo
	s_delay_alu instid0(VALU_DEP_1)
	v_cmpx_nlt_f32_e32 s10, v11
	s_cbranch_execz .LBB80_76
; %bb.75:
	s_wait_loadcnt 0x0
	v_cvt_f32_f16_e32 v9, v9
	v_mul_f32_e32 v12, 0x3fb8aa3b, v11
	v_cmp_ngt_f32_e32 vcc_lo, 0xc2ce8ed0, v11
	s_delay_alu instid0(VALU_DEP_2) | instskip(SKIP_1) | instid1(VALU_DEP_2)
	v_rndne_f32_e32 v13, v12
	v_fma_f32 v14, 0x3fb8aa3b, v11, -v12
	v_sub_f32_e32 v12, v12, v13
	s_delay_alu instid0(VALU_DEP_2) | instskip(SKIP_1) | instid1(VALU_DEP_2)
	v_fmamk_f32 v14, v11, 0x32a5705f, v14
	v_cvt_i32_f32_e32 v13, v13
	v_add_f32_e32 v12, v12, v14
	s_delay_alu instid0(VALU_DEP_1) | instskip(SKIP_1) | instid1(TRANS32_DEP_1)
	v_exp_f32_e32 v12, v12
	v_nop
	v_ldexp_f32 v12, v12, v13
	s_delay_alu instid0(VALU_DEP_1) | instskip(SKIP_1) | instid1(VALU_DEP_2)
	v_cndmask_b32_e32 v12, 0, v12, vcc_lo
	v_cmp_nlt_f32_e32 vcc_lo, 0x42b17218, v11
	v_cndmask_b32_e32 v11, 0x7f800000, v12, vcc_lo
	s_delay_alu instid0(VALU_DEP_1) | instskip(NEXT) | instid1(VALU_DEP_1)
	v_dual_mul_f32 v9, v11, v9 :: v_dual_add_f32 v11, 1.0, v11
	v_div_scale_f32 v12, null, v11, v11, v9
	s_delay_alu instid0(VALU_DEP_1) | instskip(SKIP_1) | instid1(TRANS32_DEP_1)
	v_rcp_f32_e32 v13, v12
	v_nop
	v_fma_f32 v14, -v12, v13, 1.0
	s_delay_alu instid0(VALU_DEP_1) | instskip(SKIP_1) | instid1(VALU_DEP_1)
	v_fmac_f32_e32 v13, v14, v13
	v_div_scale_f32 v14, vcc_lo, v9, v11, v9
	v_mul_f32_e32 v15, v14, v13
	s_delay_alu instid0(VALU_DEP_1) | instskip(NEXT) | instid1(VALU_DEP_1)
	v_fma_f32 v16, -v12, v15, v14
	v_fmac_f32_e32 v15, v16, v13
	s_delay_alu instid0(VALU_DEP_1) | instskip(NEXT) | instid1(VALU_DEP_1)
	v_fma_f32 v12, -v12, v15, v14
	v_div_fmas_f32 v12, v12, v13, v15
	s_delay_alu instid0(VALU_DEP_1) | instskip(NEXT) | instid1(VALU_DEP_1)
	v_div_fixup_f32 v9, v12, v11, v9
	v_cvt_f16_f32_e32 v9, v9
.LBB80_76:
	s_or_b32 exec_lo, exec_lo, s3
	s_delay_alu instid0(SALU_CYCLE_1) | instskip(SKIP_1) | instid1(SALU_CYCLE_1)
	s_or_b32 exec_lo, exec_lo, s1
	s_and_saveexec_b32 s1, s0
	s_xor_b32 s0, exec_lo, s1
	s_cbranch_execz .LBB80_65
.LBB80_77:
	v_mov_b32_e32 v0, v2
	s_wait_loadcnt 0x0
	global_store_b16 v1, v4, s[4:5] scale_offset
	s_wait_xcnt 0x0
	s_or_b32 exec_lo, exec_lo, s0
	s_delay_alu instid0(SALU_CYCLE_1)
	s_mov_b32 s0, exec_lo
	v_cmpx_gt_i32_e64 s8, v0
	s_cbranch_execz .LBB80_66
.LBB80_78:
	v_add_nc_u32_e32 v1, s2, v0
	v_add_nc_u32_e32 v0, 0x100, v0
	s_wait_loadcnt 0x0
	global_store_b16 v1, v3, s[4:5] scale_offset
	s_wait_xcnt 0x0
	s_or_b32 exec_lo, exec_lo, s0
	s_delay_alu instid0(SALU_CYCLE_1)
	s_mov_b32 s0, exec_lo
	v_cmpx_gt_i32_e64 s8, v0
	s_cbranch_execz .LBB80_67
.LBB80_79:
	v_add_nc_u32_e32 v1, s2, v0
	v_add_nc_u32_e32 v0, 0x100, v0
	s_wait_loadcnt 0x0
	global_store_b16 v1, v6, s[4:5] scale_offset
	s_wait_xcnt 0x0
	s_or_b32 exec_lo, exec_lo, s0
	s_delay_alu instid0(SALU_CYCLE_1)
	s_mov_b32 s0, exec_lo
	v_cmpx_gt_i32_e64 s8, v0
	s_cbranch_execz .LBB80_68
.LBB80_80:
	v_add_nc_u32_e32 v1, s2, v0
	v_add_nc_u32_e32 v0, 0x100, v0
	s_wait_loadcnt 0x0
	global_store_b16 v1, v5, s[4:5] scale_offset
	s_wait_xcnt 0x0
	s_or_b32 exec_lo, exec_lo, s0
	s_delay_alu instid0(SALU_CYCLE_1)
	s_mov_b32 s0, exec_lo
	v_cmpx_gt_i32_e64 s8, v0
	s_cbranch_execz .LBB80_69
.LBB80_81:
	v_add_nc_u32_e32 v1, s2, v0
	v_add_nc_u32_e32 v0, 0x100, v0
	s_wait_loadcnt 0x0
	global_store_b16 v1, v8, s[4:5] scale_offset
	s_wait_xcnt 0x0
	s_or_b32 exec_lo, exec_lo, s0
	s_delay_alu instid0(SALU_CYCLE_1)
	s_mov_b32 s0, exec_lo
	v_cmpx_gt_i32_e64 s8, v0
	s_cbranch_execz .LBB80_70
.LBB80_82:
	v_add_nc_u32_e32 v1, s2, v0
	v_add_nc_u32_e32 v0, 0x100, v0
	s_wait_loadcnt 0x0
	global_store_b16 v1, v7, s[4:5] scale_offset
	s_wait_xcnt 0x0
	s_or_b32 exec_lo, exec_lo, s0
	s_delay_alu instid0(SALU_CYCLE_1)
	s_mov_b32 s0, exec_lo
	v_cmpx_gt_i32_e64 s8, v0
	s_cbranch_execz .LBB80_71
.LBB80_83:
	v_add_nc_u32_e32 v1, s2, v0
	v_add_nc_u32_e32 v0, 0x100, v0
	s_wait_loadcnt 0x0
	global_store_b16 v1, v10, s[4:5] scale_offset
	s_wait_xcnt 0x0
	s_or_b32 exec_lo, exec_lo, s0
	s_delay_alu instid0(SALU_CYCLE_1)
	s_mov_b32 s0, exec_lo
	v_cmpx_gt_i32_e64 s8, v0
	s_cbranch_execnz .LBB80_72
	s_branch .LBB80_73
	.section	.rodata,"a",@progbits
	.p2align	6, 0x0
	.amdhsa_kernel _ZN2at6native29vectorized_elementwise_kernelILi4EZZZNS0_12_GLOBAL__N_124softplus_backward_kernelERNS_18TensorIteratorBaseERKN3c106ScalarES8_ENKUlvE_clEvENKUlvE1_clEvEUlNS5_4HalfESB_E_St5arrayIPcLm3EEEEviT0_T1_
		.amdhsa_group_segment_fixed_size 0
		.amdhsa_private_segment_fixed_size 0
		.amdhsa_kernarg_size 40
		.amdhsa_user_sgpr_count 2
		.amdhsa_user_sgpr_dispatch_ptr 0
		.amdhsa_user_sgpr_queue_ptr 0
		.amdhsa_user_sgpr_kernarg_segment_ptr 1
		.amdhsa_user_sgpr_dispatch_id 0
		.amdhsa_user_sgpr_kernarg_preload_length 0
		.amdhsa_user_sgpr_kernarg_preload_offset 0
		.amdhsa_user_sgpr_private_segment_size 0
		.amdhsa_wavefront_size32 1
		.amdhsa_uses_dynamic_stack 0
		.amdhsa_enable_private_segment 0
		.amdhsa_system_sgpr_workgroup_id_x 1
		.amdhsa_system_sgpr_workgroup_id_y 0
		.amdhsa_system_sgpr_workgroup_id_z 0
		.amdhsa_system_sgpr_workgroup_info 0
		.amdhsa_system_vgpr_workitem_id 0
		.amdhsa_next_free_vgpr 24
		.amdhsa_next_free_sgpr 18
		.amdhsa_named_barrier_count 0
		.amdhsa_reserve_vcc 1
		.amdhsa_float_round_mode_32 0
		.amdhsa_float_round_mode_16_64 0
		.amdhsa_float_denorm_mode_32 3
		.amdhsa_float_denorm_mode_16_64 3
		.amdhsa_fp16_overflow 0
		.amdhsa_memory_ordered 1
		.amdhsa_forward_progress 1
		.amdhsa_inst_pref_size 47
		.amdhsa_round_robin_scheduling 0
		.amdhsa_exception_fp_ieee_invalid_op 0
		.amdhsa_exception_fp_denorm_src 0
		.amdhsa_exception_fp_ieee_div_zero 0
		.amdhsa_exception_fp_ieee_overflow 0
		.amdhsa_exception_fp_ieee_underflow 0
		.amdhsa_exception_fp_ieee_inexact 0
		.amdhsa_exception_int_div_zero 0
	.end_amdhsa_kernel
	.section	.text._ZN2at6native29vectorized_elementwise_kernelILi4EZZZNS0_12_GLOBAL__N_124softplus_backward_kernelERNS_18TensorIteratorBaseERKN3c106ScalarES8_ENKUlvE_clEvENKUlvE1_clEvEUlNS5_4HalfESB_E_St5arrayIPcLm3EEEEviT0_T1_,"axG",@progbits,_ZN2at6native29vectorized_elementwise_kernelILi4EZZZNS0_12_GLOBAL__N_124softplus_backward_kernelERNS_18TensorIteratorBaseERKN3c106ScalarES8_ENKUlvE_clEvENKUlvE1_clEvEUlNS5_4HalfESB_E_St5arrayIPcLm3EEEEviT0_T1_,comdat
.Lfunc_end80:
	.size	_ZN2at6native29vectorized_elementwise_kernelILi4EZZZNS0_12_GLOBAL__N_124softplus_backward_kernelERNS_18TensorIteratorBaseERKN3c106ScalarES8_ENKUlvE_clEvENKUlvE1_clEvEUlNS5_4HalfESB_E_St5arrayIPcLm3EEEEviT0_T1_, .Lfunc_end80-_ZN2at6native29vectorized_elementwise_kernelILi4EZZZNS0_12_GLOBAL__N_124softplus_backward_kernelERNS_18TensorIteratorBaseERKN3c106ScalarES8_ENKUlvE_clEvENKUlvE1_clEvEUlNS5_4HalfESB_E_St5arrayIPcLm3EEEEviT0_T1_
                                        ; -- End function
	.set _ZN2at6native29vectorized_elementwise_kernelILi4EZZZNS0_12_GLOBAL__N_124softplus_backward_kernelERNS_18TensorIteratorBaseERKN3c106ScalarES8_ENKUlvE_clEvENKUlvE1_clEvEUlNS5_4HalfESB_E_St5arrayIPcLm3EEEEviT0_T1_.num_vgpr, 24
	.set _ZN2at6native29vectorized_elementwise_kernelILi4EZZZNS0_12_GLOBAL__N_124softplus_backward_kernelERNS_18TensorIteratorBaseERKN3c106ScalarES8_ENKUlvE_clEvENKUlvE1_clEvEUlNS5_4HalfESB_E_St5arrayIPcLm3EEEEviT0_T1_.num_agpr, 0
	.set _ZN2at6native29vectorized_elementwise_kernelILi4EZZZNS0_12_GLOBAL__N_124softplus_backward_kernelERNS_18TensorIteratorBaseERKN3c106ScalarES8_ENKUlvE_clEvENKUlvE1_clEvEUlNS5_4HalfESB_E_St5arrayIPcLm3EEEEviT0_T1_.numbered_sgpr, 18
	.set _ZN2at6native29vectorized_elementwise_kernelILi4EZZZNS0_12_GLOBAL__N_124softplus_backward_kernelERNS_18TensorIteratorBaseERKN3c106ScalarES8_ENKUlvE_clEvENKUlvE1_clEvEUlNS5_4HalfESB_E_St5arrayIPcLm3EEEEviT0_T1_.num_named_barrier, 0
	.set _ZN2at6native29vectorized_elementwise_kernelILi4EZZZNS0_12_GLOBAL__N_124softplus_backward_kernelERNS_18TensorIteratorBaseERKN3c106ScalarES8_ENKUlvE_clEvENKUlvE1_clEvEUlNS5_4HalfESB_E_St5arrayIPcLm3EEEEviT0_T1_.private_seg_size, 0
	.set _ZN2at6native29vectorized_elementwise_kernelILi4EZZZNS0_12_GLOBAL__N_124softplus_backward_kernelERNS_18TensorIteratorBaseERKN3c106ScalarES8_ENKUlvE_clEvENKUlvE1_clEvEUlNS5_4HalfESB_E_St5arrayIPcLm3EEEEviT0_T1_.uses_vcc, 1
	.set _ZN2at6native29vectorized_elementwise_kernelILi4EZZZNS0_12_GLOBAL__N_124softplus_backward_kernelERNS_18TensorIteratorBaseERKN3c106ScalarES8_ENKUlvE_clEvENKUlvE1_clEvEUlNS5_4HalfESB_E_St5arrayIPcLm3EEEEviT0_T1_.uses_flat_scratch, 0
	.set _ZN2at6native29vectorized_elementwise_kernelILi4EZZZNS0_12_GLOBAL__N_124softplus_backward_kernelERNS_18TensorIteratorBaseERKN3c106ScalarES8_ENKUlvE_clEvENKUlvE1_clEvEUlNS5_4HalfESB_E_St5arrayIPcLm3EEEEviT0_T1_.has_dyn_sized_stack, 0
	.set _ZN2at6native29vectorized_elementwise_kernelILi4EZZZNS0_12_GLOBAL__N_124softplus_backward_kernelERNS_18TensorIteratorBaseERKN3c106ScalarES8_ENKUlvE_clEvENKUlvE1_clEvEUlNS5_4HalfESB_E_St5arrayIPcLm3EEEEviT0_T1_.has_recursion, 0
	.set _ZN2at6native29vectorized_elementwise_kernelILi4EZZZNS0_12_GLOBAL__N_124softplus_backward_kernelERNS_18TensorIteratorBaseERKN3c106ScalarES8_ENKUlvE_clEvENKUlvE1_clEvEUlNS5_4HalfESB_E_St5arrayIPcLm3EEEEviT0_T1_.has_indirect_call, 0
	.section	.AMDGPU.csdata,"",@progbits
; Kernel info:
; codeLenInByte = 5988
; TotalNumSgprs: 20
; NumVgprs: 24
; ScratchSize: 0
; MemoryBound: 0
; FloatMode: 240
; IeeeMode: 1
; LDSByteSize: 0 bytes/workgroup (compile time only)
; SGPRBlocks: 0
; VGPRBlocks: 1
; NumSGPRsForWavesPerEU: 20
; NumVGPRsForWavesPerEU: 24
; NamedBarCnt: 0
; Occupancy: 16
; WaveLimiterHint : 1
; COMPUTE_PGM_RSRC2:SCRATCH_EN: 0
; COMPUTE_PGM_RSRC2:USER_SGPR: 2
; COMPUTE_PGM_RSRC2:TRAP_HANDLER: 0
; COMPUTE_PGM_RSRC2:TGID_X_EN: 1
; COMPUTE_PGM_RSRC2:TGID_Y_EN: 0
; COMPUTE_PGM_RSRC2:TGID_Z_EN: 0
; COMPUTE_PGM_RSRC2:TIDIG_COMP_CNT: 0
	.section	.text._ZN2at6native29vectorized_elementwise_kernelILi2EZZZNS0_12_GLOBAL__N_124softplus_backward_kernelERNS_18TensorIteratorBaseERKN3c106ScalarES8_ENKUlvE_clEvENKUlvE1_clEvEUlNS5_4HalfESB_E_St5arrayIPcLm3EEEEviT0_T1_,"axG",@progbits,_ZN2at6native29vectorized_elementwise_kernelILi2EZZZNS0_12_GLOBAL__N_124softplus_backward_kernelERNS_18TensorIteratorBaseERKN3c106ScalarES8_ENKUlvE_clEvENKUlvE1_clEvEUlNS5_4HalfESB_E_St5arrayIPcLm3EEEEviT0_T1_,comdat
	.globl	_ZN2at6native29vectorized_elementwise_kernelILi2EZZZNS0_12_GLOBAL__N_124softplus_backward_kernelERNS_18TensorIteratorBaseERKN3c106ScalarES8_ENKUlvE_clEvENKUlvE1_clEvEUlNS5_4HalfESB_E_St5arrayIPcLm3EEEEviT0_T1_ ; -- Begin function _ZN2at6native29vectorized_elementwise_kernelILi2EZZZNS0_12_GLOBAL__N_124softplus_backward_kernelERNS_18TensorIteratorBaseERKN3c106ScalarES8_ENKUlvE_clEvENKUlvE1_clEvEUlNS5_4HalfESB_E_St5arrayIPcLm3EEEEviT0_T1_
	.p2align	8
	.type	_ZN2at6native29vectorized_elementwise_kernelILi2EZZZNS0_12_GLOBAL__N_124softplus_backward_kernelERNS_18TensorIteratorBaseERKN3c106ScalarES8_ENKUlvE_clEvENKUlvE1_clEvEUlNS5_4HalfESB_E_St5arrayIPcLm3EEEEviT0_T1_,@function
_ZN2at6native29vectorized_elementwise_kernelILi2EZZZNS0_12_GLOBAL__N_124softplus_backward_kernelERNS_18TensorIteratorBaseERKN3c106ScalarES8_ENKUlvE_clEvENKUlvE1_clEvEUlNS5_4HalfESB_E_St5arrayIPcLm3EEEEviT0_T1_: ; @_ZN2at6native29vectorized_elementwise_kernelILi2EZZZNS0_12_GLOBAL__N_124softplus_backward_kernelERNS_18TensorIteratorBaseERKN3c106ScalarES8_ENKUlvE_clEvENKUlvE1_clEvEUlNS5_4HalfESB_E_St5arrayIPcLm3EEEEviT0_T1_
; %bb.0:
	s_clause 0x2
	s_load_b96 s[8:10], s[0:1], 0x0
	s_load_b128 s[4:7], s[0:1], 0x10
	s_load_b64 s[12:13], s[0:1], 0x20
	s_wait_xcnt 0x0
	s_bfe_u32 s0, ttmp6, 0x4000c
	s_and_b32 s1, ttmp6, 15
	s_add_co_i32 s0, s0, 1
	s_getreg_b32 s2, hwreg(HW_REG_IB_STS2, 6, 4)
	s_mul_i32 s0, ttmp9, s0
	s_delay_alu instid0(SALU_CYCLE_1) | instskip(SKIP_2) | instid1(SALU_CYCLE_1)
	s_add_co_i32 s1, s1, s0
	s_cmp_eq_u32 s2, 0
	s_cselect_b32 s0, ttmp9, s1
	s_lshl_b32 s2, s0, 11
	s_mov_b32 s0, -1
	s_wait_kmcnt 0x0
	s_sub_co_i32 s8, s8, s2
	s_delay_alu instid0(SALU_CYCLE_1)
	s_cmp_gt_i32 s8, 0x7ff
	s_cbranch_scc0 .LBB81_18
; %bb.1:
	s_ashr_i32 s3, s2, 31
	s_delay_alu instid0(SALU_CYCLE_1)
	s_lshl_b64 s[0:1], s[2:3], 1
	s_mov_b32 s3, exec_lo
	s_add_nc_u64 s[14:15], s[12:13], s[0:1]
	s_add_nc_u64 s[16:17], s[6:7], s[0:1]
	s_clause 0x7
	global_load_b32 v5, v0, s[14:15] scale_offset
	global_load_b32 v4, v0, s[16:17] scale_offset
	global_load_b32 v8, v0, s[16:17] offset:1024 scale_offset
	global_load_b32 v6, v0, s[16:17] offset:2048 scale_offset
	;; [unrolled: 1-line block ×6, first 2 shown]
	s_wait_loadcnt 0x7
	v_cvt_f32_f16_e32 v1, v5
	s_wait_loadcnt 0x6
	s_delay_alu instid0(VALU_DEP_1) | instskip(SKIP_1) | instid1(VALU_DEP_1)
	v_dual_mul_f32 v10, s9, v1 :: v_dual_mov_b32 v1, v4
	s_wait_xcnt 0x0
	v_cmpx_nlt_f32_e32 s10, v10
	s_cbranch_execz .LBB81_3
; %bb.2:
	v_mul_f32_e32 v1, 0x3fb8aa3b, v10
	v_cmp_ngt_f32_e32 vcc_lo, 0xc2ce8ed0, v10
	s_delay_alu instid0(VALU_DEP_2) | instskip(SKIP_1) | instid1(VALU_DEP_1)
	v_rndne_f32_e32 v11, v1
	v_fma_f32 v12, 0x3fb8aa3b, v10, -v1
	v_dual_sub_f32 v1, v1, v11 :: v_dual_fmamk_f32 v12, v10, 0x32a5705f, v12
	v_cvt_i32_f32_e32 v11, v11
	s_delay_alu instid0(VALU_DEP_2) | instskip(NEXT) | instid1(VALU_DEP_1)
	v_add_f32_e32 v1, v1, v12
	v_exp_f32_e32 v1, v1
	v_nop
	s_delay_alu instid0(TRANS32_DEP_1) | instskip(SKIP_1) | instid1(VALU_DEP_2)
	v_ldexp_f32 v1, v1, v11
	v_cvt_f32_f16_e32 v11, v4
	v_cndmask_b32_e32 v1, 0, v1, vcc_lo
	v_cmp_nlt_f32_e32 vcc_lo, 0x42b17218, v10
	s_delay_alu instid0(VALU_DEP_2) | instskip(NEXT) | instid1(VALU_DEP_1)
	v_cndmask_b32_e32 v1, 0x7f800000, v1, vcc_lo
	v_dual_mul_f32 v10, v1, v11 :: v_dual_add_f32 v1, 1.0, v1
	s_delay_alu instid0(VALU_DEP_1) | instskip(NEXT) | instid1(VALU_DEP_1)
	v_div_scale_f32 v11, null, v1, v1, v10
	v_rcp_f32_e32 v12, v11
	v_nop
	s_delay_alu instid0(TRANS32_DEP_1) | instskip(NEXT) | instid1(VALU_DEP_1)
	v_fma_f32 v13, -v11, v12, 1.0
	v_fmac_f32_e32 v12, v13, v12
	v_div_scale_f32 v13, vcc_lo, v10, v1, v10
	s_delay_alu instid0(VALU_DEP_1) | instskip(NEXT) | instid1(VALU_DEP_1)
	v_mul_f32_e32 v14, v13, v12
	v_fma_f32 v15, -v11, v14, v13
	s_delay_alu instid0(VALU_DEP_1) | instskip(NEXT) | instid1(VALU_DEP_1)
	v_fmac_f32_e32 v14, v15, v12
	v_fma_f32 v11, -v11, v14, v13
	s_delay_alu instid0(VALU_DEP_1) | instskip(NEXT) | instid1(VALU_DEP_1)
	v_div_fmas_f32 v11, v11, v12, v14
	v_div_fixup_f32 v1, v11, v1, v10
	s_delay_alu instid0(VALU_DEP_1)
	v_cvt_f16_f32_e32 v1, v1
.LBB81_3:
	s_or_b32 exec_lo, exec_lo, s3
	v_dual_lshrrev_b32 v5, 16, v5 :: v_dual_lshrrev_b32 v4, 16, v4
	s_mov_b32 s3, exec_lo
	s_delay_alu instid0(VALU_DEP_1) | instskip(NEXT) | instid1(VALU_DEP_1)
	v_cvt_f32_f16_e32 v5, v5
	v_mul_f32_e32 v5, s9, v5
	s_delay_alu instid0(VALU_DEP_1)
	v_cmpx_nlt_f32_e32 s10, v5
	s_cbranch_execz .LBB81_5
; %bb.4:
	v_mul_f32_e32 v10, 0x3fb8aa3b, v5
	v_cvt_f32_f16_e32 v4, v4
	v_cmp_ngt_f32_e32 vcc_lo, 0xc2ce8ed0, v5
	s_delay_alu instid0(VALU_DEP_3) | instskip(SKIP_1) | instid1(VALU_DEP_2)
	v_rndne_f32_e32 v11, v10
	v_fma_f32 v12, 0x3fb8aa3b, v5, -v10
	v_sub_f32_e32 v10, v10, v11
	s_delay_alu instid0(VALU_DEP_2) | instskip(SKIP_1) | instid1(VALU_DEP_2)
	v_fmamk_f32 v12, v5, 0x32a5705f, v12
	v_cvt_i32_f32_e32 v11, v11
	v_add_f32_e32 v10, v10, v12
	s_delay_alu instid0(VALU_DEP_1) | instskip(SKIP_1) | instid1(TRANS32_DEP_1)
	v_exp_f32_e32 v10, v10
	v_nop
	v_ldexp_f32 v10, v10, v11
	s_delay_alu instid0(VALU_DEP_1) | instskip(SKIP_1) | instid1(VALU_DEP_2)
	v_cndmask_b32_e32 v10, 0, v10, vcc_lo
	v_cmp_nlt_f32_e32 vcc_lo, 0x42b17218, v5
	v_cndmask_b32_e32 v5, 0x7f800000, v10, vcc_lo
	s_delay_alu instid0(VALU_DEP_1) | instskip(NEXT) | instid1(VALU_DEP_1)
	v_dual_mul_f32 v4, v5, v4 :: v_dual_add_f32 v5, 1.0, v5
	v_div_scale_f32 v10, null, v5, v5, v4
	s_delay_alu instid0(VALU_DEP_1) | instskip(SKIP_1) | instid1(TRANS32_DEP_1)
	v_rcp_f32_e32 v11, v10
	v_nop
	v_fma_f32 v12, -v10, v11, 1.0
	s_delay_alu instid0(VALU_DEP_1) | instskip(SKIP_1) | instid1(VALU_DEP_1)
	v_fmac_f32_e32 v11, v12, v11
	v_div_scale_f32 v12, vcc_lo, v4, v5, v4
	v_mul_f32_e32 v13, v12, v11
	s_delay_alu instid0(VALU_DEP_1) | instskip(NEXT) | instid1(VALU_DEP_1)
	v_fma_f32 v14, -v10, v13, v12
	v_fmac_f32_e32 v13, v14, v11
	s_delay_alu instid0(VALU_DEP_1) | instskip(NEXT) | instid1(VALU_DEP_1)
	v_fma_f32 v10, -v10, v13, v12
	v_div_fmas_f32 v10, v10, v11, v13
	s_delay_alu instid0(VALU_DEP_1) | instskip(NEXT) | instid1(VALU_DEP_1)
	v_div_fixup_f32 v4, v10, v5, v4
	v_cvt_f16_f32_e32 v4, v4
.LBB81_5:
	s_or_b32 exec_lo, exec_lo, s3
	s_wait_loadcnt 0x2
	v_cvt_f32_f16_e32 v5, v9
	s_mov_b32 s3, exec_lo
	s_delay_alu instid0(VALU_DEP_1) | instskip(NEXT) | instid1(VALU_DEP_1)
	v_dual_mul_f32 v10, s9, v5 :: v_dual_mov_b32 v5, v8
	v_cmpx_nlt_f32_e32 s10, v10
	s_cbranch_execz .LBB81_7
; %bb.6:
	v_mul_f32_e32 v5, 0x3fb8aa3b, v10
	v_cmp_ngt_f32_e32 vcc_lo, 0xc2ce8ed0, v10
	s_delay_alu instid0(VALU_DEP_2) | instskip(SKIP_1) | instid1(VALU_DEP_1)
	v_rndne_f32_e32 v11, v5
	v_fma_f32 v12, 0x3fb8aa3b, v10, -v5
	v_dual_sub_f32 v5, v5, v11 :: v_dual_fmamk_f32 v12, v10, 0x32a5705f, v12
	v_cvt_i32_f32_e32 v11, v11
	s_delay_alu instid0(VALU_DEP_2) | instskip(NEXT) | instid1(VALU_DEP_1)
	v_add_f32_e32 v5, v5, v12
	v_exp_f32_e32 v5, v5
	v_nop
	s_delay_alu instid0(TRANS32_DEP_1) | instskip(SKIP_1) | instid1(VALU_DEP_2)
	v_ldexp_f32 v5, v5, v11
	v_cvt_f32_f16_e32 v11, v8
	v_cndmask_b32_e32 v5, 0, v5, vcc_lo
	v_cmp_nlt_f32_e32 vcc_lo, 0x42b17218, v10
	s_delay_alu instid0(VALU_DEP_2) | instskip(NEXT) | instid1(VALU_DEP_1)
	v_cndmask_b32_e32 v5, 0x7f800000, v5, vcc_lo
	v_dual_mul_f32 v10, v5, v11 :: v_dual_add_f32 v5, 1.0, v5
	s_delay_alu instid0(VALU_DEP_1) | instskip(NEXT) | instid1(VALU_DEP_1)
	v_div_scale_f32 v11, null, v5, v5, v10
	v_rcp_f32_e32 v12, v11
	v_nop
	s_delay_alu instid0(TRANS32_DEP_1) | instskip(NEXT) | instid1(VALU_DEP_1)
	v_fma_f32 v13, -v11, v12, 1.0
	v_fmac_f32_e32 v12, v13, v12
	v_div_scale_f32 v13, vcc_lo, v10, v5, v10
	s_delay_alu instid0(VALU_DEP_1) | instskip(NEXT) | instid1(VALU_DEP_1)
	v_mul_f32_e32 v14, v13, v12
	v_fma_f32 v15, -v11, v14, v13
	s_delay_alu instid0(VALU_DEP_1) | instskip(NEXT) | instid1(VALU_DEP_1)
	v_fmac_f32_e32 v14, v15, v12
	v_fma_f32 v11, -v11, v14, v13
	s_delay_alu instid0(VALU_DEP_1) | instskip(NEXT) | instid1(VALU_DEP_1)
	v_div_fmas_f32 v11, v11, v12, v14
	v_div_fixup_f32 v5, v11, v5, v10
	s_delay_alu instid0(VALU_DEP_1)
	v_cvt_f16_f32_e32 v5, v5
.LBB81_7:
	s_or_b32 exec_lo, exec_lo, s3
	v_dual_lshrrev_b32 v9, 16, v9 :: v_dual_lshrrev_b32 v8, 16, v8
	s_mov_b32 s3, exec_lo
	s_delay_alu instid0(VALU_DEP_1) | instskip(NEXT) | instid1(VALU_DEP_1)
	v_cvt_f32_f16_e32 v9, v9
	v_mul_f32_e32 v9, s9, v9
	s_delay_alu instid0(VALU_DEP_1)
	v_cmpx_nlt_f32_e32 s10, v9
	s_cbranch_execz .LBB81_9
; %bb.8:
	v_mul_f32_e32 v10, 0x3fb8aa3b, v9
	v_cvt_f32_f16_e32 v8, v8
	v_cmp_ngt_f32_e32 vcc_lo, 0xc2ce8ed0, v9
	s_delay_alu instid0(VALU_DEP_3) | instskip(SKIP_1) | instid1(VALU_DEP_2)
	v_rndne_f32_e32 v11, v10
	v_fma_f32 v12, 0x3fb8aa3b, v9, -v10
	v_sub_f32_e32 v10, v10, v11
	s_delay_alu instid0(VALU_DEP_2) | instskip(SKIP_1) | instid1(VALU_DEP_2)
	v_fmamk_f32 v12, v9, 0x32a5705f, v12
	v_cvt_i32_f32_e32 v11, v11
	v_add_f32_e32 v10, v10, v12
	s_delay_alu instid0(VALU_DEP_1) | instskip(SKIP_1) | instid1(TRANS32_DEP_1)
	v_exp_f32_e32 v10, v10
	v_nop
	v_ldexp_f32 v10, v10, v11
	s_delay_alu instid0(VALU_DEP_1) | instskip(SKIP_1) | instid1(VALU_DEP_2)
	v_cndmask_b32_e32 v10, 0, v10, vcc_lo
	v_cmp_nlt_f32_e32 vcc_lo, 0x42b17218, v9
	v_cndmask_b32_e32 v9, 0x7f800000, v10, vcc_lo
	s_delay_alu instid0(VALU_DEP_1) | instskip(NEXT) | instid1(VALU_DEP_1)
	v_dual_mul_f32 v8, v9, v8 :: v_dual_add_f32 v9, 1.0, v9
	v_div_scale_f32 v10, null, v9, v9, v8
	s_delay_alu instid0(VALU_DEP_1) | instskip(SKIP_1) | instid1(TRANS32_DEP_1)
	v_rcp_f32_e32 v11, v10
	v_nop
	v_fma_f32 v12, -v10, v11, 1.0
	s_delay_alu instid0(VALU_DEP_1) | instskip(SKIP_1) | instid1(VALU_DEP_1)
	v_fmac_f32_e32 v11, v12, v11
	v_div_scale_f32 v12, vcc_lo, v8, v9, v8
	v_mul_f32_e32 v13, v12, v11
	s_delay_alu instid0(VALU_DEP_1) | instskip(NEXT) | instid1(VALU_DEP_1)
	v_fma_f32 v14, -v10, v13, v12
	v_fmac_f32_e32 v13, v14, v11
	s_delay_alu instid0(VALU_DEP_1) | instskip(NEXT) | instid1(VALU_DEP_1)
	v_fma_f32 v10, -v10, v13, v12
	v_div_fmas_f32 v10, v10, v11, v13
	s_delay_alu instid0(VALU_DEP_1) | instskip(NEXT) | instid1(VALU_DEP_1)
	v_div_fixup_f32 v8, v10, v9, v8
	v_cvt_f16_f32_e32 v8, v8
.LBB81_9:
	s_or_b32 exec_lo, exec_lo, s3
	s_wait_loadcnt 0x1
	v_cvt_f32_f16_e32 v9, v7
	s_mov_b32 s3, exec_lo
	s_delay_alu instid0(VALU_DEP_1) | instskip(NEXT) | instid1(VALU_DEP_1)
	v_dual_mul_f32 v10, s9, v9 :: v_dual_mov_b32 v9, v6
	v_cmpx_nlt_f32_e32 s10, v10
	s_cbranch_execz .LBB81_11
; %bb.10:
	v_mul_f32_e32 v9, 0x3fb8aa3b, v10
	v_cmp_ngt_f32_e32 vcc_lo, 0xc2ce8ed0, v10
	s_delay_alu instid0(VALU_DEP_2) | instskip(SKIP_1) | instid1(VALU_DEP_1)
	v_rndne_f32_e32 v11, v9
	v_fma_f32 v12, 0x3fb8aa3b, v10, -v9
	v_dual_sub_f32 v9, v9, v11 :: v_dual_fmamk_f32 v12, v10, 0x32a5705f, v12
	v_cvt_i32_f32_e32 v11, v11
	s_delay_alu instid0(VALU_DEP_2) | instskip(NEXT) | instid1(VALU_DEP_1)
	v_add_f32_e32 v9, v9, v12
	v_exp_f32_e32 v9, v9
	v_nop
	s_delay_alu instid0(TRANS32_DEP_1) | instskip(SKIP_1) | instid1(VALU_DEP_2)
	v_ldexp_f32 v9, v9, v11
	v_cvt_f32_f16_e32 v11, v6
	v_cndmask_b32_e32 v9, 0, v9, vcc_lo
	v_cmp_nlt_f32_e32 vcc_lo, 0x42b17218, v10
	s_delay_alu instid0(VALU_DEP_2) | instskip(NEXT) | instid1(VALU_DEP_1)
	v_cndmask_b32_e32 v9, 0x7f800000, v9, vcc_lo
	v_dual_mul_f32 v10, v9, v11 :: v_dual_add_f32 v9, 1.0, v9
	s_delay_alu instid0(VALU_DEP_1) | instskip(NEXT) | instid1(VALU_DEP_1)
	v_div_scale_f32 v11, null, v9, v9, v10
	v_rcp_f32_e32 v12, v11
	v_nop
	s_delay_alu instid0(TRANS32_DEP_1) | instskip(NEXT) | instid1(VALU_DEP_1)
	v_fma_f32 v13, -v11, v12, 1.0
	v_fmac_f32_e32 v12, v13, v12
	v_div_scale_f32 v13, vcc_lo, v10, v9, v10
	s_delay_alu instid0(VALU_DEP_1) | instskip(NEXT) | instid1(VALU_DEP_1)
	v_mul_f32_e32 v14, v13, v12
	v_fma_f32 v15, -v11, v14, v13
	s_delay_alu instid0(VALU_DEP_1) | instskip(NEXT) | instid1(VALU_DEP_1)
	v_fmac_f32_e32 v14, v15, v12
	v_fma_f32 v11, -v11, v14, v13
	s_delay_alu instid0(VALU_DEP_1) | instskip(NEXT) | instid1(VALU_DEP_1)
	v_div_fmas_f32 v11, v11, v12, v14
	v_div_fixup_f32 v9, v11, v9, v10
	s_delay_alu instid0(VALU_DEP_1)
	v_cvt_f16_f32_e32 v9, v9
.LBB81_11:
	s_or_b32 exec_lo, exec_lo, s3
	v_dual_lshrrev_b32 v7, 16, v7 :: v_dual_lshrrev_b32 v6, 16, v6
	s_mov_b32 s3, exec_lo
	s_delay_alu instid0(VALU_DEP_1) | instskip(NEXT) | instid1(VALU_DEP_1)
	v_cvt_f32_f16_e32 v7, v7
	v_mul_f32_e32 v7, s9, v7
	s_delay_alu instid0(VALU_DEP_1)
	v_cmpx_nlt_f32_e32 s10, v7
	s_cbranch_execz .LBB81_13
; %bb.12:
	v_mul_f32_e32 v10, 0x3fb8aa3b, v7
	v_cvt_f32_f16_e32 v6, v6
	v_cmp_ngt_f32_e32 vcc_lo, 0xc2ce8ed0, v7
	s_delay_alu instid0(VALU_DEP_3) | instskip(SKIP_1) | instid1(VALU_DEP_2)
	v_rndne_f32_e32 v11, v10
	v_fma_f32 v12, 0x3fb8aa3b, v7, -v10
	v_sub_f32_e32 v10, v10, v11
	s_delay_alu instid0(VALU_DEP_2) | instskip(SKIP_1) | instid1(VALU_DEP_2)
	v_fmamk_f32 v12, v7, 0x32a5705f, v12
	v_cvt_i32_f32_e32 v11, v11
	v_add_f32_e32 v10, v10, v12
	s_delay_alu instid0(VALU_DEP_1) | instskip(SKIP_1) | instid1(TRANS32_DEP_1)
	v_exp_f32_e32 v10, v10
	v_nop
	v_ldexp_f32 v10, v10, v11
	s_delay_alu instid0(VALU_DEP_1) | instskip(SKIP_1) | instid1(VALU_DEP_2)
	v_cndmask_b32_e32 v10, 0, v10, vcc_lo
	v_cmp_nlt_f32_e32 vcc_lo, 0x42b17218, v7
	v_cndmask_b32_e32 v7, 0x7f800000, v10, vcc_lo
	s_delay_alu instid0(VALU_DEP_1) | instskip(NEXT) | instid1(VALU_DEP_1)
	v_dual_mul_f32 v6, v7, v6 :: v_dual_add_f32 v7, 1.0, v7
	v_div_scale_f32 v10, null, v7, v7, v6
	s_delay_alu instid0(VALU_DEP_1) | instskip(SKIP_1) | instid1(TRANS32_DEP_1)
	v_rcp_f32_e32 v11, v10
	v_nop
	v_fma_f32 v12, -v10, v11, 1.0
	s_delay_alu instid0(VALU_DEP_1) | instskip(SKIP_1) | instid1(VALU_DEP_1)
	v_fmac_f32_e32 v11, v12, v11
	v_div_scale_f32 v12, vcc_lo, v6, v7, v6
	v_mul_f32_e32 v13, v12, v11
	s_delay_alu instid0(VALU_DEP_1) | instskip(NEXT) | instid1(VALU_DEP_1)
	v_fma_f32 v14, -v10, v13, v12
	v_fmac_f32_e32 v13, v14, v11
	s_delay_alu instid0(VALU_DEP_1) | instskip(NEXT) | instid1(VALU_DEP_1)
	v_fma_f32 v10, -v10, v13, v12
	v_div_fmas_f32 v10, v10, v11, v13
	s_delay_alu instid0(VALU_DEP_1) | instskip(NEXT) | instid1(VALU_DEP_1)
	v_div_fixup_f32 v6, v10, v7, v6
	v_cvt_f16_f32_e32 v6, v6
.LBB81_13:
	s_or_b32 exec_lo, exec_lo, s3
	s_wait_loadcnt 0x0
	v_cvt_f32_f16_e32 v7, v3
	s_mov_b32 s3, exec_lo
	s_delay_alu instid0(VALU_DEP_1) | instskip(NEXT) | instid1(VALU_DEP_1)
	v_dual_mul_f32 v10, s9, v7 :: v_dual_mov_b32 v7, v2
	v_cmpx_nlt_f32_e32 s10, v10
	s_cbranch_execz .LBB81_15
; %bb.14:
	v_mul_f32_e32 v7, 0x3fb8aa3b, v10
	v_cmp_ngt_f32_e32 vcc_lo, 0xc2ce8ed0, v10
	s_delay_alu instid0(VALU_DEP_2) | instskip(SKIP_1) | instid1(VALU_DEP_1)
	v_rndne_f32_e32 v11, v7
	v_fma_f32 v12, 0x3fb8aa3b, v10, -v7
	v_dual_sub_f32 v7, v7, v11 :: v_dual_fmamk_f32 v12, v10, 0x32a5705f, v12
	v_cvt_i32_f32_e32 v11, v11
	s_delay_alu instid0(VALU_DEP_2) | instskip(NEXT) | instid1(VALU_DEP_1)
	v_add_f32_e32 v7, v7, v12
	v_exp_f32_e32 v7, v7
	v_nop
	s_delay_alu instid0(TRANS32_DEP_1) | instskip(SKIP_1) | instid1(VALU_DEP_2)
	v_ldexp_f32 v7, v7, v11
	v_cvt_f32_f16_e32 v11, v2
	v_cndmask_b32_e32 v7, 0, v7, vcc_lo
	v_cmp_nlt_f32_e32 vcc_lo, 0x42b17218, v10
	s_delay_alu instid0(VALU_DEP_2) | instskip(NEXT) | instid1(VALU_DEP_1)
	v_cndmask_b32_e32 v7, 0x7f800000, v7, vcc_lo
	v_mul_f32_e32 v10, v7, v11
	v_add_f32_e32 v7, 1.0, v7
	s_delay_alu instid0(VALU_DEP_1) | instskip(NEXT) | instid1(VALU_DEP_1)
	v_div_scale_f32 v11, null, v7, v7, v10
	v_rcp_f32_e32 v12, v11
	v_nop
	s_delay_alu instid0(TRANS32_DEP_1) | instskip(NEXT) | instid1(VALU_DEP_1)
	v_fma_f32 v13, -v11, v12, 1.0
	v_fmac_f32_e32 v12, v13, v12
	v_div_scale_f32 v13, vcc_lo, v10, v7, v10
	s_delay_alu instid0(VALU_DEP_1) | instskip(NEXT) | instid1(VALU_DEP_1)
	v_mul_f32_e32 v14, v13, v12
	v_fma_f32 v15, -v11, v14, v13
	s_delay_alu instid0(VALU_DEP_1) | instskip(NEXT) | instid1(VALU_DEP_1)
	v_fmac_f32_e32 v14, v15, v12
	v_fma_f32 v11, -v11, v14, v13
	s_delay_alu instid0(VALU_DEP_1) | instskip(NEXT) | instid1(VALU_DEP_1)
	v_div_fmas_f32 v11, v11, v12, v14
	v_div_fixup_f32 v7, v11, v7, v10
	s_delay_alu instid0(VALU_DEP_1)
	v_cvt_f16_f32_e32 v7, v7
.LBB81_15:
	s_or_b32 exec_lo, exec_lo, s3
	v_dual_lshrrev_b32 v3, 16, v3 :: v_dual_lshrrev_b32 v2, 16, v2
	s_mov_b32 s3, exec_lo
	s_delay_alu instid0(VALU_DEP_1) | instskip(NEXT) | instid1(VALU_DEP_1)
	v_cvt_f32_f16_e32 v3, v3
	v_mul_f32_e32 v3, s9, v3
	s_delay_alu instid0(VALU_DEP_1)
	v_cmpx_nlt_f32_e32 s10, v3
	s_cbranch_execz .LBB81_17
; %bb.16:
	v_mul_f32_e32 v10, 0x3fb8aa3b, v3
	v_cvt_f32_f16_e32 v2, v2
	v_cmp_ngt_f32_e32 vcc_lo, 0xc2ce8ed0, v3
	s_delay_alu instid0(VALU_DEP_3) | instskip(SKIP_1) | instid1(VALU_DEP_2)
	v_rndne_f32_e32 v11, v10
	v_fma_f32 v12, 0x3fb8aa3b, v3, -v10
	v_sub_f32_e32 v10, v10, v11
	s_delay_alu instid0(VALU_DEP_2) | instskip(SKIP_1) | instid1(VALU_DEP_2)
	v_fmamk_f32 v12, v3, 0x32a5705f, v12
	v_cvt_i32_f32_e32 v11, v11
	v_add_f32_e32 v10, v10, v12
	s_delay_alu instid0(VALU_DEP_1) | instskip(SKIP_1) | instid1(TRANS32_DEP_1)
	v_exp_f32_e32 v10, v10
	v_nop
	v_ldexp_f32 v10, v10, v11
	s_delay_alu instid0(VALU_DEP_1) | instskip(SKIP_1) | instid1(VALU_DEP_2)
	v_cndmask_b32_e32 v10, 0, v10, vcc_lo
	v_cmp_nlt_f32_e32 vcc_lo, 0x42b17218, v3
	v_cndmask_b32_e32 v3, 0x7f800000, v10, vcc_lo
	s_delay_alu instid0(VALU_DEP_1) | instskip(NEXT) | instid1(VALU_DEP_1)
	v_dual_mul_f32 v2, v3, v2 :: v_dual_add_f32 v3, 1.0, v3
	v_div_scale_f32 v10, null, v3, v3, v2
	s_delay_alu instid0(VALU_DEP_1) | instskip(SKIP_1) | instid1(TRANS32_DEP_1)
	v_rcp_f32_e32 v11, v10
	v_nop
	v_fma_f32 v12, -v10, v11, 1.0
	s_delay_alu instid0(VALU_DEP_1) | instskip(SKIP_1) | instid1(VALU_DEP_1)
	v_fmac_f32_e32 v11, v12, v11
	v_div_scale_f32 v12, vcc_lo, v2, v3, v2
	v_mul_f32_e32 v13, v12, v11
	s_delay_alu instid0(VALU_DEP_1) | instskip(NEXT) | instid1(VALU_DEP_1)
	v_fma_f32 v14, -v10, v13, v12
	v_fmac_f32_e32 v13, v14, v11
	s_delay_alu instid0(VALU_DEP_1) | instskip(NEXT) | instid1(VALU_DEP_1)
	v_fma_f32 v10, -v10, v13, v12
	v_div_fmas_f32 v10, v10, v11, v13
	s_delay_alu instid0(VALU_DEP_1) | instskip(NEXT) | instid1(VALU_DEP_1)
	v_div_fixup_f32 v2, v10, v3, v2
	v_cvt_f16_f32_e32 v2, v2
.LBB81_17:
	s_or_b32 exec_lo, exec_lo, s3
	v_dual_lshlrev_b32 v6, 16, v6 :: v_dual_lshlrev_b32 v4, 16, v4
	v_and_b32_e32 v1, 0xffff, v1
	v_and_b32_e32 v5, 0xffff, v5
	v_dual_lshlrev_b32 v8, 16, v8 :: v_dual_lshlrev_b32 v2, 16, v2
	v_and_b32_e32 v3, 0xffff, v7
	v_and_b32_e32 v7, 0xffff, v9
	v_or_b32_e32 v1, v4, v1
	s_delay_alu instid0(VALU_DEP_4)
	v_or_b32_e32 v4, v8, v5
	s_add_nc_u64 s[14:15], s[4:5], s[0:1]
	v_or_b32_e32 v2, v2, v3
	v_or_b32_e32 v6, v6, v7
	s_mov_b32 s0, 0
	s_clause 0x3
	global_store_b32 v0, v1, s[14:15] scale_offset
	global_store_b32 v0, v4, s[14:15] offset:1024 scale_offset
	global_store_b32 v0, v6, s[14:15] offset:2048 scale_offset
	global_store_b32 v0, v2, s[14:15] offset:3072 scale_offset
.LBB81_18:
	s_and_b32 vcc_lo, exec_lo, s0
	s_cbranch_vccz .LBB81_73
; %bb.19:
	v_cmp_gt_i32_e64 s0, s8, v0
	v_dual_mov_b32 v18, 0 :: v_dual_mov_b32 v3, 0
	s_wait_xcnt 0x2
	v_dual_mov_b32 v4, 0 :: v_dual_bitop2_b32 v1, s2, v0 bitop3:0x54
	s_wait_xcnt 0x0
	v_or_b32_e32 v2, 0x100, v0
	v_mov_b32_e32 v19, v0
	s_and_saveexec_b32 s1, s0
	s_cbranch_execz .LBB81_21
; %bb.20:
	s_clause 0x1
	global_load_u16 v5, v1, s[12:13] scale_offset
	global_load_u16 v4, v1, s[6:7] scale_offset
	v_or_b32_e32 v19, 0x100, v0
	s_wait_loadcnt 0x1
	v_cvt_f32_f16_e32 v18, v5
.LBB81_21:
	s_wait_xcnt 0x0
	s_or_b32 exec_lo, exec_lo, s1
	v_mov_b32_e32 v17, 0
	s_mov_b32 s1, exec_lo
	v_cmpx_gt_i32_e64 s8, v19
	s_cbranch_execz .LBB81_23
; %bb.22:
	v_add_nc_u32_e32 v5, s2, v19
	v_add_nc_u32_e32 v19, 0x100, v19
	s_clause 0x1
	global_load_u16 v6, v5, s[12:13] scale_offset
	global_load_u16 v3, v5, s[6:7] scale_offset
	s_wait_loadcnt 0x1
	v_cvt_f32_f16_e32 v17, v6
.LBB81_23:
	s_wait_xcnt 0x0
	s_or_b32 exec_lo, exec_lo, s1
	v_dual_mov_b32 v16, 0 :: v_dual_mov_b32 v5, 0
	v_mov_b32_e32 v6, 0
	s_mov_b32 s1, exec_lo
	v_cmpx_gt_i32_e64 s8, v19
	s_cbranch_execz .LBB81_25
; %bb.24:
	v_add_nc_u32_e32 v7, s2, v19
	v_add_nc_u32_e32 v19, 0x100, v19
	s_clause 0x1
	global_load_u16 v8, v7, s[12:13] scale_offset
	global_load_u16 v6, v7, s[6:7] scale_offset
	s_wait_loadcnt 0x1
	v_cvt_f32_f16_e32 v16, v8
.LBB81_25:
	s_wait_xcnt 0x0
	s_or_b32 exec_lo, exec_lo, s1
	v_mov_b32_e32 v15, 0
	s_mov_b32 s1, exec_lo
	v_cmpx_gt_i32_e64 s8, v19
	s_cbranch_execz .LBB81_27
; %bb.26:
	v_add_nc_u32_e32 v7, s2, v19
	v_add_nc_u32_e32 v19, 0x100, v19
	s_clause 0x1
	global_load_u16 v8, v7, s[12:13] scale_offset
	global_load_u16 v5, v7, s[6:7] scale_offset
	s_wait_loadcnt 0x1
	v_cvt_f32_f16_e32 v15, v8
.LBB81_27:
	s_wait_xcnt 0x0
	s_or_b32 exec_lo, exec_lo, s1
	v_dual_mov_b32 v14, 0 :: v_dual_mov_b32 v7, 0
	v_mov_b32_e32 v8, 0
	s_mov_b32 s1, exec_lo
	v_cmpx_gt_i32_e64 s8, v19
	s_cbranch_execz .LBB81_29
; %bb.28:
	v_add_nc_u32_e32 v9, s2, v19
	v_add_nc_u32_e32 v19, 0x100, v19
	s_clause 0x1
	global_load_u16 v10, v9, s[12:13] scale_offset
	global_load_u16 v8, v9, s[6:7] scale_offset
	s_wait_loadcnt 0x1
	v_cvt_f32_f16_e32 v14, v10
.LBB81_29:
	;; [unrolled: 31-line block ×3, first 2 shown]
	s_wait_xcnt 0x0
	s_or_b32 exec_lo, exec_lo, s1
	v_mov_b32_e32 v11, 0
	s_mov_b32 s1, exec_lo
	v_cmpx_gt_i32_e64 s8, v19
	s_cbranch_execnz .LBB81_36
; %bb.34:
	s_or_b32 exec_lo, exec_lo, s1
	s_and_saveexec_b32 s1, s0
	s_cbranch_execnz .LBB81_37
.LBB81_35:
	s_or_b32 exec_lo, exec_lo, s1
	s_delay_alu instid0(SALU_CYCLE_1)
	s_mov_b32 s1, exec_lo
	v_cmpx_gt_i32_e64 s8, v2
	s_cbranch_execnz .LBB81_40
	s_branch .LBB81_43
.LBB81_36:
	v_add_nc_u32_e32 v11, s2, v19
	s_clause 0x1
	global_load_u16 v19, v11, s[12:13] scale_offset
	global_load_u16 v9, v11, s[6:7] scale_offset
	s_wait_loadcnt 0x1
	s_wait_xcnt 0x0
	v_cvt_f32_f16_e32 v11, v19
	s_or_b32 exec_lo, exec_lo, s1
	s_and_saveexec_b32 s1, s0
	s_cbranch_execz .LBB81_35
.LBB81_37:
	v_mul_f32_e32 v18, s9, v18
	s_mov_b32 s3, exec_lo
	s_delay_alu instid0(VALU_DEP_1)
	v_cmpx_nlt_f32_e32 s10, v18
	s_cbranch_execz .LBB81_39
; %bb.38:
	s_wait_loadcnt 0x0
	v_cvt_f32_f16_e32 v4, v4
	v_mul_f32_e32 v19, 0x3fb8aa3b, v18
	v_cmp_ngt_f32_e32 vcc_lo, 0xc2ce8ed0, v18
	s_delay_alu instid0(VALU_DEP_2) | instskip(SKIP_1) | instid1(VALU_DEP_2)
	v_rndne_f32_e32 v20, v19
	v_fma_f32 v21, 0x3fb8aa3b, v18, -v19
	v_sub_f32_e32 v19, v19, v20
	s_delay_alu instid0(VALU_DEP_2) | instskip(SKIP_1) | instid1(VALU_DEP_2)
	v_fmamk_f32 v21, v18, 0x32a5705f, v21
	v_cvt_i32_f32_e32 v20, v20
	v_add_f32_e32 v19, v19, v21
	s_delay_alu instid0(VALU_DEP_1) | instskip(SKIP_1) | instid1(TRANS32_DEP_1)
	v_exp_f32_e32 v19, v19
	v_nop
	v_ldexp_f32 v19, v19, v20
	s_delay_alu instid0(VALU_DEP_1) | instskip(SKIP_1) | instid1(VALU_DEP_2)
	v_cndmask_b32_e32 v19, 0, v19, vcc_lo
	v_cmp_nlt_f32_e32 vcc_lo, 0x42b17218, v18
	v_cndmask_b32_e32 v18, 0x7f800000, v19, vcc_lo
	s_delay_alu instid0(VALU_DEP_1) | instskip(NEXT) | instid1(VALU_DEP_1)
	v_dual_mul_f32 v4, v18, v4 :: v_dual_add_f32 v18, 1.0, v18
	v_div_scale_f32 v19, null, v18, v18, v4
	s_delay_alu instid0(VALU_DEP_1) | instskip(SKIP_1) | instid1(TRANS32_DEP_1)
	v_rcp_f32_e32 v20, v19
	v_nop
	v_fma_f32 v21, -v19, v20, 1.0
	s_delay_alu instid0(VALU_DEP_1) | instskip(SKIP_1) | instid1(VALU_DEP_1)
	v_fmac_f32_e32 v20, v21, v20
	v_div_scale_f32 v21, vcc_lo, v4, v18, v4
	v_mul_f32_e32 v22, v21, v20
	s_delay_alu instid0(VALU_DEP_1) | instskip(NEXT) | instid1(VALU_DEP_1)
	v_fma_f32 v23, -v19, v22, v21
	v_fmac_f32_e32 v22, v23, v20
	s_delay_alu instid0(VALU_DEP_1) | instskip(NEXT) | instid1(VALU_DEP_1)
	v_fma_f32 v19, -v19, v22, v21
	v_div_fmas_f32 v19, v19, v20, v22
	s_delay_alu instid0(VALU_DEP_1) | instskip(NEXT) | instid1(VALU_DEP_1)
	v_div_fixup_f32 v4, v19, v18, v4
	v_cvt_f16_f32_e32 v4, v4
.LBB81_39:
	s_or_b32 exec_lo, exec_lo, s3
	s_delay_alu instid0(SALU_CYCLE_1) | instskip(NEXT) | instid1(SALU_CYCLE_1)
	s_or_b32 exec_lo, exec_lo, s1
	s_mov_b32 s1, exec_lo
	v_cmpx_gt_i32_e64 s8, v2
	s_cbranch_execz .LBB81_43
.LBB81_40:
	v_mul_f32_e32 v17, s9, v17
	s_mov_b32 s3, exec_lo
	s_delay_alu instid0(VALU_DEP_1)
	v_cmpx_nlt_f32_e32 s10, v17
	s_cbranch_execz .LBB81_42
; %bb.41:
	s_wait_loadcnt 0x0
	v_cvt_f32_f16_e32 v3, v3
	v_mul_f32_e32 v18, 0x3fb8aa3b, v17
	v_cmp_ngt_f32_e32 vcc_lo, 0xc2ce8ed0, v17
	s_delay_alu instid0(VALU_DEP_2) | instskip(SKIP_1) | instid1(VALU_DEP_2)
	v_rndne_f32_e32 v19, v18
	v_fma_f32 v20, 0x3fb8aa3b, v17, -v18
	v_sub_f32_e32 v18, v18, v19
	s_delay_alu instid0(VALU_DEP_2) | instskip(SKIP_1) | instid1(VALU_DEP_2)
	v_fmamk_f32 v20, v17, 0x32a5705f, v20
	v_cvt_i32_f32_e32 v19, v19
	v_add_f32_e32 v18, v18, v20
	s_delay_alu instid0(VALU_DEP_1) | instskip(SKIP_1) | instid1(TRANS32_DEP_1)
	v_exp_f32_e32 v18, v18
	v_nop
	v_ldexp_f32 v18, v18, v19
	s_delay_alu instid0(VALU_DEP_1) | instskip(SKIP_1) | instid1(VALU_DEP_2)
	v_cndmask_b32_e32 v18, 0, v18, vcc_lo
	v_cmp_nlt_f32_e32 vcc_lo, 0x42b17218, v17
	v_cndmask_b32_e32 v17, 0x7f800000, v18, vcc_lo
	s_delay_alu instid0(VALU_DEP_1) | instskip(NEXT) | instid1(VALU_DEP_1)
	v_dual_mul_f32 v3, v17, v3 :: v_dual_add_f32 v17, 1.0, v17
	v_div_scale_f32 v18, null, v17, v17, v3
	s_delay_alu instid0(VALU_DEP_1) | instskip(SKIP_1) | instid1(TRANS32_DEP_1)
	v_rcp_f32_e32 v19, v18
	v_nop
	v_fma_f32 v20, -v18, v19, 1.0
	s_delay_alu instid0(VALU_DEP_1) | instskip(SKIP_1) | instid1(VALU_DEP_1)
	v_fmac_f32_e32 v19, v20, v19
	v_div_scale_f32 v20, vcc_lo, v3, v17, v3
	v_mul_f32_e32 v21, v20, v19
	s_delay_alu instid0(VALU_DEP_1) | instskip(NEXT) | instid1(VALU_DEP_1)
	v_fma_f32 v22, -v18, v21, v20
	v_fmac_f32_e32 v21, v22, v19
	s_delay_alu instid0(VALU_DEP_1) | instskip(NEXT) | instid1(VALU_DEP_1)
	v_fma_f32 v18, -v18, v21, v20
	v_div_fmas_f32 v18, v18, v19, v21
	s_delay_alu instid0(VALU_DEP_1) | instskip(NEXT) | instid1(VALU_DEP_1)
	v_div_fixup_f32 v3, v18, v17, v3
	v_cvt_f16_f32_e32 v3, v3
.LBB81_42:
	s_or_b32 exec_lo, exec_lo, s3
.LBB81_43:
	s_delay_alu instid0(SALU_CYCLE_1) | instskip(SKIP_2) | instid1(VALU_DEP_1)
	s_or_b32 exec_lo, exec_lo, s1
	v_or_b32_e32 v17, 0x200, v0
	s_mov_b32 s1, exec_lo
	v_cmpx_gt_i32_e64 s8, v17
	s_cbranch_execz .LBB81_47
; %bb.44:
	v_mul_f32_e32 v16, s9, v16
	s_mov_b32 s3, exec_lo
	s_delay_alu instid0(VALU_DEP_1)
	v_cmpx_nlt_f32_e32 s10, v16
	s_cbranch_execz .LBB81_46
; %bb.45:
	s_wait_loadcnt 0x0
	v_cvt_f32_f16_e32 v6, v6
	v_mul_f32_e32 v17, 0x3fb8aa3b, v16
	v_cmp_ngt_f32_e32 vcc_lo, 0xc2ce8ed0, v16
	s_delay_alu instid0(VALU_DEP_2) | instskip(SKIP_1) | instid1(VALU_DEP_2)
	v_rndne_f32_e32 v18, v17
	v_fma_f32 v19, 0x3fb8aa3b, v16, -v17
	v_sub_f32_e32 v17, v17, v18
	s_delay_alu instid0(VALU_DEP_2) | instskip(SKIP_1) | instid1(VALU_DEP_2)
	v_fmamk_f32 v19, v16, 0x32a5705f, v19
	v_cvt_i32_f32_e32 v18, v18
	v_add_f32_e32 v17, v17, v19
	s_delay_alu instid0(VALU_DEP_1) | instskip(SKIP_1) | instid1(TRANS32_DEP_1)
	v_exp_f32_e32 v17, v17
	v_nop
	v_ldexp_f32 v17, v17, v18
	s_delay_alu instid0(VALU_DEP_1) | instskip(SKIP_1) | instid1(VALU_DEP_2)
	v_cndmask_b32_e32 v17, 0, v17, vcc_lo
	v_cmp_nlt_f32_e32 vcc_lo, 0x42b17218, v16
	v_cndmask_b32_e32 v16, 0x7f800000, v17, vcc_lo
	s_delay_alu instid0(VALU_DEP_1) | instskip(NEXT) | instid1(VALU_DEP_1)
	v_dual_mul_f32 v6, v16, v6 :: v_dual_add_f32 v16, 1.0, v16
	v_div_scale_f32 v17, null, v16, v16, v6
	s_delay_alu instid0(VALU_DEP_1) | instskip(SKIP_1) | instid1(TRANS32_DEP_1)
	v_rcp_f32_e32 v18, v17
	v_nop
	v_fma_f32 v19, -v17, v18, 1.0
	s_delay_alu instid0(VALU_DEP_1) | instskip(SKIP_1) | instid1(VALU_DEP_1)
	v_fmac_f32_e32 v18, v19, v18
	v_div_scale_f32 v19, vcc_lo, v6, v16, v6
	v_mul_f32_e32 v20, v19, v18
	s_delay_alu instid0(VALU_DEP_1) | instskip(NEXT) | instid1(VALU_DEP_1)
	v_fma_f32 v21, -v17, v20, v19
	v_fmac_f32_e32 v20, v21, v18
	s_delay_alu instid0(VALU_DEP_1) | instskip(NEXT) | instid1(VALU_DEP_1)
	v_fma_f32 v17, -v17, v20, v19
	v_div_fmas_f32 v17, v17, v18, v20
	s_delay_alu instid0(VALU_DEP_1) | instskip(NEXT) | instid1(VALU_DEP_1)
	v_div_fixup_f32 v6, v17, v16, v6
	v_cvt_f16_f32_e32 v6, v6
.LBB81_46:
	s_or_b32 exec_lo, exec_lo, s3
.LBB81_47:
	s_delay_alu instid0(SALU_CYCLE_1) | instskip(SKIP_2) | instid1(VALU_DEP_1)
	s_or_b32 exec_lo, exec_lo, s1
	v_or_b32_e32 v16, 0x300, v0
	s_mov_b32 s1, exec_lo
	v_cmpx_gt_i32_e64 s8, v16
	s_cbranch_execz .LBB81_51
; %bb.48:
	v_mul_f32_e32 v15, s9, v15
	s_mov_b32 s3, exec_lo
	s_delay_alu instid0(VALU_DEP_1)
	v_cmpx_nlt_f32_e32 s10, v15
	s_cbranch_execz .LBB81_50
; %bb.49:
	s_wait_loadcnt 0x0
	v_cvt_f32_f16_e32 v5, v5
	v_mul_f32_e32 v16, 0x3fb8aa3b, v15
	v_cmp_ngt_f32_e32 vcc_lo, 0xc2ce8ed0, v15
	s_delay_alu instid0(VALU_DEP_2) | instskip(SKIP_1) | instid1(VALU_DEP_2)
	v_rndne_f32_e32 v17, v16
	v_fma_f32 v18, 0x3fb8aa3b, v15, -v16
	v_sub_f32_e32 v16, v16, v17
	s_delay_alu instid0(VALU_DEP_2) | instskip(SKIP_1) | instid1(VALU_DEP_2)
	v_fmamk_f32 v18, v15, 0x32a5705f, v18
	v_cvt_i32_f32_e32 v17, v17
	v_add_f32_e32 v16, v16, v18
	s_delay_alu instid0(VALU_DEP_1) | instskip(SKIP_1) | instid1(TRANS32_DEP_1)
	v_exp_f32_e32 v16, v16
	v_nop
	v_ldexp_f32 v16, v16, v17
	s_delay_alu instid0(VALU_DEP_1) | instskip(SKIP_1) | instid1(VALU_DEP_2)
	v_cndmask_b32_e32 v16, 0, v16, vcc_lo
	v_cmp_nlt_f32_e32 vcc_lo, 0x42b17218, v15
	v_cndmask_b32_e32 v15, 0x7f800000, v16, vcc_lo
	s_delay_alu instid0(VALU_DEP_1) | instskip(NEXT) | instid1(VALU_DEP_1)
	v_dual_mul_f32 v5, v15, v5 :: v_dual_add_f32 v15, 1.0, v15
	v_div_scale_f32 v16, null, v15, v15, v5
	s_delay_alu instid0(VALU_DEP_1) | instskip(SKIP_1) | instid1(TRANS32_DEP_1)
	v_rcp_f32_e32 v17, v16
	v_nop
	v_fma_f32 v18, -v16, v17, 1.0
	s_delay_alu instid0(VALU_DEP_1) | instskip(SKIP_1) | instid1(VALU_DEP_1)
	v_fmac_f32_e32 v17, v18, v17
	v_div_scale_f32 v18, vcc_lo, v5, v15, v5
	v_mul_f32_e32 v19, v18, v17
	s_delay_alu instid0(VALU_DEP_1) | instskip(NEXT) | instid1(VALU_DEP_1)
	v_fma_f32 v20, -v16, v19, v18
	v_fmac_f32_e32 v19, v20, v17
	s_delay_alu instid0(VALU_DEP_1) | instskip(NEXT) | instid1(VALU_DEP_1)
	v_fma_f32 v16, -v16, v19, v18
	v_div_fmas_f32 v16, v16, v17, v19
	s_delay_alu instid0(VALU_DEP_1) | instskip(NEXT) | instid1(VALU_DEP_1)
	v_div_fixup_f32 v5, v16, v15, v5
	v_cvt_f16_f32_e32 v5, v5
.LBB81_50:
	s_or_b32 exec_lo, exec_lo, s3
.LBB81_51:
	;; [unrolled: 56-line block ×5, first 2 shown]
	s_delay_alu instid0(SALU_CYCLE_1) | instskip(SKIP_2) | instid1(VALU_DEP_1)
	s_or_b32 exec_lo, exec_lo, s1
	v_or_b32_e32 v12, 0x700, v0
	s_mov_b32 s1, exec_lo
	v_cmpx_gt_i32_e64 s8, v12
	s_cbranch_execnz .LBB81_74
; %bb.64:
	s_or_b32 exec_lo, exec_lo, s1
	s_and_saveexec_b32 s1, s0
	s_delay_alu instid0(SALU_CYCLE_1)
	s_xor_b32 s0, exec_lo, s1
	s_cbranch_execnz .LBB81_77
.LBB81_65:
	s_or_b32 exec_lo, exec_lo, s0
	s_delay_alu instid0(SALU_CYCLE_1)
	s_mov_b32 s0, exec_lo
	v_cmpx_gt_i32_e64 s8, v0
	s_cbranch_execnz .LBB81_78
.LBB81_66:
	s_or_b32 exec_lo, exec_lo, s0
	s_delay_alu instid0(SALU_CYCLE_1)
	s_mov_b32 s0, exec_lo
	v_cmpx_gt_i32_e64 s8, v0
	s_cbranch_execnz .LBB81_79
.LBB81_67:
	s_or_b32 exec_lo, exec_lo, s0
	s_delay_alu instid0(SALU_CYCLE_1)
	s_mov_b32 s0, exec_lo
	v_cmpx_gt_i32_e64 s8, v0
	s_cbranch_execnz .LBB81_80
.LBB81_68:
	s_or_b32 exec_lo, exec_lo, s0
	s_delay_alu instid0(SALU_CYCLE_1)
	s_mov_b32 s0, exec_lo
	v_cmpx_gt_i32_e64 s8, v0
	s_cbranch_execnz .LBB81_81
.LBB81_69:
	s_or_b32 exec_lo, exec_lo, s0
	s_delay_alu instid0(SALU_CYCLE_1)
	s_mov_b32 s0, exec_lo
	v_cmpx_gt_i32_e64 s8, v0
	s_cbranch_execnz .LBB81_82
.LBB81_70:
	s_or_b32 exec_lo, exec_lo, s0
	s_delay_alu instid0(SALU_CYCLE_1)
	s_mov_b32 s0, exec_lo
	v_cmpx_gt_i32_e64 s8, v0
	s_cbranch_execnz .LBB81_83
.LBB81_71:
	s_or_b32 exec_lo, exec_lo, s0
	s_delay_alu instid0(SALU_CYCLE_1)
	s_mov_b32 s0, exec_lo
	v_cmpx_gt_i32_e64 s8, v0
	s_cbranch_execz .LBB81_73
.LBB81_72:
	v_add_nc_u32_e32 v0, s2, v0
	s_wait_loadcnt 0x0
	global_store_b16 v0, v9, s[4:5] scale_offset
.LBB81_73:
	s_endpgm
.LBB81_74:
	v_mul_f32_e32 v11, s9, v11
	s_mov_b32 s3, exec_lo
	s_delay_alu instid0(VALU_DEP_1)
	v_cmpx_nlt_f32_e32 s10, v11
	s_cbranch_execz .LBB81_76
; %bb.75:
	s_wait_loadcnt 0x0
	v_cvt_f32_f16_e32 v9, v9
	v_mul_f32_e32 v12, 0x3fb8aa3b, v11
	v_cmp_ngt_f32_e32 vcc_lo, 0xc2ce8ed0, v11
	s_delay_alu instid0(VALU_DEP_2) | instskip(SKIP_1) | instid1(VALU_DEP_2)
	v_rndne_f32_e32 v13, v12
	v_fma_f32 v14, 0x3fb8aa3b, v11, -v12
	v_sub_f32_e32 v12, v12, v13
	s_delay_alu instid0(VALU_DEP_2) | instskip(SKIP_1) | instid1(VALU_DEP_2)
	v_fmamk_f32 v14, v11, 0x32a5705f, v14
	v_cvt_i32_f32_e32 v13, v13
	v_add_f32_e32 v12, v12, v14
	s_delay_alu instid0(VALU_DEP_1) | instskip(SKIP_1) | instid1(TRANS32_DEP_1)
	v_exp_f32_e32 v12, v12
	v_nop
	v_ldexp_f32 v12, v12, v13
	s_delay_alu instid0(VALU_DEP_1) | instskip(SKIP_1) | instid1(VALU_DEP_2)
	v_cndmask_b32_e32 v12, 0, v12, vcc_lo
	v_cmp_nlt_f32_e32 vcc_lo, 0x42b17218, v11
	v_cndmask_b32_e32 v11, 0x7f800000, v12, vcc_lo
	s_delay_alu instid0(VALU_DEP_1) | instskip(NEXT) | instid1(VALU_DEP_1)
	v_dual_mul_f32 v9, v11, v9 :: v_dual_add_f32 v11, 1.0, v11
	v_div_scale_f32 v12, null, v11, v11, v9
	s_delay_alu instid0(VALU_DEP_1) | instskip(SKIP_1) | instid1(TRANS32_DEP_1)
	v_rcp_f32_e32 v13, v12
	v_nop
	v_fma_f32 v14, -v12, v13, 1.0
	s_delay_alu instid0(VALU_DEP_1) | instskip(SKIP_1) | instid1(VALU_DEP_1)
	v_fmac_f32_e32 v13, v14, v13
	v_div_scale_f32 v14, vcc_lo, v9, v11, v9
	v_mul_f32_e32 v15, v14, v13
	s_delay_alu instid0(VALU_DEP_1) | instskip(NEXT) | instid1(VALU_DEP_1)
	v_fma_f32 v16, -v12, v15, v14
	v_fmac_f32_e32 v15, v16, v13
	s_delay_alu instid0(VALU_DEP_1) | instskip(NEXT) | instid1(VALU_DEP_1)
	v_fma_f32 v12, -v12, v15, v14
	v_div_fmas_f32 v12, v12, v13, v15
	s_delay_alu instid0(VALU_DEP_1) | instskip(NEXT) | instid1(VALU_DEP_1)
	v_div_fixup_f32 v9, v12, v11, v9
	v_cvt_f16_f32_e32 v9, v9
.LBB81_76:
	s_or_b32 exec_lo, exec_lo, s3
	s_delay_alu instid0(SALU_CYCLE_1) | instskip(SKIP_1) | instid1(SALU_CYCLE_1)
	s_or_b32 exec_lo, exec_lo, s1
	s_and_saveexec_b32 s1, s0
	s_xor_b32 s0, exec_lo, s1
	s_cbranch_execz .LBB81_65
.LBB81_77:
	v_mov_b32_e32 v0, v2
	s_wait_loadcnt 0x0
	global_store_b16 v1, v4, s[4:5] scale_offset
	s_wait_xcnt 0x0
	s_or_b32 exec_lo, exec_lo, s0
	s_delay_alu instid0(SALU_CYCLE_1)
	s_mov_b32 s0, exec_lo
	v_cmpx_gt_i32_e64 s8, v0
	s_cbranch_execz .LBB81_66
.LBB81_78:
	v_add_nc_u32_e32 v1, s2, v0
	v_add_nc_u32_e32 v0, 0x100, v0
	s_wait_loadcnt 0x0
	global_store_b16 v1, v3, s[4:5] scale_offset
	s_wait_xcnt 0x0
	s_or_b32 exec_lo, exec_lo, s0
	s_delay_alu instid0(SALU_CYCLE_1)
	s_mov_b32 s0, exec_lo
	v_cmpx_gt_i32_e64 s8, v0
	s_cbranch_execz .LBB81_67
.LBB81_79:
	v_add_nc_u32_e32 v1, s2, v0
	v_add_nc_u32_e32 v0, 0x100, v0
	s_wait_loadcnt 0x0
	global_store_b16 v1, v6, s[4:5] scale_offset
	s_wait_xcnt 0x0
	s_or_b32 exec_lo, exec_lo, s0
	s_delay_alu instid0(SALU_CYCLE_1)
	s_mov_b32 s0, exec_lo
	v_cmpx_gt_i32_e64 s8, v0
	s_cbranch_execz .LBB81_68
.LBB81_80:
	v_add_nc_u32_e32 v1, s2, v0
	v_add_nc_u32_e32 v0, 0x100, v0
	s_wait_loadcnt 0x0
	global_store_b16 v1, v5, s[4:5] scale_offset
	s_wait_xcnt 0x0
	s_or_b32 exec_lo, exec_lo, s0
	s_delay_alu instid0(SALU_CYCLE_1)
	s_mov_b32 s0, exec_lo
	v_cmpx_gt_i32_e64 s8, v0
	s_cbranch_execz .LBB81_69
.LBB81_81:
	v_add_nc_u32_e32 v1, s2, v0
	v_add_nc_u32_e32 v0, 0x100, v0
	s_wait_loadcnt 0x0
	global_store_b16 v1, v8, s[4:5] scale_offset
	s_wait_xcnt 0x0
	s_or_b32 exec_lo, exec_lo, s0
	s_delay_alu instid0(SALU_CYCLE_1)
	s_mov_b32 s0, exec_lo
	v_cmpx_gt_i32_e64 s8, v0
	s_cbranch_execz .LBB81_70
.LBB81_82:
	v_add_nc_u32_e32 v1, s2, v0
	v_add_nc_u32_e32 v0, 0x100, v0
	s_wait_loadcnt 0x0
	global_store_b16 v1, v7, s[4:5] scale_offset
	s_wait_xcnt 0x0
	s_or_b32 exec_lo, exec_lo, s0
	s_delay_alu instid0(SALU_CYCLE_1)
	s_mov_b32 s0, exec_lo
	v_cmpx_gt_i32_e64 s8, v0
	s_cbranch_execz .LBB81_71
.LBB81_83:
	v_add_nc_u32_e32 v1, s2, v0
	v_add_nc_u32_e32 v0, 0x100, v0
	s_wait_loadcnt 0x0
	global_store_b16 v1, v10, s[4:5] scale_offset
	s_wait_xcnt 0x0
	s_or_b32 exec_lo, exec_lo, s0
	s_delay_alu instid0(SALU_CYCLE_1)
	s_mov_b32 s0, exec_lo
	v_cmpx_gt_i32_e64 s8, v0
	s_cbranch_execnz .LBB81_72
	s_branch .LBB81_73
	.section	.rodata,"a",@progbits
	.p2align	6, 0x0
	.amdhsa_kernel _ZN2at6native29vectorized_elementwise_kernelILi2EZZZNS0_12_GLOBAL__N_124softplus_backward_kernelERNS_18TensorIteratorBaseERKN3c106ScalarES8_ENKUlvE_clEvENKUlvE1_clEvEUlNS5_4HalfESB_E_St5arrayIPcLm3EEEEviT0_T1_
		.amdhsa_group_segment_fixed_size 0
		.amdhsa_private_segment_fixed_size 0
		.amdhsa_kernarg_size 40
		.amdhsa_user_sgpr_count 2
		.amdhsa_user_sgpr_dispatch_ptr 0
		.amdhsa_user_sgpr_queue_ptr 0
		.amdhsa_user_sgpr_kernarg_segment_ptr 1
		.amdhsa_user_sgpr_dispatch_id 0
		.amdhsa_user_sgpr_kernarg_preload_length 0
		.amdhsa_user_sgpr_kernarg_preload_offset 0
		.amdhsa_user_sgpr_private_segment_size 0
		.amdhsa_wavefront_size32 1
		.amdhsa_uses_dynamic_stack 0
		.amdhsa_enable_private_segment 0
		.amdhsa_system_sgpr_workgroup_id_x 1
		.amdhsa_system_sgpr_workgroup_id_y 0
		.amdhsa_system_sgpr_workgroup_id_z 0
		.amdhsa_system_sgpr_workgroup_info 0
		.amdhsa_system_vgpr_workitem_id 0
		.amdhsa_next_free_vgpr 24
		.amdhsa_next_free_sgpr 18
		.amdhsa_named_barrier_count 0
		.amdhsa_reserve_vcc 1
		.amdhsa_float_round_mode_32 0
		.amdhsa_float_round_mode_16_64 0
		.amdhsa_float_denorm_mode_32 3
		.amdhsa_float_denorm_mode_16_64 3
		.amdhsa_fp16_overflow 0
		.amdhsa_memory_ordered 1
		.amdhsa_forward_progress 1
		.amdhsa_inst_pref_size 47
		.amdhsa_round_robin_scheduling 0
		.amdhsa_exception_fp_ieee_invalid_op 0
		.amdhsa_exception_fp_denorm_src 0
		.amdhsa_exception_fp_ieee_div_zero 0
		.amdhsa_exception_fp_ieee_overflow 0
		.amdhsa_exception_fp_ieee_underflow 0
		.amdhsa_exception_fp_ieee_inexact 0
		.amdhsa_exception_int_div_zero 0
	.end_amdhsa_kernel
	.section	.text._ZN2at6native29vectorized_elementwise_kernelILi2EZZZNS0_12_GLOBAL__N_124softplus_backward_kernelERNS_18TensorIteratorBaseERKN3c106ScalarES8_ENKUlvE_clEvENKUlvE1_clEvEUlNS5_4HalfESB_E_St5arrayIPcLm3EEEEviT0_T1_,"axG",@progbits,_ZN2at6native29vectorized_elementwise_kernelILi2EZZZNS0_12_GLOBAL__N_124softplus_backward_kernelERNS_18TensorIteratorBaseERKN3c106ScalarES8_ENKUlvE_clEvENKUlvE1_clEvEUlNS5_4HalfESB_E_St5arrayIPcLm3EEEEviT0_T1_,comdat
.Lfunc_end81:
	.size	_ZN2at6native29vectorized_elementwise_kernelILi2EZZZNS0_12_GLOBAL__N_124softplus_backward_kernelERNS_18TensorIteratorBaseERKN3c106ScalarES8_ENKUlvE_clEvENKUlvE1_clEvEUlNS5_4HalfESB_E_St5arrayIPcLm3EEEEviT0_T1_, .Lfunc_end81-_ZN2at6native29vectorized_elementwise_kernelILi2EZZZNS0_12_GLOBAL__N_124softplus_backward_kernelERNS_18TensorIteratorBaseERKN3c106ScalarES8_ENKUlvE_clEvENKUlvE1_clEvEUlNS5_4HalfESB_E_St5arrayIPcLm3EEEEviT0_T1_
                                        ; -- End function
	.set _ZN2at6native29vectorized_elementwise_kernelILi2EZZZNS0_12_GLOBAL__N_124softplus_backward_kernelERNS_18TensorIteratorBaseERKN3c106ScalarES8_ENKUlvE_clEvENKUlvE1_clEvEUlNS5_4HalfESB_E_St5arrayIPcLm3EEEEviT0_T1_.num_vgpr, 24
	.set _ZN2at6native29vectorized_elementwise_kernelILi2EZZZNS0_12_GLOBAL__N_124softplus_backward_kernelERNS_18TensorIteratorBaseERKN3c106ScalarES8_ENKUlvE_clEvENKUlvE1_clEvEUlNS5_4HalfESB_E_St5arrayIPcLm3EEEEviT0_T1_.num_agpr, 0
	.set _ZN2at6native29vectorized_elementwise_kernelILi2EZZZNS0_12_GLOBAL__N_124softplus_backward_kernelERNS_18TensorIteratorBaseERKN3c106ScalarES8_ENKUlvE_clEvENKUlvE1_clEvEUlNS5_4HalfESB_E_St5arrayIPcLm3EEEEviT0_T1_.numbered_sgpr, 18
	.set _ZN2at6native29vectorized_elementwise_kernelILi2EZZZNS0_12_GLOBAL__N_124softplus_backward_kernelERNS_18TensorIteratorBaseERKN3c106ScalarES8_ENKUlvE_clEvENKUlvE1_clEvEUlNS5_4HalfESB_E_St5arrayIPcLm3EEEEviT0_T1_.num_named_barrier, 0
	.set _ZN2at6native29vectorized_elementwise_kernelILi2EZZZNS0_12_GLOBAL__N_124softplus_backward_kernelERNS_18TensorIteratorBaseERKN3c106ScalarES8_ENKUlvE_clEvENKUlvE1_clEvEUlNS5_4HalfESB_E_St5arrayIPcLm3EEEEviT0_T1_.private_seg_size, 0
	.set _ZN2at6native29vectorized_elementwise_kernelILi2EZZZNS0_12_GLOBAL__N_124softplus_backward_kernelERNS_18TensorIteratorBaseERKN3c106ScalarES8_ENKUlvE_clEvENKUlvE1_clEvEUlNS5_4HalfESB_E_St5arrayIPcLm3EEEEviT0_T1_.uses_vcc, 1
	.set _ZN2at6native29vectorized_elementwise_kernelILi2EZZZNS0_12_GLOBAL__N_124softplus_backward_kernelERNS_18TensorIteratorBaseERKN3c106ScalarES8_ENKUlvE_clEvENKUlvE1_clEvEUlNS5_4HalfESB_E_St5arrayIPcLm3EEEEviT0_T1_.uses_flat_scratch, 0
	.set _ZN2at6native29vectorized_elementwise_kernelILi2EZZZNS0_12_GLOBAL__N_124softplus_backward_kernelERNS_18TensorIteratorBaseERKN3c106ScalarES8_ENKUlvE_clEvENKUlvE1_clEvEUlNS5_4HalfESB_E_St5arrayIPcLm3EEEEviT0_T1_.has_dyn_sized_stack, 0
	.set _ZN2at6native29vectorized_elementwise_kernelILi2EZZZNS0_12_GLOBAL__N_124softplus_backward_kernelERNS_18TensorIteratorBaseERKN3c106ScalarES8_ENKUlvE_clEvENKUlvE1_clEvEUlNS5_4HalfESB_E_St5arrayIPcLm3EEEEviT0_T1_.has_recursion, 0
	.set _ZN2at6native29vectorized_elementwise_kernelILi2EZZZNS0_12_GLOBAL__N_124softplus_backward_kernelERNS_18TensorIteratorBaseERKN3c106ScalarES8_ENKUlvE_clEvENKUlvE1_clEvEUlNS5_4HalfESB_E_St5arrayIPcLm3EEEEviT0_T1_.has_indirect_call, 0
	.section	.AMDGPU.csdata,"",@progbits
; Kernel info:
; codeLenInByte = 6012
; TotalNumSgprs: 20
; NumVgprs: 24
; ScratchSize: 0
; MemoryBound: 0
; FloatMode: 240
; IeeeMode: 1
; LDSByteSize: 0 bytes/workgroup (compile time only)
; SGPRBlocks: 0
; VGPRBlocks: 1
; NumSGPRsForWavesPerEU: 20
; NumVGPRsForWavesPerEU: 24
; NamedBarCnt: 0
; Occupancy: 16
; WaveLimiterHint : 1
; COMPUTE_PGM_RSRC2:SCRATCH_EN: 0
; COMPUTE_PGM_RSRC2:USER_SGPR: 2
; COMPUTE_PGM_RSRC2:TRAP_HANDLER: 0
; COMPUTE_PGM_RSRC2:TGID_X_EN: 1
; COMPUTE_PGM_RSRC2:TGID_Y_EN: 0
; COMPUTE_PGM_RSRC2:TGID_Z_EN: 0
; COMPUTE_PGM_RSRC2:TIDIG_COMP_CNT: 0
	.section	.text._ZN2at6native27unrolled_elementwise_kernelIZZZNS0_12_GLOBAL__N_124softplus_backward_kernelERNS_18TensorIteratorBaseERKN3c106ScalarES8_ENKUlvE_clEvENKUlvE1_clEvEUlNS5_4HalfESB_E_St5arrayIPcLm3EELi4E23TrivialOffsetCalculatorILi2EjESG_ILi1EjENS0_6memory15LoadWithoutCastENSJ_16StoreWithoutCastEEEviT_T0_T2_T3_T4_T5_,"axG",@progbits,_ZN2at6native27unrolled_elementwise_kernelIZZZNS0_12_GLOBAL__N_124softplus_backward_kernelERNS_18TensorIteratorBaseERKN3c106ScalarES8_ENKUlvE_clEvENKUlvE1_clEvEUlNS5_4HalfESB_E_St5arrayIPcLm3EELi4E23TrivialOffsetCalculatorILi2EjESG_ILi1EjENS0_6memory15LoadWithoutCastENSJ_16StoreWithoutCastEEEviT_T0_T2_T3_T4_T5_,comdat
	.globl	_ZN2at6native27unrolled_elementwise_kernelIZZZNS0_12_GLOBAL__N_124softplus_backward_kernelERNS_18TensorIteratorBaseERKN3c106ScalarES8_ENKUlvE_clEvENKUlvE1_clEvEUlNS5_4HalfESB_E_St5arrayIPcLm3EELi4E23TrivialOffsetCalculatorILi2EjESG_ILi1EjENS0_6memory15LoadWithoutCastENSJ_16StoreWithoutCastEEEviT_T0_T2_T3_T4_T5_ ; -- Begin function _ZN2at6native27unrolled_elementwise_kernelIZZZNS0_12_GLOBAL__N_124softplus_backward_kernelERNS_18TensorIteratorBaseERKN3c106ScalarES8_ENKUlvE_clEvENKUlvE1_clEvEUlNS5_4HalfESB_E_St5arrayIPcLm3EELi4E23TrivialOffsetCalculatorILi2EjESG_ILi1EjENS0_6memory15LoadWithoutCastENSJ_16StoreWithoutCastEEEviT_T0_T2_T3_T4_T5_
	.p2align	8
	.type	_ZN2at6native27unrolled_elementwise_kernelIZZZNS0_12_GLOBAL__N_124softplus_backward_kernelERNS_18TensorIteratorBaseERKN3c106ScalarES8_ENKUlvE_clEvENKUlvE1_clEvEUlNS5_4HalfESB_E_St5arrayIPcLm3EELi4E23TrivialOffsetCalculatorILi2EjESG_ILi1EjENS0_6memory15LoadWithoutCastENSJ_16StoreWithoutCastEEEviT_T0_T2_T3_T4_T5_,@function
_ZN2at6native27unrolled_elementwise_kernelIZZZNS0_12_GLOBAL__N_124softplus_backward_kernelERNS_18TensorIteratorBaseERKN3c106ScalarES8_ENKUlvE_clEvENKUlvE1_clEvEUlNS5_4HalfESB_E_St5arrayIPcLm3EELi4E23TrivialOffsetCalculatorILi2EjESG_ILi1EjENS0_6memory15LoadWithoutCastENSJ_16StoreWithoutCastEEEviT_T0_T2_T3_T4_T5_: ; @_ZN2at6native27unrolled_elementwise_kernelIZZZNS0_12_GLOBAL__N_124softplus_backward_kernelERNS_18TensorIteratorBaseERKN3c106ScalarES8_ENKUlvE_clEvENKUlvE1_clEvEUlNS5_4HalfESB_E_St5arrayIPcLm3EELi4E23TrivialOffsetCalculatorILi2EjESG_ILi1EjENS0_6memory15LoadWithoutCastENSJ_16StoreWithoutCastEEEviT_T0_T2_T3_T4_T5_
; %bb.0:
	s_load_b96 s[8:10], s[0:1], 0x0
	s_bfe_u32 s12, ttmp6, 0x4000c
	s_clause 0x1
	s_load_b128 s[4:7], s[0:1], 0x10
	s_load_b64 s[2:3], s[0:1], 0x20
	s_add_co_i32 s12, s12, 1
	s_and_b32 s11, ttmp6, 15
	s_wait_xcnt 0x0
	s_mul_i32 s1, ttmp9, s12
	s_getreg_b32 s0, hwreg(HW_REG_IB_STS2, 6, 4)
	s_add_co_i32 s11, s11, s1
	s_cmp_eq_u32 s0, 0
	v_dual_mov_b32 v10, 0 :: v_dual_mov_b32 v3, 0
	s_cselect_b32 s0, ttmp9, s11
	v_or_b32_e32 v1, 0x100, v0
	s_lshl_b32 s1, s0, 10
	s_delay_alu instid0(SALU_CYCLE_1) | instskip(SKIP_3) | instid1(SALU_CYCLE_1)
	v_dual_mov_b32 v4, 0 :: v_dual_bitop2_b32 v2, s1, v0 bitop3:0x54
	v_mov_b32_e32 v11, v0
	s_wait_kmcnt 0x0
	s_sub_co_i32 s8, s8, s1
	v_cmp_gt_i32_e64 s0, s8, v0
	s_and_saveexec_b32 s11, s0
	s_cbranch_execz .LBB82_2
; %bb.1:
	s_clause 0x1
	global_load_u16 v5, v2, s[2:3] scale_offset
	global_load_u16 v4, v2, s[6:7] scale_offset
	v_or_b32_e32 v11, 0x100, v0
	s_wait_loadcnt 0x1
	v_cvt_f32_f16_e32 v10, v5
.LBB82_2:
	s_wait_xcnt 0x0
	s_or_b32 exec_lo, exec_lo, s11
	v_mov_b32_e32 v9, 0
	s_mov_b32 s11, exec_lo
	v_cmpx_gt_i32_e64 s8, v11
	s_cbranch_execz .LBB82_4
; %bb.3:
	v_add_nc_u32_e32 v5, s1, v11
	v_add_nc_u32_e32 v11, 0x100, v11
	s_clause 0x1
	global_load_u16 v6, v5, s[2:3] scale_offset
	global_load_u16 v3, v5, s[6:7] scale_offset
	s_wait_loadcnt 0x1
	v_cvt_f32_f16_e32 v9, v6
.LBB82_4:
	s_wait_xcnt 0x0
	s_or_b32 exec_lo, exec_lo, s11
	v_dual_mov_b32 v8, 0 :: v_dual_mov_b32 v5, 0
	v_mov_b32_e32 v6, 0
	s_mov_b32 s11, exec_lo
	v_cmpx_gt_i32_e64 s8, v11
	s_cbranch_execz .LBB82_6
; %bb.5:
	v_add_nc_u32_e32 v7, s1, v11
	v_add_nc_u32_e32 v11, 0x100, v11
	s_clause 0x1
	global_load_u16 v8, v7, s[2:3] scale_offset
	global_load_u16 v6, v7, s[6:7] scale_offset
	s_wait_loadcnt 0x1
	v_cvt_f32_f16_e32 v8, v8
.LBB82_6:
	s_wait_xcnt 0x0
	s_or_b32 exec_lo, exec_lo, s11
	v_mov_b32_e32 v7, 0
	s_mov_b32 s11, exec_lo
	v_cmpx_gt_i32_e64 s8, v11
	s_cbranch_execnz .LBB82_9
; %bb.7:
	s_or_b32 exec_lo, exec_lo, s11
	s_and_saveexec_b32 s2, s0
	s_cbranch_execnz .LBB82_10
.LBB82_8:
	s_or_b32 exec_lo, exec_lo, s2
	s_delay_alu instid0(SALU_CYCLE_1)
	s_mov_b32 s2, exec_lo
	v_cmpx_gt_i32_e64 s8, v1
	s_cbranch_execnz .LBB82_13
	s_branch .LBB82_16
.LBB82_9:
	v_add_nc_u32_e32 v7, s1, v11
	s_clause 0x1
	global_load_u16 v11, v7, s[2:3] scale_offset
	global_load_u16 v5, v7, s[6:7] scale_offset
	s_wait_loadcnt 0x1
	s_wait_xcnt 0x0
	v_cvt_f32_f16_e32 v7, v11
	s_or_b32 exec_lo, exec_lo, s11
	s_and_saveexec_b32 s2, s0
	s_cbranch_execz .LBB82_8
.LBB82_10:
	v_mul_f32_e32 v10, s9, v10
	s_mov_b32 s3, exec_lo
	s_delay_alu instid0(VALU_DEP_1)
	v_cmpx_nlt_f32_e32 s10, v10
	s_cbranch_execz .LBB82_12
; %bb.11:
	s_wait_loadcnt 0x0
	v_cvt_f32_f16_e32 v4, v4
	v_mul_f32_e32 v11, 0x3fb8aa3b, v10
	v_cmp_ngt_f32_e32 vcc_lo, 0xc2ce8ed0, v10
	s_delay_alu instid0(VALU_DEP_2) | instskip(SKIP_1) | instid1(VALU_DEP_2)
	v_rndne_f32_e32 v12, v11
	v_fma_f32 v13, 0x3fb8aa3b, v10, -v11
	v_sub_f32_e32 v11, v11, v12
	s_delay_alu instid0(VALU_DEP_2) | instskip(SKIP_1) | instid1(VALU_DEP_2)
	v_fmamk_f32 v13, v10, 0x32a5705f, v13
	v_cvt_i32_f32_e32 v12, v12
	v_add_f32_e32 v11, v11, v13
	s_delay_alu instid0(VALU_DEP_1) | instskip(SKIP_1) | instid1(TRANS32_DEP_1)
	v_exp_f32_e32 v11, v11
	v_nop
	v_ldexp_f32 v11, v11, v12
	s_delay_alu instid0(VALU_DEP_1) | instskip(SKIP_1) | instid1(VALU_DEP_2)
	v_cndmask_b32_e32 v11, 0, v11, vcc_lo
	v_cmp_nlt_f32_e32 vcc_lo, 0x42b17218, v10
	v_cndmask_b32_e32 v10, 0x7f800000, v11, vcc_lo
	s_delay_alu instid0(VALU_DEP_1) | instskip(NEXT) | instid1(VALU_DEP_1)
	v_dual_mul_f32 v4, v10, v4 :: v_dual_add_f32 v10, 1.0, v10
	v_div_scale_f32 v11, null, v10, v10, v4
	s_delay_alu instid0(VALU_DEP_1) | instskip(SKIP_1) | instid1(TRANS32_DEP_1)
	v_rcp_f32_e32 v12, v11
	v_nop
	v_fma_f32 v13, -v11, v12, 1.0
	s_delay_alu instid0(VALU_DEP_1) | instskip(SKIP_1) | instid1(VALU_DEP_1)
	v_fmac_f32_e32 v12, v13, v12
	v_div_scale_f32 v13, vcc_lo, v4, v10, v4
	v_mul_f32_e32 v14, v13, v12
	s_delay_alu instid0(VALU_DEP_1) | instskip(NEXT) | instid1(VALU_DEP_1)
	v_fma_f32 v15, -v11, v14, v13
	v_fmac_f32_e32 v14, v15, v12
	s_delay_alu instid0(VALU_DEP_1) | instskip(NEXT) | instid1(VALU_DEP_1)
	v_fma_f32 v11, -v11, v14, v13
	v_div_fmas_f32 v11, v11, v12, v14
	s_delay_alu instid0(VALU_DEP_1) | instskip(NEXT) | instid1(VALU_DEP_1)
	v_div_fixup_f32 v4, v11, v10, v4
	v_cvt_f16_f32_e32 v4, v4
.LBB82_12:
	s_or_b32 exec_lo, exec_lo, s3
	s_delay_alu instid0(SALU_CYCLE_1) | instskip(NEXT) | instid1(SALU_CYCLE_1)
	s_or_b32 exec_lo, exec_lo, s2
	s_mov_b32 s2, exec_lo
	v_cmpx_gt_i32_e64 s8, v1
	s_cbranch_execz .LBB82_16
.LBB82_13:
	v_mul_f32_e32 v9, s9, v9
	s_mov_b32 s3, exec_lo
	s_delay_alu instid0(VALU_DEP_1)
	v_cmpx_nlt_f32_e32 s10, v9
	s_cbranch_execz .LBB82_15
; %bb.14:
	s_wait_loadcnt 0x0
	v_cvt_f32_f16_e32 v3, v3
	v_mul_f32_e32 v10, 0x3fb8aa3b, v9
	v_cmp_ngt_f32_e32 vcc_lo, 0xc2ce8ed0, v9
	s_delay_alu instid0(VALU_DEP_2) | instskip(SKIP_1) | instid1(VALU_DEP_2)
	v_rndne_f32_e32 v11, v10
	v_fma_f32 v12, 0x3fb8aa3b, v9, -v10
	v_sub_f32_e32 v10, v10, v11
	s_delay_alu instid0(VALU_DEP_2) | instskip(SKIP_1) | instid1(VALU_DEP_2)
	v_fmamk_f32 v12, v9, 0x32a5705f, v12
	v_cvt_i32_f32_e32 v11, v11
	v_add_f32_e32 v10, v10, v12
	s_delay_alu instid0(VALU_DEP_1) | instskip(SKIP_1) | instid1(TRANS32_DEP_1)
	v_exp_f32_e32 v10, v10
	v_nop
	v_ldexp_f32 v10, v10, v11
	s_delay_alu instid0(VALU_DEP_1) | instskip(SKIP_1) | instid1(VALU_DEP_2)
	v_cndmask_b32_e32 v10, 0, v10, vcc_lo
	v_cmp_nlt_f32_e32 vcc_lo, 0x42b17218, v9
	v_cndmask_b32_e32 v9, 0x7f800000, v10, vcc_lo
	s_delay_alu instid0(VALU_DEP_1) | instskip(NEXT) | instid1(VALU_DEP_1)
	v_dual_mul_f32 v3, v9, v3 :: v_dual_add_f32 v9, 1.0, v9
	v_div_scale_f32 v10, null, v9, v9, v3
	s_delay_alu instid0(VALU_DEP_1) | instskip(SKIP_1) | instid1(TRANS32_DEP_1)
	v_rcp_f32_e32 v11, v10
	v_nop
	v_fma_f32 v12, -v10, v11, 1.0
	s_delay_alu instid0(VALU_DEP_1) | instskip(SKIP_1) | instid1(VALU_DEP_1)
	v_fmac_f32_e32 v11, v12, v11
	v_div_scale_f32 v12, vcc_lo, v3, v9, v3
	v_mul_f32_e32 v13, v12, v11
	s_delay_alu instid0(VALU_DEP_1) | instskip(NEXT) | instid1(VALU_DEP_1)
	v_fma_f32 v14, -v10, v13, v12
	v_fmac_f32_e32 v13, v14, v11
	s_delay_alu instid0(VALU_DEP_1) | instskip(NEXT) | instid1(VALU_DEP_1)
	v_fma_f32 v10, -v10, v13, v12
	v_div_fmas_f32 v10, v10, v11, v13
	s_delay_alu instid0(VALU_DEP_1) | instskip(NEXT) | instid1(VALU_DEP_1)
	v_div_fixup_f32 v3, v10, v9, v3
	v_cvt_f16_f32_e32 v3, v3
.LBB82_15:
	s_or_b32 exec_lo, exec_lo, s3
.LBB82_16:
	s_delay_alu instid0(SALU_CYCLE_1) | instskip(SKIP_2) | instid1(VALU_DEP_1)
	s_or_b32 exec_lo, exec_lo, s2
	v_or_b32_e32 v9, 0x200, v0
	s_mov_b32 s2, exec_lo
	v_cmpx_gt_i32_e64 s8, v9
	s_cbranch_execz .LBB82_20
; %bb.17:
	v_mul_f32_e32 v8, s9, v8
	s_mov_b32 s3, exec_lo
	s_delay_alu instid0(VALU_DEP_1)
	v_cmpx_nlt_f32_e32 s10, v8
	s_cbranch_execz .LBB82_19
; %bb.18:
	s_wait_loadcnt 0x0
	v_cvt_f32_f16_e32 v6, v6
	v_mul_f32_e32 v9, 0x3fb8aa3b, v8
	v_cmp_ngt_f32_e32 vcc_lo, 0xc2ce8ed0, v8
	s_delay_alu instid0(VALU_DEP_2) | instskip(SKIP_1) | instid1(VALU_DEP_2)
	v_rndne_f32_e32 v10, v9
	v_fma_f32 v11, 0x3fb8aa3b, v8, -v9
	v_sub_f32_e32 v9, v9, v10
	s_delay_alu instid0(VALU_DEP_2) | instskip(SKIP_1) | instid1(VALU_DEP_2)
	v_fmamk_f32 v11, v8, 0x32a5705f, v11
	v_cvt_i32_f32_e32 v10, v10
	v_add_f32_e32 v9, v9, v11
	s_delay_alu instid0(VALU_DEP_1) | instskip(SKIP_1) | instid1(TRANS32_DEP_1)
	v_exp_f32_e32 v9, v9
	v_nop
	v_ldexp_f32 v9, v9, v10
	s_delay_alu instid0(VALU_DEP_1) | instskip(SKIP_1) | instid1(VALU_DEP_2)
	v_cndmask_b32_e32 v9, 0, v9, vcc_lo
	v_cmp_nlt_f32_e32 vcc_lo, 0x42b17218, v8
	v_cndmask_b32_e32 v8, 0x7f800000, v9, vcc_lo
	s_delay_alu instid0(VALU_DEP_1) | instskip(NEXT) | instid1(VALU_DEP_1)
	v_dual_mul_f32 v6, v8, v6 :: v_dual_add_f32 v8, 1.0, v8
	v_div_scale_f32 v9, null, v8, v8, v6
	s_delay_alu instid0(VALU_DEP_1) | instskip(SKIP_1) | instid1(TRANS32_DEP_1)
	v_rcp_f32_e32 v10, v9
	v_nop
	v_fma_f32 v11, -v9, v10, 1.0
	s_delay_alu instid0(VALU_DEP_1) | instskip(SKIP_1) | instid1(VALU_DEP_1)
	v_fmac_f32_e32 v10, v11, v10
	v_div_scale_f32 v11, vcc_lo, v6, v8, v6
	v_mul_f32_e32 v12, v11, v10
	s_delay_alu instid0(VALU_DEP_1) | instskip(NEXT) | instid1(VALU_DEP_1)
	v_fma_f32 v13, -v9, v12, v11
	v_fmac_f32_e32 v12, v13, v10
	s_delay_alu instid0(VALU_DEP_1) | instskip(NEXT) | instid1(VALU_DEP_1)
	v_fma_f32 v9, -v9, v12, v11
	v_div_fmas_f32 v9, v9, v10, v12
	s_delay_alu instid0(VALU_DEP_1) | instskip(NEXT) | instid1(VALU_DEP_1)
	v_div_fixup_f32 v6, v9, v8, v6
	v_cvt_f16_f32_e32 v6, v6
.LBB82_19:
	s_or_b32 exec_lo, exec_lo, s3
.LBB82_20:
	s_delay_alu instid0(SALU_CYCLE_1) | instskip(SKIP_2) | instid1(VALU_DEP_1)
	s_or_b32 exec_lo, exec_lo, s2
	v_or_b32_e32 v8, 0x300, v0
	s_mov_b32 s2, exec_lo
	v_cmpx_gt_i32_e64 s8, v8
	s_cbranch_execnz .LBB82_26
; %bb.21:
	s_or_b32 exec_lo, exec_lo, s2
	s_and_saveexec_b32 s2, s0
	s_delay_alu instid0(SALU_CYCLE_1)
	s_xor_b32 s0, exec_lo, s2
	s_cbranch_execnz .LBB82_29
.LBB82_22:
	s_or_b32 exec_lo, exec_lo, s0
	s_delay_alu instid0(SALU_CYCLE_1)
	s_mov_b32 s0, exec_lo
	v_cmpx_gt_i32_e64 s8, v0
	s_cbranch_execnz .LBB82_30
.LBB82_23:
	s_or_b32 exec_lo, exec_lo, s0
	s_delay_alu instid0(SALU_CYCLE_1)
	s_mov_b32 s0, exec_lo
	v_cmpx_gt_i32_e64 s8, v0
	s_cbranch_execnz .LBB82_31
.LBB82_24:
	s_or_b32 exec_lo, exec_lo, s0
	s_delay_alu instid0(SALU_CYCLE_1)
	s_mov_b32 s0, exec_lo
	v_cmpx_gt_i32_e64 s8, v0
	s_cbranch_execnz .LBB82_32
.LBB82_25:
	s_endpgm
.LBB82_26:
	v_mul_f32_e32 v7, s9, v7
	s_mov_b32 s3, exec_lo
	s_delay_alu instid0(VALU_DEP_1)
	v_cmpx_nlt_f32_e32 s10, v7
	s_cbranch_execz .LBB82_28
; %bb.27:
	s_wait_loadcnt 0x0
	v_cvt_f32_f16_e32 v5, v5
	v_mul_f32_e32 v8, 0x3fb8aa3b, v7
	v_cmp_ngt_f32_e32 vcc_lo, 0xc2ce8ed0, v7
	s_delay_alu instid0(VALU_DEP_2) | instskip(SKIP_1) | instid1(VALU_DEP_2)
	v_rndne_f32_e32 v9, v8
	v_fma_f32 v10, 0x3fb8aa3b, v7, -v8
	v_sub_f32_e32 v8, v8, v9
	s_delay_alu instid0(VALU_DEP_2) | instskip(SKIP_1) | instid1(VALU_DEP_2)
	v_fmamk_f32 v10, v7, 0x32a5705f, v10
	v_cvt_i32_f32_e32 v9, v9
	v_add_f32_e32 v8, v8, v10
	s_delay_alu instid0(VALU_DEP_1) | instskip(SKIP_1) | instid1(TRANS32_DEP_1)
	v_exp_f32_e32 v8, v8
	v_nop
	v_ldexp_f32 v8, v8, v9
	s_delay_alu instid0(VALU_DEP_1) | instskip(SKIP_1) | instid1(VALU_DEP_2)
	v_cndmask_b32_e32 v8, 0, v8, vcc_lo
	v_cmp_nlt_f32_e32 vcc_lo, 0x42b17218, v7
	v_cndmask_b32_e32 v7, 0x7f800000, v8, vcc_lo
	s_delay_alu instid0(VALU_DEP_1) | instskip(NEXT) | instid1(VALU_DEP_1)
	v_dual_mul_f32 v5, v7, v5 :: v_dual_add_f32 v7, 1.0, v7
	v_div_scale_f32 v8, null, v7, v7, v5
	s_delay_alu instid0(VALU_DEP_1) | instskip(SKIP_1) | instid1(TRANS32_DEP_1)
	v_rcp_f32_e32 v9, v8
	v_nop
	v_fma_f32 v10, -v8, v9, 1.0
	s_delay_alu instid0(VALU_DEP_1) | instskip(SKIP_1) | instid1(VALU_DEP_1)
	v_fmac_f32_e32 v9, v10, v9
	v_div_scale_f32 v10, vcc_lo, v5, v7, v5
	v_mul_f32_e32 v11, v10, v9
	s_delay_alu instid0(VALU_DEP_1) | instskip(NEXT) | instid1(VALU_DEP_1)
	v_fma_f32 v12, -v8, v11, v10
	v_fmac_f32_e32 v11, v12, v9
	s_delay_alu instid0(VALU_DEP_1) | instskip(NEXT) | instid1(VALU_DEP_1)
	v_fma_f32 v8, -v8, v11, v10
	v_div_fmas_f32 v8, v8, v9, v11
	s_delay_alu instid0(VALU_DEP_1) | instskip(NEXT) | instid1(VALU_DEP_1)
	v_div_fixup_f32 v5, v8, v7, v5
	v_cvt_f16_f32_e32 v5, v5
.LBB82_28:
	s_or_b32 exec_lo, exec_lo, s3
	s_delay_alu instid0(SALU_CYCLE_1) | instskip(SKIP_1) | instid1(SALU_CYCLE_1)
	s_or_b32 exec_lo, exec_lo, s2
	s_and_saveexec_b32 s2, s0
	s_xor_b32 s0, exec_lo, s2
	s_cbranch_execz .LBB82_22
.LBB82_29:
	v_mov_b32_e32 v0, v1
	s_wait_loadcnt 0x0
	global_store_b16 v2, v4, s[4:5] scale_offset
	s_wait_xcnt 0x0
	s_or_b32 exec_lo, exec_lo, s0
	s_delay_alu instid0(SALU_CYCLE_1)
	s_mov_b32 s0, exec_lo
	v_cmpx_gt_i32_e64 s8, v0
	s_cbranch_execz .LBB82_23
.LBB82_30:
	v_add_nc_u32_e32 v1, 0x100, v0
	s_delay_alu instid0(VALU_DEP_1) | instskip(SKIP_4) | instid1(SALU_CYCLE_1)
	v_dual_add_nc_u32 v2, s1, v0 :: v_dual_mov_b32 v0, v1
	s_wait_loadcnt 0x0
	global_store_b16 v2, v3, s[4:5] scale_offset
	s_wait_xcnt 0x0
	s_or_b32 exec_lo, exec_lo, s0
	s_mov_b32 s0, exec_lo
	v_cmpx_gt_i32_e64 s8, v0
	s_cbranch_execz .LBB82_24
.LBB82_31:
	v_add_nc_u32_e32 v1, 0x100, v0
	s_delay_alu instid0(VALU_DEP_1) | instskip(SKIP_4) | instid1(SALU_CYCLE_1)
	v_dual_add_nc_u32 v2, s1, v0 :: v_dual_mov_b32 v0, v1
	s_wait_loadcnt 0x0
	global_store_b16 v2, v6, s[4:5] scale_offset
	s_wait_xcnt 0x0
	s_or_b32 exec_lo, exec_lo, s0
	s_mov_b32 s0, exec_lo
	v_cmpx_gt_i32_e64 s8, v0
	s_cbranch_execz .LBB82_25
.LBB82_32:
	v_add_nc_u32_e32 v0, s1, v0
	s_wait_loadcnt 0x0
	global_store_b16 v0, v5, s[4:5] scale_offset
	s_endpgm
	.section	.rodata,"a",@progbits
	.p2align	6, 0x0
	.amdhsa_kernel _ZN2at6native27unrolled_elementwise_kernelIZZZNS0_12_GLOBAL__N_124softplus_backward_kernelERNS_18TensorIteratorBaseERKN3c106ScalarES8_ENKUlvE_clEvENKUlvE1_clEvEUlNS5_4HalfESB_E_St5arrayIPcLm3EELi4E23TrivialOffsetCalculatorILi2EjESG_ILi1EjENS0_6memory15LoadWithoutCastENSJ_16StoreWithoutCastEEEviT_T0_T2_T3_T4_T5_
		.amdhsa_group_segment_fixed_size 0
		.amdhsa_private_segment_fixed_size 0
		.amdhsa_kernarg_size 44
		.amdhsa_user_sgpr_count 2
		.amdhsa_user_sgpr_dispatch_ptr 0
		.amdhsa_user_sgpr_queue_ptr 0
		.amdhsa_user_sgpr_kernarg_segment_ptr 1
		.amdhsa_user_sgpr_dispatch_id 0
		.amdhsa_user_sgpr_kernarg_preload_length 0
		.amdhsa_user_sgpr_kernarg_preload_offset 0
		.amdhsa_user_sgpr_private_segment_size 0
		.amdhsa_wavefront_size32 1
		.amdhsa_uses_dynamic_stack 0
		.amdhsa_enable_private_segment 0
		.amdhsa_system_sgpr_workgroup_id_x 1
		.amdhsa_system_sgpr_workgroup_id_y 0
		.amdhsa_system_sgpr_workgroup_id_z 0
		.amdhsa_system_sgpr_workgroup_info 0
		.amdhsa_system_vgpr_workitem_id 0
		.amdhsa_next_free_vgpr 16
		.amdhsa_next_free_sgpr 13
		.amdhsa_named_barrier_count 0
		.amdhsa_reserve_vcc 1
		.amdhsa_float_round_mode_32 0
		.amdhsa_float_round_mode_16_64 0
		.amdhsa_float_denorm_mode_32 3
		.amdhsa_float_denorm_mode_16_64 3
		.amdhsa_fp16_overflow 0
		.amdhsa_memory_ordered 1
		.amdhsa_forward_progress 1
		.amdhsa_inst_pref_size 15
		.amdhsa_round_robin_scheduling 0
		.amdhsa_exception_fp_ieee_invalid_op 0
		.amdhsa_exception_fp_denorm_src 0
		.amdhsa_exception_fp_ieee_div_zero 0
		.amdhsa_exception_fp_ieee_overflow 0
		.amdhsa_exception_fp_ieee_underflow 0
		.amdhsa_exception_fp_ieee_inexact 0
		.amdhsa_exception_int_div_zero 0
	.end_amdhsa_kernel
	.section	.text._ZN2at6native27unrolled_elementwise_kernelIZZZNS0_12_GLOBAL__N_124softplus_backward_kernelERNS_18TensorIteratorBaseERKN3c106ScalarES8_ENKUlvE_clEvENKUlvE1_clEvEUlNS5_4HalfESB_E_St5arrayIPcLm3EELi4E23TrivialOffsetCalculatorILi2EjESG_ILi1EjENS0_6memory15LoadWithoutCastENSJ_16StoreWithoutCastEEEviT_T0_T2_T3_T4_T5_,"axG",@progbits,_ZN2at6native27unrolled_elementwise_kernelIZZZNS0_12_GLOBAL__N_124softplus_backward_kernelERNS_18TensorIteratorBaseERKN3c106ScalarES8_ENKUlvE_clEvENKUlvE1_clEvEUlNS5_4HalfESB_E_St5arrayIPcLm3EELi4E23TrivialOffsetCalculatorILi2EjESG_ILi1EjENS0_6memory15LoadWithoutCastENSJ_16StoreWithoutCastEEEviT_T0_T2_T3_T4_T5_,comdat
.Lfunc_end82:
	.size	_ZN2at6native27unrolled_elementwise_kernelIZZZNS0_12_GLOBAL__N_124softplus_backward_kernelERNS_18TensorIteratorBaseERKN3c106ScalarES8_ENKUlvE_clEvENKUlvE1_clEvEUlNS5_4HalfESB_E_St5arrayIPcLm3EELi4E23TrivialOffsetCalculatorILi2EjESG_ILi1EjENS0_6memory15LoadWithoutCastENSJ_16StoreWithoutCastEEEviT_T0_T2_T3_T4_T5_, .Lfunc_end82-_ZN2at6native27unrolled_elementwise_kernelIZZZNS0_12_GLOBAL__N_124softplus_backward_kernelERNS_18TensorIteratorBaseERKN3c106ScalarES8_ENKUlvE_clEvENKUlvE1_clEvEUlNS5_4HalfESB_E_St5arrayIPcLm3EELi4E23TrivialOffsetCalculatorILi2EjESG_ILi1EjENS0_6memory15LoadWithoutCastENSJ_16StoreWithoutCastEEEviT_T0_T2_T3_T4_T5_
                                        ; -- End function
	.set _ZN2at6native27unrolled_elementwise_kernelIZZZNS0_12_GLOBAL__N_124softplus_backward_kernelERNS_18TensorIteratorBaseERKN3c106ScalarES8_ENKUlvE_clEvENKUlvE1_clEvEUlNS5_4HalfESB_E_St5arrayIPcLm3EELi4E23TrivialOffsetCalculatorILi2EjESG_ILi1EjENS0_6memory15LoadWithoutCastENSJ_16StoreWithoutCastEEEviT_T0_T2_T3_T4_T5_.num_vgpr, 16
	.set _ZN2at6native27unrolled_elementwise_kernelIZZZNS0_12_GLOBAL__N_124softplus_backward_kernelERNS_18TensorIteratorBaseERKN3c106ScalarES8_ENKUlvE_clEvENKUlvE1_clEvEUlNS5_4HalfESB_E_St5arrayIPcLm3EELi4E23TrivialOffsetCalculatorILi2EjESG_ILi1EjENS0_6memory15LoadWithoutCastENSJ_16StoreWithoutCastEEEviT_T0_T2_T3_T4_T5_.num_agpr, 0
	.set _ZN2at6native27unrolled_elementwise_kernelIZZZNS0_12_GLOBAL__N_124softplus_backward_kernelERNS_18TensorIteratorBaseERKN3c106ScalarES8_ENKUlvE_clEvENKUlvE1_clEvEUlNS5_4HalfESB_E_St5arrayIPcLm3EELi4E23TrivialOffsetCalculatorILi2EjESG_ILi1EjENS0_6memory15LoadWithoutCastENSJ_16StoreWithoutCastEEEviT_T0_T2_T3_T4_T5_.numbered_sgpr, 13
	.set _ZN2at6native27unrolled_elementwise_kernelIZZZNS0_12_GLOBAL__N_124softplus_backward_kernelERNS_18TensorIteratorBaseERKN3c106ScalarES8_ENKUlvE_clEvENKUlvE1_clEvEUlNS5_4HalfESB_E_St5arrayIPcLm3EELi4E23TrivialOffsetCalculatorILi2EjESG_ILi1EjENS0_6memory15LoadWithoutCastENSJ_16StoreWithoutCastEEEviT_T0_T2_T3_T4_T5_.num_named_barrier, 0
	.set _ZN2at6native27unrolled_elementwise_kernelIZZZNS0_12_GLOBAL__N_124softplus_backward_kernelERNS_18TensorIteratorBaseERKN3c106ScalarES8_ENKUlvE_clEvENKUlvE1_clEvEUlNS5_4HalfESB_E_St5arrayIPcLm3EELi4E23TrivialOffsetCalculatorILi2EjESG_ILi1EjENS0_6memory15LoadWithoutCastENSJ_16StoreWithoutCastEEEviT_T0_T2_T3_T4_T5_.private_seg_size, 0
	.set _ZN2at6native27unrolled_elementwise_kernelIZZZNS0_12_GLOBAL__N_124softplus_backward_kernelERNS_18TensorIteratorBaseERKN3c106ScalarES8_ENKUlvE_clEvENKUlvE1_clEvEUlNS5_4HalfESB_E_St5arrayIPcLm3EELi4E23TrivialOffsetCalculatorILi2EjESG_ILi1EjENS0_6memory15LoadWithoutCastENSJ_16StoreWithoutCastEEEviT_T0_T2_T3_T4_T5_.uses_vcc, 1
	.set _ZN2at6native27unrolled_elementwise_kernelIZZZNS0_12_GLOBAL__N_124softplus_backward_kernelERNS_18TensorIteratorBaseERKN3c106ScalarES8_ENKUlvE_clEvENKUlvE1_clEvEUlNS5_4HalfESB_E_St5arrayIPcLm3EELi4E23TrivialOffsetCalculatorILi2EjESG_ILi1EjENS0_6memory15LoadWithoutCastENSJ_16StoreWithoutCastEEEviT_T0_T2_T3_T4_T5_.uses_flat_scratch, 0
	.set _ZN2at6native27unrolled_elementwise_kernelIZZZNS0_12_GLOBAL__N_124softplus_backward_kernelERNS_18TensorIteratorBaseERKN3c106ScalarES8_ENKUlvE_clEvENKUlvE1_clEvEUlNS5_4HalfESB_E_St5arrayIPcLm3EELi4E23TrivialOffsetCalculatorILi2EjESG_ILi1EjENS0_6memory15LoadWithoutCastENSJ_16StoreWithoutCastEEEviT_T0_T2_T3_T4_T5_.has_dyn_sized_stack, 0
	.set _ZN2at6native27unrolled_elementwise_kernelIZZZNS0_12_GLOBAL__N_124softplus_backward_kernelERNS_18TensorIteratorBaseERKN3c106ScalarES8_ENKUlvE_clEvENKUlvE1_clEvEUlNS5_4HalfESB_E_St5arrayIPcLm3EELi4E23TrivialOffsetCalculatorILi2EjESG_ILi1EjENS0_6memory15LoadWithoutCastENSJ_16StoreWithoutCastEEEviT_T0_T2_T3_T4_T5_.has_recursion, 0
	.set _ZN2at6native27unrolled_elementwise_kernelIZZZNS0_12_GLOBAL__N_124softplus_backward_kernelERNS_18TensorIteratorBaseERKN3c106ScalarES8_ENKUlvE_clEvENKUlvE1_clEvEUlNS5_4HalfESB_E_St5arrayIPcLm3EELi4E23TrivialOffsetCalculatorILi2EjESG_ILi1EjENS0_6memory15LoadWithoutCastENSJ_16StoreWithoutCastEEEviT_T0_T2_T3_T4_T5_.has_indirect_call, 0
	.section	.AMDGPU.csdata,"",@progbits
; Kernel info:
; codeLenInByte = 1872
; TotalNumSgprs: 15
; NumVgprs: 16
; ScratchSize: 0
; MemoryBound: 0
; FloatMode: 240
; IeeeMode: 1
; LDSByteSize: 0 bytes/workgroup (compile time only)
; SGPRBlocks: 0
; VGPRBlocks: 0
; NumSGPRsForWavesPerEU: 15
; NumVGPRsForWavesPerEU: 16
; NamedBarCnt: 0
; Occupancy: 16
; WaveLimiterHint : 0
; COMPUTE_PGM_RSRC2:SCRATCH_EN: 0
; COMPUTE_PGM_RSRC2:USER_SGPR: 2
; COMPUTE_PGM_RSRC2:TRAP_HANDLER: 0
; COMPUTE_PGM_RSRC2:TGID_X_EN: 1
; COMPUTE_PGM_RSRC2:TGID_Y_EN: 0
; COMPUTE_PGM_RSRC2:TGID_Z_EN: 0
; COMPUTE_PGM_RSRC2:TIDIG_COMP_CNT: 0
	.section	.text._ZN2at6native32elementwise_kernel_manual_unrollILi128ELi8EZNS0_22gpu_kernel_impl_nocastIZZZNS0_12_GLOBAL__N_124softplus_backward_kernelERNS_18TensorIteratorBaseERKN3c106ScalarES9_ENKUlvE_clEvENKUlvE1_clEvEUlNS6_4HalfESC_E_EEvS5_RKT_EUlibE_EEviT1_,"axG",@progbits,_ZN2at6native32elementwise_kernel_manual_unrollILi128ELi8EZNS0_22gpu_kernel_impl_nocastIZZZNS0_12_GLOBAL__N_124softplus_backward_kernelERNS_18TensorIteratorBaseERKN3c106ScalarES9_ENKUlvE_clEvENKUlvE1_clEvEUlNS6_4HalfESC_E_EEvS5_RKT_EUlibE_EEviT1_,comdat
	.globl	_ZN2at6native32elementwise_kernel_manual_unrollILi128ELi8EZNS0_22gpu_kernel_impl_nocastIZZZNS0_12_GLOBAL__N_124softplus_backward_kernelERNS_18TensorIteratorBaseERKN3c106ScalarES9_ENKUlvE_clEvENKUlvE1_clEvEUlNS6_4HalfESC_E_EEvS5_RKT_EUlibE_EEviT1_ ; -- Begin function _ZN2at6native32elementwise_kernel_manual_unrollILi128ELi8EZNS0_22gpu_kernel_impl_nocastIZZZNS0_12_GLOBAL__N_124softplus_backward_kernelERNS_18TensorIteratorBaseERKN3c106ScalarES9_ENKUlvE_clEvENKUlvE1_clEvEUlNS6_4HalfESC_E_EEvS5_RKT_EUlibE_EEviT1_
	.p2align	8
	.type	_ZN2at6native32elementwise_kernel_manual_unrollILi128ELi8EZNS0_22gpu_kernel_impl_nocastIZZZNS0_12_GLOBAL__N_124softplus_backward_kernelERNS_18TensorIteratorBaseERKN3c106ScalarES9_ENKUlvE_clEvENKUlvE1_clEvEUlNS6_4HalfESC_E_EEvS5_RKT_EUlibE_EEviT1_,@function
_ZN2at6native32elementwise_kernel_manual_unrollILi128ELi8EZNS0_22gpu_kernel_impl_nocastIZZZNS0_12_GLOBAL__N_124softplus_backward_kernelERNS_18TensorIteratorBaseERKN3c106ScalarES9_ENKUlvE_clEvENKUlvE1_clEvEUlNS6_4HalfESC_E_EEvS5_RKT_EUlibE_EEviT1_: ; @_ZN2at6native32elementwise_kernel_manual_unrollILi128ELi8EZNS0_22gpu_kernel_impl_nocastIZZZNS0_12_GLOBAL__N_124softplus_backward_kernelERNS_18TensorIteratorBaseERKN3c106ScalarES9_ENKUlvE_clEvENKUlvE1_clEvEUlNS6_4HalfESC_E_EEvS5_RKT_EUlibE_EEviT1_
; %bb.0:
	s_clause 0x1
	s_load_b32 s28, s[0:1], 0x8
	s_load_b32 s35, s[0:1], 0x0
	s_bfe_u32 s2, ttmp6, 0x4000c
	s_and_b32 s3, ttmp6, 15
	s_add_co_i32 s2, s2, 1
	s_getreg_b32 s4, hwreg(HW_REG_IB_STS2, 6, 4)
	s_mul_i32 s2, ttmp9, s2
	s_add_nc_u64 s[16:17], s[0:1], 8
	s_add_co_i32 s3, s3, s2
	s_cmp_eq_u32 s4, 0
	s_mov_b32 s23, 0
	s_cselect_b32 s2, ttmp9, s3
	s_wait_xcnt 0x0
	s_mov_b32 s0, exec_lo
	v_lshl_or_b32 v0, s2, 10, v0
	s_delay_alu instid0(VALU_DEP_1) | instskip(SKIP_2) | instid1(SALU_CYCLE_1)
	v_or_b32_e32 v3, 0x380, v0
	s_wait_kmcnt 0x0
	s_add_co_i32 s29, s28, -1
	s_cmp_gt_u32 s29, 1
	s_cselect_b32 s30, -1, 0
	v_cmpx_le_i32_e64 s35, v3
	s_xor_b32 s31, exec_lo, s0
	s_cbranch_execz .LBB83_122
; %bb.1:
	s_clause 0x4
	s_load_b128 s[8:11], s[16:17], 0x4
	s_load_b64 s[18:19], s[16:17], 0x14
	s_load_b128 s[12:15], s[16:17], 0xc4
	s_load_b64 s[20:21], s[16:17], 0xd4
	s_load_b256 s[0:7], s[16:17], 0x188
	s_cmp_lg_u32 s28, 0
	s_mov_b32 s25, s23
	s_cselect_b32 s36, -1, 0
	s_min_u32 s34, s29, 15
	s_cmp_gt_u32 s28, 1
	s_cselect_b32 s33, -1, 0
	s_wait_kmcnt 0x0
	s_mov_b32 s22, s9
	s_mov_b32 s24, s18
	s_mov_b32 s9, exec_lo
	v_cmpx_gt_i32_e64 s35, v0
	s_cbranch_execnz .LBB83_9
; %bb.2:
	s_or_b32 exec_lo, exec_lo, s9
	s_delay_alu instid0(SALU_CYCLE_1)
	s_mov_b32 s9, exec_lo
	v_cmpx_gt_i32_e64 s35, v0
	s_cbranch_execnz .LBB83_23
.LBB83_3:
	s_or_b32 exec_lo, exec_lo, s9
	s_delay_alu instid0(SALU_CYCLE_1)
	s_mov_b32 s9, exec_lo
	v_cmpx_gt_i32_e64 s35, v0
	s_cbranch_execnz .LBB83_37
.LBB83_4:
	s_or_b32 exec_lo, exec_lo, s9
	s_delay_alu instid0(SALU_CYCLE_1)
	s_mov_b32 s9, exec_lo
	v_cmpx_gt_i32_e64 s35, v0
	s_cbranch_execnz .LBB83_51
.LBB83_5:
	s_or_b32 exec_lo, exec_lo, s9
	s_delay_alu instid0(SALU_CYCLE_1)
	s_mov_b32 s9, exec_lo
	v_cmpx_gt_i32_e64 s35, v0
	s_cbranch_execnz .LBB83_65
.LBB83_6:
	s_or_b32 exec_lo, exec_lo, s9
	s_delay_alu instid0(SALU_CYCLE_1)
	s_mov_b32 s9, exec_lo
	v_cmpx_gt_i32_e64 s35, v0
	s_cbranch_execnz .LBB83_79
.LBB83_7:
	s_or_b32 exec_lo, exec_lo, s9
	s_delay_alu instid0(SALU_CYCLE_1)
	s_mov_b32 s9, exec_lo
	v_cmpx_gt_i32_e64 s35, v0
	s_cbranch_execnz .LBB83_93
.LBB83_8:
	s_or_b32 exec_lo, exec_lo, s9
	s_delay_alu instid0(SALU_CYCLE_1)
	s_mov_b32 s9, exec_lo
	v_cmpx_gt_i32_e64 s35, v0
	s_cbranch_execnz .LBB83_107
	s_branch .LBB83_121
.LBB83_9:
	s_and_not1_b32 vcc_lo, exec_lo, s30
	s_cbranch_vccnz .LBB83_15
; %bb.10:
	s_and_not1_b32 vcc_lo, exec_lo, s36
	s_cbranch_vccnz .LBB83_16
; %bb.11:
	v_dual_mov_b32 v4, 0 :: v_dual_mov_b32 v1, v0
	v_dual_mov_b32 v6, 0 :: v_dual_mov_b32 v5, 0
	s_add_co_i32 s18, s34, 1
	s_mov_b64 s[26:27], 0xffffffffffffffe8
	s_and_b32 s18, s18, 30
	s_add_nc_u64 s[26:27], s[16:17], s[26:27]
.LBB83_12:                              ; =>This Inner Loop Header: Depth=1
	s_clause 0x1
	s_load_b128 s[40:43], s[26:27], 0x1c
	s_load_b64 s[38:39], s[26:27], 0x2c
	s_add_co_i32 s18, s18, -2
	s_delay_alu instid0(SALU_CYCLE_1) | instskip(SKIP_2) | instid1(VALU_DEP_1)
	s_cmp_lg_u32 s18, 0
	s_wait_kmcnt 0x0
	v_mul_hi_u32 v2, s41, v1
	v_add_nc_u32_e32 v2, v1, v2
	s_delay_alu instid0(VALU_DEP_1) | instskip(NEXT) | instid1(VALU_DEP_1)
	v_lshrrev_b32_e32 v2, s42, v2
	v_mul_hi_u32 v3, s38, v2
	v_mul_lo_u32 v7, v2, s40
	s_clause 0x1
	s_load_b128 s[44:47], s[26:27], 0xdc
	s_load_b64 s[40:41], s[26:27], 0xec
	s_wait_xcnt 0x0
	s_add_nc_u64 s[26:27], s[26:27], 24
	s_delay_alu instid0(VALU_DEP_2) | instskip(NEXT) | instid1(VALU_DEP_2)
	v_add_nc_u32_e32 v3, v2, v3
	v_sub_nc_u32_e32 v7, v1, v7
	s_delay_alu instid0(VALU_DEP_2) | instskip(SKIP_1) | instid1(VALU_DEP_2)
	v_lshrrev_b32_e32 v1, s39, v3
	s_wait_kmcnt 0x0
	v_mad_u32 v4, v7, s44, v4
	s_delay_alu instid0(VALU_DEP_2) | instskip(SKIP_2) | instid1(VALU_DEP_3)
	v_mul_lo_u32 v3, v1, s43
	v_mad_u32 v5, v7, s46, v5
	v_mad_u32 v6, v7, s45, v6
	v_sub_nc_u32_e32 v2, v2, v3
	s_delay_alu instid0(VALU_DEP_1) | instskip(NEXT) | instid1(VALU_DEP_4)
	v_mad_u32 v4, v2, s47, v4
	v_mad_u32 v5, v2, s41, v5
	s_delay_alu instid0(VALU_DEP_4)
	v_mad_u32 v6, v2, s40, v6
	s_cbranch_scc1 .LBB83_12
; %bb.13:
	s_bitcmp1_b32 s34, 0
	s_cselect_b32 s18, -1, 0
	s_delay_alu instid0(SALU_CYCLE_1)
	s_and_b32 vcc_lo, exec_lo, s18
	s_cbranch_vccnz .LBB83_17
; %bb.14:
	s_clause 0x1
	s_load_b96 s[40:42], s[26:27], 0x1c
	s_load_b96 s[44:46], s[26:27], 0xdc
	s_wait_kmcnt 0x0
	v_mul_hi_u32 v2, s41, v1
	s_delay_alu instid0(VALU_DEP_1) | instskip(NEXT) | instid1(VALU_DEP_1)
	v_add_nc_u32_e32 v2, v1, v2
	v_lshrrev_b32_e32 v2, s42, v2
	s_delay_alu instid0(VALU_DEP_1) | instskip(NEXT) | instid1(VALU_DEP_1)
	v_mul_lo_u32 v2, v2, s40
	v_sub_nc_u32_e32 v1, v1, v2
	s_delay_alu instid0(VALU_DEP_1)
	v_mad_u32 v4, v1, s44, v4
	v_mad_u32 v6, v1, s45, v6
	v_mad_u32 v5, v1, s46, v5
	s_cbranch_execz .LBB83_18
	s_branch .LBB83_20
.LBB83_15:
                                        ; implicit-def: $vgpr5
                                        ; implicit-def: $vgpr6
                                        ; implicit-def: $vgpr4
	s_branch .LBB83_18
.LBB83_16:
	v_dual_mov_b32 v5, 0 :: v_dual_mov_b32 v6, 0
	v_mov_b32_e32 v4, 0
.LBB83_17:
	s_cbranch_execnz .LBB83_20
.LBB83_18:
	v_mov_b32_e32 v1, 0
	s_and_not1_b32 vcc_lo, exec_lo, s33
	s_delay_alu instid0(VALU_DEP_1) | instskip(NEXT) | instid1(VALU_DEP_1)
	v_mul_u64_e32 v[2:3], s[22:23], v[0:1]
	v_add_nc_u32_e32 v2, v0, v3
	s_delay_alu instid0(VALU_DEP_1) | instskip(NEXT) | instid1(VALU_DEP_1)
	v_lshrrev_b32_e32 v2, s10, v2
	v_mul_lo_u32 v3, v2, s8
	s_delay_alu instid0(VALU_DEP_1) | instskip(NEXT) | instid1(VALU_DEP_1)
	v_sub_nc_u32_e32 v3, v0, v3
	v_mul_lo_u32 v4, v3, s12
	v_mul_lo_u32 v5, v3, s14
	;; [unrolled: 1-line block ×3, first 2 shown]
	s_cbranch_vccnz .LBB83_20
; %bb.19:
	v_mov_b32_e32 v3, v1
	s_delay_alu instid0(VALU_DEP_1) | instskip(NEXT) | instid1(VALU_DEP_1)
	v_mul_u64_e32 v[8:9], s[24:25], v[2:3]
	v_add_nc_u32_e32 v1, v2, v9
	s_delay_alu instid0(VALU_DEP_1) | instskip(NEXT) | instid1(VALU_DEP_1)
	v_lshrrev_b32_e32 v1, s19, v1
	v_mul_lo_u32 v1, v1, s11
	s_delay_alu instid0(VALU_DEP_1) | instskip(NEXT) | instid1(VALU_DEP_1)
	v_sub_nc_u32_e32 v1, v2, v1
	v_mad_u32 v4, v1, s15, v4
	v_mad_u32 v6, v1, s20, v6
	;; [unrolled: 1-line block ×3, first 2 shown]
.LBB83_20:
	global_load_u16 v2, v5, s[4:5]
	global_load_u16 v1, v6, s[2:3]
	s_mov_b32 s18, exec_lo
	s_wait_loadcnt 0x1
	v_cvt_f32_f16_e32 v2, v2
	s_delay_alu instid0(VALU_DEP_1) | instskip(SKIP_1) | instid1(VALU_DEP_1)
	v_mul_f32_e32 v2, s6, v2
	s_wait_xcnt 0x0
	v_cmpx_nlt_f32_e32 s7, v2
	s_cbranch_execz .LBB83_22
; %bb.21:
	v_mul_f32_e32 v3, 0x3fb8aa3b, v2
	s_wait_loadcnt 0x0
	v_cvt_f32_f16_e32 v1, v1
	v_cmp_ngt_f32_e32 vcc_lo, 0xc2ce8ed0, v2
	s_delay_alu instid0(VALU_DEP_3) | instskip(SKIP_1) | instid1(VALU_DEP_1)
	v_rndne_f32_e32 v5, v3
	v_fma_f32 v6, 0x3fb8aa3b, v2, -v3
	v_dual_sub_f32 v3, v3, v5 :: v_dual_fmamk_f32 v6, v2, 0x32a5705f, v6
	v_cvt_i32_f32_e32 v5, v5
	s_delay_alu instid0(VALU_DEP_2) | instskip(NEXT) | instid1(VALU_DEP_1)
	v_add_f32_e32 v3, v3, v6
	v_exp_f32_e32 v3, v3
	v_nop
	s_delay_alu instid0(TRANS32_DEP_1) | instskip(NEXT) | instid1(VALU_DEP_1)
	v_ldexp_f32 v3, v3, v5
	v_cndmask_b32_e32 v3, 0, v3, vcc_lo
	v_cmp_nlt_f32_e32 vcc_lo, 0x42b17218, v2
	s_delay_alu instid0(VALU_DEP_2) | instskip(NEXT) | instid1(VALU_DEP_1)
	v_cndmask_b32_e32 v2, 0x7f800000, v3, vcc_lo
	v_dual_mul_f32 v1, v2, v1 :: v_dual_add_f32 v2, 1.0, v2
	s_delay_alu instid0(VALU_DEP_1) | instskip(NEXT) | instid1(VALU_DEP_1)
	v_div_scale_f32 v3, null, v2, v2, v1
	v_rcp_f32_e32 v5, v3
	v_nop
	s_delay_alu instid0(TRANS32_DEP_1) | instskip(NEXT) | instid1(VALU_DEP_1)
	v_fma_f32 v6, -v3, v5, 1.0
	v_fmac_f32_e32 v5, v6, v5
	v_div_scale_f32 v6, vcc_lo, v1, v2, v1
	s_delay_alu instid0(VALU_DEP_1) | instskip(NEXT) | instid1(VALU_DEP_1)
	v_mul_f32_e32 v7, v6, v5
	v_fma_f32 v8, -v3, v7, v6
	s_delay_alu instid0(VALU_DEP_1) | instskip(NEXT) | instid1(VALU_DEP_1)
	v_fmac_f32_e32 v7, v8, v5
	v_fma_f32 v3, -v3, v7, v6
	s_delay_alu instid0(VALU_DEP_1) | instskip(NEXT) | instid1(VALU_DEP_1)
	v_div_fmas_f32 v3, v3, v5, v7
	v_div_fixup_f32 v1, v3, v2, v1
	s_delay_alu instid0(VALU_DEP_1)
	v_cvt_f16_f32_e32 v1, v1
.LBB83_22:
	s_or_b32 exec_lo, exec_lo, s18
	v_add_nc_u32_e32 v0, 0x80, v0
	s_wait_loadcnt 0x0
	global_store_b16 v4, v1, s[0:1]
	s_wait_xcnt 0x0
	s_or_b32 exec_lo, exec_lo, s9
	s_delay_alu instid0(SALU_CYCLE_1)
	s_mov_b32 s9, exec_lo
	v_cmpx_gt_i32_e64 s35, v0
	s_cbranch_execz .LBB83_3
.LBB83_23:
	s_and_not1_b32 vcc_lo, exec_lo, s30
	s_cbranch_vccnz .LBB83_29
; %bb.24:
	s_and_not1_b32 vcc_lo, exec_lo, s36
	s_cbranch_vccnz .LBB83_30
; %bb.25:
	v_dual_mov_b32 v4, 0 :: v_dual_mov_b32 v1, v0
	v_dual_mov_b32 v6, 0 :: v_dual_mov_b32 v5, 0
	s_add_co_i32 s18, s34, 1
	s_mov_b64 s[26:27], 0xffffffffffffffe8
	s_and_b32 s18, s18, 30
	s_add_nc_u64 s[26:27], s[16:17], s[26:27]
.LBB83_26:                              ; =>This Inner Loop Header: Depth=1
	s_clause 0x1
	s_load_b128 s[40:43], s[26:27], 0x1c
	s_load_b64 s[38:39], s[26:27], 0x2c
	s_add_co_i32 s18, s18, -2
	s_delay_alu instid0(SALU_CYCLE_1) | instskip(SKIP_2) | instid1(VALU_DEP_1)
	s_cmp_eq_u32 s18, 0
	s_wait_kmcnt 0x0
	v_mul_hi_u32 v2, s41, v1
	v_add_nc_u32_e32 v2, v1, v2
	s_delay_alu instid0(VALU_DEP_1) | instskip(NEXT) | instid1(VALU_DEP_1)
	v_lshrrev_b32_e32 v2, s42, v2
	v_mul_hi_u32 v3, s38, v2
	v_mul_lo_u32 v7, v2, s40
	s_clause 0x1
	s_load_b128 s[44:47], s[26:27], 0xdc
	s_load_b64 s[40:41], s[26:27], 0xec
	s_wait_xcnt 0x0
	s_add_nc_u64 s[26:27], s[26:27], 24
	s_delay_alu instid0(VALU_DEP_2) | instskip(NEXT) | instid1(VALU_DEP_2)
	v_add_nc_u32_e32 v3, v2, v3
	v_sub_nc_u32_e32 v7, v1, v7
	s_delay_alu instid0(VALU_DEP_2) | instskip(SKIP_1) | instid1(VALU_DEP_2)
	v_lshrrev_b32_e32 v1, s39, v3
	s_wait_kmcnt 0x0
	v_mad_u32 v4, v7, s44, v4
	s_delay_alu instid0(VALU_DEP_2) | instskip(SKIP_2) | instid1(VALU_DEP_3)
	v_mul_lo_u32 v3, v1, s43
	v_mad_u32 v5, v7, s46, v5
	v_mad_u32 v6, v7, s45, v6
	v_sub_nc_u32_e32 v2, v2, v3
	s_delay_alu instid0(VALU_DEP_1) | instskip(NEXT) | instid1(VALU_DEP_4)
	v_mad_u32 v4, v2, s47, v4
	v_mad_u32 v5, v2, s41, v5
	s_delay_alu instid0(VALU_DEP_4)
	v_mad_u32 v6, v2, s40, v6
	s_cbranch_scc0 .LBB83_26
; %bb.27:
	s_bitcmp1_b32 s34, 0
	s_cselect_b32 s18, -1, 0
	s_delay_alu instid0(SALU_CYCLE_1)
	s_and_b32 vcc_lo, exec_lo, s18
	s_cbranch_vccnz .LBB83_31
; %bb.28:
	s_clause 0x1
	s_load_b96 s[40:42], s[26:27], 0x1c
	s_load_b96 s[44:46], s[26:27], 0xdc
	s_wait_kmcnt 0x0
	v_mul_hi_u32 v2, s41, v1
	s_delay_alu instid0(VALU_DEP_1) | instskip(NEXT) | instid1(VALU_DEP_1)
	v_add_nc_u32_e32 v2, v1, v2
	v_lshrrev_b32_e32 v2, s42, v2
	s_delay_alu instid0(VALU_DEP_1) | instskip(NEXT) | instid1(VALU_DEP_1)
	v_mul_lo_u32 v2, v2, s40
	v_sub_nc_u32_e32 v1, v1, v2
	s_delay_alu instid0(VALU_DEP_1)
	v_mad_u32 v4, v1, s44, v4
	v_mad_u32 v6, v1, s45, v6
	;; [unrolled: 1-line block ×3, first 2 shown]
	s_branch .LBB83_31
.LBB83_29:
                                        ; implicit-def: $vgpr5
                                        ; implicit-def: $vgpr6
                                        ; implicit-def: $vgpr4
	s_branch .LBB83_32
.LBB83_30:
	v_dual_mov_b32 v5, 0 :: v_dual_mov_b32 v6, 0
	v_mov_b32_e32 v4, 0
.LBB83_31:
	s_cbranch_execnz .LBB83_34
.LBB83_32:
	v_mov_b32_e32 v1, 0
	s_and_not1_b32 vcc_lo, exec_lo, s33
	s_delay_alu instid0(VALU_DEP_1) | instskip(NEXT) | instid1(VALU_DEP_1)
	v_mul_u64_e32 v[2:3], s[22:23], v[0:1]
	v_add_nc_u32_e32 v2, v0, v3
	s_delay_alu instid0(VALU_DEP_1) | instskip(NEXT) | instid1(VALU_DEP_1)
	v_lshrrev_b32_e32 v2, s10, v2
	v_mul_lo_u32 v3, v2, s8
	s_delay_alu instid0(VALU_DEP_1) | instskip(NEXT) | instid1(VALU_DEP_1)
	v_sub_nc_u32_e32 v3, v0, v3
	v_mul_lo_u32 v4, v3, s12
	v_mul_lo_u32 v5, v3, s14
	;; [unrolled: 1-line block ×3, first 2 shown]
	s_cbranch_vccnz .LBB83_34
; %bb.33:
	v_mov_b32_e32 v3, v1
	s_delay_alu instid0(VALU_DEP_1) | instskip(NEXT) | instid1(VALU_DEP_1)
	v_mul_u64_e32 v[8:9], s[24:25], v[2:3]
	v_add_nc_u32_e32 v1, v2, v9
	s_delay_alu instid0(VALU_DEP_1) | instskip(NEXT) | instid1(VALU_DEP_1)
	v_lshrrev_b32_e32 v1, s19, v1
	v_mul_lo_u32 v1, v1, s11
	s_delay_alu instid0(VALU_DEP_1) | instskip(NEXT) | instid1(VALU_DEP_1)
	v_sub_nc_u32_e32 v1, v2, v1
	v_mad_u32 v4, v1, s15, v4
	v_mad_u32 v6, v1, s20, v6
	;; [unrolled: 1-line block ×3, first 2 shown]
.LBB83_34:
	global_load_u16 v2, v5, s[4:5]
	global_load_u16 v1, v6, s[2:3]
	s_mov_b32 s18, exec_lo
	s_wait_loadcnt 0x1
	v_cvt_f32_f16_e32 v2, v2
	s_delay_alu instid0(VALU_DEP_1) | instskip(SKIP_1) | instid1(VALU_DEP_1)
	v_mul_f32_e32 v2, s6, v2
	s_wait_xcnt 0x0
	v_cmpx_nlt_f32_e32 s7, v2
	s_cbranch_execz .LBB83_36
; %bb.35:
	v_mul_f32_e32 v3, 0x3fb8aa3b, v2
	s_wait_loadcnt 0x0
	v_cvt_f32_f16_e32 v1, v1
	v_cmp_ngt_f32_e32 vcc_lo, 0xc2ce8ed0, v2
	s_delay_alu instid0(VALU_DEP_3) | instskip(SKIP_1) | instid1(VALU_DEP_1)
	v_rndne_f32_e32 v5, v3
	v_fma_f32 v6, 0x3fb8aa3b, v2, -v3
	v_dual_sub_f32 v3, v3, v5 :: v_dual_fmamk_f32 v6, v2, 0x32a5705f, v6
	v_cvt_i32_f32_e32 v5, v5
	s_delay_alu instid0(VALU_DEP_2) | instskip(NEXT) | instid1(VALU_DEP_1)
	v_add_f32_e32 v3, v3, v6
	v_exp_f32_e32 v3, v3
	v_nop
	s_delay_alu instid0(TRANS32_DEP_1) | instskip(NEXT) | instid1(VALU_DEP_1)
	v_ldexp_f32 v3, v3, v5
	v_cndmask_b32_e32 v3, 0, v3, vcc_lo
	v_cmp_nlt_f32_e32 vcc_lo, 0x42b17218, v2
	s_delay_alu instid0(VALU_DEP_2) | instskip(NEXT) | instid1(VALU_DEP_1)
	v_cndmask_b32_e32 v2, 0x7f800000, v3, vcc_lo
	v_dual_mul_f32 v1, v2, v1 :: v_dual_add_f32 v2, 1.0, v2
	s_delay_alu instid0(VALU_DEP_1) | instskip(NEXT) | instid1(VALU_DEP_1)
	v_div_scale_f32 v3, null, v2, v2, v1
	v_rcp_f32_e32 v5, v3
	v_nop
	s_delay_alu instid0(TRANS32_DEP_1) | instskip(NEXT) | instid1(VALU_DEP_1)
	v_fma_f32 v6, -v3, v5, 1.0
	v_fmac_f32_e32 v5, v6, v5
	v_div_scale_f32 v6, vcc_lo, v1, v2, v1
	s_delay_alu instid0(VALU_DEP_1) | instskip(NEXT) | instid1(VALU_DEP_1)
	v_mul_f32_e32 v7, v6, v5
	v_fma_f32 v8, -v3, v7, v6
	s_delay_alu instid0(VALU_DEP_1) | instskip(NEXT) | instid1(VALU_DEP_1)
	v_fmac_f32_e32 v7, v8, v5
	v_fma_f32 v3, -v3, v7, v6
	s_delay_alu instid0(VALU_DEP_1) | instskip(NEXT) | instid1(VALU_DEP_1)
	v_div_fmas_f32 v3, v3, v5, v7
	v_div_fixup_f32 v1, v3, v2, v1
	s_delay_alu instid0(VALU_DEP_1)
	v_cvt_f16_f32_e32 v1, v1
.LBB83_36:
	s_or_b32 exec_lo, exec_lo, s18
	v_add_nc_u32_e32 v0, 0x80, v0
	s_wait_loadcnt 0x0
	global_store_b16 v4, v1, s[0:1]
	s_wait_xcnt 0x0
	s_or_b32 exec_lo, exec_lo, s9
	s_delay_alu instid0(SALU_CYCLE_1)
	s_mov_b32 s9, exec_lo
	v_cmpx_gt_i32_e64 s35, v0
	s_cbranch_execz .LBB83_4
.LBB83_37:
	s_and_not1_b32 vcc_lo, exec_lo, s30
	s_cbranch_vccnz .LBB83_43
; %bb.38:
	s_and_not1_b32 vcc_lo, exec_lo, s36
	s_cbranch_vccnz .LBB83_44
; %bb.39:
	v_dual_mov_b32 v4, 0 :: v_dual_mov_b32 v1, v0
	v_dual_mov_b32 v6, 0 :: v_dual_mov_b32 v5, 0
	s_add_co_i32 s18, s34, 1
	s_mov_b64 s[26:27], 0xffffffffffffffe8
	s_and_b32 s18, s18, 30
	s_add_nc_u64 s[26:27], s[16:17], s[26:27]
.LBB83_40:                              ; =>This Inner Loop Header: Depth=1
	s_clause 0x1
	s_load_b128 s[40:43], s[26:27], 0x1c
	s_load_b64 s[38:39], s[26:27], 0x2c
	s_add_co_i32 s18, s18, -2
	s_delay_alu instid0(SALU_CYCLE_1) | instskip(SKIP_2) | instid1(VALU_DEP_1)
	s_cmp_eq_u32 s18, 0
	s_wait_kmcnt 0x0
	v_mul_hi_u32 v2, s41, v1
	v_add_nc_u32_e32 v2, v1, v2
	s_delay_alu instid0(VALU_DEP_1) | instskip(NEXT) | instid1(VALU_DEP_1)
	v_lshrrev_b32_e32 v2, s42, v2
	v_mul_hi_u32 v3, s38, v2
	v_mul_lo_u32 v7, v2, s40
	s_clause 0x1
	s_load_b128 s[44:47], s[26:27], 0xdc
	s_load_b64 s[40:41], s[26:27], 0xec
	s_wait_xcnt 0x0
	s_add_nc_u64 s[26:27], s[26:27], 24
	s_delay_alu instid0(VALU_DEP_2) | instskip(NEXT) | instid1(VALU_DEP_2)
	v_add_nc_u32_e32 v3, v2, v3
	v_sub_nc_u32_e32 v7, v1, v7
	s_delay_alu instid0(VALU_DEP_2) | instskip(SKIP_1) | instid1(VALU_DEP_2)
	v_lshrrev_b32_e32 v1, s39, v3
	s_wait_kmcnt 0x0
	v_mad_u32 v4, v7, s44, v4
	s_delay_alu instid0(VALU_DEP_2) | instskip(SKIP_2) | instid1(VALU_DEP_3)
	v_mul_lo_u32 v3, v1, s43
	v_mad_u32 v5, v7, s46, v5
	v_mad_u32 v6, v7, s45, v6
	v_sub_nc_u32_e32 v2, v2, v3
	s_delay_alu instid0(VALU_DEP_1) | instskip(NEXT) | instid1(VALU_DEP_4)
	v_mad_u32 v4, v2, s47, v4
	v_mad_u32 v5, v2, s41, v5
	s_delay_alu instid0(VALU_DEP_4)
	v_mad_u32 v6, v2, s40, v6
	s_cbranch_scc0 .LBB83_40
; %bb.41:
	s_bitcmp1_b32 s34, 0
	s_cselect_b32 s18, -1, 0
	s_delay_alu instid0(SALU_CYCLE_1)
	s_and_b32 vcc_lo, exec_lo, s18
	s_cbranch_vccnz .LBB83_45
; %bb.42:
	s_clause 0x1
	s_load_b96 s[40:42], s[26:27], 0x1c
	s_load_b96 s[44:46], s[26:27], 0xdc
	s_wait_kmcnt 0x0
	v_mul_hi_u32 v2, s41, v1
	s_delay_alu instid0(VALU_DEP_1) | instskip(NEXT) | instid1(VALU_DEP_1)
	v_add_nc_u32_e32 v2, v1, v2
	v_lshrrev_b32_e32 v2, s42, v2
	s_delay_alu instid0(VALU_DEP_1) | instskip(NEXT) | instid1(VALU_DEP_1)
	v_mul_lo_u32 v2, v2, s40
	v_sub_nc_u32_e32 v1, v1, v2
	s_delay_alu instid0(VALU_DEP_1)
	v_mad_u32 v4, v1, s44, v4
	v_mad_u32 v6, v1, s45, v6
	v_mad_u32 v5, v1, s46, v5
	s_branch .LBB83_45
.LBB83_43:
                                        ; implicit-def: $vgpr5
                                        ; implicit-def: $vgpr6
                                        ; implicit-def: $vgpr4
	s_branch .LBB83_46
.LBB83_44:
	v_dual_mov_b32 v5, 0 :: v_dual_mov_b32 v6, 0
	v_mov_b32_e32 v4, 0
.LBB83_45:
	s_cbranch_execnz .LBB83_48
.LBB83_46:
	v_mov_b32_e32 v1, 0
	s_and_not1_b32 vcc_lo, exec_lo, s33
	s_delay_alu instid0(VALU_DEP_1) | instskip(NEXT) | instid1(VALU_DEP_1)
	v_mul_u64_e32 v[2:3], s[22:23], v[0:1]
	v_add_nc_u32_e32 v2, v0, v3
	s_delay_alu instid0(VALU_DEP_1) | instskip(NEXT) | instid1(VALU_DEP_1)
	v_lshrrev_b32_e32 v2, s10, v2
	v_mul_lo_u32 v3, v2, s8
	s_delay_alu instid0(VALU_DEP_1) | instskip(NEXT) | instid1(VALU_DEP_1)
	v_sub_nc_u32_e32 v3, v0, v3
	v_mul_lo_u32 v4, v3, s12
	v_mul_lo_u32 v5, v3, s14
	;; [unrolled: 1-line block ×3, first 2 shown]
	s_cbranch_vccnz .LBB83_48
; %bb.47:
	v_mov_b32_e32 v3, v1
	s_delay_alu instid0(VALU_DEP_1) | instskip(NEXT) | instid1(VALU_DEP_1)
	v_mul_u64_e32 v[8:9], s[24:25], v[2:3]
	v_add_nc_u32_e32 v1, v2, v9
	s_delay_alu instid0(VALU_DEP_1) | instskip(NEXT) | instid1(VALU_DEP_1)
	v_lshrrev_b32_e32 v1, s19, v1
	v_mul_lo_u32 v1, v1, s11
	s_delay_alu instid0(VALU_DEP_1) | instskip(NEXT) | instid1(VALU_DEP_1)
	v_sub_nc_u32_e32 v1, v2, v1
	v_mad_u32 v4, v1, s15, v4
	v_mad_u32 v6, v1, s20, v6
	;; [unrolled: 1-line block ×3, first 2 shown]
.LBB83_48:
	global_load_u16 v2, v5, s[4:5]
	global_load_u16 v1, v6, s[2:3]
	s_mov_b32 s18, exec_lo
	s_wait_loadcnt 0x1
	v_cvt_f32_f16_e32 v2, v2
	s_delay_alu instid0(VALU_DEP_1) | instskip(SKIP_1) | instid1(VALU_DEP_1)
	v_mul_f32_e32 v2, s6, v2
	s_wait_xcnt 0x0
	v_cmpx_nlt_f32_e32 s7, v2
	s_cbranch_execz .LBB83_50
; %bb.49:
	v_mul_f32_e32 v3, 0x3fb8aa3b, v2
	s_wait_loadcnt 0x0
	v_cvt_f32_f16_e32 v1, v1
	v_cmp_ngt_f32_e32 vcc_lo, 0xc2ce8ed0, v2
	s_delay_alu instid0(VALU_DEP_3) | instskip(SKIP_1) | instid1(VALU_DEP_1)
	v_rndne_f32_e32 v5, v3
	v_fma_f32 v6, 0x3fb8aa3b, v2, -v3
	v_dual_sub_f32 v3, v3, v5 :: v_dual_fmamk_f32 v6, v2, 0x32a5705f, v6
	v_cvt_i32_f32_e32 v5, v5
	s_delay_alu instid0(VALU_DEP_2) | instskip(NEXT) | instid1(VALU_DEP_1)
	v_add_f32_e32 v3, v3, v6
	v_exp_f32_e32 v3, v3
	v_nop
	s_delay_alu instid0(TRANS32_DEP_1) | instskip(NEXT) | instid1(VALU_DEP_1)
	v_ldexp_f32 v3, v3, v5
	v_cndmask_b32_e32 v3, 0, v3, vcc_lo
	v_cmp_nlt_f32_e32 vcc_lo, 0x42b17218, v2
	s_delay_alu instid0(VALU_DEP_2) | instskip(NEXT) | instid1(VALU_DEP_1)
	v_cndmask_b32_e32 v2, 0x7f800000, v3, vcc_lo
	v_dual_mul_f32 v1, v2, v1 :: v_dual_add_f32 v2, 1.0, v2
	s_delay_alu instid0(VALU_DEP_1) | instskip(NEXT) | instid1(VALU_DEP_1)
	v_div_scale_f32 v3, null, v2, v2, v1
	v_rcp_f32_e32 v5, v3
	v_nop
	s_delay_alu instid0(TRANS32_DEP_1) | instskip(NEXT) | instid1(VALU_DEP_1)
	v_fma_f32 v6, -v3, v5, 1.0
	v_fmac_f32_e32 v5, v6, v5
	v_div_scale_f32 v6, vcc_lo, v1, v2, v1
	s_delay_alu instid0(VALU_DEP_1) | instskip(NEXT) | instid1(VALU_DEP_1)
	v_mul_f32_e32 v7, v6, v5
	v_fma_f32 v8, -v3, v7, v6
	s_delay_alu instid0(VALU_DEP_1) | instskip(NEXT) | instid1(VALU_DEP_1)
	v_fmac_f32_e32 v7, v8, v5
	v_fma_f32 v3, -v3, v7, v6
	s_delay_alu instid0(VALU_DEP_1) | instskip(NEXT) | instid1(VALU_DEP_1)
	v_div_fmas_f32 v3, v3, v5, v7
	v_div_fixup_f32 v1, v3, v2, v1
	s_delay_alu instid0(VALU_DEP_1)
	v_cvt_f16_f32_e32 v1, v1
.LBB83_50:
	s_or_b32 exec_lo, exec_lo, s18
	v_add_nc_u32_e32 v0, 0x80, v0
	s_wait_loadcnt 0x0
	global_store_b16 v4, v1, s[0:1]
	s_wait_xcnt 0x0
	s_or_b32 exec_lo, exec_lo, s9
	s_delay_alu instid0(SALU_CYCLE_1)
	s_mov_b32 s9, exec_lo
	v_cmpx_gt_i32_e64 s35, v0
	s_cbranch_execz .LBB83_5
.LBB83_51:
	s_and_not1_b32 vcc_lo, exec_lo, s30
	s_cbranch_vccnz .LBB83_57
; %bb.52:
	s_and_not1_b32 vcc_lo, exec_lo, s36
	s_cbranch_vccnz .LBB83_58
; %bb.53:
	v_dual_mov_b32 v4, 0 :: v_dual_mov_b32 v1, v0
	v_dual_mov_b32 v6, 0 :: v_dual_mov_b32 v5, 0
	s_add_co_i32 s18, s34, 1
	s_mov_b64 s[26:27], 0xffffffffffffffe8
	s_and_b32 s18, s18, 30
	s_add_nc_u64 s[26:27], s[16:17], s[26:27]
.LBB83_54:                              ; =>This Inner Loop Header: Depth=1
	s_clause 0x1
	s_load_b128 s[40:43], s[26:27], 0x1c
	s_load_b64 s[38:39], s[26:27], 0x2c
	s_add_co_i32 s18, s18, -2
	s_delay_alu instid0(SALU_CYCLE_1) | instskip(SKIP_2) | instid1(VALU_DEP_1)
	s_cmp_eq_u32 s18, 0
	s_wait_kmcnt 0x0
	v_mul_hi_u32 v2, s41, v1
	v_add_nc_u32_e32 v2, v1, v2
	s_delay_alu instid0(VALU_DEP_1) | instskip(NEXT) | instid1(VALU_DEP_1)
	v_lshrrev_b32_e32 v2, s42, v2
	v_mul_hi_u32 v3, s38, v2
	v_mul_lo_u32 v7, v2, s40
	s_clause 0x1
	s_load_b128 s[44:47], s[26:27], 0xdc
	s_load_b64 s[40:41], s[26:27], 0xec
	s_wait_xcnt 0x0
	s_add_nc_u64 s[26:27], s[26:27], 24
	s_delay_alu instid0(VALU_DEP_2) | instskip(NEXT) | instid1(VALU_DEP_2)
	v_add_nc_u32_e32 v3, v2, v3
	v_sub_nc_u32_e32 v7, v1, v7
	s_delay_alu instid0(VALU_DEP_2) | instskip(SKIP_1) | instid1(VALU_DEP_2)
	v_lshrrev_b32_e32 v1, s39, v3
	s_wait_kmcnt 0x0
	v_mad_u32 v4, v7, s44, v4
	s_delay_alu instid0(VALU_DEP_2) | instskip(SKIP_2) | instid1(VALU_DEP_3)
	v_mul_lo_u32 v3, v1, s43
	v_mad_u32 v5, v7, s46, v5
	v_mad_u32 v6, v7, s45, v6
	v_sub_nc_u32_e32 v2, v2, v3
	s_delay_alu instid0(VALU_DEP_1) | instskip(NEXT) | instid1(VALU_DEP_4)
	v_mad_u32 v4, v2, s47, v4
	v_mad_u32 v5, v2, s41, v5
	s_delay_alu instid0(VALU_DEP_4)
	v_mad_u32 v6, v2, s40, v6
	s_cbranch_scc0 .LBB83_54
; %bb.55:
	s_bitcmp1_b32 s34, 0
	s_cselect_b32 s18, -1, 0
	s_delay_alu instid0(SALU_CYCLE_1)
	s_and_b32 vcc_lo, exec_lo, s18
	s_cbranch_vccnz .LBB83_59
; %bb.56:
	s_clause 0x1
	s_load_b96 s[40:42], s[26:27], 0x1c
	s_load_b96 s[44:46], s[26:27], 0xdc
	s_wait_kmcnt 0x0
	v_mul_hi_u32 v2, s41, v1
	s_delay_alu instid0(VALU_DEP_1) | instskip(NEXT) | instid1(VALU_DEP_1)
	v_add_nc_u32_e32 v2, v1, v2
	v_lshrrev_b32_e32 v2, s42, v2
	s_delay_alu instid0(VALU_DEP_1) | instskip(NEXT) | instid1(VALU_DEP_1)
	v_mul_lo_u32 v2, v2, s40
	v_sub_nc_u32_e32 v1, v1, v2
	s_delay_alu instid0(VALU_DEP_1)
	v_mad_u32 v4, v1, s44, v4
	v_mad_u32 v6, v1, s45, v6
	;; [unrolled: 1-line block ×3, first 2 shown]
	s_branch .LBB83_59
.LBB83_57:
                                        ; implicit-def: $vgpr5
                                        ; implicit-def: $vgpr6
                                        ; implicit-def: $vgpr4
	s_branch .LBB83_60
.LBB83_58:
	v_dual_mov_b32 v5, 0 :: v_dual_mov_b32 v6, 0
	v_mov_b32_e32 v4, 0
.LBB83_59:
	s_cbranch_execnz .LBB83_62
.LBB83_60:
	v_mov_b32_e32 v1, 0
	s_and_not1_b32 vcc_lo, exec_lo, s33
	s_delay_alu instid0(VALU_DEP_1) | instskip(NEXT) | instid1(VALU_DEP_1)
	v_mul_u64_e32 v[2:3], s[22:23], v[0:1]
	v_add_nc_u32_e32 v2, v0, v3
	s_delay_alu instid0(VALU_DEP_1) | instskip(NEXT) | instid1(VALU_DEP_1)
	v_lshrrev_b32_e32 v2, s10, v2
	v_mul_lo_u32 v3, v2, s8
	s_delay_alu instid0(VALU_DEP_1) | instskip(NEXT) | instid1(VALU_DEP_1)
	v_sub_nc_u32_e32 v3, v0, v3
	v_mul_lo_u32 v4, v3, s12
	v_mul_lo_u32 v5, v3, s14
	;; [unrolled: 1-line block ×3, first 2 shown]
	s_cbranch_vccnz .LBB83_62
; %bb.61:
	v_mov_b32_e32 v3, v1
	s_delay_alu instid0(VALU_DEP_1) | instskip(NEXT) | instid1(VALU_DEP_1)
	v_mul_u64_e32 v[8:9], s[24:25], v[2:3]
	v_add_nc_u32_e32 v1, v2, v9
	s_delay_alu instid0(VALU_DEP_1) | instskip(NEXT) | instid1(VALU_DEP_1)
	v_lshrrev_b32_e32 v1, s19, v1
	v_mul_lo_u32 v1, v1, s11
	s_delay_alu instid0(VALU_DEP_1) | instskip(NEXT) | instid1(VALU_DEP_1)
	v_sub_nc_u32_e32 v1, v2, v1
	v_mad_u32 v4, v1, s15, v4
	v_mad_u32 v6, v1, s20, v6
	;; [unrolled: 1-line block ×3, first 2 shown]
.LBB83_62:
	global_load_u16 v2, v5, s[4:5]
	global_load_u16 v1, v6, s[2:3]
	s_mov_b32 s18, exec_lo
	s_wait_loadcnt 0x1
	v_cvt_f32_f16_e32 v2, v2
	s_delay_alu instid0(VALU_DEP_1) | instskip(SKIP_1) | instid1(VALU_DEP_1)
	v_mul_f32_e32 v2, s6, v2
	s_wait_xcnt 0x0
	v_cmpx_nlt_f32_e32 s7, v2
	s_cbranch_execz .LBB83_64
; %bb.63:
	v_mul_f32_e32 v3, 0x3fb8aa3b, v2
	s_wait_loadcnt 0x0
	v_cvt_f32_f16_e32 v1, v1
	v_cmp_ngt_f32_e32 vcc_lo, 0xc2ce8ed0, v2
	s_delay_alu instid0(VALU_DEP_3) | instskip(SKIP_1) | instid1(VALU_DEP_1)
	v_rndne_f32_e32 v5, v3
	v_fma_f32 v6, 0x3fb8aa3b, v2, -v3
	v_dual_sub_f32 v3, v3, v5 :: v_dual_fmamk_f32 v6, v2, 0x32a5705f, v6
	v_cvt_i32_f32_e32 v5, v5
	s_delay_alu instid0(VALU_DEP_2) | instskip(NEXT) | instid1(VALU_DEP_1)
	v_add_f32_e32 v3, v3, v6
	v_exp_f32_e32 v3, v3
	v_nop
	s_delay_alu instid0(TRANS32_DEP_1) | instskip(NEXT) | instid1(VALU_DEP_1)
	v_ldexp_f32 v3, v3, v5
	v_cndmask_b32_e32 v3, 0, v3, vcc_lo
	v_cmp_nlt_f32_e32 vcc_lo, 0x42b17218, v2
	s_delay_alu instid0(VALU_DEP_2) | instskip(NEXT) | instid1(VALU_DEP_1)
	v_cndmask_b32_e32 v2, 0x7f800000, v3, vcc_lo
	v_dual_mul_f32 v1, v2, v1 :: v_dual_add_f32 v2, 1.0, v2
	s_delay_alu instid0(VALU_DEP_1) | instskip(NEXT) | instid1(VALU_DEP_1)
	v_div_scale_f32 v3, null, v2, v2, v1
	v_rcp_f32_e32 v5, v3
	v_nop
	s_delay_alu instid0(TRANS32_DEP_1) | instskip(NEXT) | instid1(VALU_DEP_1)
	v_fma_f32 v6, -v3, v5, 1.0
	v_fmac_f32_e32 v5, v6, v5
	v_div_scale_f32 v6, vcc_lo, v1, v2, v1
	s_delay_alu instid0(VALU_DEP_1) | instskip(NEXT) | instid1(VALU_DEP_1)
	v_mul_f32_e32 v7, v6, v5
	v_fma_f32 v8, -v3, v7, v6
	s_delay_alu instid0(VALU_DEP_1) | instskip(NEXT) | instid1(VALU_DEP_1)
	v_fmac_f32_e32 v7, v8, v5
	v_fma_f32 v3, -v3, v7, v6
	s_delay_alu instid0(VALU_DEP_1) | instskip(NEXT) | instid1(VALU_DEP_1)
	v_div_fmas_f32 v3, v3, v5, v7
	v_div_fixup_f32 v1, v3, v2, v1
	s_delay_alu instid0(VALU_DEP_1)
	v_cvt_f16_f32_e32 v1, v1
.LBB83_64:
	s_or_b32 exec_lo, exec_lo, s18
	v_add_nc_u32_e32 v0, 0x80, v0
	s_wait_loadcnt 0x0
	global_store_b16 v4, v1, s[0:1]
	s_wait_xcnt 0x0
	s_or_b32 exec_lo, exec_lo, s9
	s_delay_alu instid0(SALU_CYCLE_1)
	s_mov_b32 s9, exec_lo
	v_cmpx_gt_i32_e64 s35, v0
	s_cbranch_execz .LBB83_6
.LBB83_65:
	s_and_not1_b32 vcc_lo, exec_lo, s30
	s_cbranch_vccnz .LBB83_71
; %bb.66:
	s_and_not1_b32 vcc_lo, exec_lo, s36
	s_cbranch_vccnz .LBB83_72
; %bb.67:
	v_dual_mov_b32 v4, 0 :: v_dual_mov_b32 v1, v0
	v_dual_mov_b32 v6, 0 :: v_dual_mov_b32 v5, 0
	s_add_co_i32 s18, s34, 1
	s_mov_b64 s[26:27], 0xffffffffffffffe8
	s_and_b32 s18, s18, 30
	s_add_nc_u64 s[26:27], s[16:17], s[26:27]
.LBB83_68:                              ; =>This Inner Loop Header: Depth=1
	s_clause 0x1
	s_load_b128 s[40:43], s[26:27], 0x1c
	s_load_b64 s[38:39], s[26:27], 0x2c
	s_add_co_i32 s18, s18, -2
	s_delay_alu instid0(SALU_CYCLE_1) | instskip(SKIP_2) | instid1(VALU_DEP_1)
	s_cmp_eq_u32 s18, 0
	s_wait_kmcnt 0x0
	v_mul_hi_u32 v2, s41, v1
	v_add_nc_u32_e32 v2, v1, v2
	s_delay_alu instid0(VALU_DEP_1) | instskip(NEXT) | instid1(VALU_DEP_1)
	v_lshrrev_b32_e32 v2, s42, v2
	v_mul_hi_u32 v3, s38, v2
	v_mul_lo_u32 v7, v2, s40
	s_clause 0x1
	s_load_b128 s[44:47], s[26:27], 0xdc
	s_load_b64 s[40:41], s[26:27], 0xec
	s_wait_xcnt 0x0
	s_add_nc_u64 s[26:27], s[26:27], 24
	s_delay_alu instid0(VALU_DEP_2) | instskip(NEXT) | instid1(VALU_DEP_2)
	v_add_nc_u32_e32 v3, v2, v3
	v_sub_nc_u32_e32 v7, v1, v7
	s_delay_alu instid0(VALU_DEP_2) | instskip(SKIP_1) | instid1(VALU_DEP_2)
	v_lshrrev_b32_e32 v1, s39, v3
	s_wait_kmcnt 0x0
	v_mad_u32 v4, v7, s44, v4
	s_delay_alu instid0(VALU_DEP_2) | instskip(SKIP_2) | instid1(VALU_DEP_3)
	v_mul_lo_u32 v3, v1, s43
	v_mad_u32 v5, v7, s46, v5
	v_mad_u32 v6, v7, s45, v6
	v_sub_nc_u32_e32 v2, v2, v3
	s_delay_alu instid0(VALU_DEP_1) | instskip(NEXT) | instid1(VALU_DEP_4)
	v_mad_u32 v4, v2, s47, v4
	v_mad_u32 v5, v2, s41, v5
	s_delay_alu instid0(VALU_DEP_4)
	v_mad_u32 v6, v2, s40, v6
	s_cbranch_scc0 .LBB83_68
; %bb.69:
	s_bitcmp1_b32 s34, 0
	s_cselect_b32 s18, -1, 0
	s_delay_alu instid0(SALU_CYCLE_1)
	s_and_b32 vcc_lo, exec_lo, s18
	s_cbranch_vccnz .LBB83_73
; %bb.70:
	s_clause 0x1
	s_load_b96 s[40:42], s[26:27], 0x1c
	s_load_b96 s[44:46], s[26:27], 0xdc
	s_wait_kmcnt 0x0
	v_mul_hi_u32 v2, s41, v1
	s_delay_alu instid0(VALU_DEP_1) | instskip(NEXT) | instid1(VALU_DEP_1)
	v_add_nc_u32_e32 v2, v1, v2
	v_lshrrev_b32_e32 v2, s42, v2
	s_delay_alu instid0(VALU_DEP_1) | instskip(NEXT) | instid1(VALU_DEP_1)
	v_mul_lo_u32 v2, v2, s40
	v_sub_nc_u32_e32 v1, v1, v2
	s_delay_alu instid0(VALU_DEP_1)
	v_mad_u32 v4, v1, s44, v4
	v_mad_u32 v6, v1, s45, v6
	;; [unrolled: 1-line block ×3, first 2 shown]
	s_branch .LBB83_73
.LBB83_71:
                                        ; implicit-def: $vgpr5
                                        ; implicit-def: $vgpr6
                                        ; implicit-def: $vgpr4
	s_branch .LBB83_74
.LBB83_72:
	v_dual_mov_b32 v5, 0 :: v_dual_mov_b32 v6, 0
	v_mov_b32_e32 v4, 0
.LBB83_73:
	s_cbranch_execnz .LBB83_76
.LBB83_74:
	v_mov_b32_e32 v1, 0
	s_and_not1_b32 vcc_lo, exec_lo, s33
	s_delay_alu instid0(VALU_DEP_1) | instskip(NEXT) | instid1(VALU_DEP_1)
	v_mul_u64_e32 v[2:3], s[22:23], v[0:1]
	v_add_nc_u32_e32 v2, v0, v3
	s_delay_alu instid0(VALU_DEP_1) | instskip(NEXT) | instid1(VALU_DEP_1)
	v_lshrrev_b32_e32 v2, s10, v2
	v_mul_lo_u32 v3, v2, s8
	s_delay_alu instid0(VALU_DEP_1) | instskip(NEXT) | instid1(VALU_DEP_1)
	v_sub_nc_u32_e32 v3, v0, v3
	v_mul_lo_u32 v4, v3, s12
	v_mul_lo_u32 v5, v3, s14
	;; [unrolled: 1-line block ×3, first 2 shown]
	s_cbranch_vccnz .LBB83_76
; %bb.75:
	v_mov_b32_e32 v3, v1
	s_delay_alu instid0(VALU_DEP_1) | instskip(NEXT) | instid1(VALU_DEP_1)
	v_mul_u64_e32 v[8:9], s[24:25], v[2:3]
	v_add_nc_u32_e32 v1, v2, v9
	s_delay_alu instid0(VALU_DEP_1) | instskip(NEXT) | instid1(VALU_DEP_1)
	v_lshrrev_b32_e32 v1, s19, v1
	v_mul_lo_u32 v1, v1, s11
	s_delay_alu instid0(VALU_DEP_1) | instskip(NEXT) | instid1(VALU_DEP_1)
	v_sub_nc_u32_e32 v1, v2, v1
	v_mad_u32 v4, v1, s15, v4
	v_mad_u32 v6, v1, s20, v6
	;; [unrolled: 1-line block ×3, first 2 shown]
.LBB83_76:
	global_load_u16 v2, v5, s[4:5]
	global_load_u16 v1, v6, s[2:3]
	s_mov_b32 s18, exec_lo
	s_wait_loadcnt 0x1
	v_cvt_f32_f16_e32 v2, v2
	s_delay_alu instid0(VALU_DEP_1) | instskip(SKIP_1) | instid1(VALU_DEP_1)
	v_mul_f32_e32 v2, s6, v2
	s_wait_xcnt 0x0
	v_cmpx_nlt_f32_e32 s7, v2
	s_cbranch_execz .LBB83_78
; %bb.77:
	v_mul_f32_e32 v3, 0x3fb8aa3b, v2
	s_wait_loadcnt 0x0
	v_cvt_f32_f16_e32 v1, v1
	v_cmp_ngt_f32_e32 vcc_lo, 0xc2ce8ed0, v2
	s_delay_alu instid0(VALU_DEP_3) | instskip(SKIP_1) | instid1(VALU_DEP_1)
	v_rndne_f32_e32 v5, v3
	v_fma_f32 v6, 0x3fb8aa3b, v2, -v3
	v_dual_sub_f32 v3, v3, v5 :: v_dual_fmamk_f32 v6, v2, 0x32a5705f, v6
	v_cvt_i32_f32_e32 v5, v5
	s_delay_alu instid0(VALU_DEP_2) | instskip(NEXT) | instid1(VALU_DEP_1)
	v_add_f32_e32 v3, v3, v6
	v_exp_f32_e32 v3, v3
	v_nop
	s_delay_alu instid0(TRANS32_DEP_1) | instskip(NEXT) | instid1(VALU_DEP_1)
	v_ldexp_f32 v3, v3, v5
	v_cndmask_b32_e32 v3, 0, v3, vcc_lo
	v_cmp_nlt_f32_e32 vcc_lo, 0x42b17218, v2
	s_delay_alu instid0(VALU_DEP_2) | instskip(NEXT) | instid1(VALU_DEP_1)
	v_cndmask_b32_e32 v2, 0x7f800000, v3, vcc_lo
	v_dual_mul_f32 v1, v2, v1 :: v_dual_add_f32 v2, 1.0, v2
	s_delay_alu instid0(VALU_DEP_1) | instskip(NEXT) | instid1(VALU_DEP_1)
	v_div_scale_f32 v3, null, v2, v2, v1
	v_rcp_f32_e32 v5, v3
	v_nop
	s_delay_alu instid0(TRANS32_DEP_1) | instskip(NEXT) | instid1(VALU_DEP_1)
	v_fma_f32 v6, -v3, v5, 1.0
	v_fmac_f32_e32 v5, v6, v5
	v_div_scale_f32 v6, vcc_lo, v1, v2, v1
	s_delay_alu instid0(VALU_DEP_1) | instskip(NEXT) | instid1(VALU_DEP_1)
	v_mul_f32_e32 v7, v6, v5
	v_fma_f32 v8, -v3, v7, v6
	s_delay_alu instid0(VALU_DEP_1) | instskip(NEXT) | instid1(VALU_DEP_1)
	v_fmac_f32_e32 v7, v8, v5
	v_fma_f32 v3, -v3, v7, v6
	s_delay_alu instid0(VALU_DEP_1) | instskip(NEXT) | instid1(VALU_DEP_1)
	v_div_fmas_f32 v3, v3, v5, v7
	v_div_fixup_f32 v1, v3, v2, v1
	s_delay_alu instid0(VALU_DEP_1)
	v_cvt_f16_f32_e32 v1, v1
.LBB83_78:
	s_or_b32 exec_lo, exec_lo, s18
	v_add_nc_u32_e32 v0, 0x80, v0
	s_wait_loadcnt 0x0
	global_store_b16 v4, v1, s[0:1]
	s_wait_xcnt 0x0
	s_or_b32 exec_lo, exec_lo, s9
	s_delay_alu instid0(SALU_CYCLE_1)
	s_mov_b32 s9, exec_lo
	v_cmpx_gt_i32_e64 s35, v0
	s_cbranch_execz .LBB83_7
.LBB83_79:
	s_and_not1_b32 vcc_lo, exec_lo, s30
	s_cbranch_vccnz .LBB83_85
; %bb.80:
	s_and_not1_b32 vcc_lo, exec_lo, s36
	s_cbranch_vccnz .LBB83_86
; %bb.81:
	v_dual_mov_b32 v4, 0 :: v_dual_mov_b32 v1, v0
	v_dual_mov_b32 v6, 0 :: v_dual_mov_b32 v5, 0
	s_add_co_i32 s18, s34, 1
	s_mov_b64 s[26:27], 0xffffffffffffffe8
	s_and_b32 s18, s18, 30
	s_add_nc_u64 s[26:27], s[16:17], s[26:27]
.LBB83_82:                              ; =>This Inner Loop Header: Depth=1
	s_clause 0x1
	s_load_b128 s[40:43], s[26:27], 0x1c
	s_load_b64 s[38:39], s[26:27], 0x2c
	s_add_co_i32 s18, s18, -2
	s_delay_alu instid0(SALU_CYCLE_1) | instskip(SKIP_2) | instid1(VALU_DEP_1)
	s_cmp_eq_u32 s18, 0
	s_wait_kmcnt 0x0
	v_mul_hi_u32 v2, s41, v1
	v_add_nc_u32_e32 v2, v1, v2
	s_delay_alu instid0(VALU_DEP_1) | instskip(NEXT) | instid1(VALU_DEP_1)
	v_lshrrev_b32_e32 v2, s42, v2
	v_mul_hi_u32 v3, s38, v2
	v_mul_lo_u32 v7, v2, s40
	s_clause 0x1
	s_load_b128 s[44:47], s[26:27], 0xdc
	s_load_b64 s[40:41], s[26:27], 0xec
	s_wait_xcnt 0x0
	s_add_nc_u64 s[26:27], s[26:27], 24
	s_delay_alu instid0(VALU_DEP_2) | instskip(NEXT) | instid1(VALU_DEP_2)
	v_add_nc_u32_e32 v3, v2, v3
	v_sub_nc_u32_e32 v7, v1, v7
	s_delay_alu instid0(VALU_DEP_2) | instskip(SKIP_1) | instid1(VALU_DEP_2)
	v_lshrrev_b32_e32 v1, s39, v3
	s_wait_kmcnt 0x0
	v_mad_u32 v4, v7, s44, v4
	s_delay_alu instid0(VALU_DEP_2) | instskip(SKIP_2) | instid1(VALU_DEP_3)
	v_mul_lo_u32 v3, v1, s43
	v_mad_u32 v5, v7, s46, v5
	v_mad_u32 v6, v7, s45, v6
	v_sub_nc_u32_e32 v2, v2, v3
	s_delay_alu instid0(VALU_DEP_1) | instskip(NEXT) | instid1(VALU_DEP_4)
	v_mad_u32 v4, v2, s47, v4
	v_mad_u32 v5, v2, s41, v5
	s_delay_alu instid0(VALU_DEP_4)
	v_mad_u32 v6, v2, s40, v6
	s_cbranch_scc0 .LBB83_82
; %bb.83:
	s_bitcmp1_b32 s34, 0
	s_cselect_b32 s18, -1, 0
	s_delay_alu instid0(SALU_CYCLE_1)
	s_and_b32 vcc_lo, exec_lo, s18
	s_cbranch_vccnz .LBB83_87
; %bb.84:
	s_clause 0x1
	s_load_b96 s[40:42], s[26:27], 0x1c
	s_load_b96 s[44:46], s[26:27], 0xdc
	s_wait_kmcnt 0x0
	v_mul_hi_u32 v2, s41, v1
	s_delay_alu instid0(VALU_DEP_1) | instskip(NEXT) | instid1(VALU_DEP_1)
	v_add_nc_u32_e32 v2, v1, v2
	v_lshrrev_b32_e32 v2, s42, v2
	s_delay_alu instid0(VALU_DEP_1) | instskip(NEXT) | instid1(VALU_DEP_1)
	v_mul_lo_u32 v2, v2, s40
	v_sub_nc_u32_e32 v1, v1, v2
	s_delay_alu instid0(VALU_DEP_1)
	v_mad_u32 v4, v1, s44, v4
	v_mad_u32 v6, v1, s45, v6
	;; [unrolled: 1-line block ×3, first 2 shown]
	s_branch .LBB83_87
.LBB83_85:
                                        ; implicit-def: $vgpr5
                                        ; implicit-def: $vgpr6
                                        ; implicit-def: $vgpr4
	s_branch .LBB83_88
.LBB83_86:
	v_dual_mov_b32 v5, 0 :: v_dual_mov_b32 v6, 0
	v_mov_b32_e32 v4, 0
.LBB83_87:
	s_cbranch_execnz .LBB83_90
.LBB83_88:
	v_mov_b32_e32 v1, 0
	s_and_not1_b32 vcc_lo, exec_lo, s33
	s_delay_alu instid0(VALU_DEP_1) | instskip(NEXT) | instid1(VALU_DEP_1)
	v_mul_u64_e32 v[2:3], s[22:23], v[0:1]
	v_add_nc_u32_e32 v2, v0, v3
	s_delay_alu instid0(VALU_DEP_1) | instskip(NEXT) | instid1(VALU_DEP_1)
	v_lshrrev_b32_e32 v2, s10, v2
	v_mul_lo_u32 v3, v2, s8
	s_delay_alu instid0(VALU_DEP_1) | instskip(NEXT) | instid1(VALU_DEP_1)
	v_sub_nc_u32_e32 v3, v0, v3
	v_mul_lo_u32 v4, v3, s12
	v_mul_lo_u32 v5, v3, s14
	;; [unrolled: 1-line block ×3, first 2 shown]
	s_cbranch_vccnz .LBB83_90
; %bb.89:
	v_mov_b32_e32 v3, v1
	s_delay_alu instid0(VALU_DEP_1) | instskip(NEXT) | instid1(VALU_DEP_1)
	v_mul_u64_e32 v[8:9], s[24:25], v[2:3]
	v_add_nc_u32_e32 v1, v2, v9
	s_delay_alu instid0(VALU_DEP_1) | instskip(NEXT) | instid1(VALU_DEP_1)
	v_lshrrev_b32_e32 v1, s19, v1
	v_mul_lo_u32 v1, v1, s11
	s_delay_alu instid0(VALU_DEP_1) | instskip(NEXT) | instid1(VALU_DEP_1)
	v_sub_nc_u32_e32 v1, v2, v1
	v_mad_u32 v4, v1, s15, v4
	v_mad_u32 v6, v1, s20, v6
	;; [unrolled: 1-line block ×3, first 2 shown]
.LBB83_90:
	global_load_u16 v2, v5, s[4:5]
	global_load_u16 v1, v6, s[2:3]
	s_mov_b32 s18, exec_lo
	s_wait_loadcnt 0x1
	v_cvt_f32_f16_e32 v2, v2
	s_delay_alu instid0(VALU_DEP_1) | instskip(SKIP_1) | instid1(VALU_DEP_1)
	v_mul_f32_e32 v2, s6, v2
	s_wait_xcnt 0x0
	v_cmpx_nlt_f32_e32 s7, v2
	s_cbranch_execz .LBB83_92
; %bb.91:
	v_mul_f32_e32 v3, 0x3fb8aa3b, v2
	s_wait_loadcnt 0x0
	v_cvt_f32_f16_e32 v1, v1
	v_cmp_ngt_f32_e32 vcc_lo, 0xc2ce8ed0, v2
	s_delay_alu instid0(VALU_DEP_3) | instskip(SKIP_1) | instid1(VALU_DEP_1)
	v_rndne_f32_e32 v5, v3
	v_fma_f32 v6, 0x3fb8aa3b, v2, -v3
	v_dual_sub_f32 v3, v3, v5 :: v_dual_fmamk_f32 v6, v2, 0x32a5705f, v6
	v_cvt_i32_f32_e32 v5, v5
	s_delay_alu instid0(VALU_DEP_2) | instskip(NEXT) | instid1(VALU_DEP_1)
	v_add_f32_e32 v3, v3, v6
	v_exp_f32_e32 v3, v3
	v_nop
	s_delay_alu instid0(TRANS32_DEP_1) | instskip(NEXT) | instid1(VALU_DEP_1)
	v_ldexp_f32 v3, v3, v5
	v_cndmask_b32_e32 v3, 0, v3, vcc_lo
	v_cmp_nlt_f32_e32 vcc_lo, 0x42b17218, v2
	s_delay_alu instid0(VALU_DEP_2) | instskip(NEXT) | instid1(VALU_DEP_1)
	v_cndmask_b32_e32 v2, 0x7f800000, v3, vcc_lo
	v_dual_mul_f32 v1, v2, v1 :: v_dual_add_f32 v2, 1.0, v2
	s_delay_alu instid0(VALU_DEP_1) | instskip(NEXT) | instid1(VALU_DEP_1)
	v_div_scale_f32 v3, null, v2, v2, v1
	v_rcp_f32_e32 v5, v3
	v_nop
	s_delay_alu instid0(TRANS32_DEP_1) | instskip(NEXT) | instid1(VALU_DEP_1)
	v_fma_f32 v6, -v3, v5, 1.0
	v_fmac_f32_e32 v5, v6, v5
	v_div_scale_f32 v6, vcc_lo, v1, v2, v1
	s_delay_alu instid0(VALU_DEP_1) | instskip(NEXT) | instid1(VALU_DEP_1)
	v_mul_f32_e32 v7, v6, v5
	v_fma_f32 v8, -v3, v7, v6
	s_delay_alu instid0(VALU_DEP_1) | instskip(NEXT) | instid1(VALU_DEP_1)
	v_fmac_f32_e32 v7, v8, v5
	v_fma_f32 v3, -v3, v7, v6
	s_delay_alu instid0(VALU_DEP_1) | instskip(NEXT) | instid1(VALU_DEP_1)
	v_div_fmas_f32 v3, v3, v5, v7
	v_div_fixup_f32 v1, v3, v2, v1
	s_delay_alu instid0(VALU_DEP_1)
	v_cvt_f16_f32_e32 v1, v1
.LBB83_92:
	s_or_b32 exec_lo, exec_lo, s18
	v_add_nc_u32_e32 v0, 0x80, v0
	s_wait_loadcnt 0x0
	global_store_b16 v4, v1, s[0:1]
	s_wait_xcnt 0x0
	s_or_b32 exec_lo, exec_lo, s9
	s_delay_alu instid0(SALU_CYCLE_1)
	s_mov_b32 s9, exec_lo
	v_cmpx_gt_i32_e64 s35, v0
	s_cbranch_execz .LBB83_8
.LBB83_93:
	s_and_not1_b32 vcc_lo, exec_lo, s30
	s_cbranch_vccnz .LBB83_99
; %bb.94:
	s_and_not1_b32 vcc_lo, exec_lo, s36
	s_cbranch_vccnz .LBB83_100
; %bb.95:
	v_dual_mov_b32 v4, 0 :: v_dual_mov_b32 v1, v0
	v_dual_mov_b32 v6, 0 :: v_dual_mov_b32 v5, 0
	s_add_co_i32 s18, s34, 1
	s_mov_b64 s[26:27], 0xffffffffffffffe8
	s_and_b32 s18, s18, 30
	s_add_nc_u64 s[26:27], s[16:17], s[26:27]
.LBB83_96:                              ; =>This Inner Loop Header: Depth=1
	s_clause 0x1
	s_load_b128 s[40:43], s[26:27], 0x1c
	s_load_b64 s[38:39], s[26:27], 0x2c
	s_add_co_i32 s18, s18, -2
	s_delay_alu instid0(SALU_CYCLE_1) | instskip(SKIP_2) | instid1(VALU_DEP_1)
	s_cmp_eq_u32 s18, 0
	s_wait_kmcnt 0x0
	v_mul_hi_u32 v2, s41, v1
	v_add_nc_u32_e32 v2, v1, v2
	s_delay_alu instid0(VALU_DEP_1) | instskip(NEXT) | instid1(VALU_DEP_1)
	v_lshrrev_b32_e32 v2, s42, v2
	v_mul_hi_u32 v3, s38, v2
	v_mul_lo_u32 v7, v2, s40
	s_clause 0x1
	s_load_b128 s[44:47], s[26:27], 0xdc
	s_load_b64 s[40:41], s[26:27], 0xec
	s_wait_xcnt 0x0
	s_add_nc_u64 s[26:27], s[26:27], 24
	s_delay_alu instid0(VALU_DEP_2) | instskip(NEXT) | instid1(VALU_DEP_2)
	v_add_nc_u32_e32 v3, v2, v3
	v_sub_nc_u32_e32 v7, v1, v7
	s_delay_alu instid0(VALU_DEP_2) | instskip(SKIP_1) | instid1(VALU_DEP_2)
	v_lshrrev_b32_e32 v1, s39, v3
	s_wait_kmcnt 0x0
	v_mad_u32 v4, v7, s44, v4
	s_delay_alu instid0(VALU_DEP_2) | instskip(SKIP_2) | instid1(VALU_DEP_3)
	v_mul_lo_u32 v3, v1, s43
	v_mad_u32 v5, v7, s46, v5
	v_mad_u32 v6, v7, s45, v6
	v_sub_nc_u32_e32 v2, v2, v3
	s_delay_alu instid0(VALU_DEP_1) | instskip(NEXT) | instid1(VALU_DEP_4)
	v_mad_u32 v4, v2, s47, v4
	v_mad_u32 v5, v2, s41, v5
	s_delay_alu instid0(VALU_DEP_4)
	v_mad_u32 v6, v2, s40, v6
	s_cbranch_scc0 .LBB83_96
; %bb.97:
	s_bitcmp1_b32 s34, 0
	s_cselect_b32 s18, -1, 0
	s_delay_alu instid0(SALU_CYCLE_1)
	s_and_b32 vcc_lo, exec_lo, s18
	s_cbranch_vccnz .LBB83_101
; %bb.98:
	s_clause 0x1
	s_load_b96 s[40:42], s[26:27], 0x1c
	s_load_b96 s[44:46], s[26:27], 0xdc
	s_wait_kmcnt 0x0
	v_mul_hi_u32 v2, s41, v1
	s_delay_alu instid0(VALU_DEP_1) | instskip(NEXT) | instid1(VALU_DEP_1)
	v_add_nc_u32_e32 v2, v1, v2
	v_lshrrev_b32_e32 v2, s42, v2
	s_delay_alu instid0(VALU_DEP_1) | instskip(NEXT) | instid1(VALU_DEP_1)
	v_mul_lo_u32 v2, v2, s40
	v_sub_nc_u32_e32 v1, v1, v2
	s_delay_alu instid0(VALU_DEP_1)
	v_mad_u32 v4, v1, s44, v4
	v_mad_u32 v6, v1, s45, v6
	;; [unrolled: 1-line block ×3, first 2 shown]
	s_branch .LBB83_101
.LBB83_99:
                                        ; implicit-def: $vgpr5
                                        ; implicit-def: $vgpr6
                                        ; implicit-def: $vgpr4
	s_branch .LBB83_102
.LBB83_100:
	v_dual_mov_b32 v5, 0 :: v_dual_mov_b32 v6, 0
	v_mov_b32_e32 v4, 0
.LBB83_101:
	s_cbranch_execnz .LBB83_104
.LBB83_102:
	v_mov_b32_e32 v1, 0
	s_and_not1_b32 vcc_lo, exec_lo, s33
	s_delay_alu instid0(VALU_DEP_1) | instskip(NEXT) | instid1(VALU_DEP_1)
	v_mul_u64_e32 v[2:3], s[22:23], v[0:1]
	v_add_nc_u32_e32 v2, v0, v3
	s_delay_alu instid0(VALU_DEP_1) | instskip(NEXT) | instid1(VALU_DEP_1)
	v_lshrrev_b32_e32 v2, s10, v2
	v_mul_lo_u32 v3, v2, s8
	s_delay_alu instid0(VALU_DEP_1) | instskip(NEXT) | instid1(VALU_DEP_1)
	v_sub_nc_u32_e32 v3, v0, v3
	v_mul_lo_u32 v4, v3, s12
	v_mul_lo_u32 v5, v3, s14
	;; [unrolled: 1-line block ×3, first 2 shown]
	s_cbranch_vccnz .LBB83_104
; %bb.103:
	v_mov_b32_e32 v3, v1
	s_delay_alu instid0(VALU_DEP_1) | instskip(NEXT) | instid1(VALU_DEP_1)
	v_mul_u64_e32 v[8:9], s[24:25], v[2:3]
	v_add_nc_u32_e32 v1, v2, v9
	s_delay_alu instid0(VALU_DEP_1) | instskip(NEXT) | instid1(VALU_DEP_1)
	v_lshrrev_b32_e32 v1, s19, v1
	v_mul_lo_u32 v1, v1, s11
	s_delay_alu instid0(VALU_DEP_1) | instskip(NEXT) | instid1(VALU_DEP_1)
	v_sub_nc_u32_e32 v1, v2, v1
	v_mad_u32 v4, v1, s15, v4
	v_mad_u32 v6, v1, s20, v6
	;; [unrolled: 1-line block ×3, first 2 shown]
.LBB83_104:
	global_load_u16 v2, v5, s[4:5]
	global_load_u16 v1, v6, s[2:3]
	s_mov_b32 s18, exec_lo
	s_wait_loadcnt 0x1
	v_cvt_f32_f16_e32 v2, v2
	s_delay_alu instid0(VALU_DEP_1) | instskip(SKIP_1) | instid1(VALU_DEP_1)
	v_mul_f32_e32 v2, s6, v2
	s_wait_xcnt 0x0
	v_cmpx_nlt_f32_e32 s7, v2
	s_cbranch_execz .LBB83_106
; %bb.105:
	v_mul_f32_e32 v3, 0x3fb8aa3b, v2
	s_wait_loadcnt 0x0
	v_cvt_f32_f16_e32 v1, v1
	v_cmp_ngt_f32_e32 vcc_lo, 0xc2ce8ed0, v2
	s_delay_alu instid0(VALU_DEP_3) | instskip(SKIP_1) | instid1(VALU_DEP_1)
	v_rndne_f32_e32 v5, v3
	v_fma_f32 v6, 0x3fb8aa3b, v2, -v3
	v_dual_sub_f32 v3, v3, v5 :: v_dual_fmamk_f32 v6, v2, 0x32a5705f, v6
	v_cvt_i32_f32_e32 v5, v5
	s_delay_alu instid0(VALU_DEP_2) | instskip(NEXT) | instid1(VALU_DEP_1)
	v_add_f32_e32 v3, v3, v6
	v_exp_f32_e32 v3, v3
	v_nop
	s_delay_alu instid0(TRANS32_DEP_1) | instskip(NEXT) | instid1(VALU_DEP_1)
	v_ldexp_f32 v3, v3, v5
	v_cndmask_b32_e32 v3, 0, v3, vcc_lo
	v_cmp_nlt_f32_e32 vcc_lo, 0x42b17218, v2
	s_delay_alu instid0(VALU_DEP_2) | instskip(NEXT) | instid1(VALU_DEP_1)
	v_cndmask_b32_e32 v2, 0x7f800000, v3, vcc_lo
	v_dual_mul_f32 v1, v2, v1 :: v_dual_add_f32 v2, 1.0, v2
	s_delay_alu instid0(VALU_DEP_1) | instskip(NEXT) | instid1(VALU_DEP_1)
	v_div_scale_f32 v3, null, v2, v2, v1
	v_rcp_f32_e32 v5, v3
	v_nop
	s_delay_alu instid0(TRANS32_DEP_1) | instskip(NEXT) | instid1(VALU_DEP_1)
	v_fma_f32 v6, -v3, v5, 1.0
	v_fmac_f32_e32 v5, v6, v5
	v_div_scale_f32 v6, vcc_lo, v1, v2, v1
	s_delay_alu instid0(VALU_DEP_1) | instskip(NEXT) | instid1(VALU_DEP_1)
	v_mul_f32_e32 v7, v6, v5
	v_fma_f32 v8, -v3, v7, v6
	s_delay_alu instid0(VALU_DEP_1) | instskip(NEXT) | instid1(VALU_DEP_1)
	v_fmac_f32_e32 v7, v8, v5
	v_fma_f32 v3, -v3, v7, v6
	s_delay_alu instid0(VALU_DEP_1) | instskip(NEXT) | instid1(VALU_DEP_1)
	v_div_fmas_f32 v3, v3, v5, v7
	v_div_fixup_f32 v1, v3, v2, v1
	s_delay_alu instid0(VALU_DEP_1)
	v_cvt_f16_f32_e32 v1, v1
.LBB83_106:
	s_or_b32 exec_lo, exec_lo, s18
	v_add_nc_u32_e32 v0, 0x80, v0
	s_wait_loadcnt 0x0
	global_store_b16 v4, v1, s[0:1]
	s_wait_xcnt 0x0
	s_or_b32 exec_lo, exec_lo, s9
	s_delay_alu instid0(SALU_CYCLE_1)
	s_mov_b32 s9, exec_lo
	v_cmpx_gt_i32_e64 s35, v0
	s_cbranch_execz .LBB83_121
.LBB83_107:
	s_and_not1_b32 vcc_lo, exec_lo, s30
	s_cbranch_vccnz .LBB83_113
; %bb.108:
	s_and_not1_b32 vcc_lo, exec_lo, s36
	s_cbranch_vccnz .LBB83_114
; %bb.109:
	v_dual_mov_b32 v4, 0 :: v_dual_mov_b32 v1, v0
	v_dual_mov_b32 v6, 0 :: v_dual_mov_b32 v5, 0
	s_add_co_i32 s18, s34, 1
	s_mov_b64 s[26:27], 0xffffffffffffffe8
	s_and_b32 s18, s18, 30
	s_add_nc_u64 s[26:27], s[16:17], s[26:27]
.LBB83_110:                             ; =>This Inner Loop Header: Depth=1
	s_clause 0x1
	s_load_b128 s[36:39], s[26:27], 0x1c
	s_load_b64 s[44:45], s[26:27], 0x2c
	s_add_co_i32 s18, s18, -2
	s_delay_alu instid0(SALU_CYCLE_1) | instskip(SKIP_2) | instid1(VALU_DEP_1)
	s_cmp_eq_u32 s18, 0
	s_wait_kmcnt 0x0
	v_mul_hi_u32 v2, s37, v1
	v_add_nc_u32_e32 v2, v1, v2
	s_delay_alu instid0(VALU_DEP_1) | instskip(NEXT) | instid1(VALU_DEP_1)
	v_lshrrev_b32_e32 v2, s38, v2
	v_mul_hi_u32 v3, s44, v2
	v_mul_lo_u32 v7, v2, s36
	s_clause 0x1
	s_load_b128 s[40:43], s[26:27], 0xdc
	s_load_b64 s[36:37], s[26:27], 0xec
	s_wait_xcnt 0x0
	s_add_nc_u64 s[26:27], s[26:27], 24
	s_delay_alu instid0(VALU_DEP_2) | instskip(NEXT) | instid1(VALU_DEP_2)
	v_add_nc_u32_e32 v3, v2, v3
	v_sub_nc_u32_e32 v7, v1, v7
	s_delay_alu instid0(VALU_DEP_2) | instskip(SKIP_1) | instid1(VALU_DEP_2)
	v_lshrrev_b32_e32 v1, s45, v3
	s_wait_kmcnt 0x0
	v_mad_u32 v4, v7, s40, v4
	s_delay_alu instid0(VALU_DEP_2) | instskip(SKIP_2) | instid1(VALU_DEP_3)
	v_mul_lo_u32 v3, v1, s39
	v_mad_u32 v5, v7, s42, v5
	v_mad_u32 v6, v7, s41, v6
	v_sub_nc_u32_e32 v2, v2, v3
	s_delay_alu instid0(VALU_DEP_1) | instskip(NEXT) | instid1(VALU_DEP_4)
	v_mad_u32 v4, v2, s43, v4
	v_mad_u32 v5, v2, s37, v5
	s_delay_alu instid0(VALU_DEP_4)
	v_mad_u32 v6, v2, s36, v6
	s_cbranch_scc0 .LBB83_110
; %bb.111:
	s_bitcmp1_b32 s34, 0
	s_cselect_b32 s18, -1, 0
	s_delay_alu instid0(SALU_CYCLE_1)
	s_and_b32 vcc_lo, exec_lo, s18
	s_cbranch_vccnz .LBB83_115
; %bb.112:
	s_clause 0x1
	s_load_b96 s[36:38], s[26:27], 0x1c
	s_load_b96 s[40:42], s[26:27], 0xdc
	s_wait_kmcnt 0x0
	v_mul_hi_u32 v2, s37, v1
	s_delay_alu instid0(VALU_DEP_1) | instskip(NEXT) | instid1(VALU_DEP_1)
	v_add_nc_u32_e32 v2, v1, v2
	v_lshrrev_b32_e32 v2, s38, v2
	s_delay_alu instid0(VALU_DEP_1) | instskip(NEXT) | instid1(VALU_DEP_1)
	v_mul_lo_u32 v2, v2, s36
	v_sub_nc_u32_e32 v1, v1, v2
	s_delay_alu instid0(VALU_DEP_1)
	v_mad_u32 v4, v1, s40, v4
	v_mad_u32 v6, v1, s41, v6
	v_mad_u32 v5, v1, s42, v5
	s_branch .LBB83_115
.LBB83_113:
                                        ; implicit-def: $vgpr5
                                        ; implicit-def: $vgpr6
                                        ; implicit-def: $vgpr4
	s_branch .LBB83_116
.LBB83_114:
	v_dual_mov_b32 v5, 0 :: v_dual_mov_b32 v6, 0
	v_mov_b32_e32 v4, 0
.LBB83_115:
	s_cbranch_execnz .LBB83_118
.LBB83_116:
	v_mov_b32_e32 v1, 0
	s_and_not1_b32 vcc_lo, exec_lo, s33
	s_delay_alu instid0(VALU_DEP_1) | instskip(NEXT) | instid1(VALU_DEP_1)
	v_mul_u64_e32 v[2:3], s[22:23], v[0:1]
	v_add_nc_u32_e32 v2, v0, v3
	s_delay_alu instid0(VALU_DEP_1) | instskip(NEXT) | instid1(VALU_DEP_1)
	v_lshrrev_b32_e32 v2, s10, v2
	v_mul_lo_u32 v3, v2, s8
	s_delay_alu instid0(VALU_DEP_1) | instskip(NEXT) | instid1(VALU_DEP_1)
	v_sub_nc_u32_e32 v0, v0, v3
	v_mul_lo_u32 v4, v0, s12
	v_mul_lo_u32 v5, v0, s14
	v_mul_lo_u32 v6, v0, s13
	s_cbranch_vccnz .LBB83_118
; %bb.117:
	v_mov_b32_e32 v3, v1
	s_delay_alu instid0(VALU_DEP_1) | instskip(NEXT) | instid1(VALU_DEP_1)
	v_mul_u64_e32 v[0:1], s[24:25], v[2:3]
	v_add_nc_u32_e32 v0, v2, v1
	s_delay_alu instid0(VALU_DEP_1) | instskip(NEXT) | instid1(VALU_DEP_1)
	v_lshrrev_b32_e32 v0, s19, v0
	v_mul_lo_u32 v0, v0, s11
	s_delay_alu instid0(VALU_DEP_1) | instskip(NEXT) | instid1(VALU_DEP_1)
	v_sub_nc_u32_e32 v0, v2, v0
	v_mad_u32 v4, v0, s15, v4
	v_mad_u32 v6, v0, s20, v6
	v_mad_u32 v5, v0, s21, v5
.LBB83_118:
	global_load_u16 v1, v5, s[4:5]
	global_load_u16 v0, v6, s[2:3]
	s_wait_xcnt 0x0
	s_mov_b32 s2, exec_lo
	s_wait_loadcnt 0x1
	v_cvt_f32_f16_e32 v1, v1
	s_delay_alu instid0(VALU_DEP_1) | instskip(NEXT) | instid1(VALU_DEP_1)
	v_mul_f32_e32 v1, s6, v1
	v_cmpx_nlt_f32_e32 s7, v1
	s_cbranch_execz .LBB83_120
; %bb.119:
	v_mul_f32_e32 v2, 0x3fb8aa3b, v1
	s_wait_loadcnt 0x0
	v_cvt_f32_f16_e32 v0, v0
	v_cmp_ngt_f32_e32 vcc_lo, 0xc2ce8ed0, v1
	s_delay_alu instid0(VALU_DEP_3) | instskip(SKIP_1) | instid1(VALU_DEP_1)
	v_rndne_f32_e32 v3, v2
	v_fma_f32 v5, 0x3fb8aa3b, v1, -v2
	v_dual_sub_f32 v2, v2, v3 :: v_dual_fmamk_f32 v5, v1, 0x32a5705f, v5
	v_cvt_i32_f32_e32 v3, v3
	s_delay_alu instid0(VALU_DEP_2) | instskip(NEXT) | instid1(VALU_DEP_1)
	v_add_f32_e32 v2, v2, v5
	v_exp_f32_e32 v2, v2
	v_nop
	s_delay_alu instid0(TRANS32_DEP_1) | instskip(NEXT) | instid1(VALU_DEP_1)
	v_ldexp_f32 v2, v2, v3
	v_cndmask_b32_e32 v2, 0, v2, vcc_lo
	v_cmp_nlt_f32_e32 vcc_lo, 0x42b17218, v1
	s_delay_alu instid0(VALU_DEP_2) | instskip(NEXT) | instid1(VALU_DEP_1)
	v_cndmask_b32_e32 v1, 0x7f800000, v2, vcc_lo
	v_dual_mul_f32 v0, v1, v0 :: v_dual_add_f32 v1, 1.0, v1
	s_delay_alu instid0(VALU_DEP_1) | instskip(NEXT) | instid1(VALU_DEP_1)
	v_div_scale_f32 v2, null, v1, v1, v0
	v_rcp_f32_e32 v3, v2
	v_nop
	s_delay_alu instid0(TRANS32_DEP_1) | instskip(NEXT) | instid1(VALU_DEP_1)
	v_fma_f32 v5, -v2, v3, 1.0
	v_fmac_f32_e32 v3, v5, v3
	v_div_scale_f32 v5, vcc_lo, v0, v1, v0
	s_delay_alu instid0(VALU_DEP_1) | instskip(NEXT) | instid1(VALU_DEP_1)
	v_mul_f32_e32 v6, v5, v3
	v_fma_f32 v7, -v2, v6, v5
	s_delay_alu instid0(VALU_DEP_1) | instskip(NEXT) | instid1(VALU_DEP_1)
	v_fmac_f32_e32 v6, v7, v3
	v_fma_f32 v2, -v2, v6, v5
	s_delay_alu instid0(VALU_DEP_1) | instskip(NEXT) | instid1(VALU_DEP_1)
	v_div_fmas_f32 v2, v2, v3, v6
	v_div_fixup_f32 v0, v2, v1, v0
	s_delay_alu instid0(VALU_DEP_1)
	v_cvt_f16_f32_e32 v0, v0
.LBB83_120:
	s_or_b32 exec_lo, exec_lo, s2
	s_wait_loadcnt 0x0
	global_store_b16 v4, v0, s[0:1]
.LBB83_121:
	s_wait_xcnt 0x0
	s_or_b32 exec_lo, exec_lo, s9
                                        ; implicit-def: $vgpr3
                                        ; implicit-def: $vgpr0
.LBB83_122:
	s_and_not1_saveexec_b32 s0, s31
	s_cbranch_execz .LBB83_129
; %bb.123:
	v_cndmask_b32_e64 v9, 0, 1, s30
	s_and_not1_b32 vcc_lo, exec_lo, s30
	s_cbranch_vccnz .LBB83_130
; %bb.124:
	s_cmp_lg_u32 s28, 0
	s_mov_b32 s2, 0
	s_cbranch_scc0 .LBB83_134
; %bb.125:
	s_min_u32 s3, s29, 15
	v_dual_mov_b32 v1, 0 :: v_dual_mov_b32 v2, v0
	v_dual_mov_b32 v6, 0 :: v_dual_mov_b32 v5, 0
	s_add_co_i32 s4, s3, 1
	s_mov_b64 s[0:1], 0xffffffffffffffe8
	s_and_b32 s4, s4, 30
	s_add_nc_u64 s[0:1], s[16:17], s[0:1]
.LBB83_126:                             ; =>This Inner Loop Header: Depth=1
	s_clause 0x1
	s_load_b128 s[8:11], s[0:1], 0x1c
	s_load_b64 s[6:7], s[0:1], 0x2c
	s_add_co_i32 s4, s4, -2
	s_delay_alu instid0(SALU_CYCLE_1) | instskip(SKIP_2) | instid1(VALU_DEP_1)
	s_cmp_lg_u32 s4, 0
	s_wait_kmcnt 0x0
	v_mul_hi_u32 v4, s9, v2
	v_add_nc_u32_e32 v4, v2, v4
	s_delay_alu instid0(VALU_DEP_1) | instskip(NEXT) | instid1(VALU_DEP_1)
	v_lshrrev_b32_e32 v4, s10, v4
	v_mul_hi_u32 v7, s6, v4
	v_mul_lo_u32 v8, v4, s8
	s_clause 0x1
	s_load_b128 s[12:15], s[0:1], 0xdc
	s_load_b64 s[8:9], s[0:1], 0xec
	s_wait_xcnt 0x0
	s_add_nc_u64 s[0:1], s[0:1], 24
	s_delay_alu instid0(VALU_DEP_1) | instskip(NEXT) | instid1(VALU_DEP_1)
	v_dual_add_nc_u32 v7, v4, v7 :: v_dual_sub_nc_u32 v8, v2, v8
	v_lshrrev_b32_e32 v2, s7, v7
	s_wait_kmcnt 0x0
	s_delay_alu instid0(VALU_DEP_2) | instskip(NEXT) | instid1(VALU_DEP_2)
	v_mad_u32 v1, v8, s12, v1
	v_mul_lo_u32 v7, v2, s11
	v_mad_u32 v5, v8, s14, v5
	v_mad_u32 v6, v8, s13, v6
	s_delay_alu instid0(VALU_DEP_3) | instskip(NEXT) | instid1(VALU_DEP_1)
	v_sub_nc_u32_e32 v4, v4, v7
	v_mad_u32 v1, v4, s15, v1
	s_delay_alu instid0(VALU_DEP_4) | instskip(NEXT) | instid1(VALU_DEP_4)
	v_mad_u32 v5, v4, s9, v5
	v_mad_u32 v6, v4, s8, v6
	s_cbranch_scc1 .LBB83_126
; %bb.127:
	s_bitcmp1_b32 s3, 0
	s_cselect_b32 s3, -1, 0
	s_delay_alu instid0(SALU_CYCLE_1)
	s_and_b32 vcc_lo, exec_lo, s3
	s_cbranch_vccnz .LBB83_131
; %bb.128:
	s_clause 0x1
	s_load_b96 s[4:6], s[0:1], 0x1c
	s_load_b96 s[8:10], s[0:1], 0xdc
	s_wait_kmcnt 0x0
	v_mul_hi_u32 v4, s5, v2
	s_delay_alu instid0(VALU_DEP_1) | instskip(NEXT) | instid1(VALU_DEP_1)
	v_add_nc_u32_e32 v4, v2, v4
	v_lshrrev_b32_e32 v4, s6, v4
	s_delay_alu instid0(VALU_DEP_1) | instskip(NEXT) | instid1(VALU_DEP_1)
	v_mul_lo_u32 v4, v4, s4
	v_sub_nc_u32_e32 v2, v2, v4
	s_delay_alu instid0(VALU_DEP_1)
	v_mad_u32 v1, v2, s8, v1
	v_mad_u32 v6, v2, s9, v6
	;; [unrolled: 1-line block ×3, first 2 shown]
	s_and_not1_b32 vcc_lo, exec_lo, s2
	s_cbranch_vccz .LBB83_132
	s_branch .LBB83_135
.LBB83_129:
	s_endpgm
.LBB83_130:
	s_mov_b32 s2, -1
                                        ; implicit-def: $vgpr5
                                        ; implicit-def: $vgpr6
                                        ; implicit-def: $vgpr1
.LBB83_131:
	s_delay_alu instid0(SALU_CYCLE_1)
	s_and_not1_b32 vcc_lo, exec_lo, s2
	s_cbranch_vccnz .LBB83_135
.LBB83_132:
	s_clause 0x1
	s_load_b96 s[0:2], s[16:17], 0x4
	s_load_b96 s[4:6], s[16:17], 0xc4
	s_cmp_lt_u32 s28, 2
	s_wait_kmcnt 0x0
	v_mul_hi_u32 v1, s1, v0
	s_delay_alu instid0(VALU_DEP_1) | instskip(NEXT) | instid1(VALU_DEP_1)
	v_add_nc_u32_e32 v1, v0, v1
	v_lshrrev_b32_e32 v2, s2, v1
	s_delay_alu instid0(VALU_DEP_1) | instskip(NEXT) | instid1(VALU_DEP_1)
	v_mul_lo_u32 v1, v2, s0
	v_sub_nc_u32_e32 v4, v0, v1
	s_delay_alu instid0(VALU_DEP_1)
	v_mul_lo_u32 v1, v4, s4
	v_mul_lo_u32 v5, v4, s6
	v_mul_lo_u32 v6, v4, s5
	s_cbranch_scc1 .LBB83_135
; %bb.133:
	s_clause 0x1
	s_load_b96 s[0:2], s[16:17], 0x10
	s_load_b96 s[4:6], s[16:17], 0xd0
	s_wait_kmcnt 0x0
	v_mul_hi_u32 v4, s1, v2
	s_delay_alu instid0(VALU_DEP_1) | instskip(NEXT) | instid1(VALU_DEP_1)
	v_add_nc_u32_e32 v4, v2, v4
	v_lshrrev_b32_e32 v4, s2, v4
	s_delay_alu instid0(VALU_DEP_1) | instskip(NEXT) | instid1(VALU_DEP_1)
	v_mul_lo_u32 v4, v4, s0
	v_sub_nc_u32_e32 v2, v2, v4
	s_delay_alu instid0(VALU_DEP_1)
	v_mad_u32 v1, v2, s4, v1
	v_mad_u32 v6, v2, s5, v6
	;; [unrolled: 1-line block ×3, first 2 shown]
	s_branch .LBB83_135
.LBB83_134:
	v_dual_mov_b32 v5, 0 :: v_dual_mov_b32 v6, 0
	v_mov_b32_e32 v1, 0
	s_and_not1_b32 vcc_lo, exec_lo, s2
	s_cbranch_vccz .LBB83_132
.LBB83_135:
	v_cmp_ne_u32_e32 vcc_lo, 1, v9
	v_add_nc_u32_e32 v4, 0x80, v0
	s_cbranch_vccnz .LBB83_141
; %bb.136:
	s_cmp_lg_u32 s28, 0
	s_mov_b32 s2, 0
	s_cbranch_scc0 .LBB83_145
; %bb.137:
	s_min_u32 s3, s29, 15
	v_dual_mov_b32 v2, 0 :: v_dual_mov_b32 v10, v4
	v_dual_mov_b32 v8, 0 :: v_dual_mov_b32 v7, 0
	s_add_co_i32 s4, s3, 1
	s_mov_b64 s[0:1], 0xffffffffffffffe8
	s_and_b32 s4, s4, 30
	s_add_nc_u64 s[0:1], s[16:17], s[0:1]
.LBB83_138:                             ; =>This Inner Loop Header: Depth=1
	s_clause 0x1
	s_load_b128 s[8:11], s[0:1], 0x1c
	s_load_b64 s[6:7], s[0:1], 0x2c
	s_add_co_i32 s4, s4, -2
	s_delay_alu instid0(SALU_CYCLE_1) | instskip(SKIP_2) | instid1(VALU_DEP_1)
	s_cmp_lg_u32 s4, 0
	s_wait_kmcnt 0x0
	v_mul_hi_u32 v11, s9, v10
	v_add_nc_u32_e32 v11, v10, v11
	s_delay_alu instid0(VALU_DEP_1) | instskip(NEXT) | instid1(VALU_DEP_1)
	v_lshrrev_b32_e32 v11, s10, v11
	v_mul_hi_u32 v12, s6, v11
	v_mul_lo_u32 v13, v11, s8
	s_clause 0x1
	s_load_b128 s[12:15], s[0:1], 0xdc
	s_load_b64 s[8:9], s[0:1], 0xec
	s_wait_xcnt 0x0
	s_add_nc_u64 s[0:1], s[0:1], 24
	s_delay_alu instid0(VALU_DEP_1) | instskip(NEXT) | instid1(VALU_DEP_1)
	v_dual_add_nc_u32 v12, v11, v12 :: v_dual_sub_nc_u32 v13, v10, v13
	v_lshrrev_b32_e32 v10, s7, v12
	s_wait_kmcnt 0x0
	s_delay_alu instid0(VALU_DEP_2) | instskip(NEXT) | instid1(VALU_DEP_2)
	v_mad_u32 v2, v13, s12, v2
	v_mul_lo_u32 v12, v10, s11
	v_mad_u32 v7, v13, s14, v7
	v_mad_u32 v8, v13, s13, v8
	s_delay_alu instid0(VALU_DEP_3) | instskip(NEXT) | instid1(VALU_DEP_1)
	v_sub_nc_u32_e32 v11, v11, v12
	v_mad_u32 v2, v11, s15, v2
	s_delay_alu instid0(VALU_DEP_4) | instskip(NEXT) | instid1(VALU_DEP_4)
	v_mad_u32 v7, v11, s9, v7
	v_mad_u32 v8, v11, s8, v8
	s_cbranch_scc1 .LBB83_138
; %bb.139:
	s_bitcmp1_b32 s3, 0
	s_cselect_b32 s3, -1, 0
	s_delay_alu instid0(SALU_CYCLE_1)
	s_and_b32 vcc_lo, exec_lo, s3
	s_cbranch_vccnz .LBB83_142
; %bb.140:
	s_clause 0x1
	s_load_b96 s[4:6], s[0:1], 0x1c
	s_load_b96 s[8:10], s[0:1], 0xdc
	s_wait_kmcnt 0x0
	v_mul_hi_u32 v11, s5, v10
	s_delay_alu instid0(VALU_DEP_1) | instskip(NEXT) | instid1(VALU_DEP_1)
	v_add_nc_u32_e32 v11, v10, v11
	v_lshrrev_b32_e32 v11, s6, v11
	s_delay_alu instid0(VALU_DEP_1) | instskip(NEXT) | instid1(VALU_DEP_1)
	v_mul_lo_u32 v11, v11, s4
	v_sub_nc_u32_e32 v10, v10, v11
	s_delay_alu instid0(VALU_DEP_1)
	v_mad_u32 v2, v10, s8, v2
	v_mad_u32 v8, v10, s9, v8
	;; [unrolled: 1-line block ×3, first 2 shown]
	s_and_not1_b32 vcc_lo, exec_lo, s2
	s_cbranch_vccz .LBB83_143
	s_branch .LBB83_146
.LBB83_141:
	s_mov_b32 s2, -1
                                        ; implicit-def: $vgpr7
                                        ; implicit-def: $vgpr8
                                        ; implicit-def: $vgpr2
.LBB83_142:
	s_delay_alu instid0(SALU_CYCLE_1)
	s_and_not1_b32 vcc_lo, exec_lo, s2
	s_cbranch_vccnz .LBB83_146
.LBB83_143:
	s_clause 0x1
	s_load_b96 s[0:2], s[16:17], 0x4
	s_load_b96 s[4:6], s[16:17], 0xc4
	s_cmp_lt_u32 s28, 2
	s_wait_kmcnt 0x0
	v_mul_hi_u32 v2, s1, v4
	s_delay_alu instid0(VALU_DEP_1) | instskip(NEXT) | instid1(VALU_DEP_1)
	v_add_nc_u32_e32 v2, v4, v2
	v_lshrrev_b32_e32 v10, s2, v2
	s_delay_alu instid0(VALU_DEP_1) | instskip(NEXT) | instid1(VALU_DEP_1)
	v_mul_lo_u32 v2, v10, s0
	v_sub_nc_u32_e32 v4, v4, v2
	s_delay_alu instid0(VALU_DEP_1)
	v_mul_lo_u32 v2, v4, s4
	v_mul_lo_u32 v7, v4, s6
	;; [unrolled: 1-line block ×3, first 2 shown]
	s_cbranch_scc1 .LBB83_146
; %bb.144:
	s_clause 0x1
	s_load_b96 s[0:2], s[16:17], 0x10
	s_load_b96 s[4:6], s[16:17], 0xd0
	s_wait_kmcnt 0x0
	v_mul_hi_u32 v4, s1, v10
	s_delay_alu instid0(VALU_DEP_1) | instskip(NEXT) | instid1(VALU_DEP_1)
	v_add_nc_u32_e32 v4, v10, v4
	v_lshrrev_b32_e32 v4, s2, v4
	s_delay_alu instid0(VALU_DEP_1) | instskip(NEXT) | instid1(VALU_DEP_1)
	v_mul_lo_u32 v4, v4, s0
	v_sub_nc_u32_e32 v4, v10, v4
	s_delay_alu instid0(VALU_DEP_1)
	v_mad_u32 v2, v4, s4, v2
	v_mad_u32 v8, v4, s5, v8
	;; [unrolled: 1-line block ×3, first 2 shown]
	s_branch .LBB83_146
.LBB83_145:
	v_dual_mov_b32 v7, 0 :: v_dual_mov_b32 v8, 0
	v_mov_b32_e32 v2, 0
	s_and_not1_b32 vcc_lo, exec_lo, s2
	s_cbranch_vccz .LBB83_143
.LBB83_146:
	v_cmp_ne_u32_e32 vcc_lo, 1, v9
	v_add_nc_u32_e32 v10, 0x100, v0
	s_cbranch_vccnz .LBB83_152
; %bb.147:
	s_cmp_lg_u32 s28, 0
	s_mov_b32 s2, 0
	s_cbranch_scc0 .LBB83_156
; %bb.148:
	s_min_u32 s3, s29, 15
	v_dual_mov_b32 v4, 0 :: v_dual_mov_b32 v13, v10
	v_dual_mov_b32 v12, 0 :: v_dual_mov_b32 v11, 0
	s_add_co_i32 s4, s3, 1
	s_mov_b64 s[0:1], 0xffffffffffffffe8
	s_and_b32 s4, s4, 30
	s_add_nc_u64 s[0:1], s[16:17], s[0:1]
.LBB83_149:                             ; =>This Inner Loop Header: Depth=1
	s_clause 0x1
	s_load_b128 s[8:11], s[0:1], 0x1c
	s_load_b64 s[6:7], s[0:1], 0x2c
	s_add_co_i32 s4, s4, -2
	s_delay_alu instid0(SALU_CYCLE_1) | instskip(SKIP_2) | instid1(VALU_DEP_1)
	s_cmp_lg_u32 s4, 0
	s_wait_kmcnt 0x0
	v_mul_hi_u32 v14, s9, v13
	v_add_nc_u32_e32 v14, v13, v14
	s_delay_alu instid0(VALU_DEP_1) | instskip(NEXT) | instid1(VALU_DEP_1)
	v_lshrrev_b32_e32 v14, s10, v14
	v_mul_hi_u32 v15, s6, v14
	v_mul_lo_u32 v16, v14, s8
	s_clause 0x1
	s_load_b128 s[12:15], s[0:1], 0xdc
	s_load_b64 s[8:9], s[0:1], 0xec
	s_wait_xcnt 0x0
	s_add_nc_u64 s[0:1], s[0:1], 24
	s_delay_alu instid0(VALU_DEP_1) | instskip(NEXT) | instid1(VALU_DEP_1)
	v_dual_add_nc_u32 v15, v14, v15 :: v_dual_sub_nc_u32 v16, v13, v16
	v_lshrrev_b32_e32 v13, s7, v15
	s_wait_kmcnt 0x0
	s_delay_alu instid0(VALU_DEP_2) | instskip(NEXT) | instid1(VALU_DEP_2)
	v_mad_u32 v4, v16, s12, v4
	v_mul_lo_u32 v15, v13, s11
	v_mad_u32 v11, v16, s14, v11
	v_mad_u32 v12, v16, s13, v12
	s_delay_alu instid0(VALU_DEP_3) | instskip(NEXT) | instid1(VALU_DEP_1)
	v_sub_nc_u32_e32 v14, v14, v15
	v_mad_u32 v4, v14, s15, v4
	s_delay_alu instid0(VALU_DEP_4) | instskip(NEXT) | instid1(VALU_DEP_4)
	v_mad_u32 v11, v14, s9, v11
	v_mad_u32 v12, v14, s8, v12
	s_cbranch_scc1 .LBB83_149
; %bb.150:
	s_bitcmp1_b32 s3, 0
	s_cselect_b32 s3, -1, 0
	s_delay_alu instid0(SALU_CYCLE_1)
	s_and_b32 vcc_lo, exec_lo, s3
	s_cbranch_vccnz .LBB83_153
; %bb.151:
	s_clause 0x1
	s_load_b96 s[4:6], s[0:1], 0x1c
	s_load_b96 s[8:10], s[0:1], 0xdc
	s_wait_kmcnt 0x0
	v_mul_hi_u32 v14, s5, v13
	s_delay_alu instid0(VALU_DEP_1) | instskip(NEXT) | instid1(VALU_DEP_1)
	v_add_nc_u32_e32 v14, v13, v14
	v_lshrrev_b32_e32 v14, s6, v14
	s_delay_alu instid0(VALU_DEP_1) | instskip(NEXT) | instid1(VALU_DEP_1)
	v_mul_lo_u32 v14, v14, s4
	v_sub_nc_u32_e32 v13, v13, v14
	s_delay_alu instid0(VALU_DEP_1)
	v_mad_u32 v4, v13, s8, v4
	v_mad_u32 v12, v13, s9, v12
	;; [unrolled: 1-line block ×3, first 2 shown]
	s_and_not1_b32 vcc_lo, exec_lo, s2
	s_cbranch_vccz .LBB83_154
	s_branch .LBB83_157
.LBB83_152:
	s_mov_b32 s2, -1
                                        ; implicit-def: $vgpr11
                                        ; implicit-def: $vgpr12
                                        ; implicit-def: $vgpr4
.LBB83_153:
	s_delay_alu instid0(SALU_CYCLE_1)
	s_and_not1_b32 vcc_lo, exec_lo, s2
	s_cbranch_vccnz .LBB83_157
.LBB83_154:
	s_clause 0x1
	s_load_b96 s[0:2], s[16:17], 0x4
	s_load_b96 s[4:6], s[16:17], 0xc4
	s_cmp_lt_u32 s28, 2
	s_wait_kmcnt 0x0
	v_mul_hi_u32 v4, s1, v10
	s_delay_alu instid0(VALU_DEP_1) | instskip(NEXT) | instid1(VALU_DEP_1)
	v_add_nc_u32_e32 v4, v10, v4
	v_lshrrev_b32_e32 v13, s2, v4
	s_delay_alu instid0(VALU_DEP_1) | instskip(NEXT) | instid1(VALU_DEP_1)
	v_mul_lo_u32 v4, v13, s0
	v_sub_nc_u32_e32 v10, v10, v4
	s_delay_alu instid0(VALU_DEP_1)
	v_mul_lo_u32 v4, v10, s4
	v_mul_lo_u32 v11, v10, s6
	;; [unrolled: 1-line block ×3, first 2 shown]
	s_cbranch_scc1 .LBB83_157
; %bb.155:
	s_clause 0x1
	s_load_b96 s[0:2], s[16:17], 0x10
	s_load_b96 s[4:6], s[16:17], 0xd0
	s_wait_kmcnt 0x0
	v_mul_hi_u32 v10, s1, v13
	s_delay_alu instid0(VALU_DEP_1) | instskip(NEXT) | instid1(VALU_DEP_1)
	v_add_nc_u32_e32 v10, v13, v10
	v_lshrrev_b32_e32 v10, s2, v10
	s_delay_alu instid0(VALU_DEP_1) | instskip(NEXT) | instid1(VALU_DEP_1)
	v_mul_lo_u32 v10, v10, s0
	v_sub_nc_u32_e32 v10, v13, v10
	s_delay_alu instid0(VALU_DEP_1)
	v_mad_u32 v4, v10, s4, v4
	v_mad_u32 v12, v10, s5, v12
	;; [unrolled: 1-line block ×3, first 2 shown]
	s_branch .LBB83_157
.LBB83_156:
	v_dual_mov_b32 v11, 0 :: v_dual_mov_b32 v12, 0
	v_mov_b32_e32 v4, 0
	s_and_not1_b32 vcc_lo, exec_lo, s2
	s_cbranch_vccz .LBB83_154
.LBB83_157:
	v_cmp_ne_u32_e32 vcc_lo, 1, v9
	v_add_nc_u32_e32 v13, 0x180, v0
	s_cbranch_vccnz .LBB83_163
; %bb.158:
	s_cmp_lg_u32 s28, 0
	s_mov_b32 s2, 0
	s_cbranch_scc0 .LBB83_167
; %bb.159:
	s_min_u32 s3, s29, 15
	v_dual_mov_b32 v10, 0 :: v_dual_mov_b32 v16, v13
	v_dual_mov_b32 v15, 0 :: v_dual_mov_b32 v14, 0
	s_add_co_i32 s4, s3, 1
	s_mov_b64 s[0:1], 0xffffffffffffffe8
	s_and_b32 s4, s4, 30
	s_add_nc_u64 s[0:1], s[16:17], s[0:1]
.LBB83_160:                             ; =>This Inner Loop Header: Depth=1
	s_clause 0x1
	s_load_b128 s[8:11], s[0:1], 0x1c
	s_load_b64 s[6:7], s[0:1], 0x2c
	s_add_co_i32 s4, s4, -2
	s_delay_alu instid0(SALU_CYCLE_1) | instskip(SKIP_2) | instid1(VALU_DEP_1)
	s_cmp_lg_u32 s4, 0
	s_wait_kmcnt 0x0
	v_mul_hi_u32 v17, s9, v16
	v_add_nc_u32_e32 v17, v16, v17
	s_delay_alu instid0(VALU_DEP_1) | instskip(NEXT) | instid1(VALU_DEP_1)
	v_lshrrev_b32_e32 v17, s10, v17
	v_mul_hi_u32 v18, s6, v17
	v_mul_lo_u32 v19, v17, s8
	s_clause 0x1
	s_load_b128 s[12:15], s[0:1], 0xdc
	s_load_b64 s[8:9], s[0:1], 0xec
	s_wait_xcnt 0x0
	s_add_nc_u64 s[0:1], s[0:1], 24
	s_delay_alu instid0(VALU_DEP_1) | instskip(NEXT) | instid1(VALU_DEP_1)
	v_dual_add_nc_u32 v18, v17, v18 :: v_dual_sub_nc_u32 v19, v16, v19
	v_lshrrev_b32_e32 v16, s7, v18
	s_wait_kmcnt 0x0
	s_delay_alu instid0(VALU_DEP_2) | instskip(NEXT) | instid1(VALU_DEP_2)
	v_mad_u32 v10, v19, s12, v10
	v_mul_lo_u32 v18, v16, s11
	v_mad_u32 v14, v19, s14, v14
	v_mad_u32 v15, v19, s13, v15
	s_delay_alu instid0(VALU_DEP_3) | instskip(NEXT) | instid1(VALU_DEP_1)
	v_sub_nc_u32_e32 v17, v17, v18
	v_mad_u32 v10, v17, s15, v10
	s_delay_alu instid0(VALU_DEP_4) | instskip(NEXT) | instid1(VALU_DEP_4)
	v_mad_u32 v14, v17, s9, v14
	v_mad_u32 v15, v17, s8, v15
	s_cbranch_scc1 .LBB83_160
; %bb.161:
	s_bitcmp1_b32 s3, 0
	s_cselect_b32 s3, -1, 0
	s_delay_alu instid0(SALU_CYCLE_1)
	s_and_b32 vcc_lo, exec_lo, s3
	s_cbranch_vccnz .LBB83_164
; %bb.162:
	s_clause 0x1
	s_load_b96 s[4:6], s[0:1], 0x1c
	s_load_b96 s[8:10], s[0:1], 0xdc
	s_wait_kmcnt 0x0
	v_mul_hi_u32 v17, s5, v16
	s_delay_alu instid0(VALU_DEP_1) | instskip(NEXT) | instid1(VALU_DEP_1)
	v_add_nc_u32_e32 v17, v16, v17
	v_lshrrev_b32_e32 v17, s6, v17
	s_delay_alu instid0(VALU_DEP_1) | instskip(NEXT) | instid1(VALU_DEP_1)
	v_mul_lo_u32 v17, v17, s4
	v_sub_nc_u32_e32 v16, v16, v17
	s_delay_alu instid0(VALU_DEP_1)
	v_mad_u32 v10, v16, s8, v10
	v_mad_u32 v15, v16, s9, v15
	;; [unrolled: 1-line block ×3, first 2 shown]
	s_and_not1_b32 vcc_lo, exec_lo, s2
	s_cbranch_vccz .LBB83_165
	s_branch .LBB83_168
.LBB83_163:
	s_mov_b32 s2, -1
                                        ; implicit-def: $vgpr14
                                        ; implicit-def: $vgpr15
                                        ; implicit-def: $vgpr10
.LBB83_164:
	s_delay_alu instid0(SALU_CYCLE_1)
	s_and_not1_b32 vcc_lo, exec_lo, s2
	s_cbranch_vccnz .LBB83_168
.LBB83_165:
	s_clause 0x1
	s_load_b96 s[0:2], s[16:17], 0x4
	s_load_b96 s[4:6], s[16:17], 0xc4
	s_cmp_lt_u32 s28, 2
	s_wait_kmcnt 0x0
	v_mul_hi_u32 v10, s1, v13
	s_delay_alu instid0(VALU_DEP_1) | instskip(NEXT) | instid1(VALU_DEP_1)
	v_add_nc_u32_e32 v10, v13, v10
	v_lshrrev_b32_e32 v16, s2, v10
	s_delay_alu instid0(VALU_DEP_1) | instskip(NEXT) | instid1(VALU_DEP_1)
	v_mul_lo_u32 v10, v16, s0
	v_sub_nc_u32_e32 v13, v13, v10
	s_delay_alu instid0(VALU_DEP_1)
	v_mul_lo_u32 v10, v13, s4
	v_mul_lo_u32 v14, v13, s6
	;; [unrolled: 1-line block ×3, first 2 shown]
	s_cbranch_scc1 .LBB83_168
; %bb.166:
	s_clause 0x1
	s_load_b96 s[0:2], s[16:17], 0x10
	s_load_b96 s[4:6], s[16:17], 0xd0
	s_wait_kmcnt 0x0
	v_mul_hi_u32 v13, s1, v16
	s_delay_alu instid0(VALU_DEP_1) | instskip(NEXT) | instid1(VALU_DEP_1)
	v_add_nc_u32_e32 v13, v16, v13
	v_lshrrev_b32_e32 v13, s2, v13
	s_delay_alu instid0(VALU_DEP_1) | instskip(NEXT) | instid1(VALU_DEP_1)
	v_mul_lo_u32 v13, v13, s0
	v_sub_nc_u32_e32 v13, v16, v13
	s_delay_alu instid0(VALU_DEP_1)
	v_mad_u32 v10, v13, s4, v10
	v_mad_u32 v15, v13, s5, v15
	;; [unrolled: 1-line block ×3, first 2 shown]
	s_branch .LBB83_168
.LBB83_167:
	v_dual_mov_b32 v14, 0 :: v_dual_mov_b32 v15, 0
	v_mov_b32_e32 v10, 0
	s_and_not1_b32 vcc_lo, exec_lo, s2
	s_cbranch_vccz .LBB83_165
.LBB83_168:
	v_cmp_ne_u32_e32 vcc_lo, 1, v9
	v_add_nc_u32_e32 v16, 0x200, v0
	s_cbranch_vccnz .LBB83_174
; %bb.169:
	s_cmp_lg_u32 s28, 0
	s_mov_b32 s2, 0
	s_cbranch_scc0 .LBB83_178
; %bb.170:
	s_min_u32 s3, s29, 15
	v_dual_mov_b32 v13, 0 :: v_dual_mov_b32 v19, v16
	v_dual_mov_b32 v18, 0 :: v_dual_mov_b32 v17, 0
	s_add_co_i32 s4, s3, 1
	s_mov_b64 s[0:1], 0xffffffffffffffe8
	s_and_b32 s4, s4, 30
	s_add_nc_u64 s[0:1], s[16:17], s[0:1]
.LBB83_171:                             ; =>This Inner Loop Header: Depth=1
	s_clause 0x1
	s_load_b128 s[8:11], s[0:1], 0x1c
	s_load_b64 s[6:7], s[0:1], 0x2c
	s_add_co_i32 s4, s4, -2
	s_delay_alu instid0(SALU_CYCLE_1) | instskip(SKIP_2) | instid1(VALU_DEP_1)
	s_cmp_lg_u32 s4, 0
	s_wait_kmcnt 0x0
	v_mul_hi_u32 v20, s9, v19
	v_add_nc_u32_e32 v20, v19, v20
	s_delay_alu instid0(VALU_DEP_1) | instskip(NEXT) | instid1(VALU_DEP_1)
	v_lshrrev_b32_e32 v20, s10, v20
	v_mul_hi_u32 v21, s6, v20
	v_mul_lo_u32 v22, v20, s8
	s_clause 0x1
	s_load_b128 s[12:15], s[0:1], 0xdc
	s_load_b64 s[8:9], s[0:1], 0xec
	s_wait_xcnt 0x0
	s_add_nc_u64 s[0:1], s[0:1], 24
	s_delay_alu instid0(VALU_DEP_1) | instskip(NEXT) | instid1(VALU_DEP_1)
	v_dual_add_nc_u32 v21, v20, v21 :: v_dual_sub_nc_u32 v22, v19, v22
	v_lshrrev_b32_e32 v19, s7, v21
	s_wait_kmcnt 0x0
	s_delay_alu instid0(VALU_DEP_2) | instskip(NEXT) | instid1(VALU_DEP_2)
	v_mad_u32 v13, v22, s12, v13
	v_mul_lo_u32 v21, v19, s11
	v_mad_u32 v17, v22, s14, v17
	v_mad_u32 v18, v22, s13, v18
	s_delay_alu instid0(VALU_DEP_3) | instskip(NEXT) | instid1(VALU_DEP_1)
	v_sub_nc_u32_e32 v20, v20, v21
	v_mad_u32 v13, v20, s15, v13
	s_delay_alu instid0(VALU_DEP_4) | instskip(NEXT) | instid1(VALU_DEP_4)
	v_mad_u32 v17, v20, s9, v17
	v_mad_u32 v18, v20, s8, v18
	s_cbranch_scc1 .LBB83_171
; %bb.172:
	s_bitcmp1_b32 s3, 0
	s_cselect_b32 s3, -1, 0
	s_delay_alu instid0(SALU_CYCLE_1)
	s_and_b32 vcc_lo, exec_lo, s3
	s_cbranch_vccnz .LBB83_175
; %bb.173:
	s_clause 0x1
	s_load_b96 s[4:6], s[0:1], 0x1c
	s_load_b96 s[8:10], s[0:1], 0xdc
	s_wait_kmcnt 0x0
	v_mul_hi_u32 v20, s5, v19
	s_delay_alu instid0(VALU_DEP_1) | instskip(NEXT) | instid1(VALU_DEP_1)
	v_add_nc_u32_e32 v20, v19, v20
	v_lshrrev_b32_e32 v20, s6, v20
	s_delay_alu instid0(VALU_DEP_1) | instskip(NEXT) | instid1(VALU_DEP_1)
	v_mul_lo_u32 v20, v20, s4
	v_sub_nc_u32_e32 v19, v19, v20
	s_delay_alu instid0(VALU_DEP_1)
	v_mad_u32 v13, v19, s8, v13
	v_mad_u32 v18, v19, s9, v18
	;; [unrolled: 1-line block ×3, first 2 shown]
	s_and_not1_b32 vcc_lo, exec_lo, s2
	s_cbranch_vccz .LBB83_176
	s_branch .LBB83_179
.LBB83_174:
	s_mov_b32 s2, -1
                                        ; implicit-def: $vgpr17
                                        ; implicit-def: $vgpr18
                                        ; implicit-def: $vgpr13
.LBB83_175:
	s_delay_alu instid0(SALU_CYCLE_1)
	s_and_not1_b32 vcc_lo, exec_lo, s2
	s_cbranch_vccnz .LBB83_179
.LBB83_176:
	s_clause 0x1
	s_load_b96 s[0:2], s[16:17], 0x4
	s_load_b96 s[4:6], s[16:17], 0xc4
	s_cmp_lt_u32 s28, 2
	s_wait_kmcnt 0x0
	v_mul_hi_u32 v13, s1, v16
	s_delay_alu instid0(VALU_DEP_1) | instskip(NEXT) | instid1(VALU_DEP_1)
	v_add_nc_u32_e32 v13, v16, v13
	v_lshrrev_b32_e32 v19, s2, v13
	s_delay_alu instid0(VALU_DEP_1) | instskip(NEXT) | instid1(VALU_DEP_1)
	v_mul_lo_u32 v13, v19, s0
	v_sub_nc_u32_e32 v16, v16, v13
	s_delay_alu instid0(VALU_DEP_1)
	v_mul_lo_u32 v13, v16, s4
	v_mul_lo_u32 v17, v16, s6
	;; [unrolled: 1-line block ×3, first 2 shown]
	s_cbranch_scc1 .LBB83_179
; %bb.177:
	s_clause 0x1
	s_load_b96 s[0:2], s[16:17], 0x10
	s_load_b96 s[4:6], s[16:17], 0xd0
	s_wait_kmcnt 0x0
	v_mul_hi_u32 v16, s1, v19
	s_delay_alu instid0(VALU_DEP_1) | instskip(NEXT) | instid1(VALU_DEP_1)
	v_add_nc_u32_e32 v16, v19, v16
	v_lshrrev_b32_e32 v16, s2, v16
	s_delay_alu instid0(VALU_DEP_1) | instskip(NEXT) | instid1(VALU_DEP_1)
	v_mul_lo_u32 v16, v16, s0
	v_sub_nc_u32_e32 v16, v19, v16
	s_delay_alu instid0(VALU_DEP_1)
	v_mad_u32 v13, v16, s4, v13
	v_mad_u32 v18, v16, s5, v18
	;; [unrolled: 1-line block ×3, first 2 shown]
	s_branch .LBB83_179
.LBB83_178:
	v_dual_mov_b32 v17, 0 :: v_dual_mov_b32 v18, 0
	v_mov_b32_e32 v13, 0
	s_and_not1_b32 vcc_lo, exec_lo, s2
	s_cbranch_vccz .LBB83_176
.LBB83_179:
	v_cmp_ne_u32_e32 vcc_lo, 1, v9
	v_add_nc_u32_e32 v21, 0x280, v0
	s_cbranch_vccnz .LBB83_185
; %bb.180:
	s_cmp_lg_u32 s28, 0
	s_mov_b32 s2, 0
	s_cbranch_scc0 .LBB83_189
; %bb.181:
	s_min_u32 s3, s29, 15
	v_dual_mov_b32 v16, 0 :: v_dual_mov_b32 v22, v21
	v_dual_mov_b32 v20, 0 :: v_dual_mov_b32 v19, 0
	s_add_co_i32 s4, s3, 1
	s_mov_b64 s[0:1], 0xffffffffffffffe8
	s_and_b32 s4, s4, 30
	s_add_nc_u64 s[0:1], s[16:17], s[0:1]
.LBB83_182:                             ; =>This Inner Loop Header: Depth=1
	s_clause 0x1
	s_load_b128 s[8:11], s[0:1], 0x1c
	s_load_b64 s[6:7], s[0:1], 0x2c
	s_add_co_i32 s4, s4, -2
	s_delay_alu instid0(SALU_CYCLE_1) | instskip(SKIP_2) | instid1(VALU_DEP_1)
	s_cmp_lg_u32 s4, 0
	s_wait_kmcnt 0x0
	v_mul_hi_u32 v23, s9, v22
	v_add_nc_u32_e32 v23, v22, v23
	s_delay_alu instid0(VALU_DEP_1) | instskip(NEXT) | instid1(VALU_DEP_1)
	v_lshrrev_b32_e32 v23, s10, v23
	v_mul_hi_u32 v24, s6, v23
	v_mul_lo_u32 v25, v23, s8
	s_clause 0x1
	s_load_b128 s[12:15], s[0:1], 0xdc
	s_load_b64 s[8:9], s[0:1], 0xec
	s_wait_xcnt 0x0
	s_add_nc_u64 s[0:1], s[0:1], 24
	s_delay_alu instid0(VALU_DEP_1) | instskip(NEXT) | instid1(VALU_DEP_1)
	v_dual_add_nc_u32 v24, v23, v24 :: v_dual_sub_nc_u32 v25, v22, v25
	v_lshrrev_b32_e32 v22, s7, v24
	s_wait_kmcnt 0x0
	s_delay_alu instid0(VALU_DEP_2) | instskip(NEXT) | instid1(VALU_DEP_2)
	v_mad_u32 v16, v25, s12, v16
	v_mul_lo_u32 v24, v22, s11
	v_mad_u32 v19, v25, s14, v19
	v_mad_u32 v20, v25, s13, v20
	s_delay_alu instid0(VALU_DEP_3) | instskip(NEXT) | instid1(VALU_DEP_1)
	v_sub_nc_u32_e32 v23, v23, v24
	v_mad_u32 v16, v23, s15, v16
	s_delay_alu instid0(VALU_DEP_4) | instskip(NEXT) | instid1(VALU_DEP_4)
	v_mad_u32 v19, v23, s9, v19
	v_mad_u32 v20, v23, s8, v20
	s_cbranch_scc1 .LBB83_182
; %bb.183:
	s_bitcmp1_b32 s3, 0
	s_cselect_b32 s3, -1, 0
	s_delay_alu instid0(SALU_CYCLE_1)
	s_and_b32 vcc_lo, exec_lo, s3
	s_cbranch_vccnz .LBB83_186
; %bb.184:
	s_clause 0x1
	s_load_b96 s[4:6], s[0:1], 0x1c
	s_load_b96 s[8:10], s[0:1], 0xdc
	s_wait_kmcnt 0x0
	v_mul_hi_u32 v23, s5, v22
	s_delay_alu instid0(VALU_DEP_1) | instskip(NEXT) | instid1(VALU_DEP_1)
	v_add_nc_u32_e32 v23, v22, v23
	v_lshrrev_b32_e32 v23, s6, v23
	s_delay_alu instid0(VALU_DEP_1) | instskip(NEXT) | instid1(VALU_DEP_1)
	v_mul_lo_u32 v23, v23, s4
	v_sub_nc_u32_e32 v22, v22, v23
	s_delay_alu instid0(VALU_DEP_1)
	v_mad_u32 v16, v22, s8, v16
	v_mad_u32 v20, v22, s9, v20
	;; [unrolled: 1-line block ×3, first 2 shown]
	s_and_not1_b32 vcc_lo, exec_lo, s2
	s_cbranch_vccz .LBB83_187
	s_branch .LBB83_190
.LBB83_185:
	s_mov_b32 s2, -1
                                        ; implicit-def: $vgpr19
                                        ; implicit-def: $vgpr20
                                        ; implicit-def: $vgpr16
.LBB83_186:
	s_delay_alu instid0(SALU_CYCLE_1)
	s_and_not1_b32 vcc_lo, exec_lo, s2
	s_cbranch_vccnz .LBB83_190
.LBB83_187:
	s_clause 0x1
	s_load_b96 s[0:2], s[16:17], 0x4
	s_load_b96 s[4:6], s[16:17], 0xc4
	s_cmp_lt_u32 s28, 2
	s_wait_kmcnt 0x0
	v_mul_hi_u32 v16, s1, v21
	s_delay_alu instid0(VALU_DEP_1) | instskip(NEXT) | instid1(VALU_DEP_1)
	v_add_nc_u32_e32 v16, v21, v16
	v_lshrrev_b32_e32 v22, s2, v16
	s_delay_alu instid0(VALU_DEP_1) | instskip(NEXT) | instid1(VALU_DEP_1)
	v_mul_lo_u32 v16, v22, s0
	v_sub_nc_u32_e32 v20, v21, v16
	s_delay_alu instid0(VALU_DEP_1)
	v_mul_lo_u32 v16, v20, s4
	v_mul_lo_u32 v19, v20, s6
	v_mul_lo_u32 v20, v20, s5
	s_cbranch_scc1 .LBB83_190
; %bb.188:
	s_clause 0x1
	s_load_b96 s[0:2], s[16:17], 0x10
	s_load_b96 s[4:6], s[16:17], 0xd0
	s_wait_kmcnt 0x0
	v_mul_hi_u32 v21, s1, v22
	s_delay_alu instid0(VALU_DEP_1) | instskip(NEXT) | instid1(VALU_DEP_1)
	v_add_nc_u32_e32 v21, v22, v21
	v_lshrrev_b32_e32 v21, s2, v21
	s_delay_alu instid0(VALU_DEP_1) | instskip(NEXT) | instid1(VALU_DEP_1)
	v_mul_lo_u32 v21, v21, s0
	v_sub_nc_u32_e32 v21, v22, v21
	s_delay_alu instid0(VALU_DEP_1)
	v_mad_u32 v16, v21, s4, v16
	v_mad_u32 v20, v21, s5, v20
	;; [unrolled: 1-line block ×3, first 2 shown]
	s_branch .LBB83_190
.LBB83_189:
	v_dual_mov_b32 v19, 0 :: v_dual_mov_b32 v20, 0
	v_mov_b32_e32 v16, 0
	s_and_not1_b32 vcc_lo, exec_lo, s2
	s_cbranch_vccz .LBB83_187
.LBB83_190:
	v_cmp_ne_u32_e32 vcc_lo, 1, v9
	v_add_nc_u32_e32 v23, 0x300, v0
	s_cbranch_vccnz .LBB83_196
; %bb.191:
	s_cmp_lg_u32 s28, 0
	s_mov_b32 s2, 0
	s_cbranch_scc0 .LBB83_200
; %bb.192:
	s_min_u32 s3, s29, 15
	v_dual_mov_b32 v0, 0 :: v_dual_mov_b32 v24, v23
	v_dual_mov_b32 v22, 0 :: v_dual_mov_b32 v21, 0
	s_add_co_i32 s4, s3, 1
	s_mov_b64 s[0:1], 0xffffffffffffffe8
	s_and_b32 s4, s4, 30
	s_add_nc_u64 s[0:1], s[16:17], s[0:1]
.LBB83_193:                             ; =>This Inner Loop Header: Depth=1
	s_clause 0x1
	s_load_b128 s[8:11], s[0:1], 0x1c
	s_load_b64 s[6:7], s[0:1], 0x2c
	s_add_co_i32 s4, s4, -2
	s_delay_alu instid0(SALU_CYCLE_1) | instskip(SKIP_2) | instid1(VALU_DEP_1)
	s_cmp_lg_u32 s4, 0
	s_wait_kmcnt 0x0
	v_mul_hi_u32 v25, s9, v24
	v_add_nc_u32_e32 v25, v24, v25
	s_delay_alu instid0(VALU_DEP_1) | instskip(NEXT) | instid1(VALU_DEP_1)
	v_lshrrev_b32_e32 v25, s10, v25
	v_mul_hi_u32 v26, s6, v25
	v_mul_lo_u32 v27, v25, s8
	s_clause 0x1
	s_load_b128 s[12:15], s[0:1], 0xdc
	s_load_b64 s[8:9], s[0:1], 0xec
	s_wait_xcnt 0x0
	s_add_nc_u64 s[0:1], s[0:1], 24
	s_delay_alu instid0(VALU_DEP_1) | instskip(NEXT) | instid1(VALU_DEP_1)
	v_dual_add_nc_u32 v26, v25, v26 :: v_dual_sub_nc_u32 v27, v24, v27
	v_lshrrev_b32_e32 v24, s7, v26
	s_wait_kmcnt 0x0
	s_delay_alu instid0(VALU_DEP_2) | instskip(NEXT) | instid1(VALU_DEP_2)
	v_mad_u32 v0, v27, s12, v0
	v_mul_lo_u32 v26, v24, s11
	v_mad_u32 v21, v27, s14, v21
	v_mad_u32 v22, v27, s13, v22
	s_delay_alu instid0(VALU_DEP_3) | instskip(NEXT) | instid1(VALU_DEP_1)
	v_sub_nc_u32_e32 v25, v25, v26
	v_mad_u32 v0, v25, s15, v0
	s_delay_alu instid0(VALU_DEP_4) | instskip(NEXT) | instid1(VALU_DEP_4)
	v_mad_u32 v21, v25, s9, v21
	v_mad_u32 v22, v25, s8, v22
	s_cbranch_scc1 .LBB83_193
; %bb.194:
	s_bitcmp1_b32 s3, 0
	s_cselect_b32 s3, -1, 0
	s_delay_alu instid0(SALU_CYCLE_1)
	s_and_b32 vcc_lo, exec_lo, s3
	s_cbranch_vccnz .LBB83_197
; %bb.195:
	s_clause 0x1
	s_load_b96 s[4:6], s[0:1], 0x1c
	s_load_b96 s[8:10], s[0:1], 0xdc
	s_wait_kmcnt 0x0
	v_mul_hi_u32 v25, s5, v24
	s_delay_alu instid0(VALU_DEP_1) | instskip(NEXT) | instid1(VALU_DEP_1)
	v_add_nc_u32_e32 v25, v24, v25
	v_lshrrev_b32_e32 v25, s6, v25
	s_delay_alu instid0(VALU_DEP_1) | instskip(NEXT) | instid1(VALU_DEP_1)
	v_mul_lo_u32 v25, v25, s4
	v_sub_nc_u32_e32 v24, v24, v25
	s_delay_alu instid0(VALU_DEP_1)
	v_mad_u32 v0, v24, s8, v0
	v_mad_u32 v22, v24, s9, v22
	;; [unrolled: 1-line block ×3, first 2 shown]
	s_and_not1_b32 vcc_lo, exec_lo, s2
	s_cbranch_vccz .LBB83_198
	s_branch .LBB83_201
.LBB83_196:
	s_mov_b32 s2, -1
                                        ; implicit-def: $vgpr21
                                        ; implicit-def: $vgpr22
                                        ; implicit-def: $vgpr0
.LBB83_197:
	s_delay_alu instid0(SALU_CYCLE_1)
	s_and_not1_b32 vcc_lo, exec_lo, s2
	s_cbranch_vccnz .LBB83_201
.LBB83_198:
	s_clause 0x1
	s_load_b96 s[0:2], s[16:17], 0x4
	s_load_b96 s[4:6], s[16:17], 0xc4
	s_cmp_lt_u32 s28, 2
	s_wait_kmcnt 0x0
	v_mul_hi_u32 v0, s1, v23
	s_delay_alu instid0(VALU_DEP_1) | instskip(NEXT) | instid1(VALU_DEP_1)
	v_add_nc_u32_e32 v0, v23, v0
	v_lshrrev_b32_e32 v24, s2, v0
	s_delay_alu instid0(VALU_DEP_1) | instskip(NEXT) | instid1(VALU_DEP_1)
	v_mul_lo_u32 v0, v24, s0
	v_sub_nc_u32_e32 v22, v23, v0
	s_delay_alu instid0(VALU_DEP_1)
	v_mul_lo_u32 v0, v22, s4
	v_mul_lo_u32 v21, v22, s6
	;; [unrolled: 1-line block ×3, first 2 shown]
	s_cbranch_scc1 .LBB83_201
; %bb.199:
	s_clause 0x1
	s_load_b96 s[0:2], s[16:17], 0x10
	s_load_b96 s[4:6], s[16:17], 0xd0
	s_wait_kmcnt 0x0
	v_mul_hi_u32 v23, s1, v24
	s_delay_alu instid0(VALU_DEP_1) | instskip(NEXT) | instid1(VALU_DEP_1)
	v_add_nc_u32_e32 v23, v24, v23
	v_lshrrev_b32_e32 v23, s2, v23
	s_delay_alu instid0(VALU_DEP_1) | instskip(NEXT) | instid1(VALU_DEP_1)
	v_mul_lo_u32 v23, v23, s0
	v_sub_nc_u32_e32 v23, v24, v23
	s_delay_alu instid0(VALU_DEP_1)
	v_mad_u32 v0, v23, s4, v0
	v_mad_u32 v22, v23, s5, v22
	;; [unrolled: 1-line block ×3, first 2 shown]
	s_branch .LBB83_201
.LBB83_200:
	v_dual_mov_b32 v21, 0 :: v_dual_mov_b32 v22, 0
	v_mov_b32_e32 v0, 0
	s_and_not1_b32 vcc_lo, exec_lo, s2
	s_cbranch_vccz .LBB83_198
.LBB83_201:
	v_cmp_ne_u32_e32 vcc_lo, 1, v9
	s_cbranch_vccnz .LBB83_207
; %bb.202:
	s_cmp_lg_u32 s28, 0
	s_mov_b32 s2, 0
	s_cbranch_scc0 .LBB83_211
; %bb.203:
	s_min_u32 s3, s29, 15
	v_dual_mov_b32 v9, 0 :: v_dual_mov_b32 v25, v3
	v_dual_mov_b32 v24, 0 :: v_dual_mov_b32 v23, 0
	s_add_co_i32 s4, s3, 1
	s_mov_b64 s[0:1], 0xffffffffffffffe8
	s_and_b32 s4, s4, 30
	s_add_nc_u64 s[0:1], s[16:17], s[0:1]
.LBB83_204:                             ; =>This Inner Loop Header: Depth=1
	s_clause 0x1
	s_load_b128 s[8:11], s[0:1], 0x1c
	s_load_b64 s[6:7], s[0:1], 0x2c
	s_add_co_i32 s4, s4, -2
	s_delay_alu instid0(SALU_CYCLE_1) | instskip(SKIP_2) | instid1(VALU_DEP_1)
	s_cmp_lg_u32 s4, 0
	s_wait_kmcnt 0x0
	v_mul_hi_u32 v26, s9, v25
	v_add_nc_u32_e32 v26, v25, v26
	s_delay_alu instid0(VALU_DEP_1) | instskip(NEXT) | instid1(VALU_DEP_1)
	v_lshrrev_b32_e32 v26, s10, v26
	v_mul_hi_u32 v27, s6, v26
	v_mul_lo_u32 v28, v26, s8
	s_clause 0x1
	s_load_b128 s[12:15], s[0:1], 0xdc
	s_load_b64 s[8:9], s[0:1], 0xec
	s_wait_xcnt 0x0
	s_add_nc_u64 s[0:1], s[0:1], 24
	s_delay_alu instid0(VALU_DEP_1) | instskip(NEXT) | instid1(VALU_DEP_1)
	v_dual_add_nc_u32 v27, v26, v27 :: v_dual_sub_nc_u32 v28, v25, v28
	v_lshrrev_b32_e32 v25, s7, v27
	s_wait_kmcnt 0x0
	s_delay_alu instid0(VALU_DEP_2) | instskip(NEXT) | instid1(VALU_DEP_2)
	v_mad_u32 v9, v28, s12, v9
	v_mul_lo_u32 v27, v25, s11
	v_mad_u32 v23, v28, s14, v23
	v_mad_u32 v24, v28, s13, v24
	s_delay_alu instid0(VALU_DEP_3) | instskip(NEXT) | instid1(VALU_DEP_1)
	v_sub_nc_u32_e32 v26, v26, v27
	v_mad_u32 v9, v26, s15, v9
	s_delay_alu instid0(VALU_DEP_4) | instskip(NEXT) | instid1(VALU_DEP_4)
	v_mad_u32 v23, v26, s9, v23
	v_mad_u32 v24, v26, s8, v24
	s_cbranch_scc1 .LBB83_204
; %bb.205:
	s_bitcmp1_b32 s3, 0
	s_cselect_b32 s3, -1, 0
	s_delay_alu instid0(SALU_CYCLE_1)
	s_and_b32 vcc_lo, exec_lo, s3
	s_cbranch_vccnz .LBB83_208
; %bb.206:
	s_clause 0x1
	s_load_b96 s[4:6], s[0:1], 0x1c
	s_load_b96 s[8:10], s[0:1], 0xdc
	s_wait_kmcnt 0x0
	v_mul_hi_u32 v26, s5, v25
	s_delay_alu instid0(VALU_DEP_1) | instskip(NEXT) | instid1(VALU_DEP_1)
	v_add_nc_u32_e32 v26, v25, v26
	v_lshrrev_b32_e32 v26, s6, v26
	s_delay_alu instid0(VALU_DEP_1) | instskip(NEXT) | instid1(VALU_DEP_1)
	v_mul_lo_u32 v26, v26, s4
	v_sub_nc_u32_e32 v25, v25, v26
	s_delay_alu instid0(VALU_DEP_1)
	v_mad_u32 v9, v25, s8, v9
	v_mad_u32 v24, v25, s9, v24
	;; [unrolled: 1-line block ×3, first 2 shown]
	s_and_not1_b32 vcc_lo, exec_lo, s2
	s_cbranch_vccz .LBB83_209
	s_branch .LBB83_212
.LBB83_207:
	s_mov_b32 s2, -1
                                        ; implicit-def: $vgpr23
                                        ; implicit-def: $vgpr24
                                        ; implicit-def: $vgpr9
.LBB83_208:
	s_delay_alu instid0(SALU_CYCLE_1)
	s_and_not1_b32 vcc_lo, exec_lo, s2
	s_cbranch_vccnz .LBB83_212
.LBB83_209:
	s_clause 0x1
	s_load_b96 s[0:2], s[16:17], 0x4
	s_load_b96 s[4:6], s[16:17], 0xc4
	s_cmp_lt_u32 s28, 2
	s_wait_kmcnt 0x0
	v_mul_hi_u32 v9, s1, v3
	s_delay_alu instid0(VALU_DEP_1) | instskip(NEXT) | instid1(VALU_DEP_1)
	v_add_nc_u32_e32 v9, v3, v9
	v_lshrrev_b32_e32 v25, s2, v9
	s_delay_alu instid0(VALU_DEP_1) | instskip(NEXT) | instid1(VALU_DEP_1)
	v_mul_lo_u32 v9, v25, s0
	v_sub_nc_u32_e32 v3, v3, v9
	s_delay_alu instid0(VALU_DEP_1)
	v_mul_lo_u32 v9, v3, s4
	v_mul_lo_u32 v23, v3, s6
	;; [unrolled: 1-line block ×3, first 2 shown]
	s_cbranch_scc1 .LBB83_212
; %bb.210:
	s_clause 0x1
	s_load_b96 s[0:2], s[16:17], 0x10
	s_load_b96 s[4:6], s[16:17], 0xd0
	s_wait_kmcnt 0x0
	v_mul_hi_u32 v3, s1, v25
	s_delay_alu instid0(VALU_DEP_1) | instskip(NEXT) | instid1(VALU_DEP_1)
	v_add_nc_u32_e32 v3, v25, v3
	v_lshrrev_b32_e32 v3, s2, v3
	s_delay_alu instid0(VALU_DEP_1) | instskip(NEXT) | instid1(VALU_DEP_1)
	v_mul_lo_u32 v3, v3, s0
	v_sub_nc_u32_e32 v3, v25, v3
	s_delay_alu instid0(VALU_DEP_1)
	v_mad_u32 v9, v3, s4, v9
	v_mad_u32 v24, v3, s5, v24
	;; [unrolled: 1-line block ×3, first 2 shown]
	s_branch .LBB83_212
.LBB83_211:
	v_dual_mov_b32 v23, 0 :: v_dual_mov_b32 v24, 0
	v_mov_b32_e32 v9, 0
	s_and_not1_b32 vcc_lo, exec_lo, s2
	s_cbranch_vccz .LBB83_209
.LBB83_212:
	s_load_b256 s[0:7], s[16:17], 0x188
	s_mov_b32 s8, exec_lo
	s_wait_kmcnt 0x0
	global_load_u16 v25, v5, s[4:5]
	global_load_u16 v3, v6, s[2:3]
	s_wait_loadcnt 0x1
	s_wait_xcnt 0x1
	v_cvt_f32_f16_e32 v5, v25
	s_delay_alu instid0(VALU_DEP_1) | instskip(SKIP_1) | instid1(VALU_DEP_1)
	v_mul_f32_e32 v5, s6, v5
	s_wait_xcnt 0x0
	v_cmpx_nlt_f32_e32 s7, v5
	s_cbranch_execz .LBB83_214
; %bb.213:
	s_wait_loadcnt 0x0
	v_cvt_f32_f16_e32 v3, v3
	v_mul_f32_e32 v6, 0x3fb8aa3b, v5
	v_cmp_ngt_f32_e32 vcc_lo, 0xc2ce8ed0, v5
	s_delay_alu instid0(VALU_DEP_2) | instskip(SKIP_1) | instid1(VALU_DEP_2)
	v_rndne_f32_e32 v25, v6
	v_fma_f32 v26, 0x3fb8aa3b, v5, -v6
	v_sub_f32_e32 v6, v6, v25
	s_delay_alu instid0(VALU_DEP_2) | instskip(SKIP_1) | instid1(VALU_DEP_2)
	v_fmamk_f32 v26, v5, 0x32a5705f, v26
	v_cvt_i32_f32_e32 v25, v25
	v_add_f32_e32 v6, v6, v26
	s_delay_alu instid0(VALU_DEP_1) | instskip(SKIP_1) | instid1(TRANS32_DEP_1)
	v_exp_f32_e32 v6, v6
	v_nop
	v_ldexp_f32 v6, v6, v25
	s_delay_alu instid0(VALU_DEP_1) | instskip(SKIP_1) | instid1(VALU_DEP_2)
	v_cndmask_b32_e32 v6, 0, v6, vcc_lo
	v_cmp_nlt_f32_e32 vcc_lo, 0x42b17218, v5
	v_cndmask_b32_e32 v5, 0x7f800000, v6, vcc_lo
	s_delay_alu instid0(VALU_DEP_1) | instskip(NEXT) | instid1(VALU_DEP_1)
	v_dual_mul_f32 v3, v5, v3 :: v_dual_add_f32 v5, 1.0, v5
	v_div_scale_f32 v6, null, v5, v5, v3
	s_delay_alu instid0(VALU_DEP_1) | instskip(SKIP_1) | instid1(TRANS32_DEP_1)
	v_rcp_f32_e32 v25, v6
	v_nop
	v_fma_f32 v26, -v6, v25, 1.0
	s_delay_alu instid0(VALU_DEP_1) | instskip(SKIP_1) | instid1(VALU_DEP_1)
	v_fmac_f32_e32 v25, v26, v25
	v_div_scale_f32 v26, vcc_lo, v3, v5, v3
	v_mul_f32_e32 v27, v26, v25
	s_delay_alu instid0(VALU_DEP_1) | instskip(NEXT) | instid1(VALU_DEP_1)
	v_fma_f32 v28, -v6, v27, v26
	v_fmac_f32_e32 v27, v28, v25
	s_delay_alu instid0(VALU_DEP_1) | instskip(NEXT) | instid1(VALU_DEP_1)
	v_fma_f32 v6, -v6, v27, v26
	v_div_fmas_f32 v6, v6, v25, v27
	s_delay_alu instid0(VALU_DEP_1) | instskip(NEXT) | instid1(VALU_DEP_1)
	v_div_fixup_f32 v3, v6, v5, v3
	v_cvt_f16_f32_e32 v3, v3
.LBB83_214:
	s_or_b32 exec_lo, exec_lo, s8
	global_load_u16 v6, v7, s[4:5]
	global_load_u16 v5, v8, s[2:3]
	s_mov_b32 s8, exec_lo
	s_wait_loadcnt 0x1
	v_cvt_f32_f16_e32 v6, v6
	s_delay_alu instid0(VALU_DEP_1) | instskip(SKIP_1) | instid1(VALU_DEP_1)
	v_mul_f32_e32 v6, s6, v6
	s_wait_xcnt 0x0
	v_cmpx_nlt_f32_e32 s7, v6
	s_cbranch_execz .LBB83_216
; %bb.215:
	v_mul_f32_e32 v7, 0x3fb8aa3b, v6
	s_wait_loadcnt 0x0
	v_cvt_f32_f16_e32 v5, v5
	v_cmp_ngt_f32_e32 vcc_lo, 0xc2ce8ed0, v6
	s_delay_alu instid0(VALU_DEP_3) | instskip(SKIP_1) | instid1(VALU_DEP_2)
	v_rndne_f32_e32 v8, v7
	v_fma_f32 v25, 0x3fb8aa3b, v6, -v7
	v_sub_f32_e32 v7, v7, v8
	s_delay_alu instid0(VALU_DEP_2) | instskip(SKIP_1) | instid1(VALU_DEP_2)
	v_fmamk_f32 v25, v6, 0x32a5705f, v25
	v_cvt_i32_f32_e32 v8, v8
	v_add_f32_e32 v7, v7, v25
	s_delay_alu instid0(VALU_DEP_1) | instskip(SKIP_1) | instid1(TRANS32_DEP_1)
	v_exp_f32_e32 v7, v7
	v_nop
	v_ldexp_f32 v7, v7, v8
	s_delay_alu instid0(VALU_DEP_1) | instskip(SKIP_1) | instid1(VALU_DEP_2)
	v_cndmask_b32_e32 v7, 0, v7, vcc_lo
	v_cmp_nlt_f32_e32 vcc_lo, 0x42b17218, v6
	v_cndmask_b32_e32 v6, 0x7f800000, v7, vcc_lo
	s_delay_alu instid0(VALU_DEP_1) | instskip(NEXT) | instid1(VALU_DEP_1)
	v_dual_mul_f32 v5, v6, v5 :: v_dual_add_f32 v6, 1.0, v6
	v_div_scale_f32 v7, null, v6, v6, v5
	s_delay_alu instid0(VALU_DEP_1) | instskip(SKIP_1) | instid1(TRANS32_DEP_1)
	v_rcp_f32_e32 v8, v7
	v_nop
	v_fma_f32 v25, -v7, v8, 1.0
	s_delay_alu instid0(VALU_DEP_1) | instskip(SKIP_1) | instid1(VALU_DEP_1)
	v_fmac_f32_e32 v8, v25, v8
	v_div_scale_f32 v25, vcc_lo, v5, v6, v5
	v_mul_f32_e32 v26, v25, v8
	s_delay_alu instid0(VALU_DEP_1) | instskip(NEXT) | instid1(VALU_DEP_1)
	v_fma_f32 v27, -v7, v26, v25
	v_fmac_f32_e32 v26, v27, v8
	s_delay_alu instid0(VALU_DEP_1) | instskip(NEXT) | instid1(VALU_DEP_1)
	v_fma_f32 v7, -v7, v26, v25
	v_div_fmas_f32 v7, v7, v8, v26
	s_delay_alu instid0(VALU_DEP_1) | instskip(NEXT) | instid1(VALU_DEP_1)
	v_div_fixup_f32 v5, v7, v6, v5
	v_cvt_f16_f32_e32 v5, v5
.LBB83_216:
	s_or_b32 exec_lo, exec_lo, s8
	global_load_u16 v7, v11, s[4:5]
	global_load_u16 v6, v12, s[2:3]
	s_mov_b32 s8, exec_lo
	s_wait_loadcnt 0x1
	v_cvt_f32_f16_e32 v7, v7
	s_delay_alu instid0(VALU_DEP_1) | instskip(SKIP_1) | instid1(VALU_DEP_1)
	v_mul_f32_e32 v7, s6, v7
	s_wait_xcnt 0x0
	v_cmpx_nlt_f32_e32 s7, v7
	s_cbranch_execz .LBB83_218
; %bb.217:
	v_mul_f32_e32 v8, 0x3fb8aa3b, v7
	s_wait_loadcnt 0x0
	v_cvt_f32_f16_e32 v6, v6
	v_cmp_ngt_f32_e32 vcc_lo, 0xc2ce8ed0, v7
	s_delay_alu instid0(VALU_DEP_3) | instskip(SKIP_1) | instid1(VALU_DEP_2)
	v_rndne_f32_e32 v11, v8
	v_fma_f32 v12, 0x3fb8aa3b, v7, -v8
	v_sub_f32_e32 v8, v8, v11
	s_delay_alu instid0(VALU_DEP_2) | instskip(SKIP_1) | instid1(VALU_DEP_2)
	v_fmamk_f32 v12, v7, 0x32a5705f, v12
	v_cvt_i32_f32_e32 v11, v11
	v_add_f32_e32 v8, v8, v12
	s_delay_alu instid0(VALU_DEP_1) | instskip(SKIP_1) | instid1(TRANS32_DEP_1)
	v_exp_f32_e32 v8, v8
	v_nop
	v_ldexp_f32 v8, v8, v11
	s_delay_alu instid0(VALU_DEP_1) | instskip(SKIP_1) | instid1(VALU_DEP_2)
	v_cndmask_b32_e32 v8, 0, v8, vcc_lo
	v_cmp_nlt_f32_e32 vcc_lo, 0x42b17218, v7
	v_cndmask_b32_e32 v7, 0x7f800000, v8, vcc_lo
	s_delay_alu instid0(VALU_DEP_1) | instskip(NEXT) | instid1(VALU_DEP_1)
	v_dual_mul_f32 v6, v7, v6 :: v_dual_add_f32 v7, 1.0, v7
	v_div_scale_f32 v8, null, v7, v7, v6
	s_delay_alu instid0(VALU_DEP_1) | instskip(SKIP_1) | instid1(TRANS32_DEP_1)
	v_rcp_f32_e32 v11, v8
	v_nop
	v_fma_f32 v12, -v8, v11, 1.0
	s_delay_alu instid0(VALU_DEP_1) | instskip(SKIP_1) | instid1(VALU_DEP_1)
	v_fmac_f32_e32 v11, v12, v11
	v_div_scale_f32 v12, vcc_lo, v6, v7, v6
	v_mul_f32_e32 v25, v12, v11
	s_delay_alu instid0(VALU_DEP_1) | instskip(NEXT) | instid1(VALU_DEP_1)
	v_fma_f32 v26, -v8, v25, v12
	v_fmac_f32_e32 v25, v26, v11
	s_delay_alu instid0(VALU_DEP_1) | instskip(NEXT) | instid1(VALU_DEP_1)
	v_fma_f32 v8, -v8, v25, v12
	v_div_fmas_f32 v8, v8, v11, v25
	s_delay_alu instid0(VALU_DEP_1) | instskip(NEXT) | instid1(VALU_DEP_1)
	v_div_fixup_f32 v6, v8, v7, v6
	v_cvt_f16_f32_e32 v6, v6
.LBB83_218:
	s_or_b32 exec_lo, exec_lo, s8
	global_load_u16 v8, v14, s[4:5]
	global_load_u16 v7, v15, s[2:3]
	s_mov_b32 s8, exec_lo
	s_wait_loadcnt 0x1
	v_cvt_f32_f16_e32 v8, v8
	s_delay_alu instid0(VALU_DEP_1) | instskip(SKIP_1) | instid1(VALU_DEP_1)
	v_mul_f32_e32 v8, s6, v8
	s_wait_xcnt 0x0
	v_cmpx_nlt_f32_e32 s7, v8
	s_cbranch_execz .LBB83_220
; %bb.219:
	v_mul_f32_e32 v11, 0x3fb8aa3b, v8
	s_wait_loadcnt 0x0
	v_cvt_f32_f16_e32 v7, v7
	v_cmp_ngt_f32_e32 vcc_lo, 0xc2ce8ed0, v8
	s_delay_alu instid0(VALU_DEP_3) | instskip(SKIP_1) | instid1(VALU_DEP_1)
	v_rndne_f32_e32 v12, v11
	v_fma_f32 v14, 0x3fb8aa3b, v8, -v11
	v_dual_sub_f32 v11, v11, v12 :: v_dual_fmamk_f32 v14, v8, 0x32a5705f, v14
	v_cvt_i32_f32_e32 v12, v12
	s_delay_alu instid0(VALU_DEP_2) | instskip(NEXT) | instid1(VALU_DEP_1)
	v_add_f32_e32 v11, v11, v14
	v_exp_f32_e32 v11, v11
	v_nop
	s_delay_alu instid0(TRANS32_DEP_1) | instskip(NEXT) | instid1(VALU_DEP_1)
	v_ldexp_f32 v11, v11, v12
	v_cndmask_b32_e32 v11, 0, v11, vcc_lo
	v_cmp_nlt_f32_e32 vcc_lo, 0x42b17218, v8
	s_delay_alu instid0(VALU_DEP_2) | instskip(NEXT) | instid1(VALU_DEP_1)
	v_cndmask_b32_e32 v8, 0x7f800000, v11, vcc_lo
	v_dual_mul_f32 v7, v8, v7 :: v_dual_add_f32 v8, 1.0, v8
	s_delay_alu instid0(VALU_DEP_1) | instskip(NEXT) | instid1(VALU_DEP_1)
	v_div_scale_f32 v11, null, v8, v8, v7
	v_rcp_f32_e32 v12, v11
	v_nop
	s_delay_alu instid0(TRANS32_DEP_1) | instskip(NEXT) | instid1(VALU_DEP_1)
	v_fma_f32 v14, -v11, v12, 1.0
	v_fmac_f32_e32 v12, v14, v12
	v_div_scale_f32 v14, vcc_lo, v7, v8, v7
	s_delay_alu instid0(VALU_DEP_1) | instskip(NEXT) | instid1(VALU_DEP_1)
	v_mul_f32_e32 v15, v14, v12
	v_fma_f32 v25, -v11, v15, v14
	s_delay_alu instid0(VALU_DEP_1) | instskip(NEXT) | instid1(VALU_DEP_1)
	v_fmac_f32_e32 v15, v25, v12
	v_fma_f32 v11, -v11, v15, v14
	s_delay_alu instid0(VALU_DEP_1) | instskip(NEXT) | instid1(VALU_DEP_1)
	v_div_fmas_f32 v11, v11, v12, v15
	v_div_fixup_f32 v7, v11, v8, v7
	s_delay_alu instid0(VALU_DEP_1)
	v_cvt_f16_f32_e32 v7, v7
.LBB83_220:
	s_or_b32 exec_lo, exec_lo, s8
	global_load_u16 v11, v17, s[4:5]
	global_load_u16 v8, v18, s[2:3]
	s_mov_b32 s8, exec_lo
	s_wait_loadcnt 0x1
	v_cvt_f32_f16_e32 v11, v11
	s_delay_alu instid0(VALU_DEP_1) | instskip(SKIP_1) | instid1(VALU_DEP_1)
	v_mul_f32_e32 v11, s6, v11
	s_wait_xcnt 0x0
	v_cmpx_nlt_f32_e32 s7, v11
	s_cbranch_execz .LBB83_222
; %bb.221:
	v_mul_f32_e32 v12, 0x3fb8aa3b, v11
	s_wait_loadcnt 0x0
	v_cvt_f32_f16_e32 v8, v8
	v_cmp_ngt_f32_e32 vcc_lo, 0xc2ce8ed0, v11
	s_delay_alu instid0(VALU_DEP_3) | instskip(SKIP_1) | instid1(VALU_DEP_1)
	v_rndne_f32_e32 v14, v12
	v_fma_f32 v15, 0x3fb8aa3b, v11, -v12
	v_dual_sub_f32 v12, v12, v14 :: v_dual_fmamk_f32 v15, v11, 0x32a5705f, v15
	v_cvt_i32_f32_e32 v14, v14
	s_delay_alu instid0(VALU_DEP_2) | instskip(NEXT) | instid1(VALU_DEP_1)
	v_add_f32_e32 v12, v12, v15
	v_exp_f32_e32 v12, v12
	v_nop
	s_delay_alu instid0(TRANS32_DEP_1) | instskip(NEXT) | instid1(VALU_DEP_1)
	v_ldexp_f32 v12, v12, v14
	v_cndmask_b32_e32 v12, 0, v12, vcc_lo
	v_cmp_nlt_f32_e32 vcc_lo, 0x42b17218, v11
	s_delay_alu instid0(VALU_DEP_2) | instskip(NEXT) | instid1(VALU_DEP_1)
	v_cndmask_b32_e32 v11, 0x7f800000, v12, vcc_lo
	v_dual_mul_f32 v8, v11, v8 :: v_dual_add_f32 v11, 1.0, v11
	s_delay_alu instid0(VALU_DEP_1) | instskip(NEXT) | instid1(VALU_DEP_1)
	v_div_scale_f32 v12, null, v11, v11, v8
	v_rcp_f32_e32 v14, v12
	v_nop
	s_delay_alu instid0(TRANS32_DEP_1) | instskip(NEXT) | instid1(VALU_DEP_1)
	v_fma_f32 v15, -v12, v14, 1.0
	v_fmac_f32_e32 v14, v15, v14
	v_div_scale_f32 v15, vcc_lo, v8, v11, v8
	s_delay_alu instid0(VALU_DEP_1) | instskip(NEXT) | instid1(VALU_DEP_1)
	v_mul_f32_e32 v17, v15, v14
	v_fma_f32 v18, -v12, v17, v15
	s_delay_alu instid0(VALU_DEP_1) | instskip(NEXT) | instid1(VALU_DEP_1)
	v_fmac_f32_e32 v17, v18, v14
	v_fma_f32 v12, -v12, v17, v15
	s_delay_alu instid0(VALU_DEP_1) | instskip(NEXT) | instid1(VALU_DEP_1)
	v_div_fmas_f32 v12, v12, v14, v17
	v_div_fixup_f32 v8, v12, v11, v8
	s_delay_alu instid0(VALU_DEP_1)
	v_cvt_f16_f32_e32 v8, v8
.LBB83_222:
	s_or_b32 exec_lo, exec_lo, s8
	global_load_u16 v12, v19, s[4:5]
	global_load_u16 v11, v20, s[2:3]
	s_mov_b32 s8, exec_lo
	s_wait_loadcnt 0x1
	v_cvt_f32_f16_e32 v12, v12
	s_delay_alu instid0(VALU_DEP_1) | instskip(SKIP_1) | instid1(VALU_DEP_1)
	v_mul_f32_e32 v12, s6, v12
	s_wait_xcnt 0x0
	v_cmpx_nlt_f32_e32 s7, v12
	s_cbranch_execz .LBB83_224
; %bb.223:
	s_wait_loadcnt 0x0
	v_cvt_f32_f16_e32 v11, v11
	v_mul_f32_e32 v14, 0x3fb8aa3b, v12
	v_cmp_ngt_f32_e32 vcc_lo, 0xc2ce8ed0, v12
	s_delay_alu instid0(VALU_DEP_2) | instskip(SKIP_1) | instid1(VALU_DEP_1)
	v_rndne_f32_e32 v15, v14
	v_fma_f32 v17, 0x3fb8aa3b, v12, -v14
	v_dual_sub_f32 v14, v14, v15 :: v_dual_fmamk_f32 v17, v12, 0x32a5705f, v17
	v_cvt_i32_f32_e32 v15, v15
	s_delay_alu instid0(VALU_DEP_2) | instskip(NEXT) | instid1(VALU_DEP_1)
	v_add_f32_e32 v14, v14, v17
	v_exp_f32_e32 v14, v14
	v_nop
	s_delay_alu instid0(TRANS32_DEP_1) | instskip(NEXT) | instid1(VALU_DEP_1)
	v_ldexp_f32 v14, v14, v15
	v_cndmask_b32_e32 v14, 0, v14, vcc_lo
	v_cmp_nlt_f32_e32 vcc_lo, 0x42b17218, v12
	s_delay_alu instid0(VALU_DEP_2) | instskip(NEXT) | instid1(VALU_DEP_1)
	v_cndmask_b32_e32 v12, 0x7f800000, v14, vcc_lo
	v_dual_mul_f32 v11, v12, v11 :: v_dual_add_f32 v12, 1.0, v12
	s_delay_alu instid0(VALU_DEP_1) | instskip(NEXT) | instid1(VALU_DEP_1)
	v_div_scale_f32 v14, null, v12, v12, v11
	v_rcp_f32_e32 v15, v14
	v_nop
	s_delay_alu instid0(TRANS32_DEP_1) | instskip(NEXT) | instid1(VALU_DEP_1)
	v_fma_f32 v17, -v14, v15, 1.0
	v_fmac_f32_e32 v15, v17, v15
	v_div_scale_f32 v17, vcc_lo, v11, v12, v11
	s_delay_alu instid0(VALU_DEP_1) | instskip(NEXT) | instid1(VALU_DEP_1)
	v_mul_f32_e32 v18, v17, v15
	v_fma_f32 v19, -v14, v18, v17
	s_delay_alu instid0(VALU_DEP_1) | instskip(NEXT) | instid1(VALU_DEP_1)
	v_fmac_f32_e32 v18, v19, v15
	v_fma_f32 v14, -v14, v18, v17
	s_delay_alu instid0(VALU_DEP_1) | instskip(NEXT) | instid1(VALU_DEP_1)
	v_div_fmas_f32 v14, v14, v15, v18
	v_div_fixup_f32 v11, v14, v12, v11
	s_delay_alu instid0(VALU_DEP_1)
	v_cvt_f16_f32_e32 v11, v11
.LBB83_224:
	s_or_b32 exec_lo, exec_lo, s8
	global_load_u16 v14, v21, s[4:5]
	global_load_u16 v12, v22, s[2:3]
	s_mov_b32 s8, exec_lo
	s_wait_loadcnt 0x1
	v_cvt_f32_f16_e32 v14, v14
	s_delay_alu instid0(VALU_DEP_1) | instskip(SKIP_1) | instid1(VALU_DEP_1)
	v_mul_f32_e32 v14, s6, v14
	s_wait_xcnt 0x0
	v_cmpx_nlt_f32_e32 s7, v14
	s_cbranch_execz .LBB83_226
; %bb.225:
	s_wait_loadcnt 0x0
	v_cvt_f32_f16_e32 v12, v12
	v_mul_f32_e32 v15, 0x3fb8aa3b, v14
	v_cmp_ngt_f32_e32 vcc_lo, 0xc2ce8ed0, v14
	s_delay_alu instid0(VALU_DEP_2) | instskip(SKIP_1) | instid1(VALU_DEP_1)
	v_rndne_f32_e32 v17, v15
	v_fma_f32 v18, 0x3fb8aa3b, v14, -v15
	v_dual_sub_f32 v15, v15, v17 :: v_dual_fmamk_f32 v18, v14, 0x32a5705f, v18
	v_cvt_i32_f32_e32 v17, v17
	s_delay_alu instid0(VALU_DEP_2) | instskip(NEXT) | instid1(VALU_DEP_1)
	v_add_f32_e32 v15, v15, v18
	v_exp_f32_e32 v15, v15
	v_nop
	s_delay_alu instid0(TRANS32_DEP_1) | instskip(NEXT) | instid1(VALU_DEP_1)
	v_ldexp_f32 v15, v15, v17
	v_cndmask_b32_e32 v15, 0, v15, vcc_lo
	v_cmp_nlt_f32_e32 vcc_lo, 0x42b17218, v14
	s_delay_alu instid0(VALU_DEP_2) | instskip(NEXT) | instid1(VALU_DEP_1)
	v_cndmask_b32_e32 v14, 0x7f800000, v15, vcc_lo
	v_dual_mul_f32 v12, v14, v12 :: v_dual_add_f32 v14, 1.0, v14
	s_delay_alu instid0(VALU_DEP_1) | instskip(NEXT) | instid1(VALU_DEP_1)
	v_div_scale_f32 v15, null, v14, v14, v12
	v_rcp_f32_e32 v17, v15
	v_nop
	s_delay_alu instid0(TRANS32_DEP_1) | instskip(NEXT) | instid1(VALU_DEP_1)
	v_fma_f32 v18, -v15, v17, 1.0
	v_fmac_f32_e32 v17, v18, v17
	v_div_scale_f32 v18, vcc_lo, v12, v14, v12
	s_delay_alu instid0(VALU_DEP_1) | instskip(NEXT) | instid1(VALU_DEP_1)
	v_mul_f32_e32 v19, v18, v17
	v_fma_f32 v20, -v15, v19, v18
	s_delay_alu instid0(VALU_DEP_1) | instskip(NEXT) | instid1(VALU_DEP_1)
	v_fmac_f32_e32 v19, v20, v17
	v_fma_f32 v15, -v15, v19, v18
	s_delay_alu instid0(VALU_DEP_1) | instskip(NEXT) | instid1(VALU_DEP_1)
	v_div_fmas_f32 v15, v15, v17, v19
	v_div_fixup_f32 v12, v15, v14, v12
	s_delay_alu instid0(VALU_DEP_1)
	v_cvt_f16_f32_e32 v12, v12
.LBB83_226:
	s_or_b32 exec_lo, exec_lo, s8
	global_load_u16 v15, v23, s[4:5]
	global_load_u16 v14, v24, s[2:3]
	s_wait_xcnt 0x0
	s_mov_b32 s2, exec_lo
	s_wait_loadcnt 0x1
	v_cvt_f32_f16_e32 v15, v15
	s_delay_alu instid0(VALU_DEP_1) | instskip(NEXT) | instid1(VALU_DEP_1)
	v_mul_f32_e32 v15, s6, v15
	v_cmpx_nlt_f32_e32 s7, v15
	s_cbranch_execz .LBB83_228
; %bb.227:
	s_wait_loadcnt 0x0
	v_cvt_f32_f16_e32 v14, v14
	v_mul_f32_e32 v17, 0x3fb8aa3b, v15
	v_cmp_ngt_f32_e32 vcc_lo, 0xc2ce8ed0, v15
	s_delay_alu instid0(VALU_DEP_2) | instskip(SKIP_1) | instid1(VALU_DEP_2)
	v_rndne_f32_e32 v18, v17
	v_fma_f32 v19, 0x3fb8aa3b, v15, -v17
	v_sub_f32_e32 v17, v17, v18
	s_delay_alu instid0(VALU_DEP_2) | instskip(SKIP_1) | instid1(VALU_DEP_2)
	v_fmamk_f32 v19, v15, 0x32a5705f, v19
	v_cvt_i32_f32_e32 v18, v18
	v_add_f32_e32 v17, v17, v19
	s_delay_alu instid0(VALU_DEP_1) | instskip(SKIP_1) | instid1(TRANS32_DEP_1)
	v_exp_f32_e32 v17, v17
	v_nop
	v_ldexp_f32 v17, v17, v18
	s_delay_alu instid0(VALU_DEP_1) | instskip(SKIP_1) | instid1(VALU_DEP_2)
	v_cndmask_b32_e32 v17, 0, v17, vcc_lo
	v_cmp_nlt_f32_e32 vcc_lo, 0x42b17218, v15
	v_cndmask_b32_e32 v15, 0x7f800000, v17, vcc_lo
	s_delay_alu instid0(VALU_DEP_1) | instskip(NEXT) | instid1(VALU_DEP_1)
	v_dual_mul_f32 v14, v15, v14 :: v_dual_add_f32 v15, 1.0, v15
	v_div_scale_f32 v17, null, v15, v15, v14
	s_delay_alu instid0(VALU_DEP_1) | instskip(SKIP_1) | instid1(TRANS32_DEP_1)
	v_rcp_f32_e32 v18, v17
	v_nop
	v_fma_f32 v19, -v17, v18, 1.0
	s_delay_alu instid0(VALU_DEP_1) | instskip(SKIP_1) | instid1(VALU_DEP_1)
	v_fmac_f32_e32 v18, v19, v18
	v_div_scale_f32 v19, vcc_lo, v14, v15, v14
	v_mul_f32_e32 v20, v19, v18
	s_delay_alu instid0(VALU_DEP_1) | instskip(NEXT) | instid1(VALU_DEP_1)
	v_fma_f32 v21, -v17, v20, v19
	v_fmac_f32_e32 v20, v21, v18
	s_delay_alu instid0(VALU_DEP_1) | instskip(NEXT) | instid1(VALU_DEP_1)
	v_fma_f32 v17, -v17, v20, v19
	v_div_fmas_f32 v17, v17, v18, v20
	s_delay_alu instid0(VALU_DEP_1) | instskip(NEXT) | instid1(VALU_DEP_1)
	v_div_fixup_f32 v14, v17, v15, v14
	v_cvt_f16_f32_e32 v14, v14
.LBB83_228:
	s_or_b32 exec_lo, exec_lo, s2
	s_clause 0x6
	global_store_b16 v1, v3, s[0:1]
	global_store_b16 v2, v5, s[0:1]
	;; [unrolled: 1-line block ×7, first 2 shown]
	s_wait_loadcnt 0x0
	global_store_b16 v9, v14, s[0:1]
	s_endpgm
	.section	.rodata,"a",@progbits
	.p2align	6, 0x0
	.amdhsa_kernel _ZN2at6native32elementwise_kernel_manual_unrollILi128ELi8EZNS0_22gpu_kernel_impl_nocastIZZZNS0_12_GLOBAL__N_124softplus_backward_kernelERNS_18TensorIteratorBaseERKN3c106ScalarES9_ENKUlvE_clEvENKUlvE1_clEvEUlNS6_4HalfESC_E_EEvS5_RKT_EUlibE_EEviT1_
		.amdhsa_group_segment_fixed_size 0
		.amdhsa_private_segment_fixed_size 0
		.amdhsa_kernarg_size 432
		.amdhsa_user_sgpr_count 2
		.amdhsa_user_sgpr_dispatch_ptr 0
		.amdhsa_user_sgpr_queue_ptr 0
		.amdhsa_user_sgpr_kernarg_segment_ptr 1
		.amdhsa_user_sgpr_dispatch_id 0
		.amdhsa_user_sgpr_kernarg_preload_length 0
		.amdhsa_user_sgpr_kernarg_preload_offset 0
		.amdhsa_user_sgpr_private_segment_size 0
		.amdhsa_wavefront_size32 1
		.amdhsa_uses_dynamic_stack 0
		.amdhsa_enable_private_segment 0
		.amdhsa_system_sgpr_workgroup_id_x 1
		.amdhsa_system_sgpr_workgroup_id_y 0
		.amdhsa_system_sgpr_workgroup_id_z 0
		.amdhsa_system_sgpr_workgroup_info 0
		.amdhsa_system_vgpr_workitem_id 0
		.amdhsa_next_free_vgpr 29
		.amdhsa_next_free_sgpr 48
		.amdhsa_named_barrier_count 0
		.amdhsa_reserve_vcc 1
		.amdhsa_float_round_mode_32 0
		.amdhsa_float_round_mode_16_64 0
		.amdhsa_float_denorm_mode_32 3
		.amdhsa_float_denorm_mode_16_64 3
		.amdhsa_fp16_overflow 0
		.amdhsa_memory_ordered 1
		.amdhsa_forward_progress 1
		.amdhsa_inst_pref_size 114
		.amdhsa_round_robin_scheduling 0
		.amdhsa_exception_fp_ieee_invalid_op 0
		.amdhsa_exception_fp_denorm_src 0
		.amdhsa_exception_fp_ieee_div_zero 0
		.amdhsa_exception_fp_ieee_overflow 0
		.amdhsa_exception_fp_ieee_underflow 0
		.amdhsa_exception_fp_ieee_inexact 0
		.amdhsa_exception_int_div_zero 0
	.end_amdhsa_kernel
	.section	.text._ZN2at6native32elementwise_kernel_manual_unrollILi128ELi8EZNS0_22gpu_kernel_impl_nocastIZZZNS0_12_GLOBAL__N_124softplus_backward_kernelERNS_18TensorIteratorBaseERKN3c106ScalarES9_ENKUlvE_clEvENKUlvE1_clEvEUlNS6_4HalfESC_E_EEvS5_RKT_EUlibE_EEviT1_,"axG",@progbits,_ZN2at6native32elementwise_kernel_manual_unrollILi128ELi8EZNS0_22gpu_kernel_impl_nocastIZZZNS0_12_GLOBAL__N_124softplus_backward_kernelERNS_18TensorIteratorBaseERKN3c106ScalarES9_ENKUlvE_clEvENKUlvE1_clEvEUlNS6_4HalfESC_E_EEvS5_RKT_EUlibE_EEviT1_,comdat
.Lfunc_end83:
	.size	_ZN2at6native32elementwise_kernel_manual_unrollILi128ELi8EZNS0_22gpu_kernel_impl_nocastIZZZNS0_12_GLOBAL__N_124softplus_backward_kernelERNS_18TensorIteratorBaseERKN3c106ScalarES9_ENKUlvE_clEvENKUlvE1_clEvEUlNS6_4HalfESC_E_EEvS5_RKT_EUlibE_EEviT1_, .Lfunc_end83-_ZN2at6native32elementwise_kernel_manual_unrollILi128ELi8EZNS0_22gpu_kernel_impl_nocastIZZZNS0_12_GLOBAL__N_124softplus_backward_kernelERNS_18TensorIteratorBaseERKN3c106ScalarES9_ENKUlvE_clEvENKUlvE1_clEvEUlNS6_4HalfESC_E_EEvS5_RKT_EUlibE_EEviT1_
                                        ; -- End function
	.set _ZN2at6native32elementwise_kernel_manual_unrollILi128ELi8EZNS0_22gpu_kernel_impl_nocastIZZZNS0_12_GLOBAL__N_124softplus_backward_kernelERNS_18TensorIteratorBaseERKN3c106ScalarES9_ENKUlvE_clEvENKUlvE1_clEvEUlNS6_4HalfESC_E_EEvS5_RKT_EUlibE_EEviT1_.num_vgpr, 29
	.set _ZN2at6native32elementwise_kernel_manual_unrollILi128ELi8EZNS0_22gpu_kernel_impl_nocastIZZZNS0_12_GLOBAL__N_124softplus_backward_kernelERNS_18TensorIteratorBaseERKN3c106ScalarES9_ENKUlvE_clEvENKUlvE1_clEvEUlNS6_4HalfESC_E_EEvS5_RKT_EUlibE_EEviT1_.num_agpr, 0
	.set _ZN2at6native32elementwise_kernel_manual_unrollILi128ELi8EZNS0_22gpu_kernel_impl_nocastIZZZNS0_12_GLOBAL__N_124softplus_backward_kernelERNS_18TensorIteratorBaseERKN3c106ScalarES9_ENKUlvE_clEvENKUlvE1_clEvEUlNS6_4HalfESC_E_EEvS5_RKT_EUlibE_EEviT1_.numbered_sgpr, 48
	.set _ZN2at6native32elementwise_kernel_manual_unrollILi128ELi8EZNS0_22gpu_kernel_impl_nocastIZZZNS0_12_GLOBAL__N_124softplus_backward_kernelERNS_18TensorIteratorBaseERKN3c106ScalarES9_ENKUlvE_clEvENKUlvE1_clEvEUlNS6_4HalfESC_E_EEvS5_RKT_EUlibE_EEviT1_.num_named_barrier, 0
	.set _ZN2at6native32elementwise_kernel_manual_unrollILi128ELi8EZNS0_22gpu_kernel_impl_nocastIZZZNS0_12_GLOBAL__N_124softplus_backward_kernelERNS_18TensorIteratorBaseERKN3c106ScalarES9_ENKUlvE_clEvENKUlvE1_clEvEUlNS6_4HalfESC_E_EEvS5_RKT_EUlibE_EEviT1_.private_seg_size, 0
	.set _ZN2at6native32elementwise_kernel_manual_unrollILi128ELi8EZNS0_22gpu_kernel_impl_nocastIZZZNS0_12_GLOBAL__N_124softplus_backward_kernelERNS_18TensorIteratorBaseERKN3c106ScalarES9_ENKUlvE_clEvENKUlvE1_clEvEUlNS6_4HalfESC_E_EEvS5_RKT_EUlibE_EEviT1_.uses_vcc, 1
	.set _ZN2at6native32elementwise_kernel_manual_unrollILi128ELi8EZNS0_22gpu_kernel_impl_nocastIZZZNS0_12_GLOBAL__N_124softplus_backward_kernelERNS_18TensorIteratorBaseERKN3c106ScalarES9_ENKUlvE_clEvENKUlvE1_clEvEUlNS6_4HalfESC_E_EEvS5_RKT_EUlibE_EEviT1_.uses_flat_scratch, 0
	.set _ZN2at6native32elementwise_kernel_manual_unrollILi128ELi8EZNS0_22gpu_kernel_impl_nocastIZZZNS0_12_GLOBAL__N_124softplus_backward_kernelERNS_18TensorIteratorBaseERKN3c106ScalarES9_ENKUlvE_clEvENKUlvE1_clEvEUlNS6_4HalfESC_E_EEvS5_RKT_EUlibE_EEviT1_.has_dyn_sized_stack, 0
	.set _ZN2at6native32elementwise_kernel_manual_unrollILi128ELi8EZNS0_22gpu_kernel_impl_nocastIZZZNS0_12_GLOBAL__N_124softplus_backward_kernelERNS_18TensorIteratorBaseERKN3c106ScalarES9_ENKUlvE_clEvENKUlvE1_clEvEUlNS6_4HalfESC_E_EEvS5_RKT_EUlibE_EEviT1_.has_recursion, 0
	.set _ZN2at6native32elementwise_kernel_manual_unrollILi128ELi8EZNS0_22gpu_kernel_impl_nocastIZZZNS0_12_GLOBAL__N_124softplus_backward_kernelERNS_18TensorIteratorBaseERKN3c106ScalarES9_ENKUlvE_clEvENKUlvE1_clEvEUlNS6_4HalfESC_E_EEvS5_RKT_EUlibE_EEviT1_.has_indirect_call, 0
	.section	.AMDGPU.csdata,"",@progbits
; Kernel info:
; codeLenInByte = 14544
; TotalNumSgprs: 50
; NumVgprs: 29
; ScratchSize: 0
; MemoryBound: 0
; FloatMode: 240
; IeeeMode: 1
; LDSByteSize: 0 bytes/workgroup (compile time only)
; SGPRBlocks: 0
; VGPRBlocks: 1
; NumSGPRsForWavesPerEU: 50
; NumVGPRsForWavesPerEU: 29
; NamedBarCnt: 0
; Occupancy: 16
; WaveLimiterHint : 1
; COMPUTE_PGM_RSRC2:SCRATCH_EN: 0
; COMPUTE_PGM_RSRC2:USER_SGPR: 2
; COMPUTE_PGM_RSRC2:TRAP_HANDLER: 0
; COMPUTE_PGM_RSRC2:TGID_X_EN: 1
; COMPUTE_PGM_RSRC2:TGID_Y_EN: 0
; COMPUTE_PGM_RSRC2:TGID_Z_EN: 0
; COMPUTE_PGM_RSRC2:TIDIG_COMP_CNT: 0
	.section	.text._ZN2at6native32elementwise_kernel_manual_unrollILi128ELi4EZNS0_15gpu_kernel_implIZZZNS0_12_GLOBAL__N_124softplus_backward_kernelERNS_18TensorIteratorBaseERKN3c106ScalarES9_ENKUlvE_clEvENKUlvE1_clEvEUlNS6_4HalfESC_E_EEvS5_RKT_EUlibE_EEviT1_,"axG",@progbits,_ZN2at6native32elementwise_kernel_manual_unrollILi128ELi4EZNS0_15gpu_kernel_implIZZZNS0_12_GLOBAL__N_124softplus_backward_kernelERNS_18TensorIteratorBaseERKN3c106ScalarES9_ENKUlvE_clEvENKUlvE1_clEvEUlNS6_4HalfESC_E_EEvS5_RKT_EUlibE_EEviT1_,comdat
	.globl	_ZN2at6native32elementwise_kernel_manual_unrollILi128ELi4EZNS0_15gpu_kernel_implIZZZNS0_12_GLOBAL__N_124softplus_backward_kernelERNS_18TensorIteratorBaseERKN3c106ScalarES9_ENKUlvE_clEvENKUlvE1_clEvEUlNS6_4HalfESC_E_EEvS5_RKT_EUlibE_EEviT1_ ; -- Begin function _ZN2at6native32elementwise_kernel_manual_unrollILi128ELi4EZNS0_15gpu_kernel_implIZZZNS0_12_GLOBAL__N_124softplus_backward_kernelERNS_18TensorIteratorBaseERKN3c106ScalarES9_ENKUlvE_clEvENKUlvE1_clEvEUlNS6_4HalfESC_E_EEvS5_RKT_EUlibE_EEviT1_
	.p2align	8
	.type	_ZN2at6native32elementwise_kernel_manual_unrollILi128ELi4EZNS0_15gpu_kernel_implIZZZNS0_12_GLOBAL__N_124softplus_backward_kernelERNS_18TensorIteratorBaseERKN3c106ScalarES9_ENKUlvE_clEvENKUlvE1_clEvEUlNS6_4HalfESC_E_EEvS5_RKT_EUlibE_EEviT1_,@function
_ZN2at6native32elementwise_kernel_manual_unrollILi128ELi4EZNS0_15gpu_kernel_implIZZZNS0_12_GLOBAL__N_124softplus_backward_kernelERNS_18TensorIteratorBaseERKN3c106ScalarES9_ENKUlvE_clEvENKUlvE1_clEvEUlNS6_4HalfESC_E_EEvS5_RKT_EUlibE_EEviT1_: ; @_ZN2at6native32elementwise_kernel_manual_unrollILi128ELi4EZNS0_15gpu_kernel_implIZZZNS0_12_GLOBAL__N_124softplus_backward_kernelERNS_18TensorIteratorBaseERKN3c106ScalarES9_ENKUlvE_clEvENKUlvE1_clEvEUlNS6_4HalfESC_E_EEvS5_RKT_EUlibE_EEviT1_
; %bb.0:
	s_load_b64 s[2:3], s[0:1], 0x30
	s_bfe_u32 s8, ttmp6, 0x4000c
	s_clause 0x1
	s_load_b32 s18, s[0:1], 0x0
	s_load_b128 s[4:7], s[0:1], 0x8
	s_add_co_i32 s15, s8, 1
	s_clause 0x1
	s_load_b64 s[12:13], s[0:1], 0x18
	s_load_b128 s[8:11], s[0:1], 0x20
	s_and_b32 s14, ttmp6, 15
	s_wait_xcnt 0x0
	s_mul_i32 s0, ttmp9, s15
	s_getreg_b32 s16, hwreg(HW_REG_IB_STS2, 6, 4)
	s_add_co_i32 s14, s14, s0
	s_mov_b32 s17, 0
	s_wait_kmcnt 0x0
	s_lshr_b32 s15, s3, 8
	s_lshr_b32 s1, s3, 16
	s_cmp_eq_u32 s16, 0
	s_cselect_b32 s0, ttmp9, s14
	s_mov_b32 s14, 0
	v_lshl_or_b32 v6, s0, 9, v0
	s_mov_b32 s0, exec_lo
	s_delay_alu instid0(VALU_DEP_1) | instskip(NEXT) | instid1(VALU_DEP_1)
	v_or_b32_e32 v0, 0x180, v6
	v_cmpx_le_i32_e64 s18, v0
	s_xor_b32 s16, exec_lo, s0
	s_cbranch_execz .LBB84_1555
; %bb.1:
	s_mov_b32 s25, -1
	s_mov_b32 s22, 0
	s_mov_b32 s20, 0
	s_mov_b32 s19, 0
	s_mov_b32 s21, exec_lo
	v_cmpx_gt_i32_e64 s18, v6
	s_cbranch_execz .LBB84_384
; %bb.2:
	v_mul_lo_u32 v0, v6, s9
	s_and_b32 s0, s15, 0xff
	s_delay_alu instid0(SALU_CYCLE_1) | instskip(NEXT) | instid1(VALU_DEP_1)
	s_cmp_lt_i32 s0, 11
	v_ashrrev_i32_e32 v1, 31, v0
	s_delay_alu instid0(VALU_DEP_1)
	v_add_nc_u64_e32 v[0:1], s[6:7], v[0:1]
	s_cbranch_scc1 .LBB84_9
; %bb.3:
	s_and_b32 s17, 0xffff, s0
	s_delay_alu instid0(SALU_CYCLE_1)
	s_cmp_gt_i32 s17, 25
	s_cbranch_scc0 .LBB84_18
; %bb.4:
	s_cmp_gt_i32 s17, 28
	s_cbranch_scc0 .LBB84_30
; %bb.5:
	;; [unrolled: 3-line block ×4, first 2 shown]
	s_cmp_eq_u32 s17, 46
	s_mov_b32 s23, 0
	s_cbranch_scc0 .LBB84_39
; %bb.8:
	global_load_b32 v2, v[0:1], off
	s_mov_b32 s19, -1
	s_wait_loadcnt 0x0
	v_lshlrev_b32_e32 v2, 16, v2
	s_delay_alu instid0(VALU_DEP_1)
	v_cvt_f16_f32_e32 v2, v2
	s_branch .LBB84_41
.LBB84_9:
                                        ; implicit-def: $vgpr2
	s_cbranch_execnz .LBB84_107
.LBB84_10:
	s_and_not1_b32 vcc_lo, exec_lo, s19
	s_cbranch_vccnz .LBB84_154
.LBB84_11:
	s_wait_xcnt 0x0
	v_mul_lo_u32 v0, v6, s10
	s_and_b32 s0, s1, 0xff
	s_delay_alu instid0(SALU_CYCLE_1) | instskip(NEXT) | instid1(VALU_DEP_1)
	s_cmp_lt_i32 s0, 11
	v_ashrrev_i32_e32 v1, 31, v0
	s_delay_alu instid0(VALU_DEP_1)
	v_add_nc_u64_e32 v[0:1], s[12:13], v[0:1]
	s_cbranch_scc1 .LBB84_19
; %bb.12:
	s_and_b32 s17, 0xffff, s0
	s_delay_alu instid0(SALU_CYCLE_1)
	s_cmp_gt_i32 s17, 25
	s_cbranch_scc0 .LBB84_31
; %bb.13:
	s_cmp_gt_i32 s17, 28
	s_cbranch_scc0 .LBB84_34
; %bb.14:
	;; [unrolled: 3-line block ×4, first 2 shown]
	s_cmp_eq_u32 s17, 46
	s_mov_b32 s24, 0
	s_cbranch_scc0 .LBB84_155
; %bb.17:
	global_load_b32 v3, v[0:1], off
	s_mov_b32 s23, -1
	s_mov_b32 s19, 0
	s_wait_loadcnt 0x0
	v_lshlrev_b32_e32 v3, 16, v3
	s_delay_alu instid0(VALU_DEP_1)
	v_cvt_f16_f32_e32 v3, v3
	s_branch .LBB84_157
.LBB84_18:
                                        ; implicit-def: $vgpr2
	s_cbranch_execnz .LBB84_72
	s_branch .LBB84_106
.LBB84_19:
	s_mov_b32 s19, 0
	s_mov_b32 s23, 0
                                        ; implicit-def: $vgpr3
	s_cbranch_execnz .LBB84_333
.LBB84_20:
	s_and_not1_b32 vcc_lo, exec_lo, s23
	s_cbranch_vccnz .LBB84_381
.LBB84_21:
	s_wait_loadcnt 0x0
	s_delay_alu instid0(VALU_DEP_1) | instskip(SKIP_1) | instid1(VALU_DEP_1)
	v_cvt_f32_f16_e32 v0, v3
	s_mov_b32 s0, exec_lo
	v_mul_f32_e32 v0, s11, v0
	s_delay_alu instid0(VALU_DEP_1)
	v_cmpx_nlt_f32_e32 s2, v0
	s_cbranch_execz .LBB84_23
; %bb.22:
	v_mul_f32_e32 v1, 0x3fb8aa3b, v0
	v_cmp_ngt_f32_e32 vcc_lo, 0xc2ce8ed0, v0
	v_cvt_f32_f16_e32 v2, v2
	s_delay_alu instid0(VALU_DEP_3) | instskip(SKIP_1) | instid1(VALU_DEP_1)
	v_rndne_f32_e32 v3, v1
	v_fma_f32 v4, 0x3fb8aa3b, v0, -v1
	v_dual_sub_f32 v1, v1, v3 :: v_dual_fmamk_f32 v4, v0, 0x32a5705f, v4
	v_cvt_i32_f32_e32 v3, v3
	s_delay_alu instid0(VALU_DEP_2) | instskip(NEXT) | instid1(VALU_DEP_1)
	v_add_f32_e32 v1, v1, v4
	v_exp_f32_e32 v1, v1
	v_nop
	s_delay_alu instid0(TRANS32_DEP_1) | instskip(NEXT) | instid1(VALU_DEP_1)
	v_ldexp_f32 v1, v1, v3
	v_cndmask_b32_e32 v1, 0, v1, vcc_lo
	v_cmp_nlt_f32_e32 vcc_lo, 0x42b17218, v0
	s_delay_alu instid0(VALU_DEP_2) | instskip(NEXT) | instid1(VALU_DEP_1)
	v_cndmask_b32_e32 v0, 0x7f800000, v1, vcc_lo
	v_dual_mul_f32 v1, v0, v2 :: v_dual_add_f32 v0, 1.0, v0
	s_delay_alu instid0(VALU_DEP_1) | instskip(NEXT) | instid1(VALU_DEP_1)
	v_div_scale_f32 v2, null, v0, v0, v1
	v_rcp_f32_e32 v3, v2
	v_nop
	s_delay_alu instid0(TRANS32_DEP_1) | instskip(NEXT) | instid1(VALU_DEP_1)
	v_fma_f32 v4, -v2, v3, 1.0
	v_fmac_f32_e32 v3, v4, v3
	v_div_scale_f32 v4, vcc_lo, v1, v0, v1
	s_delay_alu instid0(VALU_DEP_1) | instskip(NEXT) | instid1(VALU_DEP_1)
	v_mul_f32_e32 v5, v4, v3
	v_fma_f32 v7, -v2, v5, v4
	s_delay_alu instid0(VALU_DEP_1) | instskip(NEXT) | instid1(VALU_DEP_1)
	v_fmac_f32_e32 v5, v7, v3
	v_fma_f32 v2, -v2, v5, v4
	s_delay_alu instid0(VALU_DEP_1) | instskip(NEXT) | instid1(VALU_DEP_1)
	v_div_fmas_f32 v2, v2, v3, v5
	v_div_fixup_f32 v0, v2, v0, v1
	s_delay_alu instid0(VALU_DEP_1)
	v_cvt_f16_f32_e32 v2, v0
.LBB84_23:
	s_or_b32 exec_lo, exec_lo, s0
	v_mul_lo_u32 v0, v6, s8
	s_and_b32 s17, s3, 0xff
	s_delay_alu instid0(SALU_CYCLE_1) | instskip(NEXT) | instid1(VALU_DEP_1)
	s_cmp_lt_i32 s17, 11
	v_ashrrev_i32_e32 v1, 31, v0
	s_delay_alu instid0(VALU_DEP_1)
	v_add_nc_u64_e32 v[0:1], s[4:5], v[0:1]
	s_cbranch_scc1 .LBB84_32
; %bb.24:
	s_and_b32 s23, 0xffff, s17
	s_delay_alu instid0(SALU_CYCLE_1)
	s_cmp_gt_i32 s23, 25
	s_cbranch_scc0 .LBB84_35
; %bb.25:
	s_cmp_gt_i32 s23, 28
	s_cbranch_scc0 .LBB84_38
; %bb.26:
	;; [unrolled: 3-line block ×4, first 2 shown]
	s_mov_b32 s25, 0
	s_mov_b32 s0, -1
	s_cmp_eq_u32 s23, 46
	s_mov_b32 s24, 0
	s_cbranch_scc0 .LBB84_161
; %bb.29:
	v_cvt_f32_f16_e32 v3, v2
	v_cmp_o_f16_e32 vcc_lo, v2, v2
	s_mov_b32 s24, -1
	s_mov_b32 s0, 0
	s_delay_alu instid0(VALU_DEP_2) | instskip(NEXT) | instid1(VALU_DEP_1)
	v_bfe_u32 v4, v3, 16, 1
	v_add3_u32 v3, v3, v4, 0x7fff
	s_delay_alu instid0(VALU_DEP_1) | instskip(NEXT) | instid1(VALU_DEP_1)
	v_lshrrev_b32_e32 v3, 16, v3
	v_cndmask_b32_e32 v3, 0x7fc0, v3, vcc_lo
	global_store_b32 v[0:1], v3, off
	s_branch .LBB84_161
.LBB84_30:
	s_mov_b32 s23, -1
                                        ; implicit-def: $vgpr2
	s_branch .LBB84_53
.LBB84_31:
	s_mov_b32 s24, -1
	s_mov_b32 s19, 0
	s_mov_b32 s23, 0
                                        ; implicit-def: $vgpr3
	s_branch .LBB84_297
.LBB84_32:
	s_mov_b32 s23, -1
	s_mov_b32 s0, 0
	s_mov_b32 s24, 0
	s_branch .LBB84_230
.LBB84_33:
	s_mov_b32 s23, -1
                                        ; implicit-def: $vgpr2
	s_branch .LBB84_48
.LBB84_34:
	s_mov_b32 s24, -1
	s_mov_b32 s19, 0
	s_mov_b32 s23, 0
                                        ; implicit-def: $vgpr3
	s_branch .LBB84_278
.LBB84_35:
	s_mov_b32 s25, -1
	s_mov_b32 s0, 0
	s_mov_b32 s24, 0
	s_branch .LBB84_188
.LBB84_36:
	s_mov_b32 s23, -1
	s_branch .LBB84_40
.LBB84_37:
	s_mov_b32 s24, -1
	s_mov_b32 s19, 0
	s_mov_b32 s23, 0
                                        ; implicit-def: $vgpr3
	s_branch .LBB84_273
.LBB84_38:
	s_mov_b32 s25, -1
	s_mov_b32 s0, 0
	s_mov_b32 s24, 0
	s_branch .LBB84_171
.LBB84_39:
	s_mov_b32 s20, -1
.LBB84_40:
                                        ; implicit-def: $vgpr2
.LBB84_41:
	s_and_b32 vcc_lo, exec_lo, s23
	s_cbranch_vccz .LBB84_47
; %bb.42:
	s_cmp_eq_u32 s17, 44
	s_cbranch_scc0 .LBB84_46
; %bb.43:
	global_load_u8 v2, v[0:1], off
	s_mov_b32 s20, 0
	s_mov_b32 s19, -1
	s_wait_loadcnt 0x0
	v_lshlrev_b32_e32 v3, 23, v2
	v_cmp_ne_u32_e32 vcc_lo, 0xff, v2
	s_delay_alu instid0(VALU_DEP_2) | instskip(NEXT) | instid1(VALU_DEP_1)
	v_cvt_f16_f32_e32 v3, v3
	v_cndmask_b32_e32 v3, 0x7e00, v3, vcc_lo
	v_cmp_ne_u32_e32 vcc_lo, 0, v2
	s_delay_alu instid0(VALU_DEP_2)
	v_cndmask_b32_e32 v2, 0, v3, vcc_lo
	s_branch .LBB84_47
.LBB84_44:
	s_mov_b32 s24, -1
	s_mov_b32 s19, 0
	s_branch .LBB84_156
.LBB84_45:
	s_mov_b32 s25, -1
	s_mov_b32 s0, 0
	s_mov_b32 s24, 0
	s_branch .LBB84_167
.LBB84_46:
	s_mov_b32 s20, -1
                                        ; implicit-def: $vgpr2
.LBB84_47:
	s_mov_b32 s23, 0
.LBB84_48:
	s_delay_alu instid0(SALU_CYCLE_1)
	s_and_b32 vcc_lo, exec_lo, s23
	s_cbranch_vccz .LBB84_52
; %bb.49:
	s_cmp_eq_u32 s17, 29
	s_cbranch_scc0 .LBB84_51
; %bb.50:
	global_load_b64 v[2:3], v[0:1], off
	s_mov_b32 s19, -1
	s_mov_b32 s20, 0
	s_mov_b32 s23, 0
	s_wait_loadcnt 0x0
	v_clz_i32_u32_e32 v4, v3
	s_delay_alu instid0(VALU_DEP_1) | instskip(NEXT) | instid1(VALU_DEP_1)
	v_min_u32_e32 v4, 32, v4
	v_lshlrev_b64_e32 v[2:3], v4, v[2:3]
	s_delay_alu instid0(VALU_DEP_1) | instskip(NEXT) | instid1(VALU_DEP_1)
	v_min_u32_e32 v2, 1, v2
	v_dual_sub_nc_u32 v3, 32, v4 :: v_dual_bitop2_b32 v2, v3, v2 bitop3:0x54
	s_delay_alu instid0(VALU_DEP_1) | instskip(NEXT) | instid1(VALU_DEP_1)
	v_cvt_f32_u32_e32 v2, v2
	v_ldexp_f32 v2, v2, v3
	s_delay_alu instid0(VALU_DEP_1)
	v_cvt_f16_f32_e32 v2, v2
	s_branch .LBB84_53
.LBB84_51:
	s_mov_b32 s20, -1
                                        ; implicit-def: $vgpr2
.LBB84_52:
	s_mov_b32 s23, 0
.LBB84_53:
	s_delay_alu instid0(SALU_CYCLE_1)
	s_and_b32 vcc_lo, exec_lo, s23
	s_cbranch_vccz .LBB84_71
; %bb.54:
	s_cmp_lt_i32 s17, 27
	s_cbranch_scc1 .LBB84_57
; %bb.55:
	s_cmp_gt_i32 s17, 27
	s_cbranch_scc0 .LBB84_58
; %bb.56:
	global_load_b32 v2, v[0:1], off
	s_mov_b32 s19, 0
	s_wait_loadcnt 0x0
	v_cvt_f32_u32_e32 v2, v2
	s_delay_alu instid0(VALU_DEP_1)
	v_cvt_f16_f32_e32 v2, v2
	s_branch .LBB84_59
.LBB84_57:
	s_mov_b32 s19, -1
                                        ; implicit-def: $vgpr2
	s_branch .LBB84_62
.LBB84_58:
	s_mov_b32 s19, -1
                                        ; implicit-def: $vgpr2
.LBB84_59:
	s_delay_alu instid0(SALU_CYCLE_1)
	s_and_not1_b32 vcc_lo, exec_lo, s19
	s_cbranch_vccnz .LBB84_61
; %bb.60:
	global_load_u16 v2, v[0:1], off
	s_wait_loadcnt 0x0
	v_cvt_f16_u16_e32 v2, v2
.LBB84_61:
	s_mov_b32 s19, 0
.LBB84_62:
	s_delay_alu instid0(SALU_CYCLE_1)
	s_and_not1_b32 vcc_lo, exec_lo, s19
	s_cbranch_vccnz .LBB84_70
; %bb.63:
	global_load_u8 v3, v[0:1], off
	s_mov_b32 s19, 0
	s_mov_b32 s23, exec_lo
	s_wait_loadcnt 0x0
	v_cmpx_lt_i16_e32 0x7f, v3
	s_xor_b32 s23, exec_lo, s23
	s_cbranch_execz .LBB84_83
; %bb.64:
	s_mov_b32 s19, -1
	s_mov_b32 s24, exec_lo
	v_cmpx_eq_u16_e32 0x80, v3
; %bb.65:
	s_xor_b32 s19, exec_lo, -1
; %bb.66:
	s_or_b32 exec_lo, exec_lo, s24
	s_delay_alu instid0(SALU_CYCLE_1)
	s_and_b32 s19, s19, exec_lo
	s_or_saveexec_b32 s23, s23
	v_mov_b32_e32 v2, 0x7e00
	s_xor_b32 exec_lo, exec_lo, s23
	s_cbranch_execnz .LBB84_84
.LBB84_67:
	s_or_b32 exec_lo, exec_lo, s23
	s_and_saveexec_b32 s23, s19
	s_cbranch_execz .LBB84_69
.LBB84_68:
	v_and_b32_e32 v2, 0xffff, v3
	s_delay_alu instid0(VALU_DEP_1) | instskip(SKIP_1) | instid1(VALU_DEP_2)
	v_and_b32_e32 v4, 7, v2
	v_bfe_u32 v8, v2, 3, 4
	v_clz_i32_u32_e32 v5, v4
	s_delay_alu instid0(VALU_DEP_2) | instskip(NEXT) | instid1(VALU_DEP_2)
	v_cmp_eq_u32_e32 vcc_lo, 0, v8
	v_min_u32_e32 v5, 32, v5
	s_delay_alu instid0(VALU_DEP_1) | instskip(NEXT) | instid1(VALU_DEP_1)
	v_subrev_nc_u32_e32 v7, 28, v5
	v_dual_lshlrev_b32 v2, v7, v2 :: v_dual_sub_nc_u32 v5, 29, v5
	s_delay_alu instid0(VALU_DEP_1) | instskip(NEXT) | instid1(VALU_DEP_2)
	v_dual_lshlrev_b32 v3, 24, v3 :: v_dual_bitop2_b32 v2, 7, v2 bitop3:0x40
	v_cndmask_b32_e32 v5, v8, v5, vcc_lo
	s_delay_alu instid0(VALU_DEP_2) | instskip(NEXT) | instid1(VALU_DEP_3)
	v_cndmask_b32_e32 v2, v4, v2, vcc_lo
	v_and_b32_e32 v3, 0x80000000, v3
	s_delay_alu instid0(VALU_DEP_3) | instskip(NEXT) | instid1(VALU_DEP_3)
	v_lshl_add_u32 v4, v5, 23, 0x3b800000
	v_lshlrev_b32_e32 v2, 20, v2
	s_delay_alu instid0(VALU_DEP_1) | instskip(NEXT) | instid1(VALU_DEP_1)
	v_or3_b32 v2, v3, v4, v2
	v_cvt_f16_f32_e32 v2, v2
.LBB84_69:
	s_or_b32 exec_lo, exec_lo, s23
.LBB84_70:
	s_mov_b32 s19, -1
.LBB84_71:
	s_branch .LBB84_106
.LBB84_72:
	s_cmp_gt_i32 s17, 22
	s_cbranch_scc0 .LBB84_82
; %bb.73:
	s_cmp_lt_i32 s17, 24
	s_cbranch_scc1 .LBB84_85
; %bb.74:
	s_cmp_gt_i32 s17, 24
	s_cbranch_scc0 .LBB84_86
; %bb.75:
	global_load_u8 v3, v[0:1], off
	s_mov_b32 s19, 0
	s_mov_b32 s23, exec_lo
	s_wait_loadcnt 0x0
	v_cmpx_lt_i16_e32 0x7f, v3
	s_xor_b32 s23, exec_lo, s23
	s_cbranch_execz .LBB84_98
; %bb.76:
	s_mov_b32 s19, -1
	s_mov_b32 s24, exec_lo
	v_cmpx_eq_u16_e32 0x80, v3
; %bb.77:
	s_xor_b32 s19, exec_lo, -1
; %bb.78:
	s_or_b32 exec_lo, exec_lo, s24
	s_delay_alu instid0(SALU_CYCLE_1)
	s_and_b32 s19, s19, exec_lo
	s_or_saveexec_b32 s23, s23
	v_mov_b32_e32 v2, 0x7e00
	s_xor_b32 exec_lo, exec_lo, s23
	s_cbranch_execnz .LBB84_99
.LBB84_79:
	s_or_b32 exec_lo, exec_lo, s23
	s_and_saveexec_b32 s23, s19
	s_cbranch_execz .LBB84_81
.LBB84_80:
	v_and_b32_e32 v2, 0xffff, v3
	s_delay_alu instid0(VALU_DEP_1) | instskip(SKIP_1) | instid1(VALU_DEP_2)
	v_and_b32_e32 v4, 3, v2
	v_bfe_u32 v8, v2, 2, 5
	v_clz_i32_u32_e32 v5, v4
	s_delay_alu instid0(VALU_DEP_2) | instskip(NEXT) | instid1(VALU_DEP_2)
	v_cmp_eq_u32_e32 vcc_lo, 0, v8
	v_min_u32_e32 v5, 32, v5
	s_delay_alu instid0(VALU_DEP_1) | instskip(NEXT) | instid1(VALU_DEP_1)
	v_subrev_nc_u32_e32 v7, 29, v5
	v_dual_lshlrev_b32 v2, v7, v2 :: v_dual_sub_nc_u32 v5, 30, v5
	s_delay_alu instid0(VALU_DEP_1) | instskip(NEXT) | instid1(VALU_DEP_2)
	v_dual_lshlrev_b32 v3, 24, v3 :: v_dual_bitop2_b32 v2, 3, v2 bitop3:0x40
	v_cndmask_b32_e32 v5, v8, v5, vcc_lo
	s_delay_alu instid0(VALU_DEP_2) | instskip(NEXT) | instid1(VALU_DEP_3)
	v_cndmask_b32_e32 v2, v4, v2, vcc_lo
	v_and_b32_e32 v3, 0x80000000, v3
	s_delay_alu instid0(VALU_DEP_3) | instskip(NEXT) | instid1(VALU_DEP_3)
	v_lshl_add_u32 v4, v5, 23, 0x37800000
	v_lshlrev_b32_e32 v2, 21, v2
	s_delay_alu instid0(VALU_DEP_1) | instskip(NEXT) | instid1(VALU_DEP_1)
	v_or3_b32 v2, v3, v4, v2
	v_cvt_f16_f32_e32 v2, v2
.LBB84_81:
	s_or_b32 exec_lo, exec_lo, s23
	s_mov_b32 s19, 0
	s_branch .LBB84_87
.LBB84_82:
	s_mov_b32 s23, -1
                                        ; implicit-def: $vgpr2
	s_branch .LBB84_93
.LBB84_83:
	s_or_saveexec_b32 s23, s23
	v_mov_b32_e32 v2, 0x7e00
	s_xor_b32 exec_lo, exec_lo, s23
	s_cbranch_execz .LBB84_67
.LBB84_84:
	v_cmp_ne_u16_e32 vcc_lo, 0, v3
	v_mov_b32_e32 v2, v3
	s_and_not1_b32 s19, s19, exec_lo
	s_and_b32 s24, vcc_lo, exec_lo
	s_delay_alu instid0(SALU_CYCLE_1)
	s_or_b32 s19, s19, s24
	s_or_b32 exec_lo, exec_lo, s23
	s_and_saveexec_b32 s23, s19
	s_cbranch_execnz .LBB84_68
	s_branch .LBB84_69
.LBB84_85:
	s_mov_b32 s19, -1
                                        ; implicit-def: $vgpr2
	s_branch .LBB84_90
.LBB84_86:
	s_mov_b32 s19, -1
                                        ; implicit-def: $vgpr2
.LBB84_87:
	s_delay_alu instid0(SALU_CYCLE_1)
	s_and_b32 vcc_lo, exec_lo, s19
	s_cbranch_vccz .LBB84_89
; %bb.88:
	global_load_u8 v2, v[0:1], off
	s_wait_loadcnt 0x0
	v_lshlrev_b32_e32 v2, 24, v2
	s_delay_alu instid0(VALU_DEP_1) | instskip(NEXT) | instid1(VALU_DEP_1)
	v_and_b32_e32 v3, 0x7f000000, v2
	v_clz_i32_u32_e32 v4, v3
	v_add_nc_u32_e32 v7, 0x1000000, v3
	v_cmp_ne_u32_e32 vcc_lo, 0, v3
	s_delay_alu instid0(VALU_DEP_3) | instskip(NEXT) | instid1(VALU_DEP_1)
	v_min_u32_e32 v4, 32, v4
	v_sub_nc_u32_e64 v4, v4, 4 clamp
	s_delay_alu instid0(VALU_DEP_1) | instskip(NEXT) | instid1(VALU_DEP_1)
	v_dual_lshlrev_b32 v5, v4, v3 :: v_dual_lshlrev_b32 v4, 23, v4
	v_lshrrev_b32_e32 v5, 4, v5
	s_delay_alu instid0(VALU_DEP_1) | instskip(NEXT) | instid1(VALU_DEP_1)
	v_dual_sub_nc_u32 v4, v5, v4 :: v_dual_ashrrev_i32 v5, 8, v7
	v_add_nc_u32_e32 v4, 0x3c000000, v4
	s_delay_alu instid0(VALU_DEP_1) | instskip(NEXT) | instid1(VALU_DEP_1)
	v_and_or_b32 v4, 0x7f800000, v5, v4
	v_cndmask_b32_e32 v3, 0, v4, vcc_lo
	s_delay_alu instid0(VALU_DEP_1) | instskip(NEXT) | instid1(VALU_DEP_1)
	v_and_or_b32 v2, 0x80000000, v2, v3
	v_cvt_f16_f32_e32 v2, v2
.LBB84_89:
	s_mov_b32 s19, 0
.LBB84_90:
	s_delay_alu instid0(SALU_CYCLE_1)
	s_and_not1_b32 vcc_lo, exec_lo, s19
	s_cbranch_vccnz .LBB84_92
; %bb.91:
	global_load_u8 v2, v[0:1], off
	s_wait_loadcnt 0x0
	v_lshlrev_b32_e32 v3, 25, v2
	v_lshlrev_b16 v2, 8, v2
	s_delay_alu instid0(VALU_DEP_1) | instskip(SKIP_1) | instid1(VALU_DEP_2)
	v_and_or_b32 v5, 0x7f00, v2, 0.5
	v_bfe_i32 v2, v2, 0, 16
	v_dual_add_f32 v5, -0.5, v5 :: v_dual_lshrrev_b32 v4, 4, v3
	v_cmp_gt_u32_e32 vcc_lo, 0x8000000, v3
	s_delay_alu instid0(VALU_DEP_2) | instskip(NEXT) | instid1(VALU_DEP_1)
	v_or_b32_e32 v4, 0x70000000, v4
	v_mul_f32_e32 v4, 0x7800000, v4
	s_delay_alu instid0(VALU_DEP_1) | instskip(NEXT) | instid1(VALU_DEP_1)
	v_cndmask_b32_e32 v3, v4, v5, vcc_lo
	v_and_or_b32 v2, 0x80000000, v2, v3
	s_delay_alu instid0(VALU_DEP_1)
	v_cvt_f16_f32_e32 v2, v2
.LBB84_92:
	s_mov_b32 s23, 0
	s_mov_b32 s19, -1
.LBB84_93:
	s_and_not1_b32 vcc_lo, exec_lo, s23
	s_cbranch_vccnz .LBB84_106
; %bb.94:
	s_cmp_gt_i32 s17, 14
	s_cbranch_scc0 .LBB84_97
; %bb.95:
	s_cmp_eq_u32 s17, 15
	s_cbranch_scc0 .LBB84_100
; %bb.96:
	global_load_u16 v2, v[0:1], off
	s_mov_b32 s19, -1
	s_mov_b32 s20, 0
	s_wait_loadcnt 0x0
	v_lshlrev_b32_e32 v2, 16, v2
	s_delay_alu instid0(VALU_DEP_1)
	v_cvt_f16_f32_e32 v2, v2
	s_branch .LBB84_101
.LBB84_97:
	s_mov_b32 s23, -1
                                        ; implicit-def: $vgpr2
	s_branch .LBB84_102
.LBB84_98:
	s_or_saveexec_b32 s23, s23
	v_mov_b32_e32 v2, 0x7e00
	s_xor_b32 exec_lo, exec_lo, s23
	s_cbranch_execz .LBB84_79
.LBB84_99:
	v_cmp_ne_u16_e32 vcc_lo, 0, v3
	v_mov_b32_e32 v2, v3
	s_and_not1_b32 s19, s19, exec_lo
	s_and_b32 s24, vcc_lo, exec_lo
	s_delay_alu instid0(SALU_CYCLE_1)
	s_or_b32 s19, s19, s24
	s_or_b32 exec_lo, exec_lo, s23
	s_and_saveexec_b32 s23, s19
	s_cbranch_execnz .LBB84_80
	s_branch .LBB84_81
.LBB84_100:
	s_mov_b32 s20, -1
                                        ; implicit-def: $vgpr2
.LBB84_101:
	s_mov_b32 s23, 0
.LBB84_102:
	s_delay_alu instid0(SALU_CYCLE_1)
	s_and_b32 vcc_lo, exec_lo, s23
	s_cbranch_vccz .LBB84_106
; %bb.103:
	s_cmp_eq_u32 s17, 11
	s_cbranch_scc0 .LBB84_105
; %bb.104:
	global_load_u8 v2, v[0:1], off
	s_mov_b32 s20, 0
	s_mov_b32 s19, -1
	s_wait_loadcnt 0x0
	v_cmp_ne_u16_e32 vcc_lo, 0, v2
	v_cndmask_b32_e64 v2, 0, 0x3c00, vcc_lo
	s_branch .LBB84_106
.LBB84_105:
	s_mov_b32 s20, -1
                                        ; implicit-def: $vgpr2
.LBB84_106:
	s_branch .LBB84_10
.LBB84_107:
	s_and_b32 s0, 0xffff, s0
	s_delay_alu instid0(SALU_CYCLE_1)
	s_cmp_lt_i32 s0, 5
	s_cbranch_scc1 .LBB84_112
; %bb.108:
	s_cmp_lt_i32 s0, 8
	s_cbranch_scc1 .LBB84_113
; %bb.109:
	;; [unrolled: 3-line block ×3, first 2 shown]
	s_cmp_gt_i32 s0, 9
	s_cbranch_scc0 .LBB84_115
; %bb.111:
	global_load_b64 v[2:3], v[0:1], off
	s_mov_b32 s17, 0
	s_wait_loadcnt 0x0
	v_and_or_b32 v2, 0x1ff, v3, v2
	v_lshrrev_b32_e32 v4, 8, v3
	v_bfe_u32 v5, v3, 20, 11
	v_lshrrev_b32_e32 v3, 16, v3
	s_delay_alu instid0(VALU_DEP_4) | instskip(NEXT) | instid1(VALU_DEP_3)
	v_cmp_ne_u32_e32 vcc_lo, 0, v2
	v_sub_nc_u32_e32 v7, 0x3f1, v5
	v_add_nc_u32_e32 v5, 0xfffffc10, v5
	v_cndmask_b32_e64 v2, 0, 1, vcc_lo
	s_delay_alu instid0(VALU_DEP_1) | instskip(NEXT) | instid1(VALU_DEP_4)
	v_and_or_b32 v2, 0xffe, v4, v2
	v_med3_i32 v4, v7, 0, 13
	s_delay_alu instid0(VALU_DEP_2) | instskip(NEXT) | instid1(VALU_DEP_1)
	v_or_b32_e32 v7, 0x1000, v2
	v_lshrrev_b32_e32 v8, v4, v7
	s_delay_alu instid0(VALU_DEP_1) | instskip(NEXT) | instid1(VALU_DEP_1)
	v_lshlrev_b32_e32 v4, v4, v8
	v_cmp_ne_u32_e32 vcc_lo, v4, v7
	v_lshl_or_b32 v7, v5, 12, v2
	v_cndmask_b32_e64 v4, 0, 1, vcc_lo
	v_cmp_gt_i32_e32 vcc_lo, 1, v5
	s_delay_alu instid0(VALU_DEP_2) | instskip(NEXT) | instid1(VALU_DEP_1)
	v_or_b32_e32 v4, v8, v4
	v_cndmask_b32_e32 v4, v7, v4, vcc_lo
	s_delay_alu instid0(VALU_DEP_1) | instskip(NEXT) | instid1(VALU_DEP_1)
	v_dual_lshrrev_b32 v4, 2, v4 :: v_dual_bitop2_b32 v7, 7, v4 bitop3:0x40
	v_cmp_lt_i32_e32 vcc_lo, 5, v7
	v_cndmask_b32_e64 v8, 0, 1, vcc_lo
	v_cmp_eq_u32_e32 vcc_lo, 3, v7
	v_cndmask_b32_e64 v7, 0, 1, vcc_lo
	v_cmp_ne_u32_e32 vcc_lo, 0, v2
	s_delay_alu instid0(VALU_DEP_2) | instskip(SKIP_1) | instid1(VALU_DEP_2)
	v_or_b32_e32 v7, v7, v8
	v_mov_b32_e32 v8, 0x7e00
	v_add_nc_u32_e32 v4, v4, v7
	s_delay_alu instid0(VALU_DEP_2) | instskip(SKIP_1) | instid1(VALU_DEP_3)
	v_cndmask_b32_e32 v2, 0x7c00, v8, vcc_lo
	v_cmp_gt_i32_e32 vcc_lo, 31, v5
	v_cndmask_b32_e32 v4, 0x7c00, v4, vcc_lo
	v_cmp_eq_u32_e32 vcc_lo, 0x40f, v5
	s_delay_alu instid0(VALU_DEP_2) | instskip(NEXT) | instid1(VALU_DEP_1)
	v_cndmask_b32_e32 v2, v4, v2, vcc_lo
	v_and_or_b32 v2, 0x8000, v3, v2
	s_branch .LBB84_116
.LBB84_112:
                                        ; implicit-def: $vgpr2
	s_branch .LBB84_134
.LBB84_113:
	s_mov_b32 s17, -1
                                        ; implicit-def: $vgpr2
	s_branch .LBB84_122
.LBB84_114:
	s_mov_b32 s17, -1
                                        ; implicit-def: $vgpr2
	s_branch .LBB84_119
.LBB84_115:
	s_mov_b32 s17, -1
                                        ; implicit-def: $vgpr2
.LBB84_116:
	s_delay_alu instid0(SALU_CYCLE_1)
	s_and_not1_b32 vcc_lo, exec_lo, s17
	s_cbranch_vccnz .LBB84_118
; %bb.117:
	global_load_b32 v2, v[0:1], off
	s_wait_loadcnt 0x0
	v_cvt_f16_f32_e32 v2, v2
.LBB84_118:
	s_mov_b32 s17, 0
.LBB84_119:
	s_delay_alu instid0(SALU_CYCLE_1)
	s_and_not1_b32 vcc_lo, exec_lo, s17
	s_cbranch_vccnz .LBB84_121
; %bb.120:
	global_load_b32 v2, v[0:1], off
.LBB84_121:
	s_mov_b32 s17, 0
.LBB84_122:
	s_delay_alu instid0(SALU_CYCLE_1)
	s_and_not1_b32 vcc_lo, exec_lo, s17
	s_cbranch_vccnz .LBB84_133
; %bb.123:
	s_cmp_lt_i32 s0, 6
	s_cbranch_scc1 .LBB84_126
; %bb.124:
	s_cmp_gt_i32 s0, 6
	s_cbranch_scc0 .LBB84_127
; %bb.125:
	s_wait_loadcnt 0x0
	global_load_b64 v[2:3], v[0:1], off
	s_mov_b32 s17, 0
	s_wait_loadcnt 0x0
	v_and_or_b32 v2, 0x1ff, v3, v2
	v_lshrrev_b32_e32 v4, 8, v3
	v_bfe_u32 v5, v3, 20, 11
	v_lshrrev_b32_e32 v3, 16, v3
	s_delay_alu instid0(VALU_DEP_4) | instskip(NEXT) | instid1(VALU_DEP_3)
	v_cmp_ne_u32_e32 vcc_lo, 0, v2
	v_sub_nc_u32_e32 v7, 0x3f1, v5
	v_add_nc_u32_e32 v5, 0xfffffc10, v5
	v_cndmask_b32_e64 v2, 0, 1, vcc_lo
	s_delay_alu instid0(VALU_DEP_1) | instskip(NEXT) | instid1(VALU_DEP_4)
	v_and_or_b32 v2, 0xffe, v4, v2
	v_med3_i32 v4, v7, 0, 13
	s_delay_alu instid0(VALU_DEP_2) | instskip(NEXT) | instid1(VALU_DEP_1)
	v_or_b32_e32 v7, 0x1000, v2
	v_lshrrev_b32_e32 v8, v4, v7
	s_delay_alu instid0(VALU_DEP_1) | instskip(NEXT) | instid1(VALU_DEP_1)
	v_lshlrev_b32_e32 v4, v4, v8
	v_cmp_ne_u32_e32 vcc_lo, v4, v7
	v_lshl_or_b32 v7, v5, 12, v2
	v_cndmask_b32_e64 v4, 0, 1, vcc_lo
	v_cmp_gt_i32_e32 vcc_lo, 1, v5
	s_delay_alu instid0(VALU_DEP_2) | instskip(NEXT) | instid1(VALU_DEP_1)
	v_or_b32_e32 v4, v8, v4
	v_cndmask_b32_e32 v4, v7, v4, vcc_lo
	s_delay_alu instid0(VALU_DEP_1) | instskip(NEXT) | instid1(VALU_DEP_1)
	v_dual_lshrrev_b32 v4, 2, v4 :: v_dual_bitop2_b32 v7, 7, v4 bitop3:0x40
	v_cmp_lt_i32_e32 vcc_lo, 5, v7
	v_cndmask_b32_e64 v8, 0, 1, vcc_lo
	v_cmp_eq_u32_e32 vcc_lo, 3, v7
	v_cndmask_b32_e64 v7, 0, 1, vcc_lo
	v_cmp_ne_u32_e32 vcc_lo, 0, v2
	s_delay_alu instid0(VALU_DEP_2) | instskip(SKIP_1) | instid1(VALU_DEP_2)
	v_or_b32_e32 v7, v7, v8
	v_mov_b32_e32 v8, 0x7e00
	v_add_nc_u32_e32 v4, v4, v7
	s_delay_alu instid0(VALU_DEP_2) | instskip(SKIP_1) | instid1(VALU_DEP_3)
	v_cndmask_b32_e32 v2, 0x7c00, v8, vcc_lo
	v_cmp_gt_i32_e32 vcc_lo, 31, v5
	v_cndmask_b32_e32 v4, 0x7c00, v4, vcc_lo
	v_cmp_eq_u32_e32 vcc_lo, 0x40f, v5
	s_delay_alu instid0(VALU_DEP_2) | instskip(NEXT) | instid1(VALU_DEP_1)
	v_cndmask_b32_e32 v2, v4, v2, vcc_lo
	v_and_or_b32 v2, 0x8000, v3, v2
	s_branch .LBB84_128
.LBB84_126:
	s_mov_b32 s17, -1
                                        ; implicit-def: $vgpr2
	s_branch .LBB84_131
.LBB84_127:
	s_mov_b32 s17, -1
                                        ; implicit-def: $vgpr2
.LBB84_128:
	s_delay_alu instid0(SALU_CYCLE_1)
	s_and_not1_b32 vcc_lo, exec_lo, s17
	s_cbranch_vccnz .LBB84_130
; %bb.129:
	s_wait_loadcnt 0x0
	global_load_b32 v2, v[0:1], off
	s_wait_loadcnt 0x0
	v_cvt_f16_f32_e32 v2, v2
.LBB84_130:
	s_mov_b32 s17, 0
.LBB84_131:
	s_delay_alu instid0(SALU_CYCLE_1)
	s_and_not1_b32 vcc_lo, exec_lo, s17
	s_cbranch_vccnz .LBB84_133
; %bb.132:
	s_wait_loadcnt 0x0
	global_load_u16 v2, v[0:1], off
.LBB84_133:
	s_cbranch_execnz .LBB84_153
.LBB84_134:
	s_cmp_lt_i32 s0, 2
	s_cbranch_scc1 .LBB84_138
; %bb.135:
	s_cmp_lt_i32 s0, 3
	s_cbranch_scc1 .LBB84_139
; %bb.136:
	s_cmp_gt_i32 s0, 3
	s_cbranch_scc0 .LBB84_140
; %bb.137:
	s_wait_loadcnt 0x0
	global_load_b64 v[2:3], v[0:1], off
	s_mov_b32 s17, 0
	s_wait_loadcnt 0x0
	v_xor_b32_e32 v4, v2, v3
	v_cls_i32_e32 v5, v3
	s_delay_alu instid0(VALU_DEP_2) | instskip(NEXT) | instid1(VALU_DEP_1)
	v_ashrrev_i32_e32 v4, 31, v4
	v_add_nc_u32_e32 v4, 32, v4
	s_delay_alu instid0(VALU_DEP_1) | instskip(NEXT) | instid1(VALU_DEP_1)
	v_add_min_u32_e64 v4, v5, -1, v4
	v_lshlrev_b64_e32 v[2:3], v4, v[2:3]
	s_delay_alu instid0(VALU_DEP_1) | instskip(NEXT) | instid1(VALU_DEP_1)
	v_min_u32_e32 v2, 1, v2
	v_dual_sub_nc_u32 v3, 32, v4 :: v_dual_bitop2_b32 v2, v3, v2 bitop3:0x54
	s_delay_alu instid0(VALU_DEP_1) | instskip(NEXT) | instid1(VALU_DEP_1)
	v_cvt_f32_i32_e32 v2, v2
	v_ldexp_f32 v2, v2, v3
	s_delay_alu instid0(VALU_DEP_1)
	v_cvt_f16_f32_e32 v2, v2
	s_branch .LBB84_141
.LBB84_138:
	s_mov_b32 s17, -1
                                        ; implicit-def: $vgpr2
	s_branch .LBB84_147
.LBB84_139:
	s_mov_b32 s17, -1
                                        ; implicit-def: $vgpr2
	s_branch .LBB84_144
.LBB84_140:
	s_mov_b32 s17, -1
                                        ; implicit-def: $vgpr2
.LBB84_141:
	s_delay_alu instid0(SALU_CYCLE_1)
	s_and_not1_b32 vcc_lo, exec_lo, s17
	s_cbranch_vccnz .LBB84_143
; %bb.142:
	s_wait_loadcnt 0x0
	global_load_b32 v2, v[0:1], off
	s_wait_loadcnt 0x0
	v_cvt_f32_i32_e32 v2, v2
	s_delay_alu instid0(VALU_DEP_1)
	v_cvt_f16_f32_e32 v2, v2
.LBB84_143:
	s_mov_b32 s17, 0
.LBB84_144:
	s_delay_alu instid0(SALU_CYCLE_1)
	s_and_not1_b32 vcc_lo, exec_lo, s17
	s_cbranch_vccnz .LBB84_146
; %bb.145:
	s_wait_loadcnt 0x0
	global_load_u16 v2, v[0:1], off
	s_wait_loadcnt 0x0
	v_cvt_f16_i16_e32 v2, v2
.LBB84_146:
	s_mov_b32 s17, 0
.LBB84_147:
	s_delay_alu instid0(SALU_CYCLE_1)
	s_and_not1_b32 vcc_lo, exec_lo, s17
	s_cbranch_vccnz .LBB84_153
; %bb.148:
	s_cmp_gt_i32 s0, 0
	s_mov_b32 s0, 0
	s_cbranch_scc0 .LBB84_150
; %bb.149:
	s_wait_loadcnt 0x0
	global_load_i8 v2, v[0:1], off
	s_wait_loadcnt 0x0
	v_cvt_f16_i16_e32 v2, v2
	s_branch .LBB84_151
.LBB84_150:
	s_mov_b32 s0, -1
                                        ; implicit-def: $vgpr2
.LBB84_151:
	s_delay_alu instid0(SALU_CYCLE_1)
	s_and_not1_b32 vcc_lo, exec_lo, s0
	s_cbranch_vccnz .LBB84_153
; %bb.152:
	global_load_u8 v0, v[0:1], off
	s_wait_loadcnt 0x0
	v_cvt_f16_u16_e32 v2, v0
.LBB84_153:
	s_branch .LBB84_11
.LBB84_154:
	s_mov_b32 s0, 0
	s_mov_b32 s19, 0
	s_branch .LBB84_382
.LBB84_155:
	s_mov_b32 s19, -1
.LBB84_156:
	s_mov_b32 s23, 0
                                        ; implicit-def: $vgpr3
.LBB84_157:
	s_and_b32 vcc_lo, exec_lo, s24
	s_cbranch_vccz .LBB84_272
; %bb.158:
	s_cmp_eq_u32 s17, 44
	s_cbranch_scc0 .LBB84_271
; %bb.159:
	global_load_u8 v3, v[0:1], off
	s_mov_b32 s19, 0
	s_mov_b32 s23, -1
	s_wait_loadcnt 0x0
	v_lshlrev_b32_e32 v4, 23, v3
	v_cmp_ne_u32_e32 vcc_lo, 0xff, v3
	s_delay_alu instid0(VALU_DEP_2) | instskip(NEXT) | instid1(VALU_DEP_1)
	v_cvt_f16_f32_e32 v4, v4
	v_cndmask_b32_e32 v4, 0x7e00, v4, vcc_lo
	v_cmp_ne_u32_e32 vcc_lo, 0, v3
	s_delay_alu instid0(VALU_DEP_2)
	v_cndmask_b32_e32 v3, 0, v4, vcc_lo
	s_branch .LBB84_272
.LBB84_160:
	s_mov_b32 s25, -1
	s_mov_b32 s0, 0
	s_mov_b32 s24, 0
.LBB84_161:
	s_and_b32 vcc_lo, exec_lo, s25
	s_cbranch_vccz .LBB84_166
; %bb.162:
	s_cmp_eq_u32 s23, 44
	s_mov_b32 s0, -1
	s_cbranch_scc0 .LBB84_166
; %bb.163:
	s_wait_xcnt 0x0
	v_cvt_f32_f16_e32 v3, v2
	v_mov_b32_e32 v4, 0xff
	s_mov_b32 s24, exec_lo
	s_delay_alu instid0(VALU_DEP_2) | instskip(NEXT) | instid1(VALU_DEP_1)
	v_bfe_u32 v5, v3, 23, 8
	v_cmpx_ne_u32_e32 0xff, v5
	s_cbranch_execz .LBB84_165
; %bb.164:
	v_and_b32_e32 v4, 0x400000, v3
	v_and_or_b32 v5, 0x3fffff, v3, v5
	v_lshrrev_b32_e32 v3, 23, v3
	s_delay_alu instid0(VALU_DEP_3) | instskip(NEXT) | instid1(VALU_DEP_3)
	v_cmp_ne_u32_e32 vcc_lo, 0, v4
	v_cmp_ne_u32_e64 s0, 0, v5
	s_and_b32 s0, vcc_lo, s0
	s_delay_alu instid0(SALU_CYCLE_1) | instskip(NEXT) | instid1(VALU_DEP_1)
	v_cndmask_b32_e64 v4, 0, 1, s0
	v_add_nc_u32_e32 v4, v3, v4
.LBB84_165:
	s_or_b32 exec_lo, exec_lo, s24
	s_mov_b32 s24, -1
	s_mov_b32 s0, 0
	global_store_b8 v[0:1], v4, off
.LBB84_166:
	s_mov_b32 s25, 0
.LBB84_167:
	s_delay_alu instid0(SALU_CYCLE_1)
	s_and_b32 vcc_lo, exec_lo, s25
	s_cbranch_vccz .LBB84_170
; %bb.168:
	s_cmp_eq_u32 s23, 29
	s_mov_b32 s0, -1
	s_cbranch_scc0 .LBB84_170
; %bb.169:
	s_wait_xcnt 0x0
	v_cvt_f32_f16_e32 v3, v2
	v_mov_b32_e32 v5, 0
	s_mov_b32 s24, -1
	s_mov_b32 s0, 0
	s_mov_b32 s25, 0
	v_cvt_u32_f32_e32 v4, v3
	global_store_b64 v[0:1], v[4:5], off
	s_branch .LBB84_171
.LBB84_170:
	s_mov_b32 s25, 0
.LBB84_171:
	s_delay_alu instid0(SALU_CYCLE_1)
	s_and_b32 vcc_lo, exec_lo, s25
	s_cbranch_vccz .LBB84_187
; %bb.172:
	s_cmp_lt_i32 s23, 27
	s_mov_b32 s24, -1
	s_cbranch_scc1 .LBB84_178
; %bb.173:
	s_cmp_gt_i32 s23, 27
	s_cbranch_scc0 .LBB84_175
; %bb.174:
	s_wait_xcnt 0x0
	v_cvt_f32_f16_e32 v3, v2
	s_mov_b32 s24, 0
	s_delay_alu instid0(VALU_DEP_1)
	v_cvt_u32_f32_e32 v3, v3
	global_store_b32 v[0:1], v3, off
.LBB84_175:
	s_and_not1_b32 vcc_lo, exec_lo, s24
	s_cbranch_vccnz .LBB84_177
; %bb.176:
	s_wait_xcnt 0x0
	v_cvt_u16_f16_e32 v3, v2
	global_store_b16 v[0:1], v3, off
.LBB84_177:
	s_mov_b32 s24, 0
.LBB84_178:
	s_delay_alu instid0(SALU_CYCLE_1)
	s_and_not1_b32 vcc_lo, exec_lo, s24
	s_cbranch_vccnz .LBB84_186
; %bb.179:
	s_wait_xcnt 0x0
	v_cvt_f32_f16_e32 v3, v2
	v_mov_b32_e32 v5, 0x80
	s_mov_b32 s24, exec_lo
	s_delay_alu instid0(VALU_DEP_2) | instskip(NEXT) | instid1(VALU_DEP_1)
	v_and_b32_e32 v4, 0x7fffffff, v3
	v_cmpx_gt_u32_e32 0x43800000, v4
	s_cbranch_execz .LBB84_185
; %bb.180:
	v_cmp_lt_u32_e32 vcc_lo, 0x3bffffff, v4
	s_mov_b32 s25, 0
                                        ; implicit-def: $vgpr4
	s_and_saveexec_b32 s26, vcc_lo
	s_delay_alu instid0(SALU_CYCLE_1)
	s_xor_b32 s26, exec_lo, s26
	s_cbranch_execz .LBB84_413
; %bb.181:
	v_bfe_u32 v4, v3, 20, 1
	s_mov_b32 s25, exec_lo
	s_delay_alu instid0(VALU_DEP_1) | instskip(NEXT) | instid1(VALU_DEP_1)
	v_add3_u32 v4, v3, v4, 0x487ffff
	v_lshrrev_b32_e32 v4, 20, v4
	s_and_not1_saveexec_b32 s26, s26
	s_cbranch_execnz .LBB84_414
.LBB84_182:
	s_or_b32 exec_lo, exec_lo, s26
	v_mov_b32_e32 v5, 0
	s_and_saveexec_b32 s26, s25
.LBB84_183:
	v_lshrrev_b32_e32 v3, 24, v3
	s_delay_alu instid0(VALU_DEP_1)
	v_and_or_b32 v5, 0x80, v3, v4
.LBB84_184:
	s_or_b32 exec_lo, exec_lo, s26
.LBB84_185:
	s_delay_alu instid0(SALU_CYCLE_1)
	s_or_b32 exec_lo, exec_lo, s24
	global_store_b8 v[0:1], v5, off
.LBB84_186:
	s_mov_b32 s24, -1
.LBB84_187:
	s_mov_b32 s25, 0
.LBB84_188:
	s_delay_alu instid0(SALU_CYCLE_1)
	s_and_b32 vcc_lo, exec_lo, s25
	s_cbranch_vccz .LBB84_229
; %bb.189:
	s_cmp_gt_i32 s23, 22
	s_mov_b32 s25, -1
	s_cbranch_scc0 .LBB84_221
; %bb.190:
	s_cmp_lt_i32 s23, 24
	s_mov_b32 s24, -1
	s_cbranch_scc1 .LBB84_210
; %bb.191:
	s_cmp_gt_i32 s23, 24
	s_cbranch_scc0 .LBB84_199
; %bb.192:
	s_wait_xcnt 0x0
	v_cvt_f32_f16_e32 v3, v2
	v_mov_b32_e32 v5, 0x80
	s_mov_b32 s24, exec_lo
	s_delay_alu instid0(VALU_DEP_2) | instskip(NEXT) | instid1(VALU_DEP_1)
	v_and_b32_e32 v4, 0x7fffffff, v3
	v_cmpx_gt_u32_e32 0x47800000, v4
	s_cbranch_execz .LBB84_198
; %bb.193:
	v_cmp_lt_u32_e32 vcc_lo, 0x37ffffff, v4
	s_mov_b32 s25, 0
                                        ; implicit-def: $vgpr4
	s_and_saveexec_b32 s26, vcc_lo
	s_delay_alu instid0(SALU_CYCLE_1)
	s_xor_b32 s26, exec_lo, s26
	s_cbranch_execz .LBB84_532
; %bb.194:
	v_bfe_u32 v4, v3, 21, 1
	s_mov_b32 s25, exec_lo
	s_delay_alu instid0(VALU_DEP_1) | instskip(NEXT) | instid1(VALU_DEP_1)
	v_add3_u32 v4, v3, v4, 0x88fffff
	v_lshrrev_b32_e32 v4, 21, v4
	s_and_not1_saveexec_b32 s26, s26
	s_cbranch_execnz .LBB84_533
.LBB84_195:
	s_or_b32 exec_lo, exec_lo, s26
	v_mov_b32_e32 v5, 0
	s_and_saveexec_b32 s26, s25
.LBB84_196:
	v_lshrrev_b32_e32 v3, 24, v3
	s_delay_alu instid0(VALU_DEP_1)
	v_and_or_b32 v5, 0x80, v3, v4
.LBB84_197:
	s_or_b32 exec_lo, exec_lo, s26
.LBB84_198:
	s_delay_alu instid0(SALU_CYCLE_1)
	s_or_b32 exec_lo, exec_lo, s24
	s_mov_b32 s24, 0
	global_store_b8 v[0:1], v5, off
.LBB84_199:
	s_and_b32 vcc_lo, exec_lo, s24
	s_cbranch_vccz .LBB84_209
; %bb.200:
	s_wait_xcnt 0x0
	v_cvt_f32_f16_e32 v3, v2
	s_mov_b32 s24, exec_lo
                                        ; implicit-def: $vgpr4
	s_delay_alu instid0(VALU_DEP_1) | instskip(NEXT) | instid1(VALU_DEP_1)
	v_and_b32_e32 v5, 0x7fffffff, v3
	v_cmpx_gt_u32_e32 0x43f00000, v5
	s_xor_b32 s24, exec_lo, s24
	s_cbranch_execz .LBB84_206
; %bb.201:
	s_mov_b32 s25, exec_lo
                                        ; implicit-def: $vgpr4
	v_cmpx_lt_u32_e32 0x3c7fffff, v5
	s_xor_b32 s25, exec_lo, s25
; %bb.202:
	v_bfe_u32 v4, v3, 20, 1
	s_delay_alu instid0(VALU_DEP_1) | instskip(NEXT) | instid1(VALU_DEP_1)
	v_add3_u32 v4, v3, v4, 0x407ffff
	v_and_b32_e32 v5, 0xff00000, v4
	v_lshrrev_b32_e32 v4, 20, v4
	s_delay_alu instid0(VALU_DEP_2) | instskip(NEXT) | instid1(VALU_DEP_2)
	v_cmp_ne_u32_e32 vcc_lo, 0x7f00000, v5
	v_cndmask_b32_e32 v4, 0x7e, v4, vcc_lo
; %bb.203:
	s_and_not1_saveexec_b32 s25, s25
; %bb.204:
	v_add_f32_e64 v4, 0x46800000, |v3|
; %bb.205:
	s_or_b32 exec_lo, exec_lo, s25
                                        ; implicit-def: $vgpr5
.LBB84_206:
	s_and_not1_saveexec_b32 s24, s24
; %bb.207:
	v_mov_b32_e32 v4, 0x7f
	v_cmp_lt_u32_e32 vcc_lo, 0x7f800000, v5
	s_delay_alu instid0(VALU_DEP_2)
	v_cndmask_b32_e32 v4, 0x7e, v4, vcc_lo
; %bb.208:
	s_or_b32 exec_lo, exec_lo, s24
	v_lshrrev_b32_e32 v3, 24, v3
	s_delay_alu instid0(VALU_DEP_1)
	v_and_or_b32 v3, 0x80, v3, v4
	global_store_b8 v[0:1], v3, off
.LBB84_209:
	s_mov_b32 s24, 0
.LBB84_210:
	s_delay_alu instid0(SALU_CYCLE_1)
	s_and_not1_b32 vcc_lo, exec_lo, s24
	s_cbranch_vccnz .LBB84_220
; %bb.211:
	s_wait_xcnt 0x0
	v_cvt_f32_f16_e32 v3, v2
	s_mov_b32 s24, exec_lo
                                        ; implicit-def: $vgpr4
	s_delay_alu instid0(VALU_DEP_1) | instskip(NEXT) | instid1(VALU_DEP_1)
	v_and_b32_e32 v5, 0x7fffffff, v3
	v_cmpx_gt_u32_e32 0x47800000, v5
	s_xor_b32 s24, exec_lo, s24
	s_cbranch_execz .LBB84_217
; %bb.212:
	s_mov_b32 s25, exec_lo
                                        ; implicit-def: $vgpr4
	v_cmpx_lt_u32_e32 0x387fffff, v5
	s_xor_b32 s25, exec_lo, s25
; %bb.213:
	v_bfe_u32 v4, v3, 21, 1
	s_delay_alu instid0(VALU_DEP_1) | instskip(NEXT) | instid1(VALU_DEP_1)
	v_add3_u32 v4, v3, v4, 0x80fffff
	v_lshrrev_b32_e32 v4, 21, v4
; %bb.214:
	s_and_not1_saveexec_b32 s25, s25
; %bb.215:
	v_add_f32_e64 v4, 0x43000000, |v3|
; %bb.216:
	s_or_b32 exec_lo, exec_lo, s25
                                        ; implicit-def: $vgpr5
.LBB84_217:
	s_and_not1_saveexec_b32 s24, s24
; %bb.218:
	v_mov_b32_e32 v4, 0x7f
	v_cmp_lt_u32_e32 vcc_lo, 0x7f800000, v5
	s_delay_alu instid0(VALU_DEP_2)
	v_cndmask_b32_e32 v4, 0x7c, v4, vcc_lo
; %bb.219:
	s_or_b32 exec_lo, exec_lo, s24
	v_lshrrev_b32_e32 v3, 24, v3
	s_delay_alu instid0(VALU_DEP_1)
	v_and_or_b32 v3, 0x80, v3, v4
	global_store_b8 v[0:1], v3, off
.LBB84_220:
	s_mov_b32 s25, 0
	s_mov_b32 s24, -1
.LBB84_221:
	s_and_not1_b32 vcc_lo, exec_lo, s25
	s_cbranch_vccnz .LBB84_229
; %bb.222:
	s_cmp_gt_i32 s23, 14
	s_mov_b32 s25, -1
	s_cbranch_scc0 .LBB84_226
; %bb.223:
	s_cmp_eq_u32 s23, 15
	s_mov_b32 s0, -1
	s_cbranch_scc0 .LBB84_225
; %bb.224:
	s_wait_xcnt 0x0
	v_cvt_f32_f16_e32 v3, v2
	v_cmp_o_f16_e32 vcc_lo, v2, v2
	s_mov_b32 s24, -1
	s_mov_b32 s0, 0
	s_delay_alu instid0(VALU_DEP_2) | instskip(NEXT) | instid1(VALU_DEP_1)
	v_bfe_u32 v4, v3, 16, 1
	v_add3_u32 v3, v3, v4, 0x7fff
	s_delay_alu instid0(VALU_DEP_1) | instskip(NEXT) | instid1(VALU_DEP_1)
	v_lshrrev_b32_e32 v3, 16, v3
	v_cndmask_b32_e32 v3, 0x7fc0, v3, vcc_lo
	global_store_b16 v[0:1], v3, off
.LBB84_225:
	s_mov_b32 s25, 0
.LBB84_226:
	s_delay_alu instid0(SALU_CYCLE_1)
	s_and_b32 vcc_lo, exec_lo, s25
	s_cbranch_vccz .LBB84_229
; %bb.227:
	s_cmp_eq_u32 s23, 11
	s_mov_b32 s0, -1
	s_cbranch_scc0 .LBB84_229
; %bb.228:
	s_wait_xcnt 0x0
	v_and_b32_e32 v3, 0x7fff, v2
	s_mov_b32 s0, 0
	s_mov_b32 s24, -1
	s_delay_alu instid0(VALU_DEP_1)
	v_cmp_ne_u16_e32 vcc_lo, 0, v3
	v_cndmask_b32_e64 v3, 0, 1, vcc_lo
	global_store_b8 v[0:1], v3, off
.LBB84_229:
	s_mov_b32 s23, 0
.LBB84_230:
	s_delay_alu instid0(SALU_CYCLE_1)
	s_and_b32 vcc_lo, exec_lo, s23
	s_cbranch_vccz .LBB84_269
; %bb.231:
	s_and_b32 s17, 0xffff, s17
	s_mov_b32 s23, -1
	s_cmp_lt_i32 s17, 5
	s_cbranch_scc1 .LBB84_252
; %bb.232:
	s_cmp_lt_i32 s17, 8
	s_cbranch_scc1 .LBB84_242
; %bb.233:
	;; [unrolled: 3-line block ×3, first 2 shown]
	s_cmp_gt_i32 s17, 9
	s_cbranch_scc0 .LBB84_236
; %bb.235:
	s_wait_xcnt 0x0
	v_cvt_f32_f16_e32 v3, v2
	v_mov_b32_e32 v10, 0
	s_mov_b32 s23, 0
	s_delay_alu instid0(VALU_DEP_2) | instskip(NEXT) | instid1(VALU_DEP_2)
	v_cvt_f64_f32_e32 v[8:9], v3
	v_mov_b32_e32 v11, v10
	global_store_b128 v[0:1], v[8:11], off
.LBB84_236:
	s_and_not1_b32 vcc_lo, exec_lo, s23
	s_cbranch_vccnz .LBB84_238
; %bb.237:
	s_wait_xcnt 0x0
	v_cvt_f32_f16_e32 v4, v2
	v_mov_b32_e32 v5, 0
	global_store_b64 v[0:1], v[4:5], off
.LBB84_238:
	s_mov_b32 s23, 0
.LBB84_239:
	s_delay_alu instid0(SALU_CYCLE_1)
	s_and_not1_b32 vcc_lo, exec_lo, s23
	s_cbranch_vccnz .LBB84_241
; %bb.240:
	s_wait_xcnt 0x0
	v_and_b32_e32 v3, 0xffff, v2
	global_store_b32 v[0:1], v3, off
.LBB84_241:
	s_mov_b32 s23, 0
.LBB84_242:
	s_delay_alu instid0(SALU_CYCLE_1)
	s_and_not1_b32 vcc_lo, exec_lo, s23
	s_cbranch_vccnz .LBB84_251
; %bb.243:
	s_cmp_lt_i32 s17, 6
	s_mov_b32 s23, -1
	s_cbranch_scc1 .LBB84_249
; %bb.244:
	s_cmp_gt_i32 s17, 6
	s_cbranch_scc0 .LBB84_246
; %bb.245:
	s_wait_xcnt 0x0
	v_cvt_f32_f16_e32 v3, v2
	s_mov_b32 s23, 0
	s_delay_alu instid0(VALU_DEP_1)
	v_cvt_f64_f32_e32 v[4:5], v3
	global_store_b64 v[0:1], v[4:5], off
.LBB84_246:
	s_and_not1_b32 vcc_lo, exec_lo, s23
	s_cbranch_vccnz .LBB84_248
; %bb.247:
	s_wait_xcnt 0x0
	v_cvt_f32_f16_e32 v3, v2
	global_store_b32 v[0:1], v3, off
.LBB84_248:
	s_mov_b32 s23, 0
.LBB84_249:
	s_delay_alu instid0(SALU_CYCLE_1)
	s_and_not1_b32 vcc_lo, exec_lo, s23
	s_cbranch_vccnz .LBB84_251
; %bb.250:
	global_store_b16 v[0:1], v2, off
.LBB84_251:
	s_mov_b32 s23, 0
.LBB84_252:
	s_delay_alu instid0(SALU_CYCLE_1)
	s_and_not1_b32 vcc_lo, exec_lo, s23
	s_cbranch_vccnz .LBB84_268
; %bb.253:
	s_cmp_lt_i32 s17, 2
	s_mov_b32 s23, -1
	s_cbranch_scc1 .LBB84_263
; %bb.254:
	s_cmp_lt_i32 s17, 3
	s_cbranch_scc1 .LBB84_260
; %bb.255:
	s_cmp_gt_i32 s17, 3
	s_cbranch_scc0 .LBB84_257
; %bb.256:
	s_wait_xcnt 0x0
	v_cvt_f32_f16_e32 v3, v2
	s_mov_b32 s23, 0
	s_delay_alu instid0(VALU_DEP_1) | instskip(NEXT) | instid1(VALU_DEP_1)
	v_cvt_i32_f32_e32 v4, v3
	v_ashrrev_i32_e32 v5, 31, v4
	global_store_b64 v[0:1], v[4:5], off
.LBB84_257:
	s_and_not1_b32 vcc_lo, exec_lo, s23
	s_cbranch_vccnz .LBB84_259
; %bb.258:
	s_wait_xcnt 0x0
	v_cvt_f32_f16_e32 v3, v2
	s_delay_alu instid0(VALU_DEP_1)
	v_cvt_i32_f32_e32 v3, v3
	global_store_b32 v[0:1], v3, off
.LBB84_259:
	s_mov_b32 s23, 0
.LBB84_260:
	s_delay_alu instid0(SALU_CYCLE_1)
	s_and_not1_b32 vcc_lo, exec_lo, s23
	s_cbranch_vccnz .LBB84_262
; %bb.261:
	s_wait_xcnt 0x0
	v_cvt_i16_f16_e32 v3, v2
	global_store_b16 v[0:1], v3, off
.LBB84_262:
	s_mov_b32 s23, 0
.LBB84_263:
	s_delay_alu instid0(SALU_CYCLE_1)
	s_and_not1_b32 vcc_lo, exec_lo, s23
	s_cbranch_vccnz .LBB84_268
; %bb.264:
	s_cmp_gt_i32 s17, 0
	s_mov_b32 s17, -1
	s_cbranch_scc0 .LBB84_266
; %bb.265:
	s_wait_xcnt 0x0
	v_cvt_i16_f16_e32 v3, v2
	s_mov_b32 s17, 0
	global_store_b8 v[0:1], v3, off
.LBB84_266:
	s_and_not1_b32 vcc_lo, exec_lo, s17
	s_cbranch_vccnz .LBB84_268
; %bb.267:
	s_wait_xcnt 0x0
	v_cvt_f32_f16_e32 v2, v2
	s_delay_alu instid0(VALU_DEP_1)
	v_cvt_i32_f32_e32 v2, v2
	global_store_b8 v[0:1], v2, off
.LBB84_268:
	s_mov_b32 s24, -1
.LBB84_269:
	s_delay_alu instid0(SALU_CYCLE_1)
	s_and_not1_b32 vcc_lo, exec_lo, s24
	s_cbranch_vccnz .LBB84_382
; %bb.270:
	v_add_nc_u32_e32 v6, 0x80, v6
	s_mov_b32 s23, -1
	s_branch .LBB84_383
.LBB84_271:
	s_mov_b32 s19, -1
                                        ; implicit-def: $vgpr3
.LBB84_272:
	s_mov_b32 s24, 0
.LBB84_273:
	s_delay_alu instid0(SALU_CYCLE_1)
	s_and_b32 vcc_lo, exec_lo, s24
	s_cbranch_vccz .LBB84_277
; %bb.274:
	s_cmp_eq_u32 s17, 29
	s_cbranch_scc0 .LBB84_276
; %bb.275:
	global_load_b64 v[4:5], v[0:1], off
	s_mov_b32 s23, -1
	s_mov_b32 s19, 0
	s_mov_b32 s24, 0
	s_wait_loadcnt 0x0
	v_clz_i32_u32_e32 v3, v5
	s_delay_alu instid0(VALU_DEP_1) | instskip(NEXT) | instid1(VALU_DEP_1)
	v_min_u32_e32 v3, 32, v3
	v_lshlrev_b64_e32 v[4:5], v3, v[4:5]
	v_sub_nc_u32_e32 v3, 32, v3
	s_delay_alu instid0(VALU_DEP_2) | instskip(NEXT) | instid1(VALU_DEP_1)
	v_min_u32_e32 v4, 1, v4
	v_or_b32_e32 v4, v5, v4
	s_delay_alu instid0(VALU_DEP_1) | instskip(NEXT) | instid1(VALU_DEP_1)
	v_cvt_f32_u32_e32 v4, v4
	v_ldexp_f32 v3, v4, v3
	s_delay_alu instid0(VALU_DEP_1)
	v_cvt_f16_f32_e32 v3, v3
	s_branch .LBB84_278
.LBB84_276:
	s_mov_b32 s19, -1
                                        ; implicit-def: $vgpr3
.LBB84_277:
	s_mov_b32 s24, 0
.LBB84_278:
	s_delay_alu instid0(SALU_CYCLE_1)
	s_and_b32 vcc_lo, exec_lo, s24
	s_cbranch_vccz .LBB84_296
; %bb.279:
	s_cmp_lt_i32 s17, 27
	s_cbranch_scc1 .LBB84_282
; %bb.280:
	s_cmp_gt_i32 s17, 27
	s_cbranch_scc0 .LBB84_283
; %bb.281:
	global_load_b32 v3, v[0:1], off
	s_mov_b32 s23, 0
	s_wait_loadcnt 0x0
	v_cvt_f32_u32_e32 v3, v3
	s_delay_alu instid0(VALU_DEP_1)
	v_cvt_f16_f32_e32 v3, v3
	s_branch .LBB84_284
.LBB84_282:
	s_mov_b32 s23, -1
                                        ; implicit-def: $vgpr3
	s_branch .LBB84_287
.LBB84_283:
	s_mov_b32 s23, -1
                                        ; implicit-def: $vgpr3
.LBB84_284:
	s_delay_alu instid0(SALU_CYCLE_1)
	s_and_not1_b32 vcc_lo, exec_lo, s23
	s_cbranch_vccnz .LBB84_286
; %bb.285:
	global_load_u16 v3, v[0:1], off
	s_wait_loadcnt 0x0
	v_cvt_f16_u16_e32 v3, v3
.LBB84_286:
	s_mov_b32 s23, 0
.LBB84_287:
	s_delay_alu instid0(SALU_CYCLE_1)
	s_and_not1_b32 vcc_lo, exec_lo, s23
	s_cbranch_vccnz .LBB84_295
; %bb.288:
	global_load_u8 v4, v[0:1], off
	s_mov_b32 s23, 0
	s_mov_b32 s24, exec_lo
	s_wait_loadcnt 0x0
	v_cmpx_lt_i16_e32 0x7f, v4
	s_xor_b32 s24, exec_lo, s24
	s_cbranch_execz .LBB84_309
; %bb.289:
	s_mov_b32 s23, -1
	s_mov_b32 s25, exec_lo
	v_cmpx_eq_u16_e32 0x80, v4
; %bb.290:
	s_xor_b32 s23, exec_lo, -1
; %bb.291:
	s_or_b32 exec_lo, exec_lo, s25
	s_delay_alu instid0(SALU_CYCLE_1)
	s_and_b32 s23, s23, exec_lo
	s_or_saveexec_b32 s24, s24
	v_mov_b32_e32 v3, 0x7e00
	s_xor_b32 exec_lo, exec_lo, s24
	s_cbranch_execnz .LBB84_310
.LBB84_292:
	s_or_b32 exec_lo, exec_lo, s24
	s_and_saveexec_b32 s24, s23
	s_cbranch_execz .LBB84_294
.LBB84_293:
	v_and_b32_e32 v3, 0xffff, v4
	s_delay_alu instid0(VALU_DEP_1) | instskip(SKIP_1) | instid1(VALU_DEP_2)
	v_dual_lshlrev_b32 v4, 24, v4 :: v_dual_bitop2_b32 v5, 7, v3 bitop3:0x40
	v_bfe_u32 v9, v3, 3, 4
	v_and_b32_e32 v4, 0x80000000, v4
	s_delay_alu instid0(VALU_DEP_3) | instskip(NEXT) | instid1(VALU_DEP_3)
	v_clz_i32_u32_e32 v7, v5
	v_cmp_eq_u32_e32 vcc_lo, 0, v9
	s_delay_alu instid0(VALU_DEP_2) | instskip(NEXT) | instid1(VALU_DEP_1)
	v_min_u32_e32 v7, 32, v7
	v_subrev_nc_u32_e32 v8, 28, v7
	v_sub_nc_u32_e32 v7, 29, v7
	s_delay_alu instid0(VALU_DEP_2) | instskip(NEXT) | instid1(VALU_DEP_2)
	v_lshlrev_b32_e32 v3, v8, v3
	v_cndmask_b32_e32 v7, v9, v7, vcc_lo
	s_delay_alu instid0(VALU_DEP_2) | instskip(NEXT) | instid1(VALU_DEP_1)
	v_and_b32_e32 v3, 7, v3
	v_cndmask_b32_e32 v3, v5, v3, vcc_lo
	s_delay_alu instid0(VALU_DEP_3) | instskip(NEXT) | instid1(VALU_DEP_2)
	v_lshl_add_u32 v5, v7, 23, 0x3b800000
	v_lshlrev_b32_e32 v3, 20, v3
	s_delay_alu instid0(VALU_DEP_1) | instskip(NEXT) | instid1(VALU_DEP_1)
	v_or3_b32 v3, v4, v5, v3
	v_cvt_f16_f32_e32 v3, v3
.LBB84_294:
	s_or_b32 exec_lo, exec_lo, s24
.LBB84_295:
	s_mov_b32 s23, -1
.LBB84_296:
	s_mov_b32 s24, 0
.LBB84_297:
	s_delay_alu instid0(SALU_CYCLE_1)
	s_and_b32 vcc_lo, exec_lo, s24
	s_cbranch_vccz .LBB84_332
; %bb.298:
	s_cmp_gt_i32 s17, 22
	s_cbranch_scc0 .LBB84_308
; %bb.299:
	s_cmp_lt_i32 s17, 24
	s_cbranch_scc1 .LBB84_311
; %bb.300:
	s_cmp_gt_i32 s17, 24
	s_cbranch_scc0 .LBB84_312
; %bb.301:
	global_load_u8 v4, v[0:1], off
	s_mov_b32 s23, 0
	s_mov_b32 s24, exec_lo
	s_wait_loadcnt 0x0
	v_cmpx_lt_i16_e32 0x7f, v4
	s_xor_b32 s24, exec_lo, s24
	s_cbranch_execz .LBB84_324
; %bb.302:
	s_mov_b32 s23, -1
	s_mov_b32 s25, exec_lo
	v_cmpx_eq_u16_e32 0x80, v4
; %bb.303:
	s_xor_b32 s23, exec_lo, -1
; %bb.304:
	s_or_b32 exec_lo, exec_lo, s25
	s_delay_alu instid0(SALU_CYCLE_1)
	s_and_b32 s23, s23, exec_lo
	s_or_saveexec_b32 s24, s24
	v_mov_b32_e32 v3, 0x7e00
	s_xor_b32 exec_lo, exec_lo, s24
	s_cbranch_execnz .LBB84_325
.LBB84_305:
	s_or_b32 exec_lo, exec_lo, s24
	s_and_saveexec_b32 s24, s23
	s_cbranch_execz .LBB84_307
.LBB84_306:
	v_and_b32_e32 v3, 0xffff, v4
	s_delay_alu instid0(VALU_DEP_1) | instskip(SKIP_1) | instid1(VALU_DEP_2)
	v_dual_lshlrev_b32 v4, 24, v4 :: v_dual_bitop2_b32 v5, 3, v3 bitop3:0x40
	v_bfe_u32 v9, v3, 2, 5
	v_and_b32_e32 v4, 0x80000000, v4
	s_delay_alu instid0(VALU_DEP_3) | instskip(NEXT) | instid1(VALU_DEP_3)
	v_clz_i32_u32_e32 v7, v5
	v_cmp_eq_u32_e32 vcc_lo, 0, v9
	s_delay_alu instid0(VALU_DEP_2) | instskip(NEXT) | instid1(VALU_DEP_1)
	v_min_u32_e32 v7, 32, v7
	v_subrev_nc_u32_e32 v8, 29, v7
	v_sub_nc_u32_e32 v7, 30, v7
	s_delay_alu instid0(VALU_DEP_2) | instskip(NEXT) | instid1(VALU_DEP_2)
	v_lshlrev_b32_e32 v3, v8, v3
	v_cndmask_b32_e32 v7, v9, v7, vcc_lo
	s_delay_alu instid0(VALU_DEP_2) | instskip(NEXT) | instid1(VALU_DEP_1)
	v_and_b32_e32 v3, 3, v3
	v_cndmask_b32_e32 v3, v5, v3, vcc_lo
	s_delay_alu instid0(VALU_DEP_3) | instskip(NEXT) | instid1(VALU_DEP_2)
	v_lshl_add_u32 v5, v7, 23, 0x37800000
	v_lshlrev_b32_e32 v3, 21, v3
	s_delay_alu instid0(VALU_DEP_1) | instskip(NEXT) | instid1(VALU_DEP_1)
	v_or3_b32 v3, v4, v5, v3
	v_cvt_f16_f32_e32 v3, v3
.LBB84_307:
	s_or_b32 exec_lo, exec_lo, s24
	s_mov_b32 s23, 0
	s_branch .LBB84_313
.LBB84_308:
	s_mov_b32 s24, -1
                                        ; implicit-def: $vgpr3
	s_branch .LBB84_319
.LBB84_309:
	s_or_saveexec_b32 s24, s24
	v_mov_b32_e32 v3, 0x7e00
	s_xor_b32 exec_lo, exec_lo, s24
	s_cbranch_execz .LBB84_292
.LBB84_310:
	v_cmp_ne_u16_e32 vcc_lo, 0, v4
	v_mov_b32_e32 v3, v4
	s_and_not1_b32 s23, s23, exec_lo
	s_and_b32 s25, vcc_lo, exec_lo
	s_delay_alu instid0(SALU_CYCLE_1)
	s_or_b32 s23, s23, s25
	s_or_b32 exec_lo, exec_lo, s24
	s_and_saveexec_b32 s24, s23
	s_cbranch_execnz .LBB84_293
	s_branch .LBB84_294
.LBB84_311:
	s_mov_b32 s23, -1
                                        ; implicit-def: $vgpr3
	s_branch .LBB84_316
.LBB84_312:
	s_mov_b32 s23, -1
                                        ; implicit-def: $vgpr3
.LBB84_313:
	s_delay_alu instid0(SALU_CYCLE_1)
	s_and_b32 vcc_lo, exec_lo, s23
	s_cbranch_vccz .LBB84_315
; %bb.314:
	global_load_u8 v3, v[0:1], off
	s_wait_loadcnt 0x0
	v_lshlrev_b32_e32 v3, 24, v3
	s_delay_alu instid0(VALU_DEP_1) | instskip(NEXT) | instid1(VALU_DEP_1)
	v_and_b32_e32 v4, 0x7f000000, v3
	v_clz_i32_u32_e32 v5, v4
	v_add_nc_u32_e32 v8, 0x1000000, v4
	v_cmp_ne_u32_e32 vcc_lo, 0, v4
	s_delay_alu instid0(VALU_DEP_3) | instskip(NEXT) | instid1(VALU_DEP_1)
	v_min_u32_e32 v5, 32, v5
	v_sub_nc_u32_e64 v5, v5, 4 clamp
	s_delay_alu instid0(VALU_DEP_1) | instskip(NEXT) | instid1(VALU_DEP_1)
	v_dual_lshlrev_b32 v7, v5, v4 :: v_dual_lshlrev_b32 v5, 23, v5
	v_lshrrev_b32_e32 v7, 4, v7
	s_delay_alu instid0(VALU_DEP_1) | instskip(NEXT) | instid1(VALU_DEP_1)
	v_dual_sub_nc_u32 v5, v7, v5 :: v_dual_ashrrev_i32 v7, 8, v8
	v_add_nc_u32_e32 v5, 0x3c000000, v5
	s_delay_alu instid0(VALU_DEP_1) | instskip(NEXT) | instid1(VALU_DEP_1)
	v_and_or_b32 v5, 0x7f800000, v7, v5
	v_cndmask_b32_e32 v4, 0, v5, vcc_lo
	s_delay_alu instid0(VALU_DEP_1) | instskip(NEXT) | instid1(VALU_DEP_1)
	v_and_or_b32 v3, 0x80000000, v3, v4
	v_cvt_f16_f32_e32 v3, v3
.LBB84_315:
	s_mov_b32 s23, 0
.LBB84_316:
	s_delay_alu instid0(SALU_CYCLE_1)
	s_and_not1_b32 vcc_lo, exec_lo, s23
	s_cbranch_vccnz .LBB84_318
; %bb.317:
	global_load_u8 v3, v[0:1], off
	s_wait_loadcnt 0x0
	v_lshlrev_b32_e32 v4, 25, v3
	v_lshlrev_b16 v3, 8, v3
	s_delay_alu instid0(VALU_DEP_1) | instskip(NEXT) | instid1(VALU_DEP_3)
	v_and_or_b32 v7, 0x7f00, v3, 0.5
	v_lshrrev_b32_e32 v5, 4, v4
	v_bfe_i32 v3, v3, 0, 16
	s_delay_alu instid0(VALU_DEP_3) | instskip(NEXT) | instid1(VALU_DEP_3)
	v_add_f32_e32 v7, -0.5, v7
	v_or_b32_e32 v5, 0x70000000, v5
	s_delay_alu instid0(VALU_DEP_1) | instskip(SKIP_1) | instid1(VALU_DEP_2)
	v_mul_f32_e32 v5, 0x7800000, v5
	v_cmp_gt_u32_e32 vcc_lo, 0x8000000, v4
	v_cndmask_b32_e32 v4, v5, v7, vcc_lo
	s_delay_alu instid0(VALU_DEP_1) | instskip(NEXT) | instid1(VALU_DEP_1)
	v_and_or_b32 v3, 0x80000000, v3, v4
	v_cvt_f16_f32_e32 v3, v3
.LBB84_318:
	s_mov_b32 s24, 0
	s_mov_b32 s23, -1
.LBB84_319:
	s_and_not1_b32 vcc_lo, exec_lo, s24
	s_cbranch_vccnz .LBB84_332
; %bb.320:
	s_cmp_gt_i32 s17, 14
	s_cbranch_scc0 .LBB84_323
; %bb.321:
	s_cmp_eq_u32 s17, 15
	s_cbranch_scc0 .LBB84_326
; %bb.322:
	global_load_u16 v3, v[0:1], off
	s_mov_b32 s23, -1
	s_mov_b32 s19, 0
	s_wait_loadcnt 0x0
	v_lshlrev_b32_e32 v3, 16, v3
	s_delay_alu instid0(VALU_DEP_1)
	v_cvt_f16_f32_e32 v3, v3
	s_branch .LBB84_327
.LBB84_323:
	s_mov_b32 s24, -1
                                        ; implicit-def: $vgpr3
	s_branch .LBB84_328
.LBB84_324:
	s_or_saveexec_b32 s24, s24
	v_mov_b32_e32 v3, 0x7e00
	s_xor_b32 exec_lo, exec_lo, s24
	s_cbranch_execz .LBB84_305
.LBB84_325:
	v_cmp_ne_u16_e32 vcc_lo, 0, v4
	v_mov_b32_e32 v3, v4
	s_and_not1_b32 s23, s23, exec_lo
	s_and_b32 s25, vcc_lo, exec_lo
	s_delay_alu instid0(SALU_CYCLE_1)
	s_or_b32 s23, s23, s25
	s_or_b32 exec_lo, exec_lo, s24
	s_and_saveexec_b32 s24, s23
	s_cbranch_execnz .LBB84_306
	s_branch .LBB84_307
.LBB84_326:
	s_mov_b32 s19, -1
                                        ; implicit-def: $vgpr3
.LBB84_327:
	s_mov_b32 s24, 0
.LBB84_328:
	s_delay_alu instid0(SALU_CYCLE_1)
	s_and_b32 vcc_lo, exec_lo, s24
	s_cbranch_vccz .LBB84_332
; %bb.329:
	s_cmp_eq_u32 s17, 11
	s_cbranch_scc0 .LBB84_331
; %bb.330:
	global_load_u8 v3, v[0:1], off
	s_mov_b32 s19, 0
	s_mov_b32 s23, -1
	s_wait_loadcnt 0x0
	v_cmp_ne_u16_e32 vcc_lo, 0, v3
	v_cndmask_b32_e64 v3, 0, 0x3c00, vcc_lo
	s_branch .LBB84_332
.LBB84_331:
	s_mov_b32 s19, -1
                                        ; implicit-def: $vgpr3
.LBB84_332:
	s_branch .LBB84_20
.LBB84_333:
	s_and_b32 s0, 0xffff, s0
	s_delay_alu instid0(SALU_CYCLE_1)
	s_cmp_lt_i32 s0, 5
	s_cbranch_scc1 .LBB84_338
; %bb.334:
	s_cmp_lt_i32 s0, 8
	s_cbranch_scc1 .LBB84_339
; %bb.335:
	;; [unrolled: 3-line block ×3, first 2 shown]
	s_cmp_gt_i32 s0, 9
	s_cbranch_scc0 .LBB84_341
; %bb.337:
	global_load_b64 v[4:5], v[0:1], off
	s_mov_b32 s17, 0
	s_wait_loadcnt 0x0
	v_and_or_b32 v3, 0x1ff, v5, v4
	v_lshrrev_b32_e32 v4, 8, v5
	v_bfe_u32 v7, v5, 20, 11
	s_delay_alu instid0(VALU_DEP_3) | instskip(NEXT) | instid1(VALU_DEP_2)
	v_cmp_ne_u32_e32 vcc_lo, 0, v3
	v_sub_nc_u32_e32 v8, 0x3f1, v7
	v_cndmask_b32_e64 v3, 0, 1, vcc_lo
	s_delay_alu instid0(VALU_DEP_1) | instskip(NEXT) | instid1(VALU_DEP_3)
	v_and_or_b32 v3, 0xffe, v4, v3
	v_med3_i32 v4, v8, 0, 13
	s_delay_alu instid0(VALU_DEP_2) | instskip(NEXT) | instid1(VALU_DEP_1)
	v_or_b32_e32 v8, 0x1000, v3
	v_lshrrev_b32_e32 v9, v4, v8
	s_delay_alu instid0(VALU_DEP_1) | instskip(NEXT) | instid1(VALU_DEP_1)
	v_lshlrev_b32_e32 v4, v4, v9
	v_cmp_ne_u32_e32 vcc_lo, v4, v8
	v_cndmask_b32_e64 v4, 0, 1, vcc_lo
	s_delay_alu instid0(VALU_DEP_1) | instskip(SKIP_1) | instid1(VALU_DEP_1)
	v_or_b32_e32 v4, v9, v4
	v_add_nc_u32_e32 v7, 0xfffffc10, v7
	v_lshl_or_b32 v8, v7, 12, v3
	v_cmp_gt_i32_e32 vcc_lo, 1, v7
	s_delay_alu instid0(VALU_DEP_2) | instskip(NEXT) | instid1(VALU_DEP_1)
	v_cndmask_b32_e32 v4, v8, v4, vcc_lo
	v_dual_lshrrev_b32 v4, 2, v4 :: v_dual_bitop2_b32 v8, 7, v4 bitop3:0x40
	s_delay_alu instid0(VALU_DEP_1) | instskip(SKIP_4) | instid1(VALU_DEP_2)
	v_cmp_lt_i32_e32 vcc_lo, 5, v8
	v_cndmask_b32_e64 v9, 0, 1, vcc_lo
	v_cmp_eq_u32_e32 vcc_lo, 3, v8
	v_cndmask_b32_e64 v8, 0, 1, vcc_lo
	v_cmp_ne_u32_e32 vcc_lo, 0, v3
	v_or_b32_e32 v8, v8, v9
	s_delay_alu instid0(VALU_DEP_1) | instskip(NEXT) | instid1(VALU_DEP_1)
	v_dual_mov_b32 v9, 0x7e00 :: v_dual_add_nc_u32 v4, v4, v8
	v_cndmask_b32_e32 v3, 0x7c00, v9, vcc_lo
	v_cmp_gt_i32_e32 vcc_lo, 31, v7
	s_delay_alu instid0(VALU_DEP_3) | instskip(SKIP_1) | instid1(VALU_DEP_2)
	v_cndmask_b32_e32 v4, 0x7c00, v4, vcc_lo
	v_cmp_eq_u32_e32 vcc_lo, 0x40f, v7
	v_dual_cndmask_b32 v3, v4, v3 :: v_dual_lshrrev_b32 v4, 16, v5
	s_delay_alu instid0(VALU_DEP_1)
	v_and_or_b32 v3, 0x8000, v4, v3
	s_branch .LBB84_342
.LBB84_338:
	s_mov_b32 s17, -1
                                        ; implicit-def: $vgpr3
	s_branch .LBB84_360
.LBB84_339:
	s_mov_b32 s17, -1
                                        ; implicit-def: $vgpr3
	s_branch .LBB84_348
.LBB84_340:
	s_mov_b32 s17, -1
                                        ; implicit-def: $vgpr3
	s_branch .LBB84_345
.LBB84_341:
	s_mov_b32 s17, -1
                                        ; implicit-def: $vgpr3
.LBB84_342:
	s_delay_alu instid0(SALU_CYCLE_1)
	s_and_not1_b32 vcc_lo, exec_lo, s17
	s_cbranch_vccnz .LBB84_344
; %bb.343:
	global_load_b32 v3, v[0:1], off
	s_wait_loadcnt 0x0
	v_cvt_f16_f32_e32 v3, v3
.LBB84_344:
	s_mov_b32 s17, 0
.LBB84_345:
	s_delay_alu instid0(SALU_CYCLE_1)
	s_and_not1_b32 vcc_lo, exec_lo, s17
	s_cbranch_vccnz .LBB84_347
; %bb.346:
	global_load_b32 v3, v[0:1], off
.LBB84_347:
	s_mov_b32 s17, 0
.LBB84_348:
	s_delay_alu instid0(SALU_CYCLE_1)
	s_and_not1_b32 vcc_lo, exec_lo, s17
	s_cbranch_vccnz .LBB84_359
; %bb.349:
	s_cmp_lt_i32 s0, 6
	s_cbranch_scc1 .LBB84_352
; %bb.350:
	s_cmp_gt_i32 s0, 6
	s_cbranch_scc0 .LBB84_353
; %bb.351:
	global_load_b64 v[4:5], v[0:1], off
	s_mov_b32 s17, 0
	s_wait_loadcnt 0x0
	v_and_or_b32 v3, 0x1ff, v5, v4
	v_lshrrev_b32_e32 v4, 8, v5
	v_bfe_u32 v7, v5, 20, 11
	s_delay_alu instid0(VALU_DEP_3) | instskip(NEXT) | instid1(VALU_DEP_2)
	v_cmp_ne_u32_e32 vcc_lo, 0, v3
	v_sub_nc_u32_e32 v8, 0x3f1, v7
	v_cndmask_b32_e64 v3, 0, 1, vcc_lo
	s_delay_alu instid0(VALU_DEP_1) | instskip(NEXT) | instid1(VALU_DEP_3)
	v_and_or_b32 v3, 0xffe, v4, v3
	v_med3_i32 v4, v8, 0, 13
	s_delay_alu instid0(VALU_DEP_2) | instskip(NEXT) | instid1(VALU_DEP_1)
	v_or_b32_e32 v8, 0x1000, v3
	v_lshrrev_b32_e32 v9, v4, v8
	s_delay_alu instid0(VALU_DEP_1) | instskip(NEXT) | instid1(VALU_DEP_1)
	v_lshlrev_b32_e32 v4, v4, v9
	v_cmp_ne_u32_e32 vcc_lo, v4, v8
	v_cndmask_b32_e64 v4, 0, 1, vcc_lo
	s_delay_alu instid0(VALU_DEP_1) | instskip(SKIP_1) | instid1(VALU_DEP_1)
	v_or_b32_e32 v4, v9, v4
	v_add_nc_u32_e32 v7, 0xfffffc10, v7
	v_lshl_or_b32 v8, v7, 12, v3
	v_cmp_gt_i32_e32 vcc_lo, 1, v7
	s_delay_alu instid0(VALU_DEP_2) | instskip(NEXT) | instid1(VALU_DEP_1)
	v_cndmask_b32_e32 v4, v8, v4, vcc_lo
	v_dual_lshrrev_b32 v4, 2, v4 :: v_dual_bitop2_b32 v8, 7, v4 bitop3:0x40
	s_delay_alu instid0(VALU_DEP_1) | instskip(SKIP_4) | instid1(VALU_DEP_2)
	v_cmp_lt_i32_e32 vcc_lo, 5, v8
	v_cndmask_b32_e64 v9, 0, 1, vcc_lo
	v_cmp_eq_u32_e32 vcc_lo, 3, v8
	v_cndmask_b32_e64 v8, 0, 1, vcc_lo
	v_cmp_ne_u32_e32 vcc_lo, 0, v3
	v_or_b32_e32 v8, v8, v9
	s_delay_alu instid0(VALU_DEP_1) | instskip(NEXT) | instid1(VALU_DEP_1)
	v_dual_mov_b32 v9, 0x7e00 :: v_dual_add_nc_u32 v4, v4, v8
	v_cndmask_b32_e32 v3, 0x7c00, v9, vcc_lo
	v_cmp_gt_i32_e32 vcc_lo, 31, v7
	s_delay_alu instid0(VALU_DEP_3) | instskip(SKIP_1) | instid1(VALU_DEP_2)
	v_cndmask_b32_e32 v4, 0x7c00, v4, vcc_lo
	v_cmp_eq_u32_e32 vcc_lo, 0x40f, v7
	v_dual_cndmask_b32 v3, v4, v3 :: v_dual_lshrrev_b32 v4, 16, v5
	s_delay_alu instid0(VALU_DEP_1)
	v_and_or_b32 v3, 0x8000, v4, v3
	s_branch .LBB84_354
.LBB84_352:
	s_mov_b32 s17, -1
                                        ; implicit-def: $vgpr3
	s_branch .LBB84_357
.LBB84_353:
	s_mov_b32 s17, -1
                                        ; implicit-def: $vgpr3
.LBB84_354:
	s_delay_alu instid0(SALU_CYCLE_1)
	s_and_not1_b32 vcc_lo, exec_lo, s17
	s_cbranch_vccnz .LBB84_356
; %bb.355:
	s_wait_loadcnt 0x0
	global_load_b32 v3, v[0:1], off
	s_wait_loadcnt 0x0
	v_cvt_f16_f32_e32 v3, v3
.LBB84_356:
	s_mov_b32 s17, 0
.LBB84_357:
	s_delay_alu instid0(SALU_CYCLE_1)
	s_and_not1_b32 vcc_lo, exec_lo, s17
	s_cbranch_vccnz .LBB84_359
; %bb.358:
	s_wait_loadcnt 0x0
	global_load_u16 v3, v[0:1], off
.LBB84_359:
	s_mov_b32 s17, 0
.LBB84_360:
	s_delay_alu instid0(SALU_CYCLE_1)
	s_and_not1_b32 vcc_lo, exec_lo, s17
	s_cbranch_vccnz .LBB84_380
; %bb.361:
	s_cmp_lt_i32 s0, 2
	s_cbranch_scc1 .LBB84_365
; %bb.362:
	s_cmp_lt_i32 s0, 3
	s_cbranch_scc1 .LBB84_366
; %bb.363:
	s_cmp_gt_i32 s0, 3
	s_cbranch_scc0 .LBB84_367
; %bb.364:
	global_load_b64 v[4:5], v[0:1], off
	s_mov_b32 s17, 0
	s_wait_loadcnt 0x0
	v_xor_b32_e32 v3, v4, v5
	v_cls_i32_e32 v7, v5
	s_delay_alu instid0(VALU_DEP_2) | instskip(NEXT) | instid1(VALU_DEP_1)
	v_ashrrev_i32_e32 v3, 31, v3
	v_add_nc_u32_e32 v3, 32, v3
	s_delay_alu instid0(VALU_DEP_1) | instskip(NEXT) | instid1(VALU_DEP_1)
	v_add_min_u32_e64 v3, v7, -1, v3
	v_lshlrev_b64_e32 v[4:5], v3, v[4:5]
	v_sub_nc_u32_e32 v3, 32, v3
	s_delay_alu instid0(VALU_DEP_2) | instskip(NEXT) | instid1(VALU_DEP_1)
	v_min_u32_e32 v4, 1, v4
	v_or_b32_e32 v4, v5, v4
	s_delay_alu instid0(VALU_DEP_1) | instskip(NEXT) | instid1(VALU_DEP_1)
	v_cvt_f32_i32_e32 v4, v4
	v_ldexp_f32 v3, v4, v3
	s_delay_alu instid0(VALU_DEP_1)
	v_cvt_f16_f32_e32 v3, v3
	s_branch .LBB84_368
.LBB84_365:
	s_mov_b32 s17, -1
                                        ; implicit-def: $vgpr3
	s_branch .LBB84_374
.LBB84_366:
	s_mov_b32 s17, -1
                                        ; implicit-def: $vgpr3
	s_branch .LBB84_371
.LBB84_367:
	s_mov_b32 s17, -1
                                        ; implicit-def: $vgpr3
.LBB84_368:
	s_delay_alu instid0(SALU_CYCLE_1)
	s_and_not1_b32 vcc_lo, exec_lo, s17
	s_cbranch_vccnz .LBB84_370
; %bb.369:
	s_wait_loadcnt 0x0
	global_load_b32 v3, v[0:1], off
	s_wait_loadcnt 0x0
	v_cvt_f32_i32_e32 v3, v3
	s_delay_alu instid0(VALU_DEP_1)
	v_cvt_f16_f32_e32 v3, v3
.LBB84_370:
	s_mov_b32 s17, 0
.LBB84_371:
	s_delay_alu instid0(SALU_CYCLE_1)
	s_and_not1_b32 vcc_lo, exec_lo, s17
	s_cbranch_vccnz .LBB84_373
; %bb.372:
	s_wait_loadcnt 0x0
	global_load_u16 v3, v[0:1], off
	s_wait_loadcnt 0x0
	v_cvt_f16_i16_e32 v3, v3
.LBB84_373:
	s_mov_b32 s17, 0
.LBB84_374:
	s_delay_alu instid0(SALU_CYCLE_1)
	s_and_not1_b32 vcc_lo, exec_lo, s17
	s_cbranch_vccnz .LBB84_380
; %bb.375:
	s_cmp_gt_i32 s0, 0
	s_mov_b32 s0, 0
	s_cbranch_scc0 .LBB84_377
; %bb.376:
	s_wait_loadcnt 0x0
	global_load_i8 v3, v[0:1], off
	s_wait_loadcnt 0x0
	v_cvt_f16_i16_e32 v3, v3
	s_branch .LBB84_378
.LBB84_377:
	s_mov_b32 s0, -1
                                        ; implicit-def: $vgpr3
.LBB84_378:
	s_delay_alu instid0(SALU_CYCLE_1)
	s_and_not1_b32 vcc_lo, exec_lo, s0
	s_cbranch_vccnz .LBB84_380
; %bb.379:
	global_load_u8 v0, v[0:1], off
	s_wait_loadcnt 0x0
	v_cvt_f16_u16_e32 v3, v0
.LBB84_380:
	s_branch .LBB84_21
.LBB84_381:
	s_mov_b32 s0, 0
.LBB84_382:
	s_mov_b32 s23, 0
                                        ; implicit-def: $vgpr6
.LBB84_383:
	s_and_b32 s17, s0, exec_lo
	s_and_b32 s19, s19, exec_lo
	s_and_b32 s20, s20, exec_lo
	s_or_not1_b32 s25, s23, exec_lo
.LBB84_384:
	s_wait_xcnt 0x0
	s_or_b32 exec_lo, exec_lo, s21
	s_mov_b32 s24, 0
	s_mov_b32 s23, 0
                                        ; implicit-def: $sgpr0
                                        ; implicit-def: $vgpr0_vgpr1
                                        ; implicit-def: $vgpr2
	s_and_saveexec_b32 s21, s25
	s_cbranch_execz .LBB84_393
; %bb.385:
	s_mov_b32 s27, -1
	s_mov_b32 s22, s20
	s_mov_b32 s24, s19
	;; [unrolled: 1-line block ×3, first 2 shown]
	s_mov_b32 s25, exec_lo
	v_cmpx_gt_i32_e64 s18, v6
	s_cbranch_execz .LBB84_779
; %bb.386:
	v_mul_lo_u32 v0, v6, s9
	s_and_b32 s0, s15, 0xff
	s_delay_alu instid0(SALU_CYCLE_1) | instskip(NEXT) | instid1(VALU_DEP_1)
	s_cmp_lt_i32 s0, 11
	v_ashrrev_i32_e32 v1, 31, v0
	s_delay_alu instid0(VALU_DEP_1)
	v_add_nc_u64_e32 v[0:1], s[6:7], v[0:1]
	s_cbranch_scc1 .LBB84_396
; %bb.387:
	s_and_b32 s23, 0xffff, s0
	s_delay_alu instid0(SALU_CYCLE_1)
	s_cmp_gt_i32 s23, 25
	s_cbranch_scc0 .LBB84_405
; %bb.388:
	s_cmp_gt_i32 s23, 28
	s_cbranch_scc0 .LBB84_407
; %bb.389:
	;; [unrolled: 3-line block ×4, first 2 shown]
	s_cmp_eq_u32 s23, 46
	s_mov_b32 s26, 0
	s_cbranch_scc0 .LBB84_415
; %bb.392:
	s_wait_loadcnt 0x0
	global_load_b32 v2, v[0:1], off
	s_mov_b32 s24, -1
	s_mov_b32 s22, 0
	s_wait_loadcnt 0x0
	v_lshlrev_b32_e32 v2, 16, v2
	s_delay_alu instid0(VALU_DEP_1)
	v_cvt_f16_f32_e32 v2, v2
	s_branch .LBB84_417
.LBB84_393:
	s_or_b32 exec_lo, exec_lo, s21
	s_mov_b32 s18, 0
	s_and_saveexec_b32 s21, s20
	s_cbranch_execnz .LBB84_1257
.LBB84_394:
	s_or_b32 exec_lo, exec_lo, s21
	s_and_saveexec_b32 s20, s22
	s_delay_alu instid0(SALU_CYCLE_1)
	s_xor_b32 s20, exec_lo, s20
	s_cbranch_execz .LBB84_1258
.LBB84_395:
	s_wait_loadcnt 0x0
	global_load_u8 v2, v[0:1], off
	s_or_b32 s23, s23, exec_lo
	s_wait_loadcnt 0x0
	v_cmp_ne_u16_e32 vcc_lo, 0, v2
	v_cndmask_b32_e64 v2, 0, 0x3c00, vcc_lo
	s_wait_xcnt 0x0
	s_or_b32 exec_lo, exec_lo, s20
	s_and_saveexec_b32 s20, s24
	s_cbranch_execz .LBB84_1304
	s_branch .LBB84_1259
.LBB84_396:
	s_mov_b32 s24, 0
	s_mov_b32 s22, s20
                                        ; implicit-def: $vgpr2
	s_cbranch_execnz .LBB84_483
.LBB84_397:
	s_and_not1_b32 vcc_lo, exec_lo, s24
	s_cbranch_vccnz .LBB84_531
.LBB84_398:
	s_wait_xcnt 0x0
	v_mul_lo_u32 v0, v6, s10
	s_and_b32 s0, s1, 0xff
	s_delay_alu instid0(SALU_CYCLE_1) | instskip(NEXT) | instid1(VALU_DEP_1)
	s_cmp_lt_i32 s0, 11
	v_ashrrev_i32_e32 v1, 31, v0
	s_delay_alu instid0(VALU_DEP_1)
	v_add_nc_u64_e32 v[0:1], s[12:13], v[0:1]
	s_cbranch_scc1 .LBB84_406
; %bb.399:
	s_and_b32 s23, 0xffff, s0
	s_delay_alu instid0(SALU_CYCLE_1)
	s_cmp_gt_i32 s23, 25
	s_cbranch_scc0 .LBB84_408
; %bb.400:
	s_cmp_gt_i32 s23, 28
	s_cbranch_scc0 .LBB84_410
; %bb.401:
	s_cmp_gt_i32 s23, 43
	s_cbranch_scc0 .LBB84_412
; %bb.402:
	s_cmp_gt_i32 s23, 45
	s_cbranch_scc0 .LBB84_420
; %bb.403:
	s_cmp_eq_u32 s23, 46
	s_mov_b32 s27, 0
	s_cbranch_scc0 .LBB84_534
; %bb.404:
	s_wait_loadcnt 0x0
	global_load_b32 v3, v[0:1], off
	s_mov_b32 s26, -1
	s_mov_b32 s24, 0
	s_wait_loadcnt 0x0
	v_lshlrev_b32_e32 v3, 16, v3
	s_delay_alu instid0(VALU_DEP_1)
	v_cvt_f16_f32_e32 v3, v3
	s_branch .LBB84_536
.LBB84_405:
	s_mov_b32 s26, -1
	s_mov_b32 s24, 0
	s_mov_b32 s22, s20
                                        ; implicit-def: $vgpr2
	s_branch .LBB84_447
.LBB84_406:
	s_mov_b32 s23, -1
	s_mov_b32 s26, 0
	s_mov_b32 s24, s19
                                        ; implicit-def: $vgpr3
	s_branch .LBB84_601
.LBB84_407:
	s_mov_b32 s26, -1
	s_mov_b32 s24, 0
	s_mov_b32 s22, s20
                                        ; implicit-def: $vgpr2
	s_branch .LBB84_428
.LBB84_408:
	s_mov_b32 s27, -1
	s_mov_b32 s26, 0
	s_mov_b32 s24, s19
                                        ; implicit-def: $vgpr3
	s_branch .LBB84_565
.LBB84_409:
	s_mov_b32 s26, -1
	s_mov_b32 s24, 0
	s_mov_b32 s22, s20
                                        ; implicit-def: $vgpr2
	s_branch .LBB84_423
.LBB84_410:
	s_mov_b32 s27, -1
	s_mov_b32 s26, 0
	s_mov_b32 s24, s19
                                        ; implicit-def: $vgpr3
	s_branch .LBB84_546
.LBB84_411:
	s_mov_b32 s26, -1
	s_mov_b32 s24, 0
	s_mov_b32 s22, s20
	s_branch .LBB84_416
.LBB84_412:
	s_mov_b32 s27, -1
	s_mov_b32 s26, 0
	s_mov_b32 s24, s19
                                        ; implicit-def: $vgpr3
	s_branch .LBB84_541
.LBB84_413:
	s_and_not1_saveexec_b32 s26, s26
	s_cbranch_execz .LBB84_182
.LBB84_414:
	v_add_f32_e64 v4, 0x46000000, |v3|
	s_and_not1_b32 s25, s25, exec_lo
	s_delay_alu instid0(VALU_DEP_1) | instskip(NEXT) | instid1(VALU_DEP_1)
	v_and_b32_e32 v4, 0xff, v4
	v_cmp_ne_u32_e32 vcc_lo, 0, v4
	s_and_b32 s27, vcc_lo, exec_lo
	s_delay_alu instid0(SALU_CYCLE_1)
	s_or_b32 s25, s25, s27
	s_or_b32 exec_lo, exec_lo, s26
	v_mov_b32_e32 v5, 0
	s_and_saveexec_b32 s26, s25
	s_cbranch_execnz .LBB84_183
	s_branch .LBB84_184
.LBB84_415:
	s_mov_b32 s22, -1
	s_mov_b32 s24, 0
.LBB84_416:
                                        ; implicit-def: $vgpr2
.LBB84_417:
	s_and_b32 vcc_lo, exec_lo, s26
	s_cbranch_vccz .LBB84_422
; %bb.418:
	s_cmp_eq_u32 s23, 44
	s_cbranch_scc0 .LBB84_421
; %bb.419:
	s_wait_loadcnt 0x0
	global_load_u8 v2, v[0:1], off
	s_mov_b32 s22, 0
	s_mov_b32 s24, -1
	s_wait_loadcnt 0x0
	v_lshlrev_b32_e32 v3, 23, v2
	v_cmp_ne_u32_e32 vcc_lo, 0xff, v2
	s_delay_alu instid0(VALU_DEP_2) | instskip(NEXT) | instid1(VALU_DEP_1)
	v_cvt_f16_f32_e32 v3, v3
	v_cndmask_b32_e32 v3, 0x7e00, v3, vcc_lo
	v_cmp_ne_u32_e32 vcc_lo, 0, v2
	s_delay_alu instid0(VALU_DEP_2)
	v_cndmask_b32_e32 v2, 0, v3, vcc_lo
	s_branch .LBB84_422
.LBB84_420:
	s_mov_b32 s27, -1
	s_mov_b32 s26, 0
	s_mov_b32 s24, s19
	s_branch .LBB84_535
.LBB84_421:
	s_mov_b32 s22, -1
                                        ; implicit-def: $vgpr2
.LBB84_422:
	s_mov_b32 s26, 0
.LBB84_423:
	s_delay_alu instid0(SALU_CYCLE_1)
	s_and_b32 vcc_lo, exec_lo, s26
	s_cbranch_vccz .LBB84_427
; %bb.424:
	s_cmp_eq_u32 s23, 29
	s_cbranch_scc0 .LBB84_426
; %bb.425:
	s_wait_loadcnt 0x0
	global_load_b64 v[2:3], v[0:1], off
	s_mov_b32 s24, -1
	s_mov_b32 s22, 0
	s_mov_b32 s26, 0
	s_wait_loadcnt 0x0
	v_clz_i32_u32_e32 v4, v3
	s_delay_alu instid0(VALU_DEP_1) | instskip(NEXT) | instid1(VALU_DEP_1)
	v_min_u32_e32 v4, 32, v4
	v_lshlrev_b64_e32 v[2:3], v4, v[2:3]
	s_delay_alu instid0(VALU_DEP_1) | instskip(NEXT) | instid1(VALU_DEP_1)
	v_min_u32_e32 v2, 1, v2
	v_dual_sub_nc_u32 v3, 32, v4 :: v_dual_bitop2_b32 v2, v3, v2 bitop3:0x54
	s_delay_alu instid0(VALU_DEP_1) | instskip(NEXT) | instid1(VALU_DEP_1)
	v_cvt_f32_u32_e32 v2, v2
	v_ldexp_f32 v2, v2, v3
	s_delay_alu instid0(VALU_DEP_1)
	v_cvt_f16_f32_e32 v2, v2
	s_branch .LBB84_428
.LBB84_426:
	s_mov_b32 s22, -1
                                        ; implicit-def: $vgpr2
.LBB84_427:
	s_mov_b32 s26, 0
.LBB84_428:
	s_delay_alu instid0(SALU_CYCLE_1)
	s_and_b32 vcc_lo, exec_lo, s26
	s_cbranch_vccz .LBB84_446
; %bb.429:
	s_cmp_lt_i32 s23, 27
	s_cbranch_scc1 .LBB84_432
; %bb.430:
	s_cmp_gt_i32 s23, 27
	s_cbranch_scc0 .LBB84_433
; %bb.431:
	s_wait_loadcnt 0x0
	global_load_b32 v2, v[0:1], off
	s_mov_b32 s24, 0
	s_wait_loadcnt 0x0
	v_cvt_f32_u32_e32 v2, v2
	s_delay_alu instid0(VALU_DEP_1)
	v_cvt_f16_f32_e32 v2, v2
	s_branch .LBB84_434
.LBB84_432:
	s_mov_b32 s24, -1
                                        ; implicit-def: $vgpr2
	s_branch .LBB84_437
.LBB84_433:
	s_mov_b32 s24, -1
                                        ; implicit-def: $vgpr2
.LBB84_434:
	s_delay_alu instid0(SALU_CYCLE_1)
	s_and_not1_b32 vcc_lo, exec_lo, s24
	s_cbranch_vccnz .LBB84_436
; %bb.435:
	s_wait_loadcnt 0x0
	global_load_u16 v2, v[0:1], off
	s_wait_loadcnt 0x0
	v_cvt_f16_u16_e32 v2, v2
.LBB84_436:
	s_mov_b32 s24, 0
.LBB84_437:
	s_delay_alu instid0(SALU_CYCLE_1)
	s_and_not1_b32 vcc_lo, exec_lo, s24
	s_cbranch_vccnz .LBB84_445
; %bb.438:
	s_wait_loadcnt 0x0
	global_load_u8 v3, v[0:1], off
	s_mov_b32 s24, 0
	s_mov_b32 s26, exec_lo
	s_wait_loadcnt 0x0
	v_cmpx_lt_i16_e32 0x7f, v3
	s_xor_b32 s26, exec_lo, s26
	s_cbranch_execz .LBB84_459
; %bb.439:
	s_mov_b32 s24, -1
	s_mov_b32 s27, exec_lo
	v_cmpx_eq_u16_e32 0x80, v3
; %bb.440:
	s_xor_b32 s24, exec_lo, -1
; %bb.441:
	s_or_b32 exec_lo, exec_lo, s27
	s_delay_alu instid0(SALU_CYCLE_1)
	s_and_b32 s24, s24, exec_lo
	s_or_saveexec_b32 s26, s26
	v_mov_b32_e32 v2, 0x7e00
	s_xor_b32 exec_lo, exec_lo, s26
	s_cbranch_execnz .LBB84_460
.LBB84_442:
	s_or_b32 exec_lo, exec_lo, s26
	s_and_saveexec_b32 s26, s24
	s_cbranch_execz .LBB84_444
.LBB84_443:
	v_and_b32_e32 v2, 0xffff, v3
	s_delay_alu instid0(VALU_DEP_1) | instskip(SKIP_1) | instid1(VALU_DEP_2)
	v_and_b32_e32 v4, 7, v2
	v_bfe_u32 v8, v2, 3, 4
	v_clz_i32_u32_e32 v5, v4
	s_delay_alu instid0(VALU_DEP_2) | instskip(NEXT) | instid1(VALU_DEP_2)
	v_cmp_eq_u32_e32 vcc_lo, 0, v8
	v_min_u32_e32 v5, 32, v5
	s_delay_alu instid0(VALU_DEP_1) | instskip(NEXT) | instid1(VALU_DEP_1)
	v_subrev_nc_u32_e32 v7, 28, v5
	v_dual_lshlrev_b32 v2, v7, v2 :: v_dual_sub_nc_u32 v5, 29, v5
	s_delay_alu instid0(VALU_DEP_1) | instskip(NEXT) | instid1(VALU_DEP_2)
	v_dual_lshlrev_b32 v3, 24, v3 :: v_dual_bitop2_b32 v2, 7, v2 bitop3:0x40
	v_cndmask_b32_e32 v5, v8, v5, vcc_lo
	s_delay_alu instid0(VALU_DEP_2) | instskip(NEXT) | instid1(VALU_DEP_3)
	v_cndmask_b32_e32 v2, v4, v2, vcc_lo
	v_and_b32_e32 v3, 0x80000000, v3
	s_delay_alu instid0(VALU_DEP_3) | instskip(NEXT) | instid1(VALU_DEP_3)
	v_lshl_add_u32 v4, v5, 23, 0x3b800000
	v_lshlrev_b32_e32 v2, 20, v2
	s_delay_alu instid0(VALU_DEP_1) | instskip(NEXT) | instid1(VALU_DEP_1)
	v_or3_b32 v2, v3, v4, v2
	v_cvt_f16_f32_e32 v2, v2
.LBB84_444:
	s_or_b32 exec_lo, exec_lo, s26
.LBB84_445:
	s_mov_b32 s24, -1
.LBB84_446:
	s_mov_b32 s26, 0
.LBB84_447:
	s_delay_alu instid0(SALU_CYCLE_1)
	s_and_b32 vcc_lo, exec_lo, s26
	s_cbranch_vccz .LBB84_482
; %bb.448:
	s_cmp_gt_i32 s23, 22
	s_cbranch_scc0 .LBB84_458
; %bb.449:
	s_cmp_lt_i32 s23, 24
	s_cbranch_scc1 .LBB84_461
; %bb.450:
	s_cmp_gt_i32 s23, 24
	s_cbranch_scc0 .LBB84_462
; %bb.451:
	s_wait_loadcnt 0x0
	global_load_u8 v3, v[0:1], off
	s_mov_b32 s24, 0
	s_mov_b32 s26, exec_lo
	s_wait_loadcnt 0x0
	v_cmpx_lt_i16_e32 0x7f, v3
	s_xor_b32 s26, exec_lo, s26
	s_cbranch_execz .LBB84_474
; %bb.452:
	s_mov_b32 s24, -1
	s_mov_b32 s27, exec_lo
	v_cmpx_eq_u16_e32 0x80, v3
; %bb.453:
	s_xor_b32 s24, exec_lo, -1
; %bb.454:
	s_or_b32 exec_lo, exec_lo, s27
	s_delay_alu instid0(SALU_CYCLE_1)
	s_and_b32 s24, s24, exec_lo
	s_or_saveexec_b32 s26, s26
	v_mov_b32_e32 v2, 0x7e00
	s_xor_b32 exec_lo, exec_lo, s26
	s_cbranch_execnz .LBB84_475
.LBB84_455:
	s_or_b32 exec_lo, exec_lo, s26
	s_and_saveexec_b32 s26, s24
	s_cbranch_execz .LBB84_457
.LBB84_456:
	v_and_b32_e32 v2, 0xffff, v3
	s_delay_alu instid0(VALU_DEP_1) | instskip(SKIP_1) | instid1(VALU_DEP_2)
	v_and_b32_e32 v4, 3, v2
	v_bfe_u32 v8, v2, 2, 5
	v_clz_i32_u32_e32 v5, v4
	s_delay_alu instid0(VALU_DEP_2) | instskip(NEXT) | instid1(VALU_DEP_2)
	v_cmp_eq_u32_e32 vcc_lo, 0, v8
	v_min_u32_e32 v5, 32, v5
	s_delay_alu instid0(VALU_DEP_1) | instskip(NEXT) | instid1(VALU_DEP_1)
	v_subrev_nc_u32_e32 v7, 29, v5
	v_dual_lshlrev_b32 v2, v7, v2 :: v_dual_sub_nc_u32 v5, 30, v5
	s_delay_alu instid0(VALU_DEP_1) | instskip(NEXT) | instid1(VALU_DEP_2)
	v_dual_lshlrev_b32 v3, 24, v3 :: v_dual_bitop2_b32 v2, 3, v2 bitop3:0x40
	v_cndmask_b32_e32 v5, v8, v5, vcc_lo
	s_delay_alu instid0(VALU_DEP_2) | instskip(NEXT) | instid1(VALU_DEP_3)
	v_cndmask_b32_e32 v2, v4, v2, vcc_lo
	v_and_b32_e32 v3, 0x80000000, v3
	s_delay_alu instid0(VALU_DEP_3) | instskip(NEXT) | instid1(VALU_DEP_3)
	v_lshl_add_u32 v4, v5, 23, 0x37800000
	v_lshlrev_b32_e32 v2, 21, v2
	s_delay_alu instid0(VALU_DEP_1) | instskip(NEXT) | instid1(VALU_DEP_1)
	v_or3_b32 v2, v3, v4, v2
	v_cvt_f16_f32_e32 v2, v2
.LBB84_457:
	s_or_b32 exec_lo, exec_lo, s26
	s_mov_b32 s24, 0
	s_branch .LBB84_463
.LBB84_458:
	s_mov_b32 s26, -1
                                        ; implicit-def: $vgpr2
	s_branch .LBB84_469
.LBB84_459:
	s_or_saveexec_b32 s26, s26
	v_mov_b32_e32 v2, 0x7e00
	s_xor_b32 exec_lo, exec_lo, s26
	s_cbranch_execz .LBB84_442
.LBB84_460:
	v_cmp_ne_u16_e32 vcc_lo, 0, v3
	v_mov_b32_e32 v2, v3
	s_and_not1_b32 s24, s24, exec_lo
	s_and_b32 s27, vcc_lo, exec_lo
	s_delay_alu instid0(SALU_CYCLE_1)
	s_or_b32 s24, s24, s27
	s_or_b32 exec_lo, exec_lo, s26
	s_and_saveexec_b32 s26, s24
	s_cbranch_execnz .LBB84_443
	s_branch .LBB84_444
.LBB84_461:
	s_mov_b32 s24, -1
                                        ; implicit-def: $vgpr2
	s_branch .LBB84_466
.LBB84_462:
	s_mov_b32 s24, -1
                                        ; implicit-def: $vgpr2
.LBB84_463:
	s_delay_alu instid0(SALU_CYCLE_1)
	s_and_b32 vcc_lo, exec_lo, s24
	s_cbranch_vccz .LBB84_465
; %bb.464:
	s_wait_loadcnt 0x0
	global_load_u8 v2, v[0:1], off
	s_wait_loadcnt 0x0
	v_lshlrev_b32_e32 v2, 24, v2
	s_delay_alu instid0(VALU_DEP_1) | instskip(NEXT) | instid1(VALU_DEP_1)
	v_and_b32_e32 v3, 0x7f000000, v2
	v_clz_i32_u32_e32 v4, v3
	v_add_nc_u32_e32 v7, 0x1000000, v3
	v_cmp_ne_u32_e32 vcc_lo, 0, v3
	s_delay_alu instid0(VALU_DEP_3) | instskip(NEXT) | instid1(VALU_DEP_1)
	v_min_u32_e32 v4, 32, v4
	v_sub_nc_u32_e64 v4, v4, 4 clamp
	s_delay_alu instid0(VALU_DEP_1) | instskip(NEXT) | instid1(VALU_DEP_1)
	v_dual_lshlrev_b32 v5, v4, v3 :: v_dual_lshlrev_b32 v4, 23, v4
	v_lshrrev_b32_e32 v5, 4, v5
	s_delay_alu instid0(VALU_DEP_1) | instskip(NEXT) | instid1(VALU_DEP_1)
	v_dual_sub_nc_u32 v4, v5, v4 :: v_dual_ashrrev_i32 v5, 8, v7
	v_add_nc_u32_e32 v4, 0x3c000000, v4
	s_delay_alu instid0(VALU_DEP_1) | instskip(NEXT) | instid1(VALU_DEP_1)
	v_and_or_b32 v4, 0x7f800000, v5, v4
	v_cndmask_b32_e32 v3, 0, v4, vcc_lo
	s_delay_alu instid0(VALU_DEP_1) | instskip(NEXT) | instid1(VALU_DEP_1)
	v_and_or_b32 v2, 0x80000000, v2, v3
	v_cvt_f16_f32_e32 v2, v2
.LBB84_465:
	s_mov_b32 s24, 0
.LBB84_466:
	s_delay_alu instid0(SALU_CYCLE_1)
	s_and_not1_b32 vcc_lo, exec_lo, s24
	s_cbranch_vccnz .LBB84_468
; %bb.467:
	s_wait_loadcnt 0x0
	global_load_u8 v2, v[0:1], off
	s_wait_loadcnt 0x0
	v_lshlrev_b32_e32 v3, 25, v2
	v_lshlrev_b16 v2, 8, v2
	s_delay_alu instid0(VALU_DEP_1) | instskip(SKIP_1) | instid1(VALU_DEP_2)
	v_and_or_b32 v5, 0x7f00, v2, 0.5
	v_bfe_i32 v2, v2, 0, 16
	v_dual_add_f32 v5, -0.5, v5 :: v_dual_lshrrev_b32 v4, 4, v3
	v_cmp_gt_u32_e32 vcc_lo, 0x8000000, v3
	s_delay_alu instid0(VALU_DEP_2) | instskip(NEXT) | instid1(VALU_DEP_1)
	v_or_b32_e32 v4, 0x70000000, v4
	v_mul_f32_e32 v4, 0x7800000, v4
	s_delay_alu instid0(VALU_DEP_1) | instskip(NEXT) | instid1(VALU_DEP_1)
	v_cndmask_b32_e32 v3, v4, v5, vcc_lo
	v_and_or_b32 v2, 0x80000000, v2, v3
	s_delay_alu instid0(VALU_DEP_1)
	v_cvt_f16_f32_e32 v2, v2
.LBB84_468:
	s_mov_b32 s26, 0
	s_mov_b32 s24, -1
.LBB84_469:
	s_and_not1_b32 vcc_lo, exec_lo, s26
	s_cbranch_vccnz .LBB84_482
; %bb.470:
	s_cmp_gt_i32 s23, 14
	s_cbranch_scc0 .LBB84_473
; %bb.471:
	s_cmp_eq_u32 s23, 15
	s_cbranch_scc0 .LBB84_476
; %bb.472:
	s_wait_loadcnt 0x0
	global_load_u16 v2, v[0:1], off
	s_mov_b32 s24, -1
	s_mov_b32 s22, 0
	s_wait_loadcnt 0x0
	v_lshlrev_b32_e32 v2, 16, v2
	s_delay_alu instid0(VALU_DEP_1)
	v_cvt_f16_f32_e32 v2, v2
	s_branch .LBB84_477
.LBB84_473:
	s_mov_b32 s26, -1
                                        ; implicit-def: $vgpr2
	s_branch .LBB84_478
.LBB84_474:
	s_or_saveexec_b32 s26, s26
	v_mov_b32_e32 v2, 0x7e00
	s_xor_b32 exec_lo, exec_lo, s26
	s_cbranch_execz .LBB84_455
.LBB84_475:
	v_cmp_ne_u16_e32 vcc_lo, 0, v3
	v_mov_b32_e32 v2, v3
	s_and_not1_b32 s24, s24, exec_lo
	s_and_b32 s27, vcc_lo, exec_lo
	s_delay_alu instid0(SALU_CYCLE_1)
	s_or_b32 s24, s24, s27
	s_or_b32 exec_lo, exec_lo, s26
	s_and_saveexec_b32 s26, s24
	s_cbranch_execnz .LBB84_456
	s_branch .LBB84_457
.LBB84_476:
	s_mov_b32 s22, -1
                                        ; implicit-def: $vgpr2
.LBB84_477:
	s_mov_b32 s26, 0
.LBB84_478:
	s_delay_alu instid0(SALU_CYCLE_1)
	s_and_b32 vcc_lo, exec_lo, s26
	s_cbranch_vccz .LBB84_482
; %bb.479:
	s_cmp_eq_u32 s23, 11
	s_cbranch_scc0 .LBB84_481
; %bb.480:
	s_wait_loadcnt 0x0
	global_load_u8 v2, v[0:1], off
	s_mov_b32 s22, 0
	s_mov_b32 s24, -1
	s_wait_loadcnt 0x0
	v_cmp_ne_u16_e32 vcc_lo, 0, v2
	v_cndmask_b32_e64 v2, 0, 0x3c00, vcc_lo
	s_branch .LBB84_482
.LBB84_481:
	s_mov_b32 s22, -1
                                        ; implicit-def: $vgpr2
.LBB84_482:
	s_branch .LBB84_397
.LBB84_483:
	s_and_b32 s0, 0xffff, s0
	s_delay_alu instid0(SALU_CYCLE_1)
	s_cmp_lt_i32 s0, 5
	s_cbranch_scc1 .LBB84_488
; %bb.484:
	s_cmp_lt_i32 s0, 8
	s_cbranch_scc1 .LBB84_489
; %bb.485:
	;; [unrolled: 3-line block ×3, first 2 shown]
	s_cmp_gt_i32 s0, 9
	s_cbranch_scc0 .LBB84_491
; %bb.487:
	s_wait_loadcnt 0x0
	global_load_b64 v[2:3], v[0:1], off
	s_mov_b32 s23, 0
	s_wait_loadcnt 0x0
	v_and_or_b32 v2, 0x1ff, v3, v2
	v_lshrrev_b32_e32 v4, 8, v3
	v_bfe_u32 v5, v3, 20, 11
	v_lshrrev_b32_e32 v3, 16, v3
	s_delay_alu instid0(VALU_DEP_4) | instskip(NEXT) | instid1(VALU_DEP_3)
	v_cmp_ne_u32_e32 vcc_lo, 0, v2
	v_sub_nc_u32_e32 v7, 0x3f1, v5
	v_add_nc_u32_e32 v5, 0xfffffc10, v5
	v_cndmask_b32_e64 v2, 0, 1, vcc_lo
	s_delay_alu instid0(VALU_DEP_1) | instskip(NEXT) | instid1(VALU_DEP_4)
	v_and_or_b32 v2, 0xffe, v4, v2
	v_med3_i32 v4, v7, 0, 13
	s_delay_alu instid0(VALU_DEP_2) | instskip(NEXT) | instid1(VALU_DEP_1)
	v_or_b32_e32 v7, 0x1000, v2
	v_lshrrev_b32_e32 v8, v4, v7
	s_delay_alu instid0(VALU_DEP_1) | instskip(NEXT) | instid1(VALU_DEP_1)
	v_lshlrev_b32_e32 v4, v4, v8
	v_cmp_ne_u32_e32 vcc_lo, v4, v7
	v_lshl_or_b32 v7, v5, 12, v2
	v_cndmask_b32_e64 v4, 0, 1, vcc_lo
	v_cmp_gt_i32_e32 vcc_lo, 1, v5
	s_delay_alu instid0(VALU_DEP_2) | instskip(NEXT) | instid1(VALU_DEP_1)
	v_or_b32_e32 v4, v8, v4
	v_cndmask_b32_e32 v4, v7, v4, vcc_lo
	s_delay_alu instid0(VALU_DEP_1) | instskip(NEXT) | instid1(VALU_DEP_1)
	v_dual_lshrrev_b32 v4, 2, v4 :: v_dual_bitop2_b32 v7, 7, v4 bitop3:0x40
	v_cmp_lt_i32_e32 vcc_lo, 5, v7
	v_cndmask_b32_e64 v8, 0, 1, vcc_lo
	v_cmp_eq_u32_e32 vcc_lo, 3, v7
	v_cndmask_b32_e64 v7, 0, 1, vcc_lo
	v_cmp_ne_u32_e32 vcc_lo, 0, v2
	s_delay_alu instid0(VALU_DEP_2) | instskip(SKIP_1) | instid1(VALU_DEP_2)
	v_or_b32_e32 v7, v7, v8
	v_mov_b32_e32 v8, 0x7e00
	v_add_nc_u32_e32 v4, v4, v7
	s_delay_alu instid0(VALU_DEP_2) | instskip(SKIP_1) | instid1(VALU_DEP_3)
	v_cndmask_b32_e32 v2, 0x7c00, v8, vcc_lo
	v_cmp_gt_i32_e32 vcc_lo, 31, v5
	v_cndmask_b32_e32 v4, 0x7c00, v4, vcc_lo
	v_cmp_eq_u32_e32 vcc_lo, 0x40f, v5
	s_delay_alu instid0(VALU_DEP_2) | instskip(NEXT) | instid1(VALU_DEP_1)
	v_cndmask_b32_e32 v2, v4, v2, vcc_lo
	v_and_or_b32 v2, 0x8000, v3, v2
	s_branch .LBB84_492
.LBB84_488:
	s_mov_b32 s23, -1
                                        ; implicit-def: $vgpr2
	s_branch .LBB84_510
.LBB84_489:
	s_mov_b32 s23, -1
                                        ; implicit-def: $vgpr2
	s_branch .LBB84_498
.LBB84_490:
	s_mov_b32 s23, -1
                                        ; implicit-def: $vgpr2
	s_branch .LBB84_495
.LBB84_491:
	s_mov_b32 s23, -1
                                        ; implicit-def: $vgpr2
.LBB84_492:
	s_delay_alu instid0(SALU_CYCLE_1)
	s_and_not1_b32 vcc_lo, exec_lo, s23
	s_cbranch_vccnz .LBB84_494
; %bb.493:
	s_wait_loadcnt 0x0
	global_load_b32 v2, v[0:1], off
	s_wait_loadcnt 0x0
	v_cvt_f16_f32_e32 v2, v2
.LBB84_494:
	s_mov_b32 s23, 0
.LBB84_495:
	s_delay_alu instid0(SALU_CYCLE_1)
	s_and_not1_b32 vcc_lo, exec_lo, s23
	s_cbranch_vccnz .LBB84_497
; %bb.496:
	s_wait_loadcnt 0x0
	global_load_b32 v2, v[0:1], off
.LBB84_497:
	s_mov_b32 s23, 0
.LBB84_498:
	s_delay_alu instid0(SALU_CYCLE_1)
	s_and_not1_b32 vcc_lo, exec_lo, s23
	s_cbranch_vccnz .LBB84_509
; %bb.499:
	s_cmp_lt_i32 s0, 6
	s_cbranch_scc1 .LBB84_502
; %bb.500:
	s_cmp_gt_i32 s0, 6
	s_cbranch_scc0 .LBB84_503
; %bb.501:
	s_wait_loadcnt 0x0
	global_load_b64 v[2:3], v[0:1], off
	s_mov_b32 s23, 0
	s_wait_loadcnt 0x0
	v_and_or_b32 v2, 0x1ff, v3, v2
	v_lshrrev_b32_e32 v4, 8, v3
	v_bfe_u32 v5, v3, 20, 11
	v_lshrrev_b32_e32 v3, 16, v3
	s_delay_alu instid0(VALU_DEP_4) | instskip(NEXT) | instid1(VALU_DEP_3)
	v_cmp_ne_u32_e32 vcc_lo, 0, v2
	v_sub_nc_u32_e32 v7, 0x3f1, v5
	v_add_nc_u32_e32 v5, 0xfffffc10, v5
	v_cndmask_b32_e64 v2, 0, 1, vcc_lo
	s_delay_alu instid0(VALU_DEP_1) | instskip(NEXT) | instid1(VALU_DEP_4)
	v_and_or_b32 v2, 0xffe, v4, v2
	v_med3_i32 v4, v7, 0, 13
	s_delay_alu instid0(VALU_DEP_2) | instskip(NEXT) | instid1(VALU_DEP_1)
	v_or_b32_e32 v7, 0x1000, v2
	v_lshrrev_b32_e32 v8, v4, v7
	s_delay_alu instid0(VALU_DEP_1) | instskip(NEXT) | instid1(VALU_DEP_1)
	v_lshlrev_b32_e32 v4, v4, v8
	v_cmp_ne_u32_e32 vcc_lo, v4, v7
	v_lshl_or_b32 v7, v5, 12, v2
	v_cndmask_b32_e64 v4, 0, 1, vcc_lo
	v_cmp_gt_i32_e32 vcc_lo, 1, v5
	s_delay_alu instid0(VALU_DEP_2) | instskip(NEXT) | instid1(VALU_DEP_1)
	v_or_b32_e32 v4, v8, v4
	v_cndmask_b32_e32 v4, v7, v4, vcc_lo
	s_delay_alu instid0(VALU_DEP_1) | instskip(NEXT) | instid1(VALU_DEP_1)
	v_dual_lshrrev_b32 v4, 2, v4 :: v_dual_bitop2_b32 v7, 7, v4 bitop3:0x40
	v_cmp_lt_i32_e32 vcc_lo, 5, v7
	v_cndmask_b32_e64 v8, 0, 1, vcc_lo
	v_cmp_eq_u32_e32 vcc_lo, 3, v7
	v_cndmask_b32_e64 v7, 0, 1, vcc_lo
	v_cmp_ne_u32_e32 vcc_lo, 0, v2
	s_delay_alu instid0(VALU_DEP_2) | instskip(SKIP_1) | instid1(VALU_DEP_2)
	v_or_b32_e32 v7, v7, v8
	v_mov_b32_e32 v8, 0x7e00
	v_add_nc_u32_e32 v4, v4, v7
	s_delay_alu instid0(VALU_DEP_2) | instskip(SKIP_1) | instid1(VALU_DEP_3)
	v_cndmask_b32_e32 v2, 0x7c00, v8, vcc_lo
	v_cmp_gt_i32_e32 vcc_lo, 31, v5
	v_cndmask_b32_e32 v4, 0x7c00, v4, vcc_lo
	v_cmp_eq_u32_e32 vcc_lo, 0x40f, v5
	s_delay_alu instid0(VALU_DEP_2) | instskip(NEXT) | instid1(VALU_DEP_1)
	v_cndmask_b32_e32 v2, v4, v2, vcc_lo
	v_and_or_b32 v2, 0x8000, v3, v2
	s_branch .LBB84_504
.LBB84_502:
	s_mov_b32 s23, -1
                                        ; implicit-def: $vgpr2
	s_branch .LBB84_507
.LBB84_503:
	s_mov_b32 s23, -1
                                        ; implicit-def: $vgpr2
.LBB84_504:
	s_delay_alu instid0(SALU_CYCLE_1)
	s_and_not1_b32 vcc_lo, exec_lo, s23
	s_cbranch_vccnz .LBB84_506
; %bb.505:
	s_wait_loadcnt 0x0
	global_load_b32 v2, v[0:1], off
	s_wait_loadcnt 0x0
	v_cvt_f16_f32_e32 v2, v2
.LBB84_506:
	s_mov_b32 s23, 0
.LBB84_507:
	s_delay_alu instid0(SALU_CYCLE_1)
	s_and_not1_b32 vcc_lo, exec_lo, s23
	s_cbranch_vccnz .LBB84_509
; %bb.508:
	s_wait_loadcnt 0x0
	global_load_u16 v2, v[0:1], off
.LBB84_509:
	s_mov_b32 s23, 0
.LBB84_510:
	s_delay_alu instid0(SALU_CYCLE_1)
	s_and_not1_b32 vcc_lo, exec_lo, s23
	s_cbranch_vccnz .LBB84_530
; %bb.511:
	s_cmp_lt_i32 s0, 2
	s_cbranch_scc1 .LBB84_515
; %bb.512:
	s_cmp_lt_i32 s0, 3
	s_cbranch_scc1 .LBB84_516
; %bb.513:
	s_cmp_gt_i32 s0, 3
	s_cbranch_scc0 .LBB84_517
; %bb.514:
	s_wait_loadcnt 0x0
	global_load_b64 v[2:3], v[0:1], off
	s_mov_b32 s23, 0
	s_wait_loadcnt 0x0
	v_xor_b32_e32 v4, v2, v3
	v_cls_i32_e32 v5, v3
	s_delay_alu instid0(VALU_DEP_2) | instskip(NEXT) | instid1(VALU_DEP_1)
	v_ashrrev_i32_e32 v4, 31, v4
	v_add_nc_u32_e32 v4, 32, v4
	s_delay_alu instid0(VALU_DEP_1) | instskip(NEXT) | instid1(VALU_DEP_1)
	v_add_min_u32_e64 v4, v5, -1, v4
	v_lshlrev_b64_e32 v[2:3], v4, v[2:3]
	s_delay_alu instid0(VALU_DEP_1) | instskip(NEXT) | instid1(VALU_DEP_1)
	v_min_u32_e32 v2, 1, v2
	v_dual_sub_nc_u32 v3, 32, v4 :: v_dual_bitop2_b32 v2, v3, v2 bitop3:0x54
	s_delay_alu instid0(VALU_DEP_1) | instskip(NEXT) | instid1(VALU_DEP_1)
	v_cvt_f32_i32_e32 v2, v2
	v_ldexp_f32 v2, v2, v3
	s_delay_alu instid0(VALU_DEP_1)
	v_cvt_f16_f32_e32 v2, v2
	s_branch .LBB84_518
.LBB84_515:
	s_mov_b32 s23, -1
                                        ; implicit-def: $vgpr2
	s_branch .LBB84_524
.LBB84_516:
	s_mov_b32 s23, -1
                                        ; implicit-def: $vgpr2
	s_branch .LBB84_521
.LBB84_517:
	s_mov_b32 s23, -1
                                        ; implicit-def: $vgpr2
.LBB84_518:
	s_delay_alu instid0(SALU_CYCLE_1)
	s_and_not1_b32 vcc_lo, exec_lo, s23
	s_cbranch_vccnz .LBB84_520
; %bb.519:
	s_wait_loadcnt 0x0
	global_load_b32 v2, v[0:1], off
	s_wait_loadcnt 0x0
	v_cvt_f32_i32_e32 v2, v2
	s_delay_alu instid0(VALU_DEP_1)
	v_cvt_f16_f32_e32 v2, v2
.LBB84_520:
	s_mov_b32 s23, 0
.LBB84_521:
	s_delay_alu instid0(SALU_CYCLE_1)
	s_and_not1_b32 vcc_lo, exec_lo, s23
	s_cbranch_vccnz .LBB84_523
; %bb.522:
	s_wait_loadcnt 0x0
	global_load_u16 v2, v[0:1], off
	s_wait_loadcnt 0x0
	v_cvt_f16_i16_e32 v2, v2
.LBB84_523:
	s_mov_b32 s23, 0
.LBB84_524:
	s_delay_alu instid0(SALU_CYCLE_1)
	s_and_not1_b32 vcc_lo, exec_lo, s23
	s_cbranch_vccnz .LBB84_530
; %bb.525:
	s_cmp_gt_i32 s0, 0
	s_mov_b32 s0, 0
	s_cbranch_scc0 .LBB84_527
; %bb.526:
	s_wait_loadcnt 0x0
	global_load_i8 v2, v[0:1], off
	s_wait_loadcnt 0x0
	v_cvt_f16_i16_e32 v2, v2
	s_branch .LBB84_528
.LBB84_527:
	s_mov_b32 s0, -1
                                        ; implicit-def: $vgpr2
.LBB84_528:
	s_delay_alu instid0(SALU_CYCLE_1)
	s_and_not1_b32 vcc_lo, exec_lo, s0
	s_cbranch_vccnz .LBB84_530
; %bb.529:
	global_load_u8 v0, v[0:1], off
	s_wait_loadcnt 0x0
	v_cvt_f16_u16_e32 v2, v0
.LBB84_530:
	s_branch .LBB84_398
.LBB84_531:
	s_mov_b32 s26, 0
	s_mov_b32 s0, s17
	;; [unrolled: 1-line block ×3, first 2 shown]
	s_branch .LBB84_777
.LBB84_532:
	s_and_not1_saveexec_b32 s26, s26
	s_cbranch_execz .LBB84_195
.LBB84_533:
	v_add_f32_e64 v4, 0x42800000, |v3|
	s_and_not1_b32 s25, s25, exec_lo
	s_delay_alu instid0(VALU_DEP_1) | instskip(NEXT) | instid1(VALU_DEP_1)
	v_and_b32_e32 v4, 0xff, v4
	v_cmp_ne_u32_e32 vcc_lo, 0, v4
	s_and_b32 s27, vcc_lo, exec_lo
	s_delay_alu instid0(SALU_CYCLE_1)
	s_or_b32 s25, s25, s27
	s_or_b32 exec_lo, exec_lo, s26
	v_mov_b32_e32 v5, 0
	s_and_saveexec_b32 s26, s25
	s_cbranch_execnz .LBB84_196
	s_branch .LBB84_197
.LBB84_534:
	s_mov_b32 s24, -1
	s_mov_b32 s26, 0
.LBB84_535:
                                        ; implicit-def: $vgpr3
.LBB84_536:
	s_and_b32 vcc_lo, exec_lo, s27
	s_cbranch_vccz .LBB84_540
; %bb.537:
	s_cmp_eq_u32 s23, 44
	s_cbranch_scc0 .LBB84_539
; %bb.538:
	s_wait_loadcnt 0x0
	global_load_u8 v3, v[0:1], off
	s_mov_b32 s24, 0
	s_mov_b32 s26, -1
	s_wait_loadcnt 0x0
	v_lshlrev_b32_e32 v4, 23, v3
	v_cmp_ne_u32_e32 vcc_lo, 0xff, v3
	s_delay_alu instid0(VALU_DEP_2) | instskip(NEXT) | instid1(VALU_DEP_1)
	v_cvt_f16_f32_e32 v4, v4
	v_cndmask_b32_e32 v4, 0x7e00, v4, vcc_lo
	v_cmp_ne_u32_e32 vcc_lo, 0, v3
	s_delay_alu instid0(VALU_DEP_2)
	v_cndmask_b32_e32 v3, 0, v4, vcc_lo
	s_branch .LBB84_540
.LBB84_539:
	s_mov_b32 s24, -1
                                        ; implicit-def: $vgpr3
.LBB84_540:
	s_mov_b32 s27, 0
.LBB84_541:
	s_delay_alu instid0(SALU_CYCLE_1)
	s_and_b32 vcc_lo, exec_lo, s27
	s_cbranch_vccz .LBB84_545
; %bb.542:
	s_cmp_eq_u32 s23, 29
	s_cbranch_scc0 .LBB84_544
; %bb.543:
	global_load_b64 v[4:5], v[0:1], off
	s_mov_b32 s26, -1
	s_mov_b32 s24, 0
	s_mov_b32 s27, 0
	s_wait_loadcnt 0x0
	v_clz_i32_u32_e32 v3, v5
	s_delay_alu instid0(VALU_DEP_1) | instskip(NEXT) | instid1(VALU_DEP_1)
	v_min_u32_e32 v3, 32, v3
	v_lshlrev_b64_e32 v[4:5], v3, v[4:5]
	v_sub_nc_u32_e32 v3, 32, v3
	s_delay_alu instid0(VALU_DEP_2) | instskip(NEXT) | instid1(VALU_DEP_1)
	v_min_u32_e32 v4, 1, v4
	v_or_b32_e32 v4, v5, v4
	s_delay_alu instid0(VALU_DEP_1) | instskip(NEXT) | instid1(VALU_DEP_1)
	v_cvt_f32_u32_e32 v4, v4
	v_ldexp_f32 v3, v4, v3
	s_delay_alu instid0(VALU_DEP_1)
	v_cvt_f16_f32_e32 v3, v3
	s_branch .LBB84_546
.LBB84_544:
	s_mov_b32 s24, -1
                                        ; implicit-def: $vgpr3
.LBB84_545:
	s_mov_b32 s27, 0
.LBB84_546:
	s_delay_alu instid0(SALU_CYCLE_1)
	s_and_b32 vcc_lo, exec_lo, s27
	s_cbranch_vccz .LBB84_564
; %bb.547:
	s_cmp_lt_i32 s23, 27
	s_cbranch_scc1 .LBB84_550
; %bb.548:
	s_cmp_gt_i32 s23, 27
	s_cbranch_scc0 .LBB84_551
; %bb.549:
	s_wait_loadcnt 0x0
	global_load_b32 v3, v[0:1], off
	s_mov_b32 s26, 0
	s_wait_loadcnt 0x0
	v_cvt_f32_u32_e32 v3, v3
	s_delay_alu instid0(VALU_DEP_1)
	v_cvt_f16_f32_e32 v3, v3
	s_branch .LBB84_552
.LBB84_550:
	s_mov_b32 s26, -1
                                        ; implicit-def: $vgpr3
	s_branch .LBB84_555
.LBB84_551:
	s_mov_b32 s26, -1
                                        ; implicit-def: $vgpr3
.LBB84_552:
	s_delay_alu instid0(SALU_CYCLE_1)
	s_and_not1_b32 vcc_lo, exec_lo, s26
	s_cbranch_vccnz .LBB84_554
; %bb.553:
	s_wait_loadcnt 0x0
	global_load_u16 v3, v[0:1], off
	s_wait_loadcnt 0x0
	v_cvt_f16_u16_e32 v3, v3
.LBB84_554:
	s_mov_b32 s26, 0
.LBB84_555:
	s_delay_alu instid0(SALU_CYCLE_1)
	s_and_not1_b32 vcc_lo, exec_lo, s26
	s_cbranch_vccnz .LBB84_563
; %bb.556:
	global_load_u8 v4, v[0:1], off
	s_mov_b32 s26, 0
	s_mov_b32 s27, exec_lo
	s_wait_loadcnt 0x0
	v_cmpx_lt_i16_e32 0x7f, v4
	s_xor_b32 s27, exec_lo, s27
	s_cbranch_execz .LBB84_577
; %bb.557:
	s_mov_b32 s26, -1
	s_mov_b32 s28, exec_lo
	v_cmpx_eq_u16_e32 0x80, v4
; %bb.558:
	s_xor_b32 s26, exec_lo, -1
; %bb.559:
	s_or_b32 exec_lo, exec_lo, s28
	s_delay_alu instid0(SALU_CYCLE_1)
	s_and_b32 s26, s26, exec_lo
	s_or_saveexec_b32 s27, s27
	v_mov_b32_e32 v3, 0x7e00
	s_xor_b32 exec_lo, exec_lo, s27
	s_cbranch_execnz .LBB84_578
.LBB84_560:
	s_or_b32 exec_lo, exec_lo, s27
	s_and_saveexec_b32 s27, s26
	s_cbranch_execz .LBB84_562
.LBB84_561:
	v_and_b32_e32 v3, 0xffff, v4
	s_delay_alu instid0(VALU_DEP_1) | instskip(SKIP_1) | instid1(VALU_DEP_2)
	v_dual_lshlrev_b32 v4, 24, v4 :: v_dual_bitop2_b32 v5, 7, v3 bitop3:0x40
	v_bfe_u32 v9, v3, 3, 4
	v_and_b32_e32 v4, 0x80000000, v4
	s_delay_alu instid0(VALU_DEP_3) | instskip(NEXT) | instid1(VALU_DEP_3)
	v_clz_i32_u32_e32 v7, v5
	v_cmp_eq_u32_e32 vcc_lo, 0, v9
	s_delay_alu instid0(VALU_DEP_2) | instskip(NEXT) | instid1(VALU_DEP_1)
	v_min_u32_e32 v7, 32, v7
	v_subrev_nc_u32_e32 v8, 28, v7
	v_sub_nc_u32_e32 v7, 29, v7
	s_delay_alu instid0(VALU_DEP_2) | instskip(NEXT) | instid1(VALU_DEP_2)
	v_lshlrev_b32_e32 v3, v8, v3
	v_cndmask_b32_e32 v7, v9, v7, vcc_lo
	s_delay_alu instid0(VALU_DEP_2) | instskip(NEXT) | instid1(VALU_DEP_1)
	v_and_b32_e32 v3, 7, v3
	v_cndmask_b32_e32 v3, v5, v3, vcc_lo
	s_delay_alu instid0(VALU_DEP_3) | instskip(NEXT) | instid1(VALU_DEP_2)
	v_lshl_add_u32 v5, v7, 23, 0x3b800000
	v_lshlrev_b32_e32 v3, 20, v3
	s_delay_alu instid0(VALU_DEP_1) | instskip(NEXT) | instid1(VALU_DEP_1)
	v_or3_b32 v3, v4, v5, v3
	v_cvt_f16_f32_e32 v3, v3
.LBB84_562:
	s_or_b32 exec_lo, exec_lo, s27
.LBB84_563:
	s_mov_b32 s26, -1
.LBB84_564:
	s_mov_b32 s27, 0
.LBB84_565:
	s_delay_alu instid0(SALU_CYCLE_1)
	s_and_b32 vcc_lo, exec_lo, s27
	s_cbranch_vccz .LBB84_600
; %bb.566:
	s_cmp_gt_i32 s23, 22
	s_cbranch_scc0 .LBB84_576
; %bb.567:
	s_cmp_lt_i32 s23, 24
	s_cbranch_scc1 .LBB84_579
; %bb.568:
	s_cmp_gt_i32 s23, 24
	s_cbranch_scc0 .LBB84_580
; %bb.569:
	global_load_u8 v4, v[0:1], off
	s_mov_b32 s26, 0
	s_mov_b32 s27, exec_lo
	s_wait_loadcnt 0x0
	v_cmpx_lt_i16_e32 0x7f, v4
	s_xor_b32 s27, exec_lo, s27
	s_cbranch_execz .LBB84_592
; %bb.570:
	s_mov_b32 s26, -1
	s_mov_b32 s28, exec_lo
	v_cmpx_eq_u16_e32 0x80, v4
; %bb.571:
	s_xor_b32 s26, exec_lo, -1
; %bb.572:
	s_or_b32 exec_lo, exec_lo, s28
	s_delay_alu instid0(SALU_CYCLE_1)
	s_and_b32 s26, s26, exec_lo
	s_or_saveexec_b32 s27, s27
	v_mov_b32_e32 v3, 0x7e00
	s_xor_b32 exec_lo, exec_lo, s27
	s_cbranch_execnz .LBB84_593
.LBB84_573:
	s_or_b32 exec_lo, exec_lo, s27
	s_and_saveexec_b32 s27, s26
	s_cbranch_execz .LBB84_575
.LBB84_574:
	v_and_b32_e32 v3, 0xffff, v4
	s_delay_alu instid0(VALU_DEP_1) | instskip(SKIP_1) | instid1(VALU_DEP_2)
	v_dual_lshlrev_b32 v4, 24, v4 :: v_dual_bitop2_b32 v5, 3, v3 bitop3:0x40
	v_bfe_u32 v9, v3, 2, 5
	v_and_b32_e32 v4, 0x80000000, v4
	s_delay_alu instid0(VALU_DEP_3) | instskip(NEXT) | instid1(VALU_DEP_3)
	v_clz_i32_u32_e32 v7, v5
	v_cmp_eq_u32_e32 vcc_lo, 0, v9
	s_delay_alu instid0(VALU_DEP_2) | instskip(NEXT) | instid1(VALU_DEP_1)
	v_min_u32_e32 v7, 32, v7
	v_subrev_nc_u32_e32 v8, 29, v7
	v_sub_nc_u32_e32 v7, 30, v7
	s_delay_alu instid0(VALU_DEP_2) | instskip(NEXT) | instid1(VALU_DEP_2)
	v_lshlrev_b32_e32 v3, v8, v3
	v_cndmask_b32_e32 v7, v9, v7, vcc_lo
	s_delay_alu instid0(VALU_DEP_2) | instskip(NEXT) | instid1(VALU_DEP_1)
	v_and_b32_e32 v3, 3, v3
	v_cndmask_b32_e32 v3, v5, v3, vcc_lo
	s_delay_alu instid0(VALU_DEP_3) | instskip(NEXT) | instid1(VALU_DEP_2)
	v_lshl_add_u32 v5, v7, 23, 0x37800000
	v_lshlrev_b32_e32 v3, 21, v3
	s_delay_alu instid0(VALU_DEP_1) | instskip(NEXT) | instid1(VALU_DEP_1)
	v_or3_b32 v3, v4, v5, v3
	v_cvt_f16_f32_e32 v3, v3
.LBB84_575:
	s_or_b32 exec_lo, exec_lo, s27
	s_mov_b32 s26, 0
	s_branch .LBB84_581
.LBB84_576:
	s_mov_b32 s27, -1
                                        ; implicit-def: $vgpr3
	s_branch .LBB84_587
.LBB84_577:
	s_or_saveexec_b32 s27, s27
	v_mov_b32_e32 v3, 0x7e00
	s_xor_b32 exec_lo, exec_lo, s27
	s_cbranch_execz .LBB84_560
.LBB84_578:
	v_cmp_ne_u16_e32 vcc_lo, 0, v4
	v_mov_b32_e32 v3, v4
	s_and_not1_b32 s26, s26, exec_lo
	s_and_b32 s28, vcc_lo, exec_lo
	s_delay_alu instid0(SALU_CYCLE_1)
	s_or_b32 s26, s26, s28
	s_or_b32 exec_lo, exec_lo, s27
	s_and_saveexec_b32 s27, s26
	s_cbranch_execnz .LBB84_561
	s_branch .LBB84_562
.LBB84_579:
	s_mov_b32 s26, -1
                                        ; implicit-def: $vgpr3
	s_branch .LBB84_584
.LBB84_580:
	s_mov_b32 s26, -1
                                        ; implicit-def: $vgpr3
.LBB84_581:
	s_delay_alu instid0(SALU_CYCLE_1)
	s_and_b32 vcc_lo, exec_lo, s26
	s_cbranch_vccz .LBB84_583
; %bb.582:
	s_wait_loadcnt 0x0
	global_load_u8 v3, v[0:1], off
	s_wait_loadcnt 0x0
	v_lshlrev_b32_e32 v3, 24, v3
	s_delay_alu instid0(VALU_DEP_1) | instskip(NEXT) | instid1(VALU_DEP_1)
	v_and_b32_e32 v4, 0x7f000000, v3
	v_clz_i32_u32_e32 v5, v4
	v_add_nc_u32_e32 v8, 0x1000000, v4
	v_cmp_ne_u32_e32 vcc_lo, 0, v4
	s_delay_alu instid0(VALU_DEP_3) | instskip(NEXT) | instid1(VALU_DEP_1)
	v_min_u32_e32 v5, 32, v5
	v_sub_nc_u32_e64 v5, v5, 4 clamp
	s_delay_alu instid0(VALU_DEP_1) | instskip(NEXT) | instid1(VALU_DEP_1)
	v_dual_lshlrev_b32 v7, v5, v4 :: v_dual_lshlrev_b32 v5, 23, v5
	v_lshrrev_b32_e32 v7, 4, v7
	s_delay_alu instid0(VALU_DEP_1) | instskip(NEXT) | instid1(VALU_DEP_1)
	v_dual_sub_nc_u32 v5, v7, v5 :: v_dual_ashrrev_i32 v7, 8, v8
	v_add_nc_u32_e32 v5, 0x3c000000, v5
	s_delay_alu instid0(VALU_DEP_1) | instskip(NEXT) | instid1(VALU_DEP_1)
	v_and_or_b32 v5, 0x7f800000, v7, v5
	v_cndmask_b32_e32 v4, 0, v5, vcc_lo
	s_delay_alu instid0(VALU_DEP_1) | instskip(NEXT) | instid1(VALU_DEP_1)
	v_and_or_b32 v3, 0x80000000, v3, v4
	v_cvt_f16_f32_e32 v3, v3
.LBB84_583:
	s_mov_b32 s26, 0
.LBB84_584:
	s_delay_alu instid0(SALU_CYCLE_1)
	s_and_not1_b32 vcc_lo, exec_lo, s26
	s_cbranch_vccnz .LBB84_586
; %bb.585:
	s_wait_loadcnt 0x0
	global_load_u8 v3, v[0:1], off
	s_wait_loadcnt 0x0
	v_lshlrev_b32_e32 v4, 25, v3
	v_lshlrev_b16 v3, 8, v3
	s_delay_alu instid0(VALU_DEP_1) | instskip(NEXT) | instid1(VALU_DEP_3)
	v_and_or_b32 v7, 0x7f00, v3, 0.5
	v_lshrrev_b32_e32 v5, 4, v4
	v_bfe_i32 v3, v3, 0, 16
	s_delay_alu instid0(VALU_DEP_3) | instskip(NEXT) | instid1(VALU_DEP_3)
	v_add_f32_e32 v7, -0.5, v7
	v_or_b32_e32 v5, 0x70000000, v5
	s_delay_alu instid0(VALU_DEP_1) | instskip(SKIP_1) | instid1(VALU_DEP_2)
	v_mul_f32_e32 v5, 0x7800000, v5
	v_cmp_gt_u32_e32 vcc_lo, 0x8000000, v4
	v_cndmask_b32_e32 v4, v5, v7, vcc_lo
	s_delay_alu instid0(VALU_DEP_1) | instskip(NEXT) | instid1(VALU_DEP_1)
	v_and_or_b32 v3, 0x80000000, v3, v4
	v_cvt_f16_f32_e32 v3, v3
.LBB84_586:
	s_mov_b32 s27, 0
	s_mov_b32 s26, -1
.LBB84_587:
	s_and_not1_b32 vcc_lo, exec_lo, s27
	s_cbranch_vccnz .LBB84_600
; %bb.588:
	s_cmp_gt_i32 s23, 14
	s_cbranch_scc0 .LBB84_591
; %bb.589:
	s_cmp_eq_u32 s23, 15
	s_cbranch_scc0 .LBB84_594
; %bb.590:
	s_wait_loadcnt 0x0
	global_load_u16 v3, v[0:1], off
	s_mov_b32 s26, -1
	s_mov_b32 s24, 0
	s_wait_loadcnt 0x0
	v_lshlrev_b32_e32 v3, 16, v3
	s_delay_alu instid0(VALU_DEP_1)
	v_cvt_f16_f32_e32 v3, v3
	s_branch .LBB84_595
.LBB84_591:
	s_mov_b32 s27, -1
                                        ; implicit-def: $vgpr3
	s_branch .LBB84_596
.LBB84_592:
	s_or_saveexec_b32 s27, s27
	v_mov_b32_e32 v3, 0x7e00
	s_xor_b32 exec_lo, exec_lo, s27
	s_cbranch_execz .LBB84_573
.LBB84_593:
	v_cmp_ne_u16_e32 vcc_lo, 0, v4
	v_mov_b32_e32 v3, v4
	s_and_not1_b32 s26, s26, exec_lo
	s_and_b32 s28, vcc_lo, exec_lo
	s_delay_alu instid0(SALU_CYCLE_1)
	s_or_b32 s26, s26, s28
	s_or_b32 exec_lo, exec_lo, s27
	s_and_saveexec_b32 s27, s26
	s_cbranch_execnz .LBB84_574
	s_branch .LBB84_575
.LBB84_594:
	s_mov_b32 s24, -1
                                        ; implicit-def: $vgpr3
.LBB84_595:
	s_mov_b32 s27, 0
.LBB84_596:
	s_delay_alu instid0(SALU_CYCLE_1)
	s_and_b32 vcc_lo, exec_lo, s27
	s_cbranch_vccz .LBB84_600
; %bb.597:
	s_cmp_eq_u32 s23, 11
	s_cbranch_scc0 .LBB84_599
; %bb.598:
	s_wait_loadcnt 0x0
	global_load_u8 v3, v[0:1], off
	s_mov_b32 s24, 0
	s_mov_b32 s26, -1
	s_wait_loadcnt 0x0
	v_cmp_ne_u16_e32 vcc_lo, 0, v3
	v_cndmask_b32_e64 v3, 0, 0x3c00, vcc_lo
	s_branch .LBB84_600
.LBB84_599:
	s_mov_b32 s24, -1
                                        ; implicit-def: $vgpr3
.LBB84_600:
	s_mov_b32 s23, 0
.LBB84_601:
	s_delay_alu instid0(SALU_CYCLE_1)
	s_and_b32 vcc_lo, exec_lo, s23
	s_cbranch_vccz .LBB84_650
; %bb.602:
	s_and_b32 s0, 0xffff, s0
	s_delay_alu instid0(SALU_CYCLE_1)
	s_cmp_lt_i32 s0, 5
	s_cbranch_scc1 .LBB84_607
; %bb.603:
	s_cmp_lt_i32 s0, 8
	s_cbranch_scc1 .LBB84_608
; %bb.604:
	;; [unrolled: 3-line block ×3, first 2 shown]
	s_cmp_gt_i32 s0, 9
	s_cbranch_scc0 .LBB84_610
; %bb.606:
	global_load_b64 v[4:5], v[0:1], off
	s_mov_b32 s23, 0
	s_wait_loadcnt 0x0
	v_and_or_b32 v3, 0x1ff, v5, v4
	v_lshrrev_b32_e32 v4, 8, v5
	v_bfe_u32 v7, v5, 20, 11
	s_delay_alu instid0(VALU_DEP_3) | instskip(NEXT) | instid1(VALU_DEP_2)
	v_cmp_ne_u32_e32 vcc_lo, 0, v3
	v_sub_nc_u32_e32 v8, 0x3f1, v7
	v_cndmask_b32_e64 v3, 0, 1, vcc_lo
	s_delay_alu instid0(VALU_DEP_1) | instskip(NEXT) | instid1(VALU_DEP_3)
	v_and_or_b32 v3, 0xffe, v4, v3
	v_med3_i32 v4, v8, 0, 13
	s_delay_alu instid0(VALU_DEP_2) | instskip(NEXT) | instid1(VALU_DEP_1)
	v_or_b32_e32 v8, 0x1000, v3
	v_lshrrev_b32_e32 v9, v4, v8
	s_delay_alu instid0(VALU_DEP_1) | instskip(NEXT) | instid1(VALU_DEP_1)
	v_lshlrev_b32_e32 v4, v4, v9
	v_cmp_ne_u32_e32 vcc_lo, v4, v8
	v_cndmask_b32_e64 v4, 0, 1, vcc_lo
	s_delay_alu instid0(VALU_DEP_1) | instskip(SKIP_1) | instid1(VALU_DEP_1)
	v_or_b32_e32 v4, v9, v4
	v_add_nc_u32_e32 v7, 0xfffffc10, v7
	v_lshl_or_b32 v8, v7, 12, v3
	v_cmp_gt_i32_e32 vcc_lo, 1, v7
	s_delay_alu instid0(VALU_DEP_2) | instskip(NEXT) | instid1(VALU_DEP_1)
	v_cndmask_b32_e32 v4, v8, v4, vcc_lo
	v_dual_lshrrev_b32 v4, 2, v4 :: v_dual_bitop2_b32 v8, 7, v4 bitop3:0x40
	s_delay_alu instid0(VALU_DEP_1) | instskip(SKIP_4) | instid1(VALU_DEP_2)
	v_cmp_lt_i32_e32 vcc_lo, 5, v8
	v_cndmask_b32_e64 v9, 0, 1, vcc_lo
	v_cmp_eq_u32_e32 vcc_lo, 3, v8
	v_cndmask_b32_e64 v8, 0, 1, vcc_lo
	v_cmp_ne_u32_e32 vcc_lo, 0, v3
	v_or_b32_e32 v8, v8, v9
	s_delay_alu instid0(VALU_DEP_1) | instskip(NEXT) | instid1(VALU_DEP_1)
	v_dual_mov_b32 v9, 0x7e00 :: v_dual_add_nc_u32 v4, v4, v8
	v_cndmask_b32_e32 v3, 0x7c00, v9, vcc_lo
	v_cmp_gt_i32_e32 vcc_lo, 31, v7
	s_delay_alu instid0(VALU_DEP_3) | instskip(SKIP_1) | instid1(VALU_DEP_2)
	v_cndmask_b32_e32 v4, 0x7c00, v4, vcc_lo
	v_cmp_eq_u32_e32 vcc_lo, 0x40f, v7
	v_dual_cndmask_b32 v3, v4, v3 :: v_dual_lshrrev_b32 v4, 16, v5
	s_delay_alu instid0(VALU_DEP_1)
	v_and_or_b32 v3, 0x8000, v4, v3
	s_branch .LBB84_611
.LBB84_607:
	s_mov_b32 s23, -1
                                        ; implicit-def: $vgpr3
	s_branch .LBB84_629
.LBB84_608:
	s_mov_b32 s23, -1
                                        ; implicit-def: $vgpr3
	s_branch .LBB84_617
.LBB84_609:
	s_mov_b32 s23, -1
                                        ; implicit-def: $vgpr3
	s_branch .LBB84_614
.LBB84_610:
	s_mov_b32 s23, -1
                                        ; implicit-def: $vgpr3
.LBB84_611:
	s_delay_alu instid0(SALU_CYCLE_1)
	s_and_not1_b32 vcc_lo, exec_lo, s23
	s_cbranch_vccnz .LBB84_613
; %bb.612:
	s_wait_loadcnt 0x0
	global_load_b32 v3, v[0:1], off
	s_wait_loadcnt 0x0
	v_cvt_f16_f32_e32 v3, v3
.LBB84_613:
	s_mov_b32 s23, 0
.LBB84_614:
	s_delay_alu instid0(SALU_CYCLE_1)
	s_and_not1_b32 vcc_lo, exec_lo, s23
	s_cbranch_vccnz .LBB84_616
; %bb.615:
	s_wait_loadcnt 0x0
	global_load_b32 v3, v[0:1], off
.LBB84_616:
	s_mov_b32 s23, 0
.LBB84_617:
	s_delay_alu instid0(SALU_CYCLE_1)
	s_and_not1_b32 vcc_lo, exec_lo, s23
	s_cbranch_vccnz .LBB84_628
; %bb.618:
	s_cmp_lt_i32 s0, 6
	s_cbranch_scc1 .LBB84_621
; %bb.619:
	s_cmp_gt_i32 s0, 6
	s_cbranch_scc0 .LBB84_622
; %bb.620:
	global_load_b64 v[4:5], v[0:1], off
	s_mov_b32 s23, 0
	s_wait_loadcnt 0x0
	v_and_or_b32 v3, 0x1ff, v5, v4
	v_lshrrev_b32_e32 v4, 8, v5
	v_bfe_u32 v7, v5, 20, 11
	s_delay_alu instid0(VALU_DEP_3) | instskip(NEXT) | instid1(VALU_DEP_2)
	v_cmp_ne_u32_e32 vcc_lo, 0, v3
	v_sub_nc_u32_e32 v8, 0x3f1, v7
	v_cndmask_b32_e64 v3, 0, 1, vcc_lo
	s_delay_alu instid0(VALU_DEP_1) | instskip(NEXT) | instid1(VALU_DEP_3)
	v_and_or_b32 v3, 0xffe, v4, v3
	v_med3_i32 v4, v8, 0, 13
	s_delay_alu instid0(VALU_DEP_2) | instskip(NEXT) | instid1(VALU_DEP_1)
	v_or_b32_e32 v8, 0x1000, v3
	v_lshrrev_b32_e32 v9, v4, v8
	s_delay_alu instid0(VALU_DEP_1) | instskip(NEXT) | instid1(VALU_DEP_1)
	v_lshlrev_b32_e32 v4, v4, v9
	v_cmp_ne_u32_e32 vcc_lo, v4, v8
	v_cndmask_b32_e64 v4, 0, 1, vcc_lo
	s_delay_alu instid0(VALU_DEP_1) | instskip(SKIP_1) | instid1(VALU_DEP_1)
	v_or_b32_e32 v4, v9, v4
	v_add_nc_u32_e32 v7, 0xfffffc10, v7
	v_lshl_or_b32 v8, v7, 12, v3
	v_cmp_gt_i32_e32 vcc_lo, 1, v7
	s_delay_alu instid0(VALU_DEP_2) | instskip(NEXT) | instid1(VALU_DEP_1)
	v_cndmask_b32_e32 v4, v8, v4, vcc_lo
	v_dual_lshrrev_b32 v4, 2, v4 :: v_dual_bitop2_b32 v8, 7, v4 bitop3:0x40
	s_delay_alu instid0(VALU_DEP_1) | instskip(SKIP_4) | instid1(VALU_DEP_2)
	v_cmp_lt_i32_e32 vcc_lo, 5, v8
	v_cndmask_b32_e64 v9, 0, 1, vcc_lo
	v_cmp_eq_u32_e32 vcc_lo, 3, v8
	v_cndmask_b32_e64 v8, 0, 1, vcc_lo
	v_cmp_ne_u32_e32 vcc_lo, 0, v3
	v_or_b32_e32 v8, v8, v9
	s_delay_alu instid0(VALU_DEP_1) | instskip(NEXT) | instid1(VALU_DEP_1)
	v_dual_mov_b32 v9, 0x7e00 :: v_dual_add_nc_u32 v4, v4, v8
	v_cndmask_b32_e32 v3, 0x7c00, v9, vcc_lo
	v_cmp_gt_i32_e32 vcc_lo, 31, v7
	s_delay_alu instid0(VALU_DEP_3) | instskip(SKIP_1) | instid1(VALU_DEP_2)
	v_cndmask_b32_e32 v4, 0x7c00, v4, vcc_lo
	v_cmp_eq_u32_e32 vcc_lo, 0x40f, v7
	v_dual_cndmask_b32 v3, v4, v3 :: v_dual_lshrrev_b32 v4, 16, v5
	s_delay_alu instid0(VALU_DEP_1)
	v_and_or_b32 v3, 0x8000, v4, v3
	s_branch .LBB84_623
.LBB84_621:
	s_mov_b32 s23, -1
                                        ; implicit-def: $vgpr3
	s_branch .LBB84_626
.LBB84_622:
	s_mov_b32 s23, -1
                                        ; implicit-def: $vgpr3
.LBB84_623:
	s_delay_alu instid0(SALU_CYCLE_1)
	s_and_not1_b32 vcc_lo, exec_lo, s23
	s_cbranch_vccnz .LBB84_625
; %bb.624:
	s_wait_loadcnt 0x0
	global_load_b32 v3, v[0:1], off
	s_wait_loadcnt 0x0
	v_cvt_f16_f32_e32 v3, v3
.LBB84_625:
	s_mov_b32 s23, 0
.LBB84_626:
	s_delay_alu instid0(SALU_CYCLE_1)
	s_and_not1_b32 vcc_lo, exec_lo, s23
	s_cbranch_vccnz .LBB84_628
; %bb.627:
	s_wait_loadcnt 0x0
	global_load_u16 v3, v[0:1], off
.LBB84_628:
	s_mov_b32 s23, 0
.LBB84_629:
	s_delay_alu instid0(SALU_CYCLE_1)
	s_and_not1_b32 vcc_lo, exec_lo, s23
	s_cbranch_vccnz .LBB84_649
; %bb.630:
	s_cmp_lt_i32 s0, 2
	s_cbranch_scc1 .LBB84_634
; %bb.631:
	s_cmp_lt_i32 s0, 3
	s_cbranch_scc1 .LBB84_635
; %bb.632:
	s_cmp_gt_i32 s0, 3
	s_cbranch_scc0 .LBB84_636
; %bb.633:
	global_load_b64 v[4:5], v[0:1], off
	s_mov_b32 s23, 0
	s_wait_loadcnt 0x0
	v_xor_b32_e32 v3, v4, v5
	v_cls_i32_e32 v7, v5
	s_delay_alu instid0(VALU_DEP_2) | instskip(NEXT) | instid1(VALU_DEP_1)
	v_ashrrev_i32_e32 v3, 31, v3
	v_add_nc_u32_e32 v3, 32, v3
	s_delay_alu instid0(VALU_DEP_1) | instskip(NEXT) | instid1(VALU_DEP_1)
	v_add_min_u32_e64 v3, v7, -1, v3
	v_lshlrev_b64_e32 v[4:5], v3, v[4:5]
	v_sub_nc_u32_e32 v3, 32, v3
	s_delay_alu instid0(VALU_DEP_2) | instskip(NEXT) | instid1(VALU_DEP_1)
	v_min_u32_e32 v4, 1, v4
	v_or_b32_e32 v4, v5, v4
	s_delay_alu instid0(VALU_DEP_1) | instskip(NEXT) | instid1(VALU_DEP_1)
	v_cvt_f32_i32_e32 v4, v4
	v_ldexp_f32 v3, v4, v3
	s_delay_alu instid0(VALU_DEP_1)
	v_cvt_f16_f32_e32 v3, v3
	s_branch .LBB84_637
.LBB84_634:
	s_mov_b32 s23, -1
                                        ; implicit-def: $vgpr3
	s_branch .LBB84_643
.LBB84_635:
	s_mov_b32 s23, -1
                                        ; implicit-def: $vgpr3
	s_branch .LBB84_640
.LBB84_636:
	s_mov_b32 s23, -1
                                        ; implicit-def: $vgpr3
.LBB84_637:
	s_delay_alu instid0(SALU_CYCLE_1)
	s_and_not1_b32 vcc_lo, exec_lo, s23
	s_cbranch_vccnz .LBB84_639
; %bb.638:
	s_wait_loadcnt 0x0
	global_load_b32 v3, v[0:1], off
	s_wait_loadcnt 0x0
	v_cvt_f32_i32_e32 v3, v3
	s_delay_alu instid0(VALU_DEP_1)
	v_cvt_f16_f32_e32 v3, v3
.LBB84_639:
	s_mov_b32 s23, 0
.LBB84_640:
	s_delay_alu instid0(SALU_CYCLE_1)
	s_and_not1_b32 vcc_lo, exec_lo, s23
	s_cbranch_vccnz .LBB84_642
; %bb.641:
	s_wait_loadcnt 0x0
	global_load_u16 v3, v[0:1], off
	s_wait_loadcnt 0x0
	v_cvt_f16_i16_e32 v3, v3
.LBB84_642:
	s_mov_b32 s23, 0
.LBB84_643:
	s_delay_alu instid0(SALU_CYCLE_1)
	s_and_not1_b32 vcc_lo, exec_lo, s23
	s_cbranch_vccnz .LBB84_649
; %bb.644:
	s_cmp_gt_i32 s0, 0
	s_mov_b32 s0, 0
	s_cbranch_scc0 .LBB84_646
; %bb.645:
	s_wait_loadcnt 0x0
	global_load_i8 v3, v[0:1], off
	s_wait_loadcnt 0x0
	v_cvt_f16_i16_e32 v3, v3
	s_branch .LBB84_647
.LBB84_646:
	s_mov_b32 s0, -1
                                        ; implicit-def: $vgpr3
.LBB84_647:
	s_delay_alu instid0(SALU_CYCLE_1)
	s_and_not1_b32 vcc_lo, exec_lo, s0
	s_cbranch_vccnz .LBB84_649
; %bb.648:
	global_load_u8 v0, v[0:1], off
	s_wait_loadcnt 0x0
	v_cvt_f16_u16_e32 v3, v0
.LBB84_649:
	s_mov_b32 s26, -1
.LBB84_650:
	s_delay_alu instid0(SALU_CYCLE_1)
	s_and_not1_b32 vcc_lo, exec_lo, s26
	s_cbranch_vccnz .LBB84_660
; %bb.651:
	s_wait_loadcnt 0x0
	v_cvt_f32_f16_e32 v0, v3
	s_mov_b32 s0, exec_lo
	s_delay_alu instid0(VALU_DEP_1) | instskip(NEXT) | instid1(VALU_DEP_1)
	v_mul_f32_e32 v0, s11, v0
	v_cmpx_nlt_f32_e32 s2, v0
	s_cbranch_execz .LBB84_653
; %bb.652:
	v_mul_f32_e32 v1, 0x3fb8aa3b, v0
	v_cmp_ngt_f32_e32 vcc_lo, 0xc2ce8ed0, v0
	v_cvt_f32_f16_e32 v2, v2
	s_delay_alu instid0(VALU_DEP_3) | instskip(SKIP_1) | instid1(VALU_DEP_1)
	v_rndne_f32_e32 v3, v1
	v_fma_f32 v4, 0x3fb8aa3b, v0, -v1
	v_dual_sub_f32 v1, v1, v3 :: v_dual_fmamk_f32 v4, v0, 0x32a5705f, v4
	v_cvt_i32_f32_e32 v3, v3
	s_delay_alu instid0(VALU_DEP_2) | instskip(NEXT) | instid1(VALU_DEP_1)
	v_add_f32_e32 v1, v1, v4
	v_exp_f32_e32 v1, v1
	v_nop
	s_delay_alu instid0(TRANS32_DEP_1) | instskip(NEXT) | instid1(VALU_DEP_1)
	v_ldexp_f32 v1, v1, v3
	v_cndmask_b32_e32 v1, 0, v1, vcc_lo
	v_cmp_nlt_f32_e32 vcc_lo, 0x42b17218, v0
	s_delay_alu instid0(VALU_DEP_2) | instskip(NEXT) | instid1(VALU_DEP_1)
	v_cndmask_b32_e32 v0, 0x7f800000, v1, vcc_lo
	v_dual_mul_f32 v1, v0, v2 :: v_dual_add_f32 v0, 1.0, v0
	s_delay_alu instid0(VALU_DEP_1) | instskip(NEXT) | instid1(VALU_DEP_1)
	v_div_scale_f32 v2, null, v0, v0, v1
	v_rcp_f32_e32 v3, v2
	v_nop
	s_delay_alu instid0(TRANS32_DEP_1) | instskip(NEXT) | instid1(VALU_DEP_1)
	v_fma_f32 v4, -v2, v3, 1.0
	v_fmac_f32_e32 v3, v4, v3
	v_div_scale_f32 v4, vcc_lo, v1, v0, v1
	s_delay_alu instid0(VALU_DEP_1) | instskip(NEXT) | instid1(VALU_DEP_1)
	v_mul_f32_e32 v5, v4, v3
	v_fma_f32 v7, -v2, v5, v4
	s_delay_alu instid0(VALU_DEP_1) | instskip(NEXT) | instid1(VALU_DEP_1)
	v_fmac_f32_e32 v5, v7, v3
	v_fma_f32 v2, -v2, v5, v4
	s_delay_alu instid0(VALU_DEP_1) | instskip(NEXT) | instid1(VALU_DEP_1)
	v_div_fmas_f32 v2, v2, v3, v5
	v_div_fixup_f32 v0, v2, v0, v1
	s_delay_alu instid0(VALU_DEP_1)
	v_cvt_f16_f32_e32 v2, v0
.LBB84_653:
	s_or_b32 exec_lo, exec_lo, s0
	v_mul_lo_u32 v0, v6, s8
	s_and_b32 s23, s3, 0xff
	s_delay_alu instid0(SALU_CYCLE_1) | instskip(NEXT) | instid1(VALU_DEP_1)
	s_cmp_lt_i32 s23, 11
	v_ashrrev_i32_e32 v1, 31, v0
	s_delay_alu instid0(VALU_DEP_1)
	v_add_nc_u64_e32 v[0:1], s[4:5], v[0:1]
	s_cbranch_scc1 .LBB84_661
; %bb.654:
	s_and_b32 s26, 0xffff, s23
	s_delay_alu instid0(SALU_CYCLE_1)
	s_cmp_gt_i32 s26, 25
	s_cbranch_scc0 .LBB84_662
; %bb.655:
	s_cmp_gt_i32 s26, 28
	s_cbranch_scc0 .LBB84_663
; %bb.656:
	;; [unrolled: 3-line block ×4, first 2 shown]
	s_mov_b32 s28, 0
	s_mov_b32 s0, -1
	s_cmp_eq_u32 s26, 46
	s_mov_b32 s27, 0
	s_cbranch_scc0 .LBB84_666
; %bb.659:
	v_cvt_f32_f16_e32 v3, v2
	v_cmp_o_f16_e32 vcc_lo, v2, v2
	s_mov_b32 s27, -1
	s_mov_b32 s0, 0
	s_delay_alu instid0(VALU_DEP_2) | instskip(NEXT) | instid1(VALU_DEP_1)
	v_bfe_u32 v4, v3, 16, 1
	v_add3_u32 v3, v3, v4, 0x7fff
	s_delay_alu instid0(VALU_DEP_1) | instskip(NEXT) | instid1(VALU_DEP_1)
	v_lshrrev_b32_e32 v3, 16, v3
	v_cndmask_b32_e32 v3, 0x7fc0, v3, vcc_lo
	global_store_b32 v[0:1], v3, off
	s_branch .LBB84_666
.LBB84_660:
	s_mov_b32 s26, 0
	s_mov_b32 s0, s17
	s_branch .LBB84_777
.LBB84_661:
	s_mov_b32 s26, -1
	s_mov_b32 s27, 0
	s_mov_b32 s0, s17
	s_branch .LBB84_735
.LBB84_662:
	s_mov_b32 s28, -1
	s_mov_b32 s27, 0
	s_mov_b32 s0, s17
	s_branch .LBB84_693
.LBB84_663:
	s_mov_b32 s28, -1
	s_mov_b32 s27, 0
	s_mov_b32 s0, s17
	s_branch .LBB84_676
.LBB84_664:
	s_mov_b32 s28, -1
	s_mov_b32 s27, 0
	s_mov_b32 s0, s17
	s_branch .LBB84_672
.LBB84_665:
	s_mov_b32 s28, -1
	s_mov_b32 s27, 0
	s_mov_b32 s0, s17
.LBB84_666:
	s_and_b32 vcc_lo, exec_lo, s28
	s_cbranch_vccz .LBB84_671
; %bb.667:
	s_cmp_eq_u32 s26, 44
	s_mov_b32 s0, -1
	s_cbranch_scc0 .LBB84_671
; %bb.668:
	s_wait_xcnt 0x0
	v_cvt_f32_f16_e32 v3, v2
	v_mov_b32_e32 v4, 0xff
	s_mov_b32 s27, exec_lo
	s_delay_alu instid0(VALU_DEP_2) | instskip(NEXT) | instid1(VALU_DEP_1)
	v_bfe_u32 v5, v3, 23, 8
	v_cmpx_ne_u32_e32 0xff, v5
	s_cbranch_execz .LBB84_670
; %bb.669:
	v_and_b32_e32 v4, 0x400000, v3
	v_and_or_b32 v5, 0x3fffff, v3, v5
	v_lshrrev_b32_e32 v3, 23, v3
	s_delay_alu instid0(VALU_DEP_3) | instskip(NEXT) | instid1(VALU_DEP_3)
	v_cmp_ne_u32_e32 vcc_lo, 0, v4
	v_cmp_ne_u32_e64 s0, 0, v5
	s_and_b32 s0, vcc_lo, s0
	s_delay_alu instid0(SALU_CYCLE_1) | instskip(NEXT) | instid1(VALU_DEP_1)
	v_cndmask_b32_e64 v4, 0, 1, s0
	v_add_nc_u32_e32 v4, v3, v4
.LBB84_670:
	s_or_b32 exec_lo, exec_lo, s27
	s_mov_b32 s27, -1
	s_mov_b32 s0, 0
	global_store_b8 v[0:1], v4, off
.LBB84_671:
	s_mov_b32 s28, 0
.LBB84_672:
	s_delay_alu instid0(SALU_CYCLE_1)
	s_and_b32 vcc_lo, exec_lo, s28
	s_cbranch_vccz .LBB84_675
; %bb.673:
	s_cmp_eq_u32 s26, 29
	s_mov_b32 s0, -1
	s_cbranch_scc0 .LBB84_675
; %bb.674:
	s_wait_xcnt 0x0
	v_cvt_f32_f16_e32 v3, v2
	v_mov_b32_e32 v5, 0
	s_mov_b32 s27, -1
	s_mov_b32 s0, 0
	s_mov_b32 s28, 0
	v_cvt_u32_f32_e32 v4, v3
	global_store_b64 v[0:1], v[4:5], off
	s_branch .LBB84_676
.LBB84_675:
	s_mov_b32 s28, 0
.LBB84_676:
	s_delay_alu instid0(SALU_CYCLE_1)
	s_and_b32 vcc_lo, exec_lo, s28
	s_cbranch_vccz .LBB84_692
; %bb.677:
	s_cmp_lt_i32 s26, 27
	s_mov_b32 s27, -1
	s_cbranch_scc1 .LBB84_683
; %bb.678:
	s_cmp_gt_i32 s26, 27
	s_cbranch_scc0 .LBB84_680
; %bb.679:
	s_wait_xcnt 0x0
	v_cvt_f32_f16_e32 v3, v2
	s_mov_b32 s27, 0
	s_delay_alu instid0(VALU_DEP_1)
	v_cvt_u32_f32_e32 v3, v3
	global_store_b32 v[0:1], v3, off
.LBB84_680:
	s_and_not1_b32 vcc_lo, exec_lo, s27
	s_cbranch_vccnz .LBB84_682
; %bb.681:
	s_wait_xcnt 0x0
	v_cvt_u16_f16_e32 v3, v2
	global_store_b16 v[0:1], v3, off
.LBB84_682:
	s_mov_b32 s27, 0
.LBB84_683:
	s_delay_alu instid0(SALU_CYCLE_1)
	s_and_not1_b32 vcc_lo, exec_lo, s27
	s_cbranch_vccnz .LBB84_691
; %bb.684:
	s_wait_xcnt 0x0
	v_cvt_f32_f16_e32 v3, v2
	v_mov_b32_e32 v5, 0x80
	s_mov_b32 s27, exec_lo
	s_delay_alu instid0(VALU_DEP_2) | instskip(NEXT) | instid1(VALU_DEP_1)
	v_and_b32_e32 v4, 0x7fffffff, v3
	v_cmpx_gt_u32_e32 0x43800000, v4
	s_cbranch_execz .LBB84_690
; %bb.685:
	v_cmp_lt_u32_e32 vcc_lo, 0x3bffffff, v4
	s_mov_b32 s28, 0
                                        ; implicit-def: $vgpr4
	s_and_saveexec_b32 s29, vcc_lo
	s_delay_alu instid0(SALU_CYCLE_1)
	s_xor_b32 s29, exec_lo, s29
	s_cbranch_execz .LBB84_793
; %bb.686:
	v_bfe_u32 v4, v3, 20, 1
	s_mov_b32 s28, exec_lo
	s_delay_alu instid0(VALU_DEP_1) | instskip(NEXT) | instid1(VALU_DEP_1)
	v_add3_u32 v4, v3, v4, 0x487ffff
	v_lshrrev_b32_e32 v4, 20, v4
	s_and_not1_saveexec_b32 s29, s29
	s_cbranch_execnz .LBB84_794
.LBB84_687:
	s_or_b32 exec_lo, exec_lo, s29
	v_mov_b32_e32 v5, 0
	s_and_saveexec_b32 s29, s28
.LBB84_688:
	v_lshrrev_b32_e32 v3, 24, v3
	s_delay_alu instid0(VALU_DEP_1)
	v_and_or_b32 v5, 0x80, v3, v4
.LBB84_689:
	s_or_b32 exec_lo, exec_lo, s29
.LBB84_690:
	s_delay_alu instid0(SALU_CYCLE_1)
	s_or_b32 exec_lo, exec_lo, s27
	global_store_b8 v[0:1], v5, off
.LBB84_691:
	s_mov_b32 s27, -1
.LBB84_692:
	s_mov_b32 s28, 0
.LBB84_693:
	s_delay_alu instid0(SALU_CYCLE_1)
	s_and_b32 vcc_lo, exec_lo, s28
	s_cbranch_vccz .LBB84_734
; %bb.694:
	s_cmp_gt_i32 s26, 22
	s_mov_b32 s28, -1
	s_cbranch_scc0 .LBB84_726
; %bb.695:
	s_cmp_lt_i32 s26, 24
	s_mov_b32 s27, -1
	s_cbranch_scc1 .LBB84_715
; %bb.696:
	s_cmp_gt_i32 s26, 24
	s_cbranch_scc0 .LBB84_704
; %bb.697:
	s_wait_xcnt 0x0
	v_cvt_f32_f16_e32 v3, v2
	v_mov_b32_e32 v5, 0x80
	s_mov_b32 s27, exec_lo
	s_delay_alu instid0(VALU_DEP_2) | instskip(NEXT) | instid1(VALU_DEP_1)
	v_and_b32_e32 v4, 0x7fffffff, v3
	v_cmpx_gt_u32_e32 0x47800000, v4
	s_cbranch_execz .LBB84_703
; %bb.698:
	v_cmp_lt_u32_e32 vcc_lo, 0x37ffffff, v4
	s_mov_b32 s28, 0
                                        ; implicit-def: $vgpr4
	s_and_saveexec_b32 s29, vcc_lo
	s_delay_alu instid0(SALU_CYCLE_1)
	s_xor_b32 s29, exec_lo, s29
	s_cbranch_execz .LBB84_925
; %bb.699:
	v_bfe_u32 v4, v3, 21, 1
	s_mov_b32 s28, exec_lo
	s_delay_alu instid0(VALU_DEP_1) | instskip(NEXT) | instid1(VALU_DEP_1)
	v_add3_u32 v4, v3, v4, 0x88fffff
	v_lshrrev_b32_e32 v4, 21, v4
	s_and_not1_saveexec_b32 s29, s29
	s_cbranch_execnz .LBB84_926
.LBB84_700:
	s_or_b32 exec_lo, exec_lo, s29
	v_mov_b32_e32 v5, 0
	s_and_saveexec_b32 s29, s28
.LBB84_701:
	v_lshrrev_b32_e32 v3, 24, v3
	s_delay_alu instid0(VALU_DEP_1)
	v_and_or_b32 v5, 0x80, v3, v4
.LBB84_702:
	s_or_b32 exec_lo, exec_lo, s29
.LBB84_703:
	s_delay_alu instid0(SALU_CYCLE_1)
	s_or_b32 exec_lo, exec_lo, s27
	s_mov_b32 s27, 0
	global_store_b8 v[0:1], v5, off
.LBB84_704:
	s_and_b32 vcc_lo, exec_lo, s27
	s_cbranch_vccz .LBB84_714
; %bb.705:
	s_wait_xcnt 0x0
	v_cvt_f32_f16_e32 v3, v2
	s_mov_b32 s27, exec_lo
                                        ; implicit-def: $vgpr4
	s_delay_alu instid0(VALU_DEP_1) | instskip(NEXT) | instid1(VALU_DEP_1)
	v_and_b32_e32 v5, 0x7fffffff, v3
	v_cmpx_gt_u32_e32 0x43f00000, v5
	s_xor_b32 s27, exec_lo, s27
	s_cbranch_execz .LBB84_711
; %bb.706:
	s_mov_b32 s28, exec_lo
                                        ; implicit-def: $vgpr4
	v_cmpx_lt_u32_e32 0x3c7fffff, v5
	s_xor_b32 s28, exec_lo, s28
; %bb.707:
	v_bfe_u32 v4, v3, 20, 1
	s_delay_alu instid0(VALU_DEP_1) | instskip(NEXT) | instid1(VALU_DEP_1)
	v_add3_u32 v4, v3, v4, 0x407ffff
	v_and_b32_e32 v5, 0xff00000, v4
	v_lshrrev_b32_e32 v4, 20, v4
	s_delay_alu instid0(VALU_DEP_2) | instskip(NEXT) | instid1(VALU_DEP_2)
	v_cmp_ne_u32_e32 vcc_lo, 0x7f00000, v5
	v_cndmask_b32_e32 v4, 0x7e, v4, vcc_lo
; %bb.708:
	s_and_not1_saveexec_b32 s28, s28
; %bb.709:
	v_add_f32_e64 v4, 0x46800000, |v3|
; %bb.710:
	s_or_b32 exec_lo, exec_lo, s28
                                        ; implicit-def: $vgpr5
.LBB84_711:
	s_and_not1_saveexec_b32 s27, s27
; %bb.712:
	v_mov_b32_e32 v4, 0x7f
	v_cmp_lt_u32_e32 vcc_lo, 0x7f800000, v5
	s_delay_alu instid0(VALU_DEP_2)
	v_cndmask_b32_e32 v4, 0x7e, v4, vcc_lo
; %bb.713:
	s_or_b32 exec_lo, exec_lo, s27
	v_lshrrev_b32_e32 v3, 24, v3
	s_delay_alu instid0(VALU_DEP_1)
	v_and_or_b32 v3, 0x80, v3, v4
	global_store_b8 v[0:1], v3, off
.LBB84_714:
	s_mov_b32 s27, 0
.LBB84_715:
	s_delay_alu instid0(SALU_CYCLE_1)
	s_and_not1_b32 vcc_lo, exec_lo, s27
	s_cbranch_vccnz .LBB84_725
; %bb.716:
	s_wait_xcnt 0x0
	v_cvt_f32_f16_e32 v3, v2
	s_mov_b32 s27, exec_lo
                                        ; implicit-def: $vgpr4
	s_delay_alu instid0(VALU_DEP_1) | instskip(NEXT) | instid1(VALU_DEP_1)
	v_and_b32_e32 v5, 0x7fffffff, v3
	v_cmpx_gt_u32_e32 0x47800000, v5
	s_xor_b32 s27, exec_lo, s27
	s_cbranch_execz .LBB84_722
; %bb.717:
	s_mov_b32 s28, exec_lo
                                        ; implicit-def: $vgpr4
	v_cmpx_lt_u32_e32 0x387fffff, v5
	s_xor_b32 s28, exec_lo, s28
; %bb.718:
	v_bfe_u32 v4, v3, 21, 1
	s_delay_alu instid0(VALU_DEP_1) | instskip(NEXT) | instid1(VALU_DEP_1)
	v_add3_u32 v4, v3, v4, 0x80fffff
	v_lshrrev_b32_e32 v4, 21, v4
; %bb.719:
	s_and_not1_saveexec_b32 s28, s28
; %bb.720:
	v_add_f32_e64 v4, 0x43000000, |v3|
; %bb.721:
	s_or_b32 exec_lo, exec_lo, s28
                                        ; implicit-def: $vgpr5
.LBB84_722:
	s_and_not1_saveexec_b32 s27, s27
; %bb.723:
	v_mov_b32_e32 v4, 0x7f
	v_cmp_lt_u32_e32 vcc_lo, 0x7f800000, v5
	s_delay_alu instid0(VALU_DEP_2)
	v_cndmask_b32_e32 v4, 0x7c, v4, vcc_lo
; %bb.724:
	s_or_b32 exec_lo, exec_lo, s27
	v_lshrrev_b32_e32 v3, 24, v3
	s_delay_alu instid0(VALU_DEP_1)
	v_and_or_b32 v3, 0x80, v3, v4
	global_store_b8 v[0:1], v3, off
.LBB84_725:
	s_mov_b32 s28, 0
	s_mov_b32 s27, -1
.LBB84_726:
	s_and_not1_b32 vcc_lo, exec_lo, s28
	s_cbranch_vccnz .LBB84_734
; %bb.727:
	s_cmp_gt_i32 s26, 14
	s_mov_b32 s28, -1
	s_cbranch_scc0 .LBB84_731
; %bb.728:
	s_cmp_eq_u32 s26, 15
	s_mov_b32 s0, -1
	s_cbranch_scc0 .LBB84_730
; %bb.729:
	s_wait_xcnt 0x0
	v_cvt_f32_f16_e32 v3, v2
	v_cmp_o_f16_e32 vcc_lo, v2, v2
	s_mov_b32 s27, -1
	s_mov_b32 s0, 0
	s_delay_alu instid0(VALU_DEP_2) | instskip(NEXT) | instid1(VALU_DEP_1)
	v_bfe_u32 v4, v3, 16, 1
	v_add3_u32 v3, v3, v4, 0x7fff
	s_delay_alu instid0(VALU_DEP_1) | instskip(NEXT) | instid1(VALU_DEP_1)
	v_lshrrev_b32_e32 v3, 16, v3
	v_cndmask_b32_e32 v3, 0x7fc0, v3, vcc_lo
	global_store_b16 v[0:1], v3, off
.LBB84_730:
	s_mov_b32 s28, 0
.LBB84_731:
	s_delay_alu instid0(SALU_CYCLE_1)
	s_and_b32 vcc_lo, exec_lo, s28
	s_cbranch_vccz .LBB84_734
; %bb.732:
	s_cmp_eq_u32 s26, 11
	s_mov_b32 s0, -1
	s_cbranch_scc0 .LBB84_734
; %bb.733:
	s_wait_xcnt 0x0
	v_and_b32_e32 v3, 0x7fff, v2
	s_mov_b32 s0, 0
	s_mov_b32 s27, -1
	s_delay_alu instid0(VALU_DEP_1)
	v_cmp_ne_u16_e32 vcc_lo, 0, v3
	v_cndmask_b32_e64 v3, 0, 1, vcc_lo
	global_store_b8 v[0:1], v3, off
.LBB84_734:
	s_mov_b32 s26, 0
.LBB84_735:
	s_delay_alu instid0(SALU_CYCLE_1)
	s_and_b32 vcc_lo, exec_lo, s26
	s_cbranch_vccz .LBB84_774
; %bb.736:
	s_and_b32 s23, 0xffff, s23
	s_mov_b32 s26, -1
	s_cmp_lt_i32 s23, 5
	s_cbranch_scc1 .LBB84_757
; %bb.737:
	s_cmp_lt_i32 s23, 8
	s_cbranch_scc1 .LBB84_747
; %bb.738:
	s_cmp_lt_i32 s23, 9
	s_cbranch_scc1 .LBB84_744
; %bb.739:
	s_cmp_gt_i32 s23, 9
	s_cbranch_scc0 .LBB84_741
; %bb.740:
	s_wait_xcnt 0x0
	v_cvt_f32_f16_e32 v3, v2
	v_mov_b32_e32 v10, 0
	s_mov_b32 s26, 0
	s_delay_alu instid0(VALU_DEP_2) | instskip(NEXT) | instid1(VALU_DEP_2)
	v_cvt_f64_f32_e32 v[8:9], v3
	v_mov_b32_e32 v11, v10
	global_store_b128 v[0:1], v[8:11], off
.LBB84_741:
	s_and_not1_b32 vcc_lo, exec_lo, s26
	s_cbranch_vccnz .LBB84_743
; %bb.742:
	s_wait_xcnt 0x0
	v_cvt_f32_f16_e32 v4, v2
	v_mov_b32_e32 v5, 0
	global_store_b64 v[0:1], v[4:5], off
.LBB84_743:
	s_mov_b32 s26, 0
.LBB84_744:
	s_delay_alu instid0(SALU_CYCLE_1)
	s_and_not1_b32 vcc_lo, exec_lo, s26
	s_cbranch_vccnz .LBB84_746
; %bb.745:
	s_wait_xcnt 0x0
	v_and_b32_e32 v3, 0xffff, v2
	global_store_b32 v[0:1], v3, off
.LBB84_746:
	s_mov_b32 s26, 0
.LBB84_747:
	s_delay_alu instid0(SALU_CYCLE_1)
	s_and_not1_b32 vcc_lo, exec_lo, s26
	s_cbranch_vccnz .LBB84_756
; %bb.748:
	s_cmp_lt_i32 s23, 6
	s_mov_b32 s26, -1
	s_cbranch_scc1 .LBB84_754
; %bb.749:
	s_cmp_gt_i32 s23, 6
	s_cbranch_scc0 .LBB84_751
; %bb.750:
	s_wait_xcnt 0x0
	v_cvt_f32_f16_e32 v3, v2
	s_mov_b32 s26, 0
	s_delay_alu instid0(VALU_DEP_1)
	v_cvt_f64_f32_e32 v[4:5], v3
	global_store_b64 v[0:1], v[4:5], off
.LBB84_751:
	s_and_not1_b32 vcc_lo, exec_lo, s26
	s_cbranch_vccnz .LBB84_753
; %bb.752:
	s_wait_xcnt 0x0
	v_cvt_f32_f16_e32 v3, v2
	global_store_b32 v[0:1], v3, off
.LBB84_753:
	s_mov_b32 s26, 0
.LBB84_754:
	s_delay_alu instid0(SALU_CYCLE_1)
	s_and_not1_b32 vcc_lo, exec_lo, s26
	s_cbranch_vccnz .LBB84_756
; %bb.755:
	global_store_b16 v[0:1], v2, off
.LBB84_756:
	s_mov_b32 s26, 0
.LBB84_757:
	s_delay_alu instid0(SALU_CYCLE_1)
	s_and_not1_b32 vcc_lo, exec_lo, s26
	s_cbranch_vccnz .LBB84_773
; %bb.758:
	s_cmp_lt_i32 s23, 2
	s_mov_b32 s26, -1
	s_cbranch_scc1 .LBB84_768
; %bb.759:
	s_cmp_lt_i32 s23, 3
	s_cbranch_scc1 .LBB84_765
; %bb.760:
	s_cmp_gt_i32 s23, 3
	s_cbranch_scc0 .LBB84_762
; %bb.761:
	s_wait_xcnt 0x0
	v_cvt_f32_f16_e32 v3, v2
	s_mov_b32 s26, 0
	s_delay_alu instid0(VALU_DEP_1) | instskip(NEXT) | instid1(VALU_DEP_1)
	v_cvt_i32_f32_e32 v4, v3
	v_ashrrev_i32_e32 v5, 31, v4
	global_store_b64 v[0:1], v[4:5], off
.LBB84_762:
	s_and_not1_b32 vcc_lo, exec_lo, s26
	s_cbranch_vccnz .LBB84_764
; %bb.763:
	s_wait_xcnt 0x0
	v_cvt_f32_f16_e32 v3, v2
	s_delay_alu instid0(VALU_DEP_1)
	v_cvt_i32_f32_e32 v3, v3
	global_store_b32 v[0:1], v3, off
.LBB84_764:
	s_mov_b32 s26, 0
.LBB84_765:
	s_delay_alu instid0(SALU_CYCLE_1)
	s_and_not1_b32 vcc_lo, exec_lo, s26
	s_cbranch_vccnz .LBB84_767
; %bb.766:
	s_wait_xcnt 0x0
	v_cvt_i16_f16_e32 v3, v2
	global_store_b16 v[0:1], v3, off
.LBB84_767:
	s_mov_b32 s26, 0
.LBB84_768:
	s_delay_alu instid0(SALU_CYCLE_1)
	s_and_not1_b32 vcc_lo, exec_lo, s26
	s_cbranch_vccnz .LBB84_773
; %bb.769:
	s_cmp_gt_i32 s23, 0
	s_mov_b32 s23, -1
	s_cbranch_scc0 .LBB84_771
; %bb.770:
	s_wait_xcnt 0x0
	v_cvt_i16_f16_e32 v3, v2
	s_mov_b32 s23, 0
	global_store_b8 v[0:1], v3, off
.LBB84_771:
	s_and_not1_b32 vcc_lo, exec_lo, s23
	s_cbranch_vccnz .LBB84_773
; %bb.772:
	s_wait_xcnt 0x0
	v_cvt_f32_f16_e32 v2, v2
	s_delay_alu instid0(VALU_DEP_1)
	v_cvt_i32_f32_e32 v2, v2
	global_store_b8 v[0:1], v2, off
.LBB84_773:
	s_mov_b32 s27, -1
.LBB84_774:
	s_delay_alu instid0(SALU_CYCLE_1)
	s_and_not1_b32 vcc_lo, exec_lo, s27
	s_cbranch_vccnz .LBB84_776
; %bb.775:
	v_add_nc_u32_e32 v6, 0x80, v6
	s_mov_b32 s26, -1
	s_branch .LBB84_778
.LBB84_776:
	s_mov_b32 s26, 0
.LBB84_777:
                                        ; implicit-def: $vgpr6
.LBB84_778:
	s_and_not1_b32 s23, s17, exec_lo
	s_and_b32 s0, s0, exec_lo
	s_and_b32 s24, s24, exec_lo
	s_or_b32 s23, s23, s0
	s_and_not1_b32 s0, s19, exec_lo
	s_and_not1_b32 s27, s20, exec_lo
	s_and_b32 s22, s22, exec_lo
	s_or_b32 s24, s0, s24
	s_or_b32 s22, s27, s22
	s_or_not1_b32 s27, s26, exec_lo
.LBB84_779:
	s_wait_xcnt 0x0
	s_or_b32 exec_lo, exec_lo, s25
	s_mov_b32 s26, 0
	s_mov_b32 s28, 0
	;; [unrolled: 1-line block ×3, first 2 shown]
                                        ; implicit-def: $sgpr0
                                        ; implicit-def: $vgpr0_vgpr1
                                        ; implicit-def: $vgpr2
	s_and_saveexec_b32 s25, s27
	s_cbranch_execz .LBB84_1256
; %bb.780:
	s_mov_b32 s34, -1
	s_mov_b32 s27, s22
	s_mov_b32 s28, s24
	;; [unrolled: 1-line block ×3, first 2 shown]
	s_mov_b32 s26, exec_lo
	v_cmpx_gt_i32_e64 s18, v6
	s_cbranch_execz .LBB84_1172
; %bb.781:
	v_mul_lo_u32 v0, v6, s9
	s_and_b32 s0, s15, 0xff
	s_delay_alu instid0(SALU_CYCLE_1) | instskip(NEXT) | instid1(VALU_DEP_1)
	s_cmp_lt_i32 s0, 11
	v_ashrrev_i32_e32 v1, 31, v0
	s_delay_alu instid0(VALU_DEP_1)
	v_add_nc_u64_e32 v[0:1], s[6:7], v[0:1]
	s_cbranch_scc1 .LBB84_788
; %bb.782:
	s_and_b32 s28, 0xffff, s0
	s_delay_alu instid0(SALU_CYCLE_1)
	s_cmp_gt_i32 s28, 25
	s_cbranch_scc0 .LBB84_789
; %bb.783:
	s_cmp_gt_i32 s28, 28
	s_cbranch_scc0 .LBB84_790
; %bb.784:
	;; [unrolled: 3-line block ×4, first 2 shown]
	s_cmp_eq_u32 s28, 46
	s_mov_b32 s30, 0
	s_cbranch_scc0 .LBB84_795
; %bb.787:
	s_wait_loadcnt 0x0
	global_load_b32 v2, v[0:1], off
	s_mov_b32 s29, -1
	s_mov_b32 s27, 0
	s_wait_loadcnt 0x0
	v_lshlrev_b32_e32 v2, 16, v2
	s_delay_alu instid0(VALU_DEP_1)
	v_cvt_f16_f32_e32 v2, v2
	s_branch .LBB84_797
.LBB84_788:
	s_mov_b32 s28, -1
	s_mov_b32 s29, 0
	s_mov_b32 s27, s22
                                        ; implicit-def: $vgpr2
	s_branch .LBB84_862
.LBB84_789:
	s_mov_b32 s30, -1
	s_mov_b32 s29, 0
	s_mov_b32 s27, s22
                                        ; implicit-def: $vgpr2
	s_branch .LBB84_826
.LBB84_790:
	s_mov_b32 s30, -1
	s_mov_b32 s29, 0
	s_mov_b32 s27, s22
                                        ; implicit-def: $vgpr2
	s_branch .LBB84_807
.LBB84_791:
	s_mov_b32 s30, -1
	s_mov_b32 s29, 0
	s_mov_b32 s27, s22
                                        ; implicit-def: $vgpr2
	s_branch .LBB84_802
.LBB84_792:
	s_mov_b32 s30, -1
	s_mov_b32 s29, 0
	s_mov_b32 s27, s22
	s_branch .LBB84_796
.LBB84_793:
	s_and_not1_saveexec_b32 s29, s29
	s_cbranch_execz .LBB84_687
.LBB84_794:
	v_add_f32_e64 v4, 0x46000000, |v3|
	s_and_not1_b32 s28, s28, exec_lo
	s_delay_alu instid0(VALU_DEP_1) | instskip(NEXT) | instid1(VALU_DEP_1)
	v_and_b32_e32 v4, 0xff, v4
	v_cmp_ne_u32_e32 vcc_lo, 0, v4
	s_and_b32 s30, vcc_lo, exec_lo
	s_delay_alu instid0(SALU_CYCLE_1)
	s_or_b32 s28, s28, s30
	s_or_b32 exec_lo, exec_lo, s29
	v_mov_b32_e32 v5, 0
	s_and_saveexec_b32 s29, s28
	s_cbranch_execnz .LBB84_688
	s_branch .LBB84_689
.LBB84_795:
	s_mov_b32 s27, -1
	s_mov_b32 s29, 0
.LBB84_796:
                                        ; implicit-def: $vgpr2
.LBB84_797:
	s_and_b32 vcc_lo, exec_lo, s30
	s_cbranch_vccz .LBB84_801
; %bb.798:
	s_cmp_eq_u32 s28, 44
	s_cbranch_scc0 .LBB84_800
; %bb.799:
	s_wait_loadcnt 0x0
	global_load_u8 v2, v[0:1], off
	s_mov_b32 s27, 0
	s_mov_b32 s29, -1
	s_wait_loadcnt 0x0
	v_lshlrev_b32_e32 v3, 23, v2
	v_cmp_ne_u32_e32 vcc_lo, 0xff, v2
	s_delay_alu instid0(VALU_DEP_2) | instskip(NEXT) | instid1(VALU_DEP_1)
	v_cvt_f16_f32_e32 v3, v3
	v_cndmask_b32_e32 v3, 0x7e00, v3, vcc_lo
	v_cmp_ne_u32_e32 vcc_lo, 0, v2
	s_delay_alu instid0(VALU_DEP_2)
	v_cndmask_b32_e32 v2, 0, v3, vcc_lo
	s_branch .LBB84_801
.LBB84_800:
	s_mov_b32 s27, -1
                                        ; implicit-def: $vgpr2
.LBB84_801:
	s_mov_b32 s30, 0
.LBB84_802:
	s_delay_alu instid0(SALU_CYCLE_1)
	s_and_b32 vcc_lo, exec_lo, s30
	s_cbranch_vccz .LBB84_806
; %bb.803:
	s_cmp_eq_u32 s28, 29
	s_cbranch_scc0 .LBB84_805
; %bb.804:
	s_wait_loadcnt 0x0
	global_load_b64 v[2:3], v[0:1], off
	s_mov_b32 s29, -1
	s_mov_b32 s27, 0
	s_mov_b32 s30, 0
	s_wait_loadcnt 0x0
	v_clz_i32_u32_e32 v4, v3
	s_delay_alu instid0(VALU_DEP_1) | instskip(NEXT) | instid1(VALU_DEP_1)
	v_min_u32_e32 v4, 32, v4
	v_lshlrev_b64_e32 v[2:3], v4, v[2:3]
	s_delay_alu instid0(VALU_DEP_1) | instskip(NEXT) | instid1(VALU_DEP_1)
	v_min_u32_e32 v2, 1, v2
	v_dual_sub_nc_u32 v3, 32, v4 :: v_dual_bitop2_b32 v2, v3, v2 bitop3:0x54
	s_delay_alu instid0(VALU_DEP_1) | instskip(NEXT) | instid1(VALU_DEP_1)
	v_cvt_f32_u32_e32 v2, v2
	v_ldexp_f32 v2, v2, v3
	s_delay_alu instid0(VALU_DEP_1)
	v_cvt_f16_f32_e32 v2, v2
	s_branch .LBB84_807
.LBB84_805:
	s_mov_b32 s27, -1
                                        ; implicit-def: $vgpr2
.LBB84_806:
	s_mov_b32 s30, 0
.LBB84_807:
	s_delay_alu instid0(SALU_CYCLE_1)
	s_and_b32 vcc_lo, exec_lo, s30
	s_cbranch_vccz .LBB84_825
; %bb.808:
	s_cmp_lt_i32 s28, 27
	s_cbranch_scc1 .LBB84_811
; %bb.809:
	s_cmp_gt_i32 s28, 27
	s_cbranch_scc0 .LBB84_812
; %bb.810:
	s_wait_loadcnt 0x0
	global_load_b32 v2, v[0:1], off
	s_mov_b32 s29, 0
	s_wait_loadcnt 0x0
	v_cvt_f32_u32_e32 v2, v2
	s_delay_alu instid0(VALU_DEP_1)
	v_cvt_f16_f32_e32 v2, v2
	s_branch .LBB84_813
.LBB84_811:
	s_mov_b32 s29, -1
                                        ; implicit-def: $vgpr2
	s_branch .LBB84_816
.LBB84_812:
	s_mov_b32 s29, -1
                                        ; implicit-def: $vgpr2
.LBB84_813:
	s_delay_alu instid0(SALU_CYCLE_1)
	s_and_not1_b32 vcc_lo, exec_lo, s29
	s_cbranch_vccnz .LBB84_815
; %bb.814:
	s_wait_loadcnt 0x0
	global_load_u16 v2, v[0:1], off
	s_wait_loadcnt 0x0
	v_cvt_f16_u16_e32 v2, v2
.LBB84_815:
	s_mov_b32 s29, 0
.LBB84_816:
	s_delay_alu instid0(SALU_CYCLE_1)
	s_and_not1_b32 vcc_lo, exec_lo, s29
	s_cbranch_vccnz .LBB84_824
; %bb.817:
	s_wait_loadcnt 0x0
	global_load_u8 v3, v[0:1], off
	s_mov_b32 s29, 0
	s_mov_b32 s30, exec_lo
	s_wait_loadcnt 0x0
	v_cmpx_lt_i16_e32 0x7f, v3
	s_xor_b32 s30, exec_lo, s30
	s_cbranch_execz .LBB84_838
; %bb.818:
	s_mov_b32 s29, -1
	s_mov_b32 s31, exec_lo
	v_cmpx_eq_u16_e32 0x80, v3
; %bb.819:
	s_xor_b32 s29, exec_lo, -1
; %bb.820:
	s_or_b32 exec_lo, exec_lo, s31
	s_delay_alu instid0(SALU_CYCLE_1)
	s_and_b32 s29, s29, exec_lo
	s_or_saveexec_b32 s30, s30
	v_mov_b32_e32 v2, 0x7e00
	s_xor_b32 exec_lo, exec_lo, s30
	s_cbranch_execnz .LBB84_839
.LBB84_821:
	s_or_b32 exec_lo, exec_lo, s30
	s_and_saveexec_b32 s30, s29
	s_cbranch_execz .LBB84_823
.LBB84_822:
	v_and_b32_e32 v2, 0xffff, v3
	s_delay_alu instid0(VALU_DEP_1) | instskip(SKIP_1) | instid1(VALU_DEP_2)
	v_and_b32_e32 v4, 7, v2
	v_bfe_u32 v8, v2, 3, 4
	v_clz_i32_u32_e32 v5, v4
	s_delay_alu instid0(VALU_DEP_2) | instskip(NEXT) | instid1(VALU_DEP_2)
	v_cmp_eq_u32_e32 vcc_lo, 0, v8
	v_min_u32_e32 v5, 32, v5
	s_delay_alu instid0(VALU_DEP_1) | instskip(NEXT) | instid1(VALU_DEP_1)
	v_subrev_nc_u32_e32 v7, 28, v5
	v_dual_lshlrev_b32 v2, v7, v2 :: v_dual_sub_nc_u32 v5, 29, v5
	s_delay_alu instid0(VALU_DEP_1) | instskip(NEXT) | instid1(VALU_DEP_2)
	v_dual_lshlrev_b32 v3, 24, v3 :: v_dual_bitop2_b32 v2, 7, v2 bitop3:0x40
	v_cndmask_b32_e32 v5, v8, v5, vcc_lo
	s_delay_alu instid0(VALU_DEP_2) | instskip(NEXT) | instid1(VALU_DEP_3)
	v_cndmask_b32_e32 v2, v4, v2, vcc_lo
	v_and_b32_e32 v3, 0x80000000, v3
	s_delay_alu instid0(VALU_DEP_3) | instskip(NEXT) | instid1(VALU_DEP_3)
	v_lshl_add_u32 v4, v5, 23, 0x3b800000
	v_lshlrev_b32_e32 v2, 20, v2
	s_delay_alu instid0(VALU_DEP_1) | instskip(NEXT) | instid1(VALU_DEP_1)
	v_or3_b32 v2, v3, v4, v2
	v_cvt_f16_f32_e32 v2, v2
.LBB84_823:
	s_or_b32 exec_lo, exec_lo, s30
.LBB84_824:
	s_mov_b32 s29, -1
.LBB84_825:
	s_mov_b32 s30, 0
.LBB84_826:
	s_delay_alu instid0(SALU_CYCLE_1)
	s_and_b32 vcc_lo, exec_lo, s30
	s_cbranch_vccz .LBB84_861
; %bb.827:
	s_cmp_gt_i32 s28, 22
	s_cbranch_scc0 .LBB84_837
; %bb.828:
	s_cmp_lt_i32 s28, 24
	s_cbranch_scc1 .LBB84_840
; %bb.829:
	s_cmp_gt_i32 s28, 24
	s_cbranch_scc0 .LBB84_841
; %bb.830:
	s_wait_loadcnt 0x0
	global_load_u8 v3, v[0:1], off
	s_mov_b32 s29, 0
	s_mov_b32 s30, exec_lo
	s_wait_loadcnt 0x0
	v_cmpx_lt_i16_e32 0x7f, v3
	s_xor_b32 s30, exec_lo, s30
	s_cbranch_execz .LBB84_853
; %bb.831:
	s_mov_b32 s29, -1
	s_mov_b32 s31, exec_lo
	v_cmpx_eq_u16_e32 0x80, v3
; %bb.832:
	s_xor_b32 s29, exec_lo, -1
; %bb.833:
	s_or_b32 exec_lo, exec_lo, s31
	s_delay_alu instid0(SALU_CYCLE_1)
	s_and_b32 s29, s29, exec_lo
	s_or_saveexec_b32 s30, s30
	v_mov_b32_e32 v2, 0x7e00
	s_xor_b32 exec_lo, exec_lo, s30
	s_cbranch_execnz .LBB84_854
.LBB84_834:
	s_or_b32 exec_lo, exec_lo, s30
	s_and_saveexec_b32 s30, s29
	s_cbranch_execz .LBB84_836
.LBB84_835:
	v_and_b32_e32 v2, 0xffff, v3
	s_delay_alu instid0(VALU_DEP_1) | instskip(SKIP_1) | instid1(VALU_DEP_2)
	v_and_b32_e32 v4, 3, v2
	v_bfe_u32 v8, v2, 2, 5
	v_clz_i32_u32_e32 v5, v4
	s_delay_alu instid0(VALU_DEP_2) | instskip(NEXT) | instid1(VALU_DEP_2)
	v_cmp_eq_u32_e32 vcc_lo, 0, v8
	v_min_u32_e32 v5, 32, v5
	s_delay_alu instid0(VALU_DEP_1) | instskip(NEXT) | instid1(VALU_DEP_1)
	v_subrev_nc_u32_e32 v7, 29, v5
	v_dual_lshlrev_b32 v2, v7, v2 :: v_dual_sub_nc_u32 v5, 30, v5
	s_delay_alu instid0(VALU_DEP_1) | instskip(NEXT) | instid1(VALU_DEP_2)
	v_dual_lshlrev_b32 v3, 24, v3 :: v_dual_bitop2_b32 v2, 3, v2 bitop3:0x40
	v_cndmask_b32_e32 v5, v8, v5, vcc_lo
	s_delay_alu instid0(VALU_DEP_2) | instskip(NEXT) | instid1(VALU_DEP_3)
	v_cndmask_b32_e32 v2, v4, v2, vcc_lo
	v_and_b32_e32 v3, 0x80000000, v3
	s_delay_alu instid0(VALU_DEP_3) | instskip(NEXT) | instid1(VALU_DEP_3)
	v_lshl_add_u32 v4, v5, 23, 0x37800000
	v_lshlrev_b32_e32 v2, 21, v2
	s_delay_alu instid0(VALU_DEP_1) | instskip(NEXT) | instid1(VALU_DEP_1)
	v_or3_b32 v2, v3, v4, v2
	v_cvt_f16_f32_e32 v2, v2
.LBB84_836:
	s_or_b32 exec_lo, exec_lo, s30
	s_mov_b32 s29, 0
	s_branch .LBB84_842
.LBB84_837:
	s_mov_b32 s30, -1
                                        ; implicit-def: $vgpr2
	s_branch .LBB84_848
.LBB84_838:
	s_or_saveexec_b32 s30, s30
	v_mov_b32_e32 v2, 0x7e00
	s_xor_b32 exec_lo, exec_lo, s30
	s_cbranch_execz .LBB84_821
.LBB84_839:
	v_cmp_ne_u16_e32 vcc_lo, 0, v3
	v_mov_b32_e32 v2, v3
	s_and_not1_b32 s29, s29, exec_lo
	s_and_b32 s31, vcc_lo, exec_lo
	s_delay_alu instid0(SALU_CYCLE_1)
	s_or_b32 s29, s29, s31
	s_or_b32 exec_lo, exec_lo, s30
	s_and_saveexec_b32 s30, s29
	s_cbranch_execnz .LBB84_822
	s_branch .LBB84_823
.LBB84_840:
	s_mov_b32 s29, -1
                                        ; implicit-def: $vgpr2
	s_branch .LBB84_845
.LBB84_841:
	s_mov_b32 s29, -1
                                        ; implicit-def: $vgpr2
.LBB84_842:
	s_delay_alu instid0(SALU_CYCLE_1)
	s_and_b32 vcc_lo, exec_lo, s29
	s_cbranch_vccz .LBB84_844
; %bb.843:
	s_wait_loadcnt 0x0
	global_load_u8 v2, v[0:1], off
	s_wait_loadcnt 0x0
	v_lshlrev_b32_e32 v2, 24, v2
	s_delay_alu instid0(VALU_DEP_1) | instskip(NEXT) | instid1(VALU_DEP_1)
	v_and_b32_e32 v3, 0x7f000000, v2
	v_clz_i32_u32_e32 v4, v3
	v_add_nc_u32_e32 v7, 0x1000000, v3
	v_cmp_ne_u32_e32 vcc_lo, 0, v3
	s_delay_alu instid0(VALU_DEP_3) | instskip(NEXT) | instid1(VALU_DEP_1)
	v_min_u32_e32 v4, 32, v4
	v_sub_nc_u32_e64 v4, v4, 4 clamp
	s_delay_alu instid0(VALU_DEP_1) | instskip(NEXT) | instid1(VALU_DEP_1)
	v_dual_lshlrev_b32 v5, v4, v3 :: v_dual_lshlrev_b32 v4, 23, v4
	v_lshrrev_b32_e32 v5, 4, v5
	s_delay_alu instid0(VALU_DEP_1) | instskip(NEXT) | instid1(VALU_DEP_1)
	v_dual_sub_nc_u32 v4, v5, v4 :: v_dual_ashrrev_i32 v5, 8, v7
	v_add_nc_u32_e32 v4, 0x3c000000, v4
	s_delay_alu instid0(VALU_DEP_1) | instskip(NEXT) | instid1(VALU_DEP_1)
	v_and_or_b32 v4, 0x7f800000, v5, v4
	v_cndmask_b32_e32 v3, 0, v4, vcc_lo
	s_delay_alu instid0(VALU_DEP_1) | instskip(NEXT) | instid1(VALU_DEP_1)
	v_and_or_b32 v2, 0x80000000, v2, v3
	v_cvt_f16_f32_e32 v2, v2
.LBB84_844:
	s_mov_b32 s29, 0
.LBB84_845:
	s_delay_alu instid0(SALU_CYCLE_1)
	s_and_not1_b32 vcc_lo, exec_lo, s29
	s_cbranch_vccnz .LBB84_847
; %bb.846:
	s_wait_loadcnt 0x0
	global_load_u8 v2, v[0:1], off
	s_wait_loadcnt 0x0
	v_lshlrev_b32_e32 v3, 25, v2
	v_lshlrev_b16 v2, 8, v2
	s_delay_alu instid0(VALU_DEP_1) | instskip(SKIP_1) | instid1(VALU_DEP_2)
	v_and_or_b32 v5, 0x7f00, v2, 0.5
	v_bfe_i32 v2, v2, 0, 16
	v_dual_add_f32 v5, -0.5, v5 :: v_dual_lshrrev_b32 v4, 4, v3
	v_cmp_gt_u32_e32 vcc_lo, 0x8000000, v3
	s_delay_alu instid0(VALU_DEP_2) | instskip(NEXT) | instid1(VALU_DEP_1)
	v_or_b32_e32 v4, 0x70000000, v4
	v_mul_f32_e32 v4, 0x7800000, v4
	s_delay_alu instid0(VALU_DEP_1) | instskip(NEXT) | instid1(VALU_DEP_1)
	v_cndmask_b32_e32 v3, v4, v5, vcc_lo
	v_and_or_b32 v2, 0x80000000, v2, v3
	s_delay_alu instid0(VALU_DEP_1)
	v_cvt_f16_f32_e32 v2, v2
.LBB84_847:
	s_mov_b32 s30, 0
	s_mov_b32 s29, -1
.LBB84_848:
	s_and_not1_b32 vcc_lo, exec_lo, s30
	s_cbranch_vccnz .LBB84_861
; %bb.849:
	s_cmp_gt_i32 s28, 14
	s_cbranch_scc0 .LBB84_852
; %bb.850:
	s_cmp_eq_u32 s28, 15
	s_cbranch_scc0 .LBB84_855
; %bb.851:
	s_wait_loadcnt 0x0
	global_load_u16 v2, v[0:1], off
	s_mov_b32 s29, -1
	s_mov_b32 s27, 0
	s_wait_loadcnt 0x0
	v_lshlrev_b32_e32 v2, 16, v2
	s_delay_alu instid0(VALU_DEP_1)
	v_cvt_f16_f32_e32 v2, v2
	s_branch .LBB84_856
.LBB84_852:
	s_mov_b32 s30, -1
                                        ; implicit-def: $vgpr2
	s_branch .LBB84_857
.LBB84_853:
	s_or_saveexec_b32 s30, s30
	v_mov_b32_e32 v2, 0x7e00
	s_xor_b32 exec_lo, exec_lo, s30
	s_cbranch_execz .LBB84_834
.LBB84_854:
	v_cmp_ne_u16_e32 vcc_lo, 0, v3
	v_mov_b32_e32 v2, v3
	s_and_not1_b32 s29, s29, exec_lo
	s_and_b32 s31, vcc_lo, exec_lo
	s_delay_alu instid0(SALU_CYCLE_1)
	s_or_b32 s29, s29, s31
	s_or_b32 exec_lo, exec_lo, s30
	s_and_saveexec_b32 s30, s29
	s_cbranch_execnz .LBB84_835
	s_branch .LBB84_836
.LBB84_855:
	s_mov_b32 s27, -1
                                        ; implicit-def: $vgpr2
.LBB84_856:
	s_mov_b32 s30, 0
.LBB84_857:
	s_delay_alu instid0(SALU_CYCLE_1)
	s_and_b32 vcc_lo, exec_lo, s30
	s_cbranch_vccz .LBB84_861
; %bb.858:
	s_cmp_eq_u32 s28, 11
	s_cbranch_scc0 .LBB84_860
; %bb.859:
	s_wait_loadcnt 0x0
	global_load_u8 v2, v[0:1], off
	s_mov_b32 s27, 0
	s_mov_b32 s29, -1
	s_wait_loadcnt 0x0
	v_cmp_ne_u16_e32 vcc_lo, 0, v2
	v_cndmask_b32_e64 v2, 0, 0x3c00, vcc_lo
	s_branch .LBB84_861
.LBB84_860:
	s_mov_b32 s27, -1
                                        ; implicit-def: $vgpr2
.LBB84_861:
	s_mov_b32 s28, 0
.LBB84_862:
	s_delay_alu instid0(SALU_CYCLE_1)
	s_and_b32 vcc_lo, exec_lo, s28
	s_cbranch_vccz .LBB84_911
; %bb.863:
	s_and_b32 s0, 0xffff, s0
	s_delay_alu instid0(SALU_CYCLE_1)
	s_cmp_lt_i32 s0, 5
	s_cbranch_scc1 .LBB84_868
; %bb.864:
	s_cmp_lt_i32 s0, 8
	s_cbranch_scc1 .LBB84_869
; %bb.865:
	;; [unrolled: 3-line block ×3, first 2 shown]
	s_cmp_gt_i32 s0, 9
	s_cbranch_scc0 .LBB84_871
; %bb.867:
	s_wait_loadcnt 0x0
	global_load_b64 v[2:3], v[0:1], off
	s_mov_b32 s28, 0
	s_wait_loadcnt 0x0
	v_and_or_b32 v2, 0x1ff, v3, v2
	v_lshrrev_b32_e32 v4, 8, v3
	v_bfe_u32 v5, v3, 20, 11
	v_lshrrev_b32_e32 v3, 16, v3
	s_delay_alu instid0(VALU_DEP_4) | instskip(NEXT) | instid1(VALU_DEP_3)
	v_cmp_ne_u32_e32 vcc_lo, 0, v2
	v_sub_nc_u32_e32 v7, 0x3f1, v5
	v_add_nc_u32_e32 v5, 0xfffffc10, v5
	v_cndmask_b32_e64 v2, 0, 1, vcc_lo
	s_delay_alu instid0(VALU_DEP_1) | instskip(NEXT) | instid1(VALU_DEP_4)
	v_and_or_b32 v2, 0xffe, v4, v2
	v_med3_i32 v4, v7, 0, 13
	s_delay_alu instid0(VALU_DEP_2) | instskip(NEXT) | instid1(VALU_DEP_1)
	v_or_b32_e32 v7, 0x1000, v2
	v_lshrrev_b32_e32 v8, v4, v7
	s_delay_alu instid0(VALU_DEP_1) | instskip(NEXT) | instid1(VALU_DEP_1)
	v_lshlrev_b32_e32 v4, v4, v8
	v_cmp_ne_u32_e32 vcc_lo, v4, v7
	v_lshl_or_b32 v7, v5, 12, v2
	v_cndmask_b32_e64 v4, 0, 1, vcc_lo
	v_cmp_gt_i32_e32 vcc_lo, 1, v5
	s_delay_alu instid0(VALU_DEP_2) | instskip(NEXT) | instid1(VALU_DEP_1)
	v_or_b32_e32 v4, v8, v4
	v_cndmask_b32_e32 v4, v7, v4, vcc_lo
	s_delay_alu instid0(VALU_DEP_1) | instskip(NEXT) | instid1(VALU_DEP_1)
	v_dual_lshrrev_b32 v4, 2, v4 :: v_dual_bitop2_b32 v7, 7, v4 bitop3:0x40
	v_cmp_lt_i32_e32 vcc_lo, 5, v7
	v_cndmask_b32_e64 v8, 0, 1, vcc_lo
	v_cmp_eq_u32_e32 vcc_lo, 3, v7
	v_cndmask_b32_e64 v7, 0, 1, vcc_lo
	v_cmp_ne_u32_e32 vcc_lo, 0, v2
	s_delay_alu instid0(VALU_DEP_2) | instskip(SKIP_1) | instid1(VALU_DEP_2)
	v_or_b32_e32 v7, v7, v8
	v_mov_b32_e32 v8, 0x7e00
	v_add_nc_u32_e32 v4, v4, v7
	s_delay_alu instid0(VALU_DEP_2) | instskip(SKIP_1) | instid1(VALU_DEP_3)
	v_cndmask_b32_e32 v2, 0x7c00, v8, vcc_lo
	v_cmp_gt_i32_e32 vcc_lo, 31, v5
	v_cndmask_b32_e32 v4, 0x7c00, v4, vcc_lo
	v_cmp_eq_u32_e32 vcc_lo, 0x40f, v5
	s_delay_alu instid0(VALU_DEP_2) | instskip(NEXT) | instid1(VALU_DEP_1)
	v_cndmask_b32_e32 v2, v4, v2, vcc_lo
	v_and_or_b32 v2, 0x8000, v3, v2
	s_branch .LBB84_872
.LBB84_868:
	s_mov_b32 s28, -1
                                        ; implicit-def: $vgpr2
	s_branch .LBB84_890
.LBB84_869:
	s_mov_b32 s28, -1
                                        ; implicit-def: $vgpr2
	s_branch .LBB84_878
.LBB84_870:
	s_mov_b32 s28, -1
                                        ; implicit-def: $vgpr2
	s_branch .LBB84_875
.LBB84_871:
	s_mov_b32 s28, -1
                                        ; implicit-def: $vgpr2
.LBB84_872:
	s_delay_alu instid0(SALU_CYCLE_1)
	s_and_not1_b32 vcc_lo, exec_lo, s28
	s_cbranch_vccnz .LBB84_874
; %bb.873:
	s_wait_loadcnt 0x0
	global_load_b32 v2, v[0:1], off
	s_wait_loadcnt 0x0
	v_cvt_f16_f32_e32 v2, v2
.LBB84_874:
	s_mov_b32 s28, 0
.LBB84_875:
	s_delay_alu instid0(SALU_CYCLE_1)
	s_and_not1_b32 vcc_lo, exec_lo, s28
	s_cbranch_vccnz .LBB84_877
; %bb.876:
	s_wait_loadcnt 0x0
	global_load_b32 v2, v[0:1], off
.LBB84_877:
	s_mov_b32 s28, 0
.LBB84_878:
	s_delay_alu instid0(SALU_CYCLE_1)
	s_and_not1_b32 vcc_lo, exec_lo, s28
	s_cbranch_vccnz .LBB84_889
; %bb.879:
	s_cmp_lt_i32 s0, 6
	s_cbranch_scc1 .LBB84_882
; %bb.880:
	s_cmp_gt_i32 s0, 6
	s_cbranch_scc0 .LBB84_883
; %bb.881:
	s_wait_loadcnt 0x0
	global_load_b64 v[2:3], v[0:1], off
	s_mov_b32 s28, 0
	s_wait_loadcnt 0x0
	v_and_or_b32 v2, 0x1ff, v3, v2
	v_lshrrev_b32_e32 v4, 8, v3
	v_bfe_u32 v5, v3, 20, 11
	v_lshrrev_b32_e32 v3, 16, v3
	s_delay_alu instid0(VALU_DEP_4) | instskip(NEXT) | instid1(VALU_DEP_3)
	v_cmp_ne_u32_e32 vcc_lo, 0, v2
	v_sub_nc_u32_e32 v7, 0x3f1, v5
	v_add_nc_u32_e32 v5, 0xfffffc10, v5
	v_cndmask_b32_e64 v2, 0, 1, vcc_lo
	s_delay_alu instid0(VALU_DEP_1) | instskip(NEXT) | instid1(VALU_DEP_4)
	v_and_or_b32 v2, 0xffe, v4, v2
	v_med3_i32 v4, v7, 0, 13
	s_delay_alu instid0(VALU_DEP_2) | instskip(NEXT) | instid1(VALU_DEP_1)
	v_or_b32_e32 v7, 0x1000, v2
	v_lshrrev_b32_e32 v8, v4, v7
	s_delay_alu instid0(VALU_DEP_1) | instskip(NEXT) | instid1(VALU_DEP_1)
	v_lshlrev_b32_e32 v4, v4, v8
	v_cmp_ne_u32_e32 vcc_lo, v4, v7
	v_lshl_or_b32 v7, v5, 12, v2
	v_cndmask_b32_e64 v4, 0, 1, vcc_lo
	v_cmp_gt_i32_e32 vcc_lo, 1, v5
	s_delay_alu instid0(VALU_DEP_2) | instskip(NEXT) | instid1(VALU_DEP_1)
	v_or_b32_e32 v4, v8, v4
	v_cndmask_b32_e32 v4, v7, v4, vcc_lo
	s_delay_alu instid0(VALU_DEP_1) | instskip(NEXT) | instid1(VALU_DEP_1)
	v_dual_lshrrev_b32 v4, 2, v4 :: v_dual_bitop2_b32 v7, 7, v4 bitop3:0x40
	v_cmp_lt_i32_e32 vcc_lo, 5, v7
	v_cndmask_b32_e64 v8, 0, 1, vcc_lo
	v_cmp_eq_u32_e32 vcc_lo, 3, v7
	v_cndmask_b32_e64 v7, 0, 1, vcc_lo
	v_cmp_ne_u32_e32 vcc_lo, 0, v2
	s_delay_alu instid0(VALU_DEP_2) | instskip(SKIP_1) | instid1(VALU_DEP_2)
	v_or_b32_e32 v7, v7, v8
	v_mov_b32_e32 v8, 0x7e00
	v_add_nc_u32_e32 v4, v4, v7
	s_delay_alu instid0(VALU_DEP_2) | instskip(SKIP_1) | instid1(VALU_DEP_3)
	v_cndmask_b32_e32 v2, 0x7c00, v8, vcc_lo
	v_cmp_gt_i32_e32 vcc_lo, 31, v5
	v_cndmask_b32_e32 v4, 0x7c00, v4, vcc_lo
	v_cmp_eq_u32_e32 vcc_lo, 0x40f, v5
	s_delay_alu instid0(VALU_DEP_2) | instskip(NEXT) | instid1(VALU_DEP_1)
	v_cndmask_b32_e32 v2, v4, v2, vcc_lo
	v_and_or_b32 v2, 0x8000, v3, v2
	s_branch .LBB84_884
.LBB84_882:
	s_mov_b32 s28, -1
                                        ; implicit-def: $vgpr2
	s_branch .LBB84_887
.LBB84_883:
	s_mov_b32 s28, -1
                                        ; implicit-def: $vgpr2
.LBB84_884:
	s_delay_alu instid0(SALU_CYCLE_1)
	s_and_not1_b32 vcc_lo, exec_lo, s28
	s_cbranch_vccnz .LBB84_886
; %bb.885:
	s_wait_loadcnt 0x0
	global_load_b32 v2, v[0:1], off
	s_wait_loadcnt 0x0
	v_cvt_f16_f32_e32 v2, v2
.LBB84_886:
	s_mov_b32 s28, 0
.LBB84_887:
	s_delay_alu instid0(SALU_CYCLE_1)
	s_and_not1_b32 vcc_lo, exec_lo, s28
	s_cbranch_vccnz .LBB84_889
; %bb.888:
	s_wait_loadcnt 0x0
	global_load_u16 v2, v[0:1], off
.LBB84_889:
	s_mov_b32 s28, 0
.LBB84_890:
	s_delay_alu instid0(SALU_CYCLE_1)
	s_and_not1_b32 vcc_lo, exec_lo, s28
	s_cbranch_vccnz .LBB84_910
; %bb.891:
	s_cmp_lt_i32 s0, 2
	s_cbranch_scc1 .LBB84_895
; %bb.892:
	s_cmp_lt_i32 s0, 3
	s_cbranch_scc1 .LBB84_896
; %bb.893:
	s_cmp_gt_i32 s0, 3
	s_cbranch_scc0 .LBB84_897
; %bb.894:
	s_wait_loadcnt 0x0
	global_load_b64 v[2:3], v[0:1], off
	s_mov_b32 s28, 0
	s_wait_loadcnt 0x0
	v_xor_b32_e32 v4, v2, v3
	v_cls_i32_e32 v5, v3
	s_delay_alu instid0(VALU_DEP_2) | instskip(NEXT) | instid1(VALU_DEP_1)
	v_ashrrev_i32_e32 v4, 31, v4
	v_add_nc_u32_e32 v4, 32, v4
	s_delay_alu instid0(VALU_DEP_1) | instskip(NEXT) | instid1(VALU_DEP_1)
	v_add_min_u32_e64 v4, v5, -1, v4
	v_lshlrev_b64_e32 v[2:3], v4, v[2:3]
	s_delay_alu instid0(VALU_DEP_1) | instskip(NEXT) | instid1(VALU_DEP_1)
	v_min_u32_e32 v2, 1, v2
	v_dual_sub_nc_u32 v3, 32, v4 :: v_dual_bitop2_b32 v2, v3, v2 bitop3:0x54
	s_delay_alu instid0(VALU_DEP_1) | instskip(NEXT) | instid1(VALU_DEP_1)
	v_cvt_f32_i32_e32 v2, v2
	v_ldexp_f32 v2, v2, v3
	s_delay_alu instid0(VALU_DEP_1)
	v_cvt_f16_f32_e32 v2, v2
	s_branch .LBB84_898
.LBB84_895:
	s_mov_b32 s28, -1
                                        ; implicit-def: $vgpr2
	s_branch .LBB84_904
.LBB84_896:
	s_mov_b32 s28, -1
                                        ; implicit-def: $vgpr2
	s_branch .LBB84_901
.LBB84_897:
	s_mov_b32 s28, -1
                                        ; implicit-def: $vgpr2
.LBB84_898:
	s_delay_alu instid0(SALU_CYCLE_1)
	s_and_not1_b32 vcc_lo, exec_lo, s28
	s_cbranch_vccnz .LBB84_900
; %bb.899:
	s_wait_loadcnt 0x0
	global_load_b32 v2, v[0:1], off
	s_wait_loadcnt 0x0
	v_cvt_f32_i32_e32 v2, v2
	s_delay_alu instid0(VALU_DEP_1)
	v_cvt_f16_f32_e32 v2, v2
.LBB84_900:
	s_mov_b32 s28, 0
.LBB84_901:
	s_delay_alu instid0(SALU_CYCLE_1)
	s_and_not1_b32 vcc_lo, exec_lo, s28
	s_cbranch_vccnz .LBB84_903
; %bb.902:
	s_wait_loadcnt 0x0
	global_load_u16 v2, v[0:1], off
	s_wait_loadcnt 0x0
	v_cvt_f16_i16_e32 v2, v2
.LBB84_903:
	s_mov_b32 s28, 0
.LBB84_904:
	s_delay_alu instid0(SALU_CYCLE_1)
	s_and_not1_b32 vcc_lo, exec_lo, s28
	s_cbranch_vccnz .LBB84_910
; %bb.905:
	s_cmp_gt_i32 s0, 0
	s_mov_b32 s0, 0
	s_cbranch_scc0 .LBB84_907
; %bb.906:
	s_wait_loadcnt 0x0
	global_load_i8 v2, v[0:1], off
	s_wait_loadcnt 0x0
	v_cvt_f16_i16_e32 v2, v2
	s_branch .LBB84_908
.LBB84_907:
	s_mov_b32 s0, -1
                                        ; implicit-def: $vgpr2
.LBB84_908:
	s_delay_alu instid0(SALU_CYCLE_1)
	s_and_not1_b32 vcc_lo, exec_lo, s0
	s_cbranch_vccnz .LBB84_910
; %bb.909:
	global_load_u8 v0, v[0:1], off
	s_wait_loadcnt 0x0
	v_cvt_f16_u16_e32 v2, v0
.LBB84_910:
	s_mov_b32 s29, -1
.LBB84_911:
	s_delay_alu instid0(SALU_CYCLE_1)
	s_and_not1_b32 vcc_lo, exec_lo, s29
	s_cbranch_vccnz .LBB84_919
; %bb.912:
	s_wait_xcnt 0x0
	v_mul_lo_u32 v0, v6, s10
	s_and_b32 s0, s1, 0xff
	s_delay_alu instid0(SALU_CYCLE_1) | instskip(NEXT) | instid1(VALU_DEP_1)
	s_cmp_lt_i32 s0, 11
	v_ashrrev_i32_e32 v1, 31, v0
	s_delay_alu instid0(VALU_DEP_1)
	v_add_nc_u64_e32 v[0:1], s[12:13], v[0:1]
	s_cbranch_scc1 .LBB84_920
; %bb.913:
	s_and_b32 s29, 0xffff, s0
	s_delay_alu instid0(SALU_CYCLE_1)
	s_cmp_gt_i32 s29, 25
	s_cbranch_scc0 .LBB84_921
; %bb.914:
	s_cmp_gt_i32 s29, 28
	s_cbranch_scc0 .LBB84_922
; %bb.915:
	;; [unrolled: 3-line block ×4, first 2 shown]
	s_cmp_eq_u32 s29, 46
	s_mov_b32 s31, 0
	s_cbranch_scc0 .LBB84_927
; %bb.918:
	s_wait_loadcnt 0x0
	global_load_b32 v3, v[0:1], off
	s_mov_b32 s30, -1
	s_mov_b32 s28, 0
	s_wait_loadcnt 0x0
	v_lshlrev_b32_e32 v3, 16, v3
	s_delay_alu instid0(VALU_DEP_1)
	v_cvt_f16_f32_e32 v3, v3
	s_branch .LBB84_929
.LBB84_919:
	s_mov_b32 s30, 0
	s_mov_b32 s0, s23
	;; [unrolled: 1-line block ×3, first 2 shown]
	s_branch .LBB84_1170
.LBB84_920:
	s_mov_b32 s29, -1
	s_mov_b32 s30, 0
	s_mov_b32 s28, s24
                                        ; implicit-def: $vgpr3
	s_branch .LBB84_994
.LBB84_921:
	s_mov_b32 s31, -1
	s_mov_b32 s30, 0
	s_mov_b32 s28, s24
                                        ; implicit-def: $vgpr3
	s_branch .LBB84_958
.LBB84_922:
	s_mov_b32 s31, -1
	s_mov_b32 s30, 0
	s_mov_b32 s28, s24
                                        ; implicit-def: $vgpr3
	s_branch .LBB84_939
.LBB84_923:
	s_mov_b32 s31, -1
	s_mov_b32 s30, 0
	s_mov_b32 s28, s24
                                        ; implicit-def: $vgpr3
	s_branch .LBB84_934
.LBB84_924:
	s_mov_b32 s31, -1
	s_mov_b32 s30, 0
	s_mov_b32 s28, s24
	s_branch .LBB84_928
.LBB84_925:
	s_and_not1_saveexec_b32 s29, s29
	s_cbranch_execz .LBB84_700
.LBB84_926:
	v_add_f32_e64 v4, 0x42800000, |v3|
	s_and_not1_b32 s28, s28, exec_lo
	s_delay_alu instid0(VALU_DEP_1) | instskip(NEXT) | instid1(VALU_DEP_1)
	v_and_b32_e32 v4, 0xff, v4
	v_cmp_ne_u32_e32 vcc_lo, 0, v4
	s_and_b32 s30, vcc_lo, exec_lo
	s_delay_alu instid0(SALU_CYCLE_1)
	s_or_b32 s28, s28, s30
	s_or_b32 exec_lo, exec_lo, s29
	v_mov_b32_e32 v5, 0
	s_and_saveexec_b32 s29, s28
	s_cbranch_execnz .LBB84_701
	s_branch .LBB84_702
.LBB84_927:
	s_mov_b32 s28, -1
	s_mov_b32 s30, 0
.LBB84_928:
                                        ; implicit-def: $vgpr3
.LBB84_929:
	s_and_b32 vcc_lo, exec_lo, s31
	s_cbranch_vccz .LBB84_933
; %bb.930:
	s_cmp_eq_u32 s29, 44
	s_cbranch_scc0 .LBB84_932
; %bb.931:
	s_wait_loadcnt 0x0
	global_load_u8 v3, v[0:1], off
	s_mov_b32 s28, 0
	s_mov_b32 s30, -1
	s_wait_loadcnt 0x0
	v_lshlrev_b32_e32 v4, 23, v3
	v_cmp_ne_u32_e32 vcc_lo, 0xff, v3
	s_delay_alu instid0(VALU_DEP_2) | instskip(NEXT) | instid1(VALU_DEP_1)
	v_cvt_f16_f32_e32 v4, v4
	v_cndmask_b32_e32 v4, 0x7e00, v4, vcc_lo
	v_cmp_ne_u32_e32 vcc_lo, 0, v3
	s_delay_alu instid0(VALU_DEP_2)
	v_cndmask_b32_e32 v3, 0, v4, vcc_lo
	s_branch .LBB84_933
.LBB84_932:
	s_mov_b32 s28, -1
                                        ; implicit-def: $vgpr3
.LBB84_933:
	s_mov_b32 s31, 0
.LBB84_934:
	s_delay_alu instid0(SALU_CYCLE_1)
	s_and_b32 vcc_lo, exec_lo, s31
	s_cbranch_vccz .LBB84_938
; %bb.935:
	s_cmp_eq_u32 s29, 29
	s_cbranch_scc0 .LBB84_937
; %bb.936:
	global_load_b64 v[4:5], v[0:1], off
	s_mov_b32 s30, -1
	s_mov_b32 s28, 0
	s_mov_b32 s31, 0
	s_wait_loadcnt 0x0
	v_clz_i32_u32_e32 v3, v5
	s_delay_alu instid0(VALU_DEP_1) | instskip(NEXT) | instid1(VALU_DEP_1)
	v_min_u32_e32 v3, 32, v3
	v_lshlrev_b64_e32 v[4:5], v3, v[4:5]
	v_sub_nc_u32_e32 v3, 32, v3
	s_delay_alu instid0(VALU_DEP_2) | instskip(NEXT) | instid1(VALU_DEP_1)
	v_min_u32_e32 v4, 1, v4
	v_or_b32_e32 v4, v5, v4
	s_delay_alu instid0(VALU_DEP_1) | instskip(NEXT) | instid1(VALU_DEP_1)
	v_cvt_f32_u32_e32 v4, v4
	v_ldexp_f32 v3, v4, v3
	s_delay_alu instid0(VALU_DEP_1)
	v_cvt_f16_f32_e32 v3, v3
	s_branch .LBB84_939
.LBB84_937:
	s_mov_b32 s28, -1
                                        ; implicit-def: $vgpr3
.LBB84_938:
	s_mov_b32 s31, 0
.LBB84_939:
	s_delay_alu instid0(SALU_CYCLE_1)
	s_and_b32 vcc_lo, exec_lo, s31
	s_cbranch_vccz .LBB84_957
; %bb.940:
	s_cmp_lt_i32 s29, 27
	s_cbranch_scc1 .LBB84_943
; %bb.941:
	s_cmp_gt_i32 s29, 27
	s_cbranch_scc0 .LBB84_944
; %bb.942:
	s_wait_loadcnt 0x0
	global_load_b32 v3, v[0:1], off
	s_mov_b32 s30, 0
	s_wait_loadcnt 0x0
	v_cvt_f32_u32_e32 v3, v3
	s_delay_alu instid0(VALU_DEP_1)
	v_cvt_f16_f32_e32 v3, v3
	s_branch .LBB84_945
.LBB84_943:
	s_mov_b32 s30, -1
                                        ; implicit-def: $vgpr3
	s_branch .LBB84_948
.LBB84_944:
	s_mov_b32 s30, -1
                                        ; implicit-def: $vgpr3
.LBB84_945:
	s_delay_alu instid0(SALU_CYCLE_1)
	s_and_not1_b32 vcc_lo, exec_lo, s30
	s_cbranch_vccnz .LBB84_947
; %bb.946:
	s_wait_loadcnt 0x0
	global_load_u16 v3, v[0:1], off
	s_wait_loadcnt 0x0
	v_cvt_f16_u16_e32 v3, v3
.LBB84_947:
	s_mov_b32 s30, 0
.LBB84_948:
	s_delay_alu instid0(SALU_CYCLE_1)
	s_and_not1_b32 vcc_lo, exec_lo, s30
	s_cbranch_vccnz .LBB84_956
; %bb.949:
	global_load_u8 v4, v[0:1], off
	s_mov_b32 s30, 0
	s_mov_b32 s31, exec_lo
	s_wait_loadcnt 0x0
	v_cmpx_lt_i16_e32 0x7f, v4
	s_xor_b32 s31, exec_lo, s31
	s_cbranch_execz .LBB84_970
; %bb.950:
	s_mov_b32 s30, -1
	s_mov_b32 s33, exec_lo
	v_cmpx_eq_u16_e32 0x80, v4
; %bb.951:
	s_xor_b32 s30, exec_lo, -1
; %bb.952:
	s_or_b32 exec_lo, exec_lo, s33
	s_delay_alu instid0(SALU_CYCLE_1)
	s_and_b32 s30, s30, exec_lo
	s_or_saveexec_b32 s31, s31
	v_mov_b32_e32 v3, 0x7e00
	s_xor_b32 exec_lo, exec_lo, s31
	s_cbranch_execnz .LBB84_971
.LBB84_953:
	s_or_b32 exec_lo, exec_lo, s31
	s_and_saveexec_b32 s31, s30
	s_cbranch_execz .LBB84_955
.LBB84_954:
	v_and_b32_e32 v3, 0xffff, v4
	s_delay_alu instid0(VALU_DEP_1) | instskip(SKIP_1) | instid1(VALU_DEP_2)
	v_dual_lshlrev_b32 v4, 24, v4 :: v_dual_bitop2_b32 v5, 7, v3 bitop3:0x40
	v_bfe_u32 v9, v3, 3, 4
	v_and_b32_e32 v4, 0x80000000, v4
	s_delay_alu instid0(VALU_DEP_3) | instskip(NEXT) | instid1(VALU_DEP_3)
	v_clz_i32_u32_e32 v7, v5
	v_cmp_eq_u32_e32 vcc_lo, 0, v9
	s_delay_alu instid0(VALU_DEP_2) | instskip(NEXT) | instid1(VALU_DEP_1)
	v_min_u32_e32 v7, 32, v7
	v_subrev_nc_u32_e32 v8, 28, v7
	v_sub_nc_u32_e32 v7, 29, v7
	s_delay_alu instid0(VALU_DEP_2) | instskip(NEXT) | instid1(VALU_DEP_2)
	v_lshlrev_b32_e32 v3, v8, v3
	v_cndmask_b32_e32 v7, v9, v7, vcc_lo
	s_delay_alu instid0(VALU_DEP_2) | instskip(NEXT) | instid1(VALU_DEP_1)
	v_and_b32_e32 v3, 7, v3
	v_cndmask_b32_e32 v3, v5, v3, vcc_lo
	s_delay_alu instid0(VALU_DEP_3) | instskip(NEXT) | instid1(VALU_DEP_2)
	v_lshl_add_u32 v5, v7, 23, 0x3b800000
	v_lshlrev_b32_e32 v3, 20, v3
	s_delay_alu instid0(VALU_DEP_1) | instskip(NEXT) | instid1(VALU_DEP_1)
	v_or3_b32 v3, v4, v5, v3
	v_cvt_f16_f32_e32 v3, v3
.LBB84_955:
	s_or_b32 exec_lo, exec_lo, s31
.LBB84_956:
	s_mov_b32 s30, -1
.LBB84_957:
	s_mov_b32 s31, 0
.LBB84_958:
	s_delay_alu instid0(SALU_CYCLE_1)
	s_and_b32 vcc_lo, exec_lo, s31
	s_cbranch_vccz .LBB84_993
; %bb.959:
	s_cmp_gt_i32 s29, 22
	s_cbranch_scc0 .LBB84_969
; %bb.960:
	s_cmp_lt_i32 s29, 24
	s_cbranch_scc1 .LBB84_972
; %bb.961:
	s_cmp_gt_i32 s29, 24
	s_cbranch_scc0 .LBB84_973
; %bb.962:
	global_load_u8 v4, v[0:1], off
	s_mov_b32 s30, 0
	s_mov_b32 s31, exec_lo
	s_wait_loadcnt 0x0
	v_cmpx_lt_i16_e32 0x7f, v4
	s_xor_b32 s31, exec_lo, s31
	s_cbranch_execz .LBB84_985
; %bb.963:
	s_mov_b32 s30, -1
	s_mov_b32 s33, exec_lo
	v_cmpx_eq_u16_e32 0x80, v4
; %bb.964:
	s_xor_b32 s30, exec_lo, -1
; %bb.965:
	s_or_b32 exec_lo, exec_lo, s33
	s_delay_alu instid0(SALU_CYCLE_1)
	s_and_b32 s30, s30, exec_lo
	s_or_saveexec_b32 s31, s31
	v_mov_b32_e32 v3, 0x7e00
	s_xor_b32 exec_lo, exec_lo, s31
	s_cbranch_execnz .LBB84_986
.LBB84_966:
	s_or_b32 exec_lo, exec_lo, s31
	s_and_saveexec_b32 s31, s30
	s_cbranch_execz .LBB84_968
.LBB84_967:
	v_and_b32_e32 v3, 0xffff, v4
	s_delay_alu instid0(VALU_DEP_1) | instskip(SKIP_1) | instid1(VALU_DEP_2)
	v_dual_lshlrev_b32 v4, 24, v4 :: v_dual_bitop2_b32 v5, 3, v3 bitop3:0x40
	v_bfe_u32 v9, v3, 2, 5
	v_and_b32_e32 v4, 0x80000000, v4
	s_delay_alu instid0(VALU_DEP_3) | instskip(NEXT) | instid1(VALU_DEP_3)
	v_clz_i32_u32_e32 v7, v5
	v_cmp_eq_u32_e32 vcc_lo, 0, v9
	s_delay_alu instid0(VALU_DEP_2) | instskip(NEXT) | instid1(VALU_DEP_1)
	v_min_u32_e32 v7, 32, v7
	v_subrev_nc_u32_e32 v8, 29, v7
	v_sub_nc_u32_e32 v7, 30, v7
	s_delay_alu instid0(VALU_DEP_2) | instskip(NEXT) | instid1(VALU_DEP_2)
	v_lshlrev_b32_e32 v3, v8, v3
	v_cndmask_b32_e32 v7, v9, v7, vcc_lo
	s_delay_alu instid0(VALU_DEP_2) | instskip(NEXT) | instid1(VALU_DEP_1)
	v_and_b32_e32 v3, 3, v3
	v_cndmask_b32_e32 v3, v5, v3, vcc_lo
	s_delay_alu instid0(VALU_DEP_3) | instskip(NEXT) | instid1(VALU_DEP_2)
	v_lshl_add_u32 v5, v7, 23, 0x37800000
	v_lshlrev_b32_e32 v3, 21, v3
	s_delay_alu instid0(VALU_DEP_1) | instskip(NEXT) | instid1(VALU_DEP_1)
	v_or3_b32 v3, v4, v5, v3
	v_cvt_f16_f32_e32 v3, v3
.LBB84_968:
	s_or_b32 exec_lo, exec_lo, s31
	s_mov_b32 s30, 0
	s_branch .LBB84_974
.LBB84_969:
	s_mov_b32 s31, -1
                                        ; implicit-def: $vgpr3
	s_branch .LBB84_980
.LBB84_970:
	s_or_saveexec_b32 s31, s31
	v_mov_b32_e32 v3, 0x7e00
	s_xor_b32 exec_lo, exec_lo, s31
	s_cbranch_execz .LBB84_953
.LBB84_971:
	v_cmp_ne_u16_e32 vcc_lo, 0, v4
	v_mov_b32_e32 v3, v4
	s_and_not1_b32 s30, s30, exec_lo
	s_and_b32 s33, vcc_lo, exec_lo
	s_delay_alu instid0(SALU_CYCLE_1)
	s_or_b32 s30, s30, s33
	s_or_b32 exec_lo, exec_lo, s31
	s_and_saveexec_b32 s31, s30
	s_cbranch_execnz .LBB84_954
	s_branch .LBB84_955
.LBB84_972:
	s_mov_b32 s30, -1
                                        ; implicit-def: $vgpr3
	s_branch .LBB84_977
.LBB84_973:
	s_mov_b32 s30, -1
                                        ; implicit-def: $vgpr3
.LBB84_974:
	s_delay_alu instid0(SALU_CYCLE_1)
	s_and_b32 vcc_lo, exec_lo, s30
	s_cbranch_vccz .LBB84_976
; %bb.975:
	s_wait_loadcnt 0x0
	global_load_u8 v3, v[0:1], off
	s_wait_loadcnt 0x0
	v_lshlrev_b32_e32 v3, 24, v3
	s_delay_alu instid0(VALU_DEP_1) | instskip(NEXT) | instid1(VALU_DEP_1)
	v_and_b32_e32 v4, 0x7f000000, v3
	v_clz_i32_u32_e32 v5, v4
	v_add_nc_u32_e32 v8, 0x1000000, v4
	v_cmp_ne_u32_e32 vcc_lo, 0, v4
	s_delay_alu instid0(VALU_DEP_3) | instskip(NEXT) | instid1(VALU_DEP_1)
	v_min_u32_e32 v5, 32, v5
	v_sub_nc_u32_e64 v5, v5, 4 clamp
	s_delay_alu instid0(VALU_DEP_1) | instskip(NEXT) | instid1(VALU_DEP_1)
	v_dual_lshlrev_b32 v7, v5, v4 :: v_dual_lshlrev_b32 v5, 23, v5
	v_lshrrev_b32_e32 v7, 4, v7
	s_delay_alu instid0(VALU_DEP_1) | instskip(NEXT) | instid1(VALU_DEP_1)
	v_dual_sub_nc_u32 v5, v7, v5 :: v_dual_ashrrev_i32 v7, 8, v8
	v_add_nc_u32_e32 v5, 0x3c000000, v5
	s_delay_alu instid0(VALU_DEP_1) | instskip(NEXT) | instid1(VALU_DEP_1)
	v_and_or_b32 v5, 0x7f800000, v7, v5
	v_cndmask_b32_e32 v4, 0, v5, vcc_lo
	s_delay_alu instid0(VALU_DEP_1) | instskip(NEXT) | instid1(VALU_DEP_1)
	v_and_or_b32 v3, 0x80000000, v3, v4
	v_cvt_f16_f32_e32 v3, v3
.LBB84_976:
	s_mov_b32 s30, 0
.LBB84_977:
	s_delay_alu instid0(SALU_CYCLE_1)
	s_and_not1_b32 vcc_lo, exec_lo, s30
	s_cbranch_vccnz .LBB84_979
; %bb.978:
	s_wait_loadcnt 0x0
	global_load_u8 v3, v[0:1], off
	s_wait_loadcnt 0x0
	v_lshlrev_b32_e32 v4, 25, v3
	v_lshlrev_b16 v3, 8, v3
	s_delay_alu instid0(VALU_DEP_1) | instskip(NEXT) | instid1(VALU_DEP_3)
	v_and_or_b32 v7, 0x7f00, v3, 0.5
	v_lshrrev_b32_e32 v5, 4, v4
	v_bfe_i32 v3, v3, 0, 16
	s_delay_alu instid0(VALU_DEP_3) | instskip(NEXT) | instid1(VALU_DEP_3)
	v_add_f32_e32 v7, -0.5, v7
	v_or_b32_e32 v5, 0x70000000, v5
	s_delay_alu instid0(VALU_DEP_1) | instskip(SKIP_1) | instid1(VALU_DEP_2)
	v_mul_f32_e32 v5, 0x7800000, v5
	v_cmp_gt_u32_e32 vcc_lo, 0x8000000, v4
	v_cndmask_b32_e32 v4, v5, v7, vcc_lo
	s_delay_alu instid0(VALU_DEP_1) | instskip(NEXT) | instid1(VALU_DEP_1)
	v_and_or_b32 v3, 0x80000000, v3, v4
	v_cvt_f16_f32_e32 v3, v3
.LBB84_979:
	s_mov_b32 s31, 0
	s_mov_b32 s30, -1
.LBB84_980:
	s_and_not1_b32 vcc_lo, exec_lo, s31
	s_cbranch_vccnz .LBB84_993
; %bb.981:
	s_cmp_gt_i32 s29, 14
	s_cbranch_scc0 .LBB84_984
; %bb.982:
	s_cmp_eq_u32 s29, 15
	s_cbranch_scc0 .LBB84_987
; %bb.983:
	s_wait_loadcnt 0x0
	global_load_u16 v3, v[0:1], off
	s_mov_b32 s30, -1
	s_mov_b32 s28, 0
	s_wait_loadcnt 0x0
	v_lshlrev_b32_e32 v3, 16, v3
	s_delay_alu instid0(VALU_DEP_1)
	v_cvt_f16_f32_e32 v3, v3
	s_branch .LBB84_988
.LBB84_984:
	s_mov_b32 s31, -1
                                        ; implicit-def: $vgpr3
	s_branch .LBB84_989
.LBB84_985:
	s_or_saveexec_b32 s31, s31
	v_mov_b32_e32 v3, 0x7e00
	s_xor_b32 exec_lo, exec_lo, s31
	s_cbranch_execz .LBB84_966
.LBB84_986:
	v_cmp_ne_u16_e32 vcc_lo, 0, v4
	v_mov_b32_e32 v3, v4
	s_and_not1_b32 s30, s30, exec_lo
	s_and_b32 s33, vcc_lo, exec_lo
	s_delay_alu instid0(SALU_CYCLE_1)
	s_or_b32 s30, s30, s33
	s_or_b32 exec_lo, exec_lo, s31
	s_and_saveexec_b32 s31, s30
	s_cbranch_execnz .LBB84_967
	s_branch .LBB84_968
.LBB84_987:
	s_mov_b32 s28, -1
                                        ; implicit-def: $vgpr3
.LBB84_988:
	s_mov_b32 s31, 0
.LBB84_989:
	s_delay_alu instid0(SALU_CYCLE_1)
	s_and_b32 vcc_lo, exec_lo, s31
	s_cbranch_vccz .LBB84_993
; %bb.990:
	s_cmp_eq_u32 s29, 11
	s_cbranch_scc0 .LBB84_992
; %bb.991:
	s_wait_loadcnt 0x0
	global_load_u8 v3, v[0:1], off
	s_mov_b32 s28, 0
	s_mov_b32 s30, -1
	s_wait_loadcnt 0x0
	v_cmp_ne_u16_e32 vcc_lo, 0, v3
	v_cndmask_b32_e64 v3, 0, 0x3c00, vcc_lo
	s_branch .LBB84_993
.LBB84_992:
	s_mov_b32 s28, -1
                                        ; implicit-def: $vgpr3
.LBB84_993:
	s_mov_b32 s29, 0
.LBB84_994:
	s_delay_alu instid0(SALU_CYCLE_1)
	s_and_b32 vcc_lo, exec_lo, s29
	s_cbranch_vccz .LBB84_1043
; %bb.995:
	s_and_b32 s0, 0xffff, s0
	s_delay_alu instid0(SALU_CYCLE_1)
	s_cmp_lt_i32 s0, 5
	s_cbranch_scc1 .LBB84_1000
; %bb.996:
	s_cmp_lt_i32 s0, 8
	s_cbranch_scc1 .LBB84_1001
; %bb.997:
	s_cmp_lt_i32 s0, 9
	s_cbranch_scc1 .LBB84_1002
; %bb.998:
	s_cmp_gt_i32 s0, 9
	s_cbranch_scc0 .LBB84_1003
; %bb.999:
	global_load_b64 v[4:5], v[0:1], off
	s_mov_b32 s29, 0
	s_wait_loadcnt 0x0
	v_and_or_b32 v3, 0x1ff, v5, v4
	v_lshrrev_b32_e32 v4, 8, v5
	v_bfe_u32 v7, v5, 20, 11
	s_delay_alu instid0(VALU_DEP_3) | instskip(NEXT) | instid1(VALU_DEP_2)
	v_cmp_ne_u32_e32 vcc_lo, 0, v3
	v_sub_nc_u32_e32 v8, 0x3f1, v7
	v_cndmask_b32_e64 v3, 0, 1, vcc_lo
	s_delay_alu instid0(VALU_DEP_1) | instskip(NEXT) | instid1(VALU_DEP_3)
	v_and_or_b32 v3, 0xffe, v4, v3
	v_med3_i32 v4, v8, 0, 13
	s_delay_alu instid0(VALU_DEP_2) | instskip(NEXT) | instid1(VALU_DEP_1)
	v_or_b32_e32 v8, 0x1000, v3
	v_lshrrev_b32_e32 v9, v4, v8
	s_delay_alu instid0(VALU_DEP_1) | instskip(NEXT) | instid1(VALU_DEP_1)
	v_lshlrev_b32_e32 v4, v4, v9
	v_cmp_ne_u32_e32 vcc_lo, v4, v8
	v_cndmask_b32_e64 v4, 0, 1, vcc_lo
	s_delay_alu instid0(VALU_DEP_1) | instskip(SKIP_1) | instid1(VALU_DEP_1)
	v_or_b32_e32 v4, v9, v4
	v_add_nc_u32_e32 v7, 0xfffffc10, v7
	v_lshl_or_b32 v8, v7, 12, v3
	v_cmp_gt_i32_e32 vcc_lo, 1, v7
	s_delay_alu instid0(VALU_DEP_2) | instskip(NEXT) | instid1(VALU_DEP_1)
	v_cndmask_b32_e32 v4, v8, v4, vcc_lo
	v_dual_lshrrev_b32 v4, 2, v4 :: v_dual_bitop2_b32 v8, 7, v4 bitop3:0x40
	s_delay_alu instid0(VALU_DEP_1) | instskip(SKIP_4) | instid1(VALU_DEP_2)
	v_cmp_lt_i32_e32 vcc_lo, 5, v8
	v_cndmask_b32_e64 v9, 0, 1, vcc_lo
	v_cmp_eq_u32_e32 vcc_lo, 3, v8
	v_cndmask_b32_e64 v8, 0, 1, vcc_lo
	v_cmp_ne_u32_e32 vcc_lo, 0, v3
	v_or_b32_e32 v8, v8, v9
	s_delay_alu instid0(VALU_DEP_1) | instskip(NEXT) | instid1(VALU_DEP_1)
	v_dual_mov_b32 v9, 0x7e00 :: v_dual_add_nc_u32 v4, v4, v8
	v_cndmask_b32_e32 v3, 0x7c00, v9, vcc_lo
	v_cmp_gt_i32_e32 vcc_lo, 31, v7
	s_delay_alu instid0(VALU_DEP_3) | instskip(SKIP_1) | instid1(VALU_DEP_2)
	v_cndmask_b32_e32 v4, 0x7c00, v4, vcc_lo
	v_cmp_eq_u32_e32 vcc_lo, 0x40f, v7
	v_dual_cndmask_b32 v3, v4, v3 :: v_dual_lshrrev_b32 v4, 16, v5
	s_delay_alu instid0(VALU_DEP_1)
	v_and_or_b32 v3, 0x8000, v4, v3
	s_branch .LBB84_1004
.LBB84_1000:
	s_mov_b32 s29, -1
                                        ; implicit-def: $vgpr3
	s_branch .LBB84_1022
.LBB84_1001:
	s_mov_b32 s29, -1
                                        ; implicit-def: $vgpr3
	s_branch .LBB84_1010
.LBB84_1002:
	s_mov_b32 s29, -1
                                        ; implicit-def: $vgpr3
	s_branch .LBB84_1007
.LBB84_1003:
	s_mov_b32 s29, -1
                                        ; implicit-def: $vgpr3
.LBB84_1004:
	s_delay_alu instid0(SALU_CYCLE_1)
	s_and_not1_b32 vcc_lo, exec_lo, s29
	s_cbranch_vccnz .LBB84_1006
; %bb.1005:
	s_wait_loadcnt 0x0
	global_load_b32 v3, v[0:1], off
	s_wait_loadcnt 0x0
	v_cvt_f16_f32_e32 v3, v3
.LBB84_1006:
	s_mov_b32 s29, 0
.LBB84_1007:
	s_delay_alu instid0(SALU_CYCLE_1)
	s_and_not1_b32 vcc_lo, exec_lo, s29
	s_cbranch_vccnz .LBB84_1009
; %bb.1008:
	s_wait_loadcnt 0x0
	global_load_b32 v3, v[0:1], off
.LBB84_1009:
	s_mov_b32 s29, 0
.LBB84_1010:
	s_delay_alu instid0(SALU_CYCLE_1)
	s_and_not1_b32 vcc_lo, exec_lo, s29
	s_cbranch_vccnz .LBB84_1021
; %bb.1011:
	s_cmp_lt_i32 s0, 6
	s_cbranch_scc1 .LBB84_1014
; %bb.1012:
	s_cmp_gt_i32 s0, 6
	s_cbranch_scc0 .LBB84_1015
; %bb.1013:
	global_load_b64 v[4:5], v[0:1], off
	s_mov_b32 s29, 0
	s_wait_loadcnt 0x0
	v_and_or_b32 v3, 0x1ff, v5, v4
	v_lshrrev_b32_e32 v4, 8, v5
	v_bfe_u32 v7, v5, 20, 11
	s_delay_alu instid0(VALU_DEP_3) | instskip(NEXT) | instid1(VALU_DEP_2)
	v_cmp_ne_u32_e32 vcc_lo, 0, v3
	v_sub_nc_u32_e32 v8, 0x3f1, v7
	v_cndmask_b32_e64 v3, 0, 1, vcc_lo
	s_delay_alu instid0(VALU_DEP_1) | instskip(NEXT) | instid1(VALU_DEP_3)
	v_and_or_b32 v3, 0xffe, v4, v3
	v_med3_i32 v4, v8, 0, 13
	s_delay_alu instid0(VALU_DEP_2) | instskip(NEXT) | instid1(VALU_DEP_1)
	v_or_b32_e32 v8, 0x1000, v3
	v_lshrrev_b32_e32 v9, v4, v8
	s_delay_alu instid0(VALU_DEP_1) | instskip(NEXT) | instid1(VALU_DEP_1)
	v_lshlrev_b32_e32 v4, v4, v9
	v_cmp_ne_u32_e32 vcc_lo, v4, v8
	v_cndmask_b32_e64 v4, 0, 1, vcc_lo
	s_delay_alu instid0(VALU_DEP_1) | instskip(SKIP_1) | instid1(VALU_DEP_1)
	v_or_b32_e32 v4, v9, v4
	v_add_nc_u32_e32 v7, 0xfffffc10, v7
	v_lshl_or_b32 v8, v7, 12, v3
	v_cmp_gt_i32_e32 vcc_lo, 1, v7
	s_delay_alu instid0(VALU_DEP_2) | instskip(NEXT) | instid1(VALU_DEP_1)
	v_cndmask_b32_e32 v4, v8, v4, vcc_lo
	v_dual_lshrrev_b32 v4, 2, v4 :: v_dual_bitop2_b32 v8, 7, v4 bitop3:0x40
	s_delay_alu instid0(VALU_DEP_1) | instskip(SKIP_4) | instid1(VALU_DEP_2)
	v_cmp_lt_i32_e32 vcc_lo, 5, v8
	v_cndmask_b32_e64 v9, 0, 1, vcc_lo
	v_cmp_eq_u32_e32 vcc_lo, 3, v8
	v_cndmask_b32_e64 v8, 0, 1, vcc_lo
	v_cmp_ne_u32_e32 vcc_lo, 0, v3
	v_or_b32_e32 v8, v8, v9
	s_delay_alu instid0(VALU_DEP_1) | instskip(NEXT) | instid1(VALU_DEP_1)
	v_dual_mov_b32 v9, 0x7e00 :: v_dual_add_nc_u32 v4, v4, v8
	v_cndmask_b32_e32 v3, 0x7c00, v9, vcc_lo
	v_cmp_gt_i32_e32 vcc_lo, 31, v7
	s_delay_alu instid0(VALU_DEP_3) | instskip(SKIP_1) | instid1(VALU_DEP_2)
	v_cndmask_b32_e32 v4, 0x7c00, v4, vcc_lo
	v_cmp_eq_u32_e32 vcc_lo, 0x40f, v7
	v_dual_cndmask_b32 v3, v4, v3 :: v_dual_lshrrev_b32 v4, 16, v5
	s_delay_alu instid0(VALU_DEP_1)
	v_and_or_b32 v3, 0x8000, v4, v3
	s_branch .LBB84_1016
.LBB84_1014:
	s_mov_b32 s29, -1
                                        ; implicit-def: $vgpr3
	s_branch .LBB84_1019
.LBB84_1015:
	s_mov_b32 s29, -1
                                        ; implicit-def: $vgpr3
.LBB84_1016:
	s_delay_alu instid0(SALU_CYCLE_1)
	s_and_not1_b32 vcc_lo, exec_lo, s29
	s_cbranch_vccnz .LBB84_1018
; %bb.1017:
	s_wait_loadcnt 0x0
	global_load_b32 v3, v[0:1], off
	s_wait_loadcnt 0x0
	v_cvt_f16_f32_e32 v3, v3
.LBB84_1018:
	s_mov_b32 s29, 0
.LBB84_1019:
	s_delay_alu instid0(SALU_CYCLE_1)
	s_and_not1_b32 vcc_lo, exec_lo, s29
	s_cbranch_vccnz .LBB84_1021
; %bb.1020:
	s_wait_loadcnt 0x0
	global_load_u16 v3, v[0:1], off
.LBB84_1021:
	s_mov_b32 s29, 0
.LBB84_1022:
	s_delay_alu instid0(SALU_CYCLE_1)
	s_and_not1_b32 vcc_lo, exec_lo, s29
	s_cbranch_vccnz .LBB84_1042
; %bb.1023:
	s_cmp_lt_i32 s0, 2
	s_cbranch_scc1 .LBB84_1027
; %bb.1024:
	s_cmp_lt_i32 s0, 3
	s_cbranch_scc1 .LBB84_1028
; %bb.1025:
	s_cmp_gt_i32 s0, 3
	s_cbranch_scc0 .LBB84_1029
; %bb.1026:
	global_load_b64 v[4:5], v[0:1], off
	s_mov_b32 s29, 0
	s_wait_loadcnt 0x0
	v_xor_b32_e32 v3, v4, v5
	v_cls_i32_e32 v7, v5
	s_delay_alu instid0(VALU_DEP_2) | instskip(NEXT) | instid1(VALU_DEP_1)
	v_ashrrev_i32_e32 v3, 31, v3
	v_add_nc_u32_e32 v3, 32, v3
	s_delay_alu instid0(VALU_DEP_1) | instskip(NEXT) | instid1(VALU_DEP_1)
	v_add_min_u32_e64 v3, v7, -1, v3
	v_lshlrev_b64_e32 v[4:5], v3, v[4:5]
	v_sub_nc_u32_e32 v3, 32, v3
	s_delay_alu instid0(VALU_DEP_2) | instskip(NEXT) | instid1(VALU_DEP_1)
	v_min_u32_e32 v4, 1, v4
	v_or_b32_e32 v4, v5, v4
	s_delay_alu instid0(VALU_DEP_1) | instskip(NEXT) | instid1(VALU_DEP_1)
	v_cvt_f32_i32_e32 v4, v4
	v_ldexp_f32 v3, v4, v3
	s_delay_alu instid0(VALU_DEP_1)
	v_cvt_f16_f32_e32 v3, v3
	s_branch .LBB84_1030
.LBB84_1027:
	s_mov_b32 s29, -1
                                        ; implicit-def: $vgpr3
	s_branch .LBB84_1036
.LBB84_1028:
	s_mov_b32 s29, -1
                                        ; implicit-def: $vgpr3
	s_branch .LBB84_1033
.LBB84_1029:
	s_mov_b32 s29, -1
                                        ; implicit-def: $vgpr3
.LBB84_1030:
	s_delay_alu instid0(SALU_CYCLE_1)
	s_and_not1_b32 vcc_lo, exec_lo, s29
	s_cbranch_vccnz .LBB84_1032
; %bb.1031:
	s_wait_loadcnt 0x0
	global_load_b32 v3, v[0:1], off
	s_wait_loadcnt 0x0
	v_cvt_f32_i32_e32 v3, v3
	s_delay_alu instid0(VALU_DEP_1)
	v_cvt_f16_f32_e32 v3, v3
.LBB84_1032:
	s_mov_b32 s29, 0
.LBB84_1033:
	s_delay_alu instid0(SALU_CYCLE_1)
	s_and_not1_b32 vcc_lo, exec_lo, s29
	s_cbranch_vccnz .LBB84_1035
; %bb.1034:
	s_wait_loadcnt 0x0
	global_load_u16 v3, v[0:1], off
	s_wait_loadcnt 0x0
	v_cvt_f16_i16_e32 v3, v3
.LBB84_1035:
	s_mov_b32 s29, 0
.LBB84_1036:
	s_delay_alu instid0(SALU_CYCLE_1)
	s_and_not1_b32 vcc_lo, exec_lo, s29
	s_cbranch_vccnz .LBB84_1042
; %bb.1037:
	s_cmp_gt_i32 s0, 0
	s_mov_b32 s0, 0
	s_cbranch_scc0 .LBB84_1039
; %bb.1038:
	s_wait_loadcnt 0x0
	global_load_i8 v3, v[0:1], off
	s_wait_loadcnt 0x0
	v_cvt_f16_i16_e32 v3, v3
	s_branch .LBB84_1040
.LBB84_1039:
	s_mov_b32 s0, -1
                                        ; implicit-def: $vgpr3
.LBB84_1040:
	s_delay_alu instid0(SALU_CYCLE_1)
	s_and_not1_b32 vcc_lo, exec_lo, s0
	s_cbranch_vccnz .LBB84_1042
; %bb.1041:
	global_load_u8 v0, v[0:1], off
	s_wait_loadcnt 0x0
	v_cvt_f16_u16_e32 v3, v0
.LBB84_1042:
	s_mov_b32 s30, -1
.LBB84_1043:
	s_delay_alu instid0(SALU_CYCLE_1)
	s_and_not1_b32 vcc_lo, exec_lo, s30
	s_cbranch_vccnz .LBB84_1053
; %bb.1044:
	s_wait_loadcnt 0x0
	v_cvt_f32_f16_e32 v0, v3
	s_mov_b32 s0, exec_lo
	s_delay_alu instid0(VALU_DEP_1) | instskip(NEXT) | instid1(VALU_DEP_1)
	v_mul_f32_e32 v0, s11, v0
	v_cmpx_nlt_f32_e32 s2, v0
	s_cbranch_execz .LBB84_1046
; %bb.1045:
	v_mul_f32_e32 v1, 0x3fb8aa3b, v0
	v_cmp_ngt_f32_e32 vcc_lo, 0xc2ce8ed0, v0
	v_cvt_f32_f16_e32 v2, v2
	s_delay_alu instid0(VALU_DEP_3) | instskip(SKIP_1) | instid1(VALU_DEP_1)
	v_rndne_f32_e32 v3, v1
	v_fma_f32 v4, 0x3fb8aa3b, v0, -v1
	v_dual_sub_f32 v1, v1, v3 :: v_dual_fmamk_f32 v4, v0, 0x32a5705f, v4
	v_cvt_i32_f32_e32 v3, v3
	s_delay_alu instid0(VALU_DEP_2) | instskip(NEXT) | instid1(VALU_DEP_1)
	v_add_f32_e32 v1, v1, v4
	v_exp_f32_e32 v1, v1
	v_nop
	s_delay_alu instid0(TRANS32_DEP_1) | instskip(NEXT) | instid1(VALU_DEP_1)
	v_ldexp_f32 v1, v1, v3
	v_cndmask_b32_e32 v1, 0, v1, vcc_lo
	v_cmp_nlt_f32_e32 vcc_lo, 0x42b17218, v0
	s_delay_alu instid0(VALU_DEP_2) | instskip(NEXT) | instid1(VALU_DEP_1)
	v_cndmask_b32_e32 v0, 0x7f800000, v1, vcc_lo
	v_dual_mul_f32 v1, v0, v2 :: v_dual_add_f32 v0, 1.0, v0
	s_delay_alu instid0(VALU_DEP_1) | instskip(NEXT) | instid1(VALU_DEP_1)
	v_div_scale_f32 v2, null, v0, v0, v1
	v_rcp_f32_e32 v3, v2
	v_nop
	s_delay_alu instid0(TRANS32_DEP_1) | instskip(NEXT) | instid1(VALU_DEP_1)
	v_fma_f32 v4, -v2, v3, 1.0
	v_fmac_f32_e32 v3, v4, v3
	v_div_scale_f32 v4, vcc_lo, v1, v0, v1
	s_delay_alu instid0(VALU_DEP_1) | instskip(NEXT) | instid1(VALU_DEP_1)
	v_mul_f32_e32 v5, v4, v3
	v_fma_f32 v7, -v2, v5, v4
	s_delay_alu instid0(VALU_DEP_1) | instskip(NEXT) | instid1(VALU_DEP_1)
	v_fmac_f32_e32 v5, v7, v3
	v_fma_f32 v2, -v2, v5, v4
	s_delay_alu instid0(VALU_DEP_1) | instskip(NEXT) | instid1(VALU_DEP_1)
	v_div_fmas_f32 v2, v2, v3, v5
	v_div_fixup_f32 v0, v2, v0, v1
	s_delay_alu instid0(VALU_DEP_1)
	v_cvt_f16_f32_e32 v2, v0
.LBB84_1046:
	s_or_b32 exec_lo, exec_lo, s0
	v_mul_lo_u32 v0, v6, s8
	s_and_b32 s29, s3, 0xff
	s_delay_alu instid0(SALU_CYCLE_1) | instskip(NEXT) | instid1(VALU_DEP_1)
	s_cmp_lt_i32 s29, 11
	v_ashrrev_i32_e32 v1, 31, v0
	s_delay_alu instid0(VALU_DEP_1)
	v_add_nc_u64_e32 v[0:1], s[4:5], v[0:1]
	s_cbranch_scc1 .LBB84_1054
; %bb.1047:
	s_and_b32 s30, 0xffff, s29
	s_delay_alu instid0(SALU_CYCLE_1)
	s_cmp_gt_i32 s30, 25
	s_cbranch_scc0 .LBB84_1055
; %bb.1048:
	s_cmp_gt_i32 s30, 28
	s_cbranch_scc0 .LBB84_1056
; %bb.1049:
	;; [unrolled: 3-line block ×4, first 2 shown]
	s_mov_b32 s33, 0
	s_mov_b32 s0, -1
	s_cmp_eq_u32 s30, 46
	s_mov_b32 s31, 0
	s_cbranch_scc0 .LBB84_1059
; %bb.1052:
	v_cvt_f32_f16_e32 v3, v2
	v_cmp_o_f16_e32 vcc_lo, v2, v2
	s_mov_b32 s31, -1
	s_mov_b32 s0, 0
	s_delay_alu instid0(VALU_DEP_2) | instskip(NEXT) | instid1(VALU_DEP_1)
	v_bfe_u32 v4, v3, 16, 1
	v_add3_u32 v3, v3, v4, 0x7fff
	s_delay_alu instid0(VALU_DEP_1) | instskip(NEXT) | instid1(VALU_DEP_1)
	v_lshrrev_b32_e32 v3, 16, v3
	v_cndmask_b32_e32 v3, 0x7fc0, v3, vcc_lo
	global_store_b32 v[0:1], v3, off
	s_branch .LBB84_1059
.LBB84_1053:
	s_mov_b32 s30, 0
	s_mov_b32 s0, s23
	s_branch .LBB84_1170
.LBB84_1054:
	s_mov_b32 s30, -1
	s_mov_b32 s31, 0
	s_mov_b32 s0, s23
	s_branch .LBB84_1128
.LBB84_1055:
	s_mov_b32 s33, -1
	s_mov_b32 s31, 0
	s_mov_b32 s0, s23
	s_branch .LBB84_1086
.LBB84_1056:
	s_mov_b32 s33, -1
	s_mov_b32 s31, 0
	s_mov_b32 s0, s23
	s_branch .LBB84_1069
.LBB84_1057:
	s_mov_b32 s33, -1
	s_mov_b32 s31, 0
	s_mov_b32 s0, s23
	s_branch .LBB84_1065
.LBB84_1058:
	s_mov_b32 s33, -1
	s_mov_b32 s31, 0
	s_mov_b32 s0, s23
.LBB84_1059:
	s_and_b32 vcc_lo, exec_lo, s33
	s_cbranch_vccz .LBB84_1064
; %bb.1060:
	s_cmp_eq_u32 s30, 44
	s_mov_b32 s0, -1
	s_cbranch_scc0 .LBB84_1064
; %bb.1061:
	s_wait_xcnt 0x0
	v_cvt_f32_f16_e32 v3, v2
	v_mov_b32_e32 v4, 0xff
	s_mov_b32 s31, exec_lo
	s_delay_alu instid0(VALU_DEP_2) | instskip(NEXT) | instid1(VALU_DEP_1)
	v_bfe_u32 v5, v3, 23, 8
	v_cmpx_ne_u32_e32 0xff, v5
	s_cbranch_execz .LBB84_1063
; %bb.1062:
	v_and_b32_e32 v4, 0x400000, v3
	v_and_or_b32 v5, 0x3fffff, v3, v5
	v_lshrrev_b32_e32 v3, 23, v3
	s_delay_alu instid0(VALU_DEP_3) | instskip(NEXT) | instid1(VALU_DEP_3)
	v_cmp_ne_u32_e32 vcc_lo, 0, v4
	v_cmp_ne_u32_e64 s0, 0, v5
	s_and_b32 s0, vcc_lo, s0
	s_delay_alu instid0(SALU_CYCLE_1) | instskip(NEXT) | instid1(VALU_DEP_1)
	v_cndmask_b32_e64 v4, 0, 1, s0
	v_add_nc_u32_e32 v4, v3, v4
.LBB84_1063:
	s_or_b32 exec_lo, exec_lo, s31
	s_mov_b32 s31, -1
	s_mov_b32 s0, 0
	global_store_b8 v[0:1], v4, off
.LBB84_1064:
	s_mov_b32 s33, 0
.LBB84_1065:
	s_delay_alu instid0(SALU_CYCLE_1)
	s_and_b32 vcc_lo, exec_lo, s33
	s_cbranch_vccz .LBB84_1068
; %bb.1066:
	s_cmp_eq_u32 s30, 29
	s_mov_b32 s0, -1
	s_cbranch_scc0 .LBB84_1068
; %bb.1067:
	s_wait_xcnt 0x0
	v_cvt_f32_f16_e32 v3, v2
	v_mov_b32_e32 v5, 0
	s_mov_b32 s31, -1
	s_mov_b32 s0, 0
	s_mov_b32 s33, 0
	v_cvt_u32_f32_e32 v4, v3
	global_store_b64 v[0:1], v[4:5], off
	s_branch .LBB84_1069
.LBB84_1068:
	s_mov_b32 s33, 0
.LBB84_1069:
	s_delay_alu instid0(SALU_CYCLE_1)
	s_and_b32 vcc_lo, exec_lo, s33
	s_cbranch_vccz .LBB84_1085
; %bb.1070:
	s_cmp_lt_i32 s30, 27
	s_mov_b32 s31, -1
	s_cbranch_scc1 .LBB84_1076
; %bb.1071:
	s_cmp_gt_i32 s30, 27
	s_cbranch_scc0 .LBB84_1073
; %bb.1072:
	s_wait_xcnt 0x0
	v_cvt_f32_f16_e32 v3, v2
	s_mov_b32 s31, 0
	s_delay_alu instid0(VALU_DEP_1)
	v_cvt_u32_f32_e32 v3, v3
	global_store_b32 v[0:1], v3, off
.LBB84_1073:
	s_and_not1_b32 vcc_lo, exec_lo, s31
	s_cbranch_vccnz .LBB84_1075
; %bb.1074:
	s_wait_xcnt 0x0
	v_cvt_u16_f16_e32 v3, v2
	global_store_b16 v[0:1], v3, off
.LBB84_1075:
	s_mov_b32 s31, 0
.LBB84_1076:
	s_delay_alu instid0(SALU_CYCLE_1)
	s_and_not1_b32 vcc_lo, exec_lo, s31
	s_cbranch_vccnz .LBB84_1084
; %bb.1077:
	s_wait_xcnt 0x0
	v_cvt_f32_f16_e32 v3, v2
	v_mov_b32_e32 v5, 0x80
	s_mov_b32 s31, exec_lo
	s_delay_alu instid0(VALU_DEP_2) | instskip(NEXT) | instid1(VALU_DEP_1)
	v_and_b32_e32 v4, 0x7fffffff, v3
	v_cmpx_gt_u32_e32 0x43800000, v4
	s_cbranch_execz .LBB84_1083
; %bb.1078:
	v_cmp_lt_u32_e32 vcc_lo, 0x3bffffff, v4
	s_mov_b32 s33, 0
                                        ; implicit-def: $vgpr4
	s_and_saveexec_b32 s34, vcc_lo
	s_delay_alu instid0(SALU_CYCLE_1)
	s_xor_b32 s34, exec_lo, s34
	s_cbranch_execz .LBB84_1186
; %bb.1079:
	v_bfe_u32 v4, v3, 20, 1
	s_mov_b32 s33, exec_lo
	s_delay_alu instid0(VALU_DEP_1) | instskip(NEXT) | instid1(VALU_DEP_1)
	v_add3_u32 v4, v3, v4, 0x487ffff
	v_lshrrev_b32_e32 v4, 20, v4
	s_and_not1_saveexec_b32 s34, s34
	s_cbranch_execnz .LBB84_1187
.LBB84_1080:
	s_or_b32 exec_lo, exec_lo, s34
	v_mov_b32_e32 v5, 0
	s_and_saveexec_b32 s34, s33
.LBB84_1081:
	v_lshrrev_b32_e32 v3, 24, v3
	s_delay_alu instid0(VALU_DEP_1)
	v_and_or_b32 v5, 0x80, v3, v4
.LBB84_1082:
	s_or_b32 exec_lo, exec_lo, s34
.LBB84_1083:
	s_delay_alu instid0(SALU_CYCLE_1)
	s_or_b32 exec_lo, exec_lo, s31
	global_store_b8 v[0:1], v5, off
.LBB84_1084:
	s_mov_b32 s31, -1
.LBB84_1085:
	s_mov_b32 s33, 0
.LBB84_1086:
	s_delay_alu instid0(SALU_CYCLE_1)
	s_and_b32 vcc_lo, exec_lo, s33
	s_cbranch_vccz .LBB84_1127
; %bb.1087:
	s_cmp_gt_i32 s30, 22
	s_mov_b32 s33, -1
	s_cbranch_scc0 .LBB84_1119
; %bb.1088:
	s_cmp_lt_i32 s30, 24
	s_mov_b32 s31, -1
	s_cbranch_scc1 .LBB84_1108
; %bb.1089:
	s_cmp_gt_i32 s30, 24
	s_cbranch_scc0 .LBB84_1097
; %bb.1090:
	s_wait_xcnt 0x0
	v_cvt_f32_f16_e32 v3, v2
	v_mov_b32_e32 v5, 0x80
	s_mov_b32 s31, exec_lo
	s_delay_alu instid0(VALU_DEP_2) | instskip(NEXT) | instid1(VALU_DEP_1)
	v_and_b32_e32 v4, 0x7fffffff, v3
	v_cmpx_gt_u32_e32 0x47800000, v4
	s_cbranch_execz .LBB84_1096
; %bb.1091:
	v_cmp_lt_u32_e32 vcc_lo, 0x37ffffff, v4
	s_mov_b32 s33, 0
                                        ; implicit-def: $vgpr4
	s_and_saveexec_b32 s34, vcc_lo
	s_delay_alu instid0(SALU_CYCLE_1)
	s_xor_b32 s34, exec_lo, s34
	s_cbranch_execz .LBB84_2220
; %bb.1092:
	v_bfe_u32 v4, v3, 21, 1
	s_mov_b32 s33, exec_lo
	s_delay_alu instid0(VALU_DEP_1) | instskip(NEXT) | instid1(VALU_DEP_1)
	v_add3_u32 v4, v3, v4, 0x88fffff
	v_lshrrev_b32_e32 v4, 21, v4
	s_and_not1_saveexec_b32 s34, s34
	s_cbranch_execnz .LBB84_2221
.LBB84_1093:
	s_or_b32 exec_lo, exec_lo, s34
	v_mov_b32_e32 v5, 0
	s_and_saveexec_b32 s34, s33
.LBB84_1094:
	v_lshrrev_b32_e32 v3, 24, v3
	s_delay_alu instid0(VALU_DEP_1)
	v_and_or_b32 v5, 0x80, v3, v4
.LBB84_1095:
	s_or_b32 exec_lo, exec_lo, s34
.LBB84_1096:
	s_delay_alu instid0(SALU_CYCLE_1)
	s_or_b32 exec_lo, exec_lo, s31
	s_mov_b32 s31, 0
	global_store_b8 v[0:1], v5, off
.LBB84_1097:
	s_and_b32 vcc_lo, exec_lo, s31
	s_cbranch_vccz .LBB84_1107
; %bb.1098:
	s_wait_xcnt 0x0
	v_cvt_f32_f16_e32 v3, v2
	s_mov_b32 s31, exec_lo
                                        ; implicit-def: $vgpr4
	s_delay_alu instid0(VALU_DEP_1) | instskip(NEXT) | instid1(VALU_DEP_1)
	v_and_b32_e32 v5, 0x7fffffff, v3
	v_cmpx_gt_u32_e32 0x43f00000, v5
	s_xor_b32 s31, exec_lo, s31
	s_cbranch_execz .LBB84_1104
; %bb.1099:
	s_mov_b32 s33, exec_lo
                                        ; implicit-def: $vgpr4
	v_cmpx_lt_u32_e32 0x3c7fffff, v5
	s_xor_b32 s33, exec_lo, s33
; %bb.1100:
	v_bfe_u32 v4, v3, 20, 1
	s_delay_alu instid0(VALU_DEP_1) | instskip(NEXT) | instid1(VALU_DEP_1)
	v_add3_u32 v4, v3, v4, 0x407ffff
	v_and_b32_e32 v5, 0xff00000, v4
	v_lshrrev_b32_e32 v4, 20, v4
	s_delay_alu instid0(VALU_DEP_2) | instskip(NEXT) | instid1(VALU_DEP_2)
	v_cmp_ne_u32_e32 vcc_lo, 0x7f00000, v5
	v_cndmask_b32_e32 v4, 0x7e, v4, vcc_lo
; %bb.1101:
	s_and_not1_saveexec_b32 s33, s33
; %bb.1102:
	v_add_f32_e64 v4, 0x46800000, |v3|
; %bb.1103:
	s_or_b32 exec_lo, exec_lo, s33
                                        ; implicit-def: $vgpr5
.LBB84_1104:
	s_and_not1_saveexec_b32 s31, s31
; %bb.1105:
	v_mov_b32_e32 v4, 0x7f
	v_cmp_lt_u32_e32 vcc_lo, 0x7f800000, v5
	s_delay_alu instid0(VALU_DEP_2)
	v_cndmask_b32_e32 v4, 0x7e, v4, vcc_lo
; %bb.1106:
	s_or_b32 exec_lo, exec_lo, s31
	v_lshrrev_b32_e32 v3, 24, v3
	s_delay_alu instid0(VALU_DEP_1)
	v_and_or_b32 v3, 0x80, v3, v4
	global_store_b8 v[0:1], v3, off
.LBB84_1107:
	s_mov_b32 s31, 0
.LBB84_1108:
	s_delay_alu instid0(SALU_CYCLE_1)
	s_and_not1_b32 vcc_lo, exec_lo, s31
	s_cbranch_vccnz .LBB84_1118
; %bb.1109:
	s_wait_xcnt 0x0
	v_cvt_f32_f16_e32 v3, v2
	s_mov_b32 s31, exec_lo
                                        ; implicit-def: $vgpr4
	s_delay_alu instid0(VALU_DEP_1) | instskip(NEXT) | instid1(VALU_DEP_1)
	v_and_b32_e32 v5, 0x7fffffff, v3
	v_cmpx_gt_u32_e32 0x47800000, v5
	s_xor_b32 s31, exec_lo, s31
	s_cbranch_execz .LBB84_1115
; %bb.1110:
	s_mov_b32 s33, exec_lo
                                        ; implicit-def: $vgpr4
	v_cmpx_lt_u32_e32 0x387fffff, v5
	s_xor_b32 s33, exec_lo, s33
; %bb.1111:
	v_bfe_u32 v4, v3, 21, 1
	s_delay_alu instid0(VALU_DEP_1) | instskip(NEXT) | instid1(VALU_DEP_1)
	v_add3_u32 v4, v3, v4, 0x80fffff
	v_lshrrev_b32_e32 v4, 21, v4
; %bb.1112:
	s_and_not1_saveexec_b32 s33, s33
; %bb.1113:
	v_add_f32_e64 v4, 0x43000000, |v3|
; %bb.1114:
	s_or_b32 exec_lo, exec_lo, s33
                                        ; implicit-def: $vgpr5
.LBB84_1115:
	s_and_not1_saveexec_b32 s31, s31
; %bb.1116:
	v_mov_b32_e32 v4, 0x7f
	v_cmp_lt_u32_e32 vcc_lo, 0x7f800000, v5
	s_delay_alu instid0(VALU_DEP_2)
	v_cndmask_b32_e32 v4, 0x7c, v4, vcc_lo
; %bb.1117:
	s_or_b32 exec_lo, exec_lo, s31
	v_lshrrev_b32_e32 v3, 24, v3
	s_delay_alu instid0(VALU_DEP_1)
	v_and_or_b32 v3, 0x80, v3, v4
	global_store_b8 v[0:1], v3, off
.LBB84_1118:
	s_mov_b32 s33, 0
	s_mov_b32 s31, -1
.LBB84_1119:
	s_and_not1_b32 vcc_lo, exec_lo, s33
	s_cbranch_vccnz .LBB84_1127
; %bb.1120:
	s_cmp_gt_i32 s30, 14
	s_mov_b32 s33, -1
	s_cbranch_scc0 .LBB84_1124
; %bb.1121:
	s_cmp_eq_u32 s30, 15
	s_mov_b32 s0, -1
	s_cbranch_scc0 .LBB84_1123
; %bb.1122:
	s_wait_xcnt 0x0
	v_cvt_f32_f16_e32 v3, v2
	v_cmp_o_f16_e32 vcc_lo, v2, v2
	s_mov_b32 s31, -1
	s_mov_b32 s0, 0
	s_delay_alu instid0(VALU_DEP_2) | instskip(NEXT) | instid1(VALU_DEP_1)
	v_bfe_u32 v4, v3, 16, 1
	v_add3_u32 v3, v3, v4, 0x7fff
	s_delay_alu instid0(VALU_DEP_1) | instskip(NEXT) | instid1(VALU_DEP_1)
	v_lshrrev_b32_e32 v3, 16, v3
	v_cndmask_b32_e32 v3, 0x7fc0, v3, vcc_lo
	global_store_b16 v[0:1], v3, off
.LBB84_1123:
	s_mov_b32 s33, 0
.LBB84_1124:
	s_delay_alu instid0(SALU_CYCLE_1)
	s_and_b32 vcc_lo, exec_lo, s33
	s_cbranch_vccz .LBB84_1127
; %bb.1125:
	s_cmp_eq_u32 s30, 11
	s_mov_b32 s0, -1
	s_cbranch_scc0 .LBB84_1127
; %bb.1126:
	s_wait_xcnt 0x0
	v_and_b32_e32 v3, 0x7fff, v2
	s_mov_b32 s0, 0
	s_mov_b32 s31, -1
	s_delay_alu instid0(VALU_DEP_1)
	v_cmp_ne_u16_e32 vcc_lo, 0, v3
	v_cndmask_b32_e64 v3, 0, 1, vcc_lo
	global_store_b8 v[0:1], v3, off
.LBB84_1127:
	s_mov_b32 s30, 0
.LBB84_1128:
	s_delay_alu instid0(SALU_CYCLE_1)
	s_and_b32 vcc_lo, exec_lo, s30
	s_cbranch_vccz .LBB84_1167
; %bb.1129:
	s_and_b32 s29, 0xffff, s29
	s_mov_b32 s30, -1
	s_cmp_lt_i32 s29, 5
	s_cbranch_scc1 .LBB84_1150
; %bb.1130:
	s_cmp_lt_i32 s29, 8
	s_cbranch_scc1 .LBB84_1140
; %bb.1131:
	;; [unrolled: 3-line block ×3, first 2 shown]
	s_cmp_gt_i32 s29, 9
	s_cbranch_scc0 .LBB84_1134
; %bb.1133:
	s_wait_xcnt 0x0
	v_cvt_f32_f16_e32 v3, v2
	v_mov_b32_e32 v10, 0
	s_mov_b32 s30, 0
	s_delay_alu instid0(VALU_DEP_2) | instskip(NEXT) | instid1(VALU_DEP_2)
	v_cvt_f64_f32_e32 v[8:9], v3
	v_mov_b32_e32 v11, v10
	global_store_b128 v[0:1], v[8:11], off
.LBB84_1134:
	s_and_not1_b32 vcc_lo, exec_lo, s30
	s_cbranch_vccnz .LBB84_1136
; %bb.1135:
	s_wait_xcnt 0x0
	v_cvt_f32_f16_e32 v4, v2
	v_mov_b32_e32 v5, 0
	global_store_b64 v[0:1], v[4:5], off
.LBB84_1136:
	s_mov_b32 s30, 0
.LBB84_1137:
	s_delay_alu instid0(SALU_CYCLE_1)
	s_and_not1_b32 vcc_lo, exec_lo, s30
	s_cbranch_vccnz .LBB84_1139
; %bb.1138:
	s_wait_xcnt 0x0
	v_and_b32_e32 v3, 0xffff, v2
	global_store_b32 v[0:1], v3, off
.LBB84_1139:
	s_mov_b32 s30, 0
.LBB84_1140:
	s_delay_alu instid0(SALU_CYCLE_1)
	s_and_not1_b32 vcc_lo, exec_lo, s30
	s_cbranch_vccnz .LBB84_1149
; %bb.1141:
	s_cmp_lt_i32 s29, 6
	s_mov_b32 s30, -1
	s_cbranch_scc1 .LBB84_1147
; %bb.1142:
	s_cmp_gt_i32 s29, 6
	s_cbranch_scc0 .LBB84_1144
; %bb.1143:
	s_wait_xcnt 0x0
	v_cvt_f32_f16_e32 v3, v2
	s_mov_b32 s30, 0
	s_delay_alu instid0(VALU_DEP_1)
	v_cvt_f64_f32_e32 v[4:5], v3
	global_store_b64 v[0:1], v[4:5], off
.LBB84_1144:
	s_and_not1_b32 vcc_lo, exec_lo, s30
	s_cbranch_vccnz .LBB84_1146
; %bb.1145:
	s_wait_xcnt 0x0
	v_cvt_f32_f16_e32 v3, v2
	global_store_b32 v[0:1], v3, off
.LBB84_1146:
	s_mov_b32 s30, 0
.LBB84_1147:
	s_delay_alu instid0(SALU_CYCLE_1)
	s_and_not1_b32 vcc_lo, exec_lo, s30
	s_cbranch_vccnz .LBB84_1149
; %bb.1148:
	global_store_b16 v[0:1], v2, off
.LBB84_1149:
	s_mov_b32 s30, 0
.LBB84_1150:
	s_delay_alu instid0(SALU_CYCLE_1)
	s_and_not1_b32 vcc_lo, exec_lo, s30
	s_cbranch_vccnz .LBB84_1166
; %bb.1151:
	s_cmp_lt_i32 s29, 2
	s_mov_b32 s30, -1
	s_cbranch_scc1 .LBB84_1161
; %bb.1152:
	s_cmp_lt_i32 s29, 3
	s_cbranch_scc1 .LBB84_1158
; %bb.1153:
	s_cmp_gt_i32 s29, 3
	s_cbranch_scc0 .LBB84_1155
; %bb.1154:
	s_wait_xcnt 0x0
	v_cvt_f32_f16_e32 v3, v2
	s_mov_b32 s30, 0
	s_delay_alu instid0(VALU_DEP_1) | instskip(NEXT) | instid1(VALU_DEP_1)
	v_cvt_i32_f32_e32 v4, v3
	v_ashrrev_i32_e32 v5, 31, v4
	global_store_b64 v[0:1], v[4:5], off
.LBB84_1155:
	s_and_not1_b32 vcc_lo, exec_lo, s30
	s_cbranch_vccnz .LBB84_1157
; %bb.1156:
	s_wait_xcnt 0x0
	v_cvt_f32_f16_e32 v3, v2
	s_delay_alu instid0(VALU_DEP_1)
	v_cvt_i32_f32_e32 v3, v3
	global_store_b32 v[0:1], v3, off
.LBB84_1157:
	s_mov_b32 s30, 0
.LBB84_1158:
	s_delay_alu instid0(SALU_CYCLE_1)
	s_and_not1_b32 vcc_lo, exec_lo, s30
	s_cbranch_vccnz .LBB84_1160
; %bb.1159:
	s_wait_xcnt 0x0
	v_cvt_i16_f16_e32 v3, v2
	global_store_b16 v[0:1], v3, off
.LBB84_1160:
	s_mov_b32 s30, 0
.LBB84_1161:
	s_delay_alu instid0(SALU_CYCLE_1)
	s_and_not1_b32 vcc_lo, exec_lo, s30
	s_cbranch_vccnz .LBB84_1166
; %bb.1162:
	s_cmp_gt_i32 s29, 0
	s_mov_b32 s29, -1
	s_cbranch_scc0 .LBB84_1164
; %bb.1163:
	s_wait_xcnt 0x0
	v_cvt_i16_f16_e32 v3, v2
	s_mov_b32 s29, 0
	global_store_b8 v[0:1], v3, off
.LBB84_1164:
	s_and_not1_b32 vcc_lo, exec_lo, s29
	s_cbranch_vccnz .LBB84_1166
; %bb.1165:
	s_wait_xcnt 0x0
	v_cvt_f32_f16_e32 v2, v2
	s_delay_alu instid0(VALU_DEP_1)
	v_cvt_i32_f32_e32 v2, v2
	global_store_b8 v[0:1], v2, off
.LBB84_1166:
	s_mov_b32 s31, -1
.LBB84_1167:
	s_delay_alu instid0(SALU_CYCLE_1)
	s_and_not1_b32 vcc_lo, exec_lo, s31
	s_cbranch_vccnz .LBB84_1169
; %bb.1168:
	v_add_nc_u32_e32 v6, 0x80, v6
	s_mov_b32 s30, -1
	s_branch .LBB84_1171
.LBB84_1169:
	s_mov_b32 s30, 0
.LBB84_1170:
                                        ; implicit-def: $vgpr6
.LBB84_1171:
	s_and_not1_b32 s29, s23, exec_lo
	s_and_b32 s0, s0, exec_lo
	s_and_b32 s28, s28, exec_lo
	s_or_b32 s29, s29, s0
	s_and_not1_b32 s0, s24, exec_lo
	s_and_not1_b32 s31, s22, exec_lo
	s_and_b32 s27, s27, exec_lo
	s_or_b32 s28, s0, s28
	s_or_b32 s27, s31, s27
	s_or_not1_b32 s34, s30, exec_lo
.LBB84_1172:
	s_wait_xcnt 0x0
	s_or_b32 exec_lo, exec_lo, s26
	s_mov_b32 s30, 0
	s_mov_b32 s31, 0
	;; [unrolled: 1-line block ×3, first 2 shown]
                                        ; implicit-def: $sgpr0
                                        ; implicit-def: $vgpr0_vgpr1
                                        ; implicit-def: $vgpr2
	s_and_saveexec_b32 s26, s34
	s_cbranch_execz .LBB84_1255
; %bb.1173:
	v_cmp_gt_i32_e32 vcc_lo, s18, v6
	s_mov_b32 s35, s27
	s_mov_b32 s34, 0
	;; [unrolled: 1-line block ×3, first 2 shown]
                                        ; implicit-def: $sgpr0
                                        ; implicit-def: $vgpr0_vgpr1
                                        ; implicit-def: $vgpr2
	s_and_saveexec_b32 s18, vcc_lo
	s_cbranch_execz .LBB84_1254
; %bb.1174:
	v_mul_lo_u32 v0, v6, s9
	s_and_b32 s0, s15, 0xff
	s_delay_alu instid0(SALU_CYCLE_1) | instskip(NEXT) | instid1(VALU_DEP_1)
	s_cmp_lt_i32 s0, 11
	v_ashrrev_i32_e32 v1, 31, v0
	s_delay_alu instid0(VALU_DEP_1)
	v_add_nc_u64_e32 v[0:1], s[6:7], v[0:1]
	s_cbranch_scc1 .LBB84_1181
; %bb.1175:
	s_and_b32 s30, 0xffff, s0
	s_delay_alu instid0(SALU_CYCLE_1)
	s_cmp_gt_i32 s30, 25
	s_cbranch_scc0 .LBB84_1182
; %bb.1176:
	s_cmp_gt_i32 s30, 28
	s_cbranch_scc0 .LBB84_1183
; %bb.1177:
	;; [unrolled: 3-line block ×4, first 2 shown]
	s_cmp_eq_u32 s30, 46
	s_mov_b32 s35, 0
	s_cbranch_scc0 .LBB84_1188
; %bb.1180:
	s_wait_loadcnt 0x0
	global_load_b32 v2, v[0:1], off
	s_mov_b32 s34, -1
	s_wait_loadcnt 0x0
	v_lshlrev_b32_e32 v2, 16, v2
	s_delay_alu instid0(VALU_DEP_1)
	v_cvt_f16_f32_e32 v2, v2
	s_branch .LBB84_1190
.LBB84_1181:
	s_mov_b32 s30, -1
	s_mov_b32 s31, s27
                                        ; implicit-def: $vgpr2
	s_branch .LBB84_1253
.LBB84_1182:
	s_mov_b32 s35, -1
	s_mov_b32 s31, s27
                                        ; implicit-def: $vgpr2
	s_branch .LBB84_1219
.LBB84_1183:
	s_mov_b32 s35, -1
	s_mov_b32 s31, s27
                                        ; implicit-def: $vgpr2
	s_branch .LBB84_1200
.LBB84_1184:
	s_mov_b32 s35, -1
	s_mov_b32 s31, s27
                                        ; implicit-def: $vgpr2
	s_branch .LBB84_1195
.LBB84_1185:
	s_mov_b32 s35, -1
	s_mov_b32 s31, s27
	s_branch .LBB84_1189
.LBB84_1186:
	s_and_not1_saveexec_b32 s34, s34
	s_cbranch_execz .LBB84_1080
.LBB84_1187:
	v_add_f32_e64 v4, 0x46000000, |v3|
	s_and_not1_b32 s33, s33, exec_lo
	s_delay_alu instid0(VALU_DEP_1) | instskip(NEXT) | instid1(VALU_DEP_1)
	v_and_b32_e32 v4, 0xff, v4
	v_cmp_ne_u32_e32 vcc_lo, 0, v4
	s_and_b32 s35, vcc_lo, exec_lo
	s_delay_alu instid0(SALU_CYCLE_1)
	s_or_b32 s33, s33, s35
	s_or_b32 exec_lo, exec_lo, s34
	v_mov_b32_e32 v5, 0
	s_and_saveexec_b32 s34, s33
	s_cbranch_execnz .LBB84_1081
	s_branch .LBB84_1082
.LBB84_1188:
	s_mov_b32 s31, -1
.LBB84_1189:
                                        ; implicit-def: $vgpr2
.LBB84_1190:
	s_and_b32 vcc_lo, exec_lo, s35
	s_cbranch_vccz .LBB84_1194
; %bb.1191:
	s_cmp_eq_u32 s30, 44
	s_cbranch_scc0 .LBB84_1193
; %bb.1192:
	s_wait_loadcnt 0x0
	global_load_u8 v2, v[0:1], off
	s_mov_b32 s31, 0
	s_mov_b32 s34, -1
	s_wait_loadcnt 0x0
	v_lshlrev_b32_e32 v3, 23, v2
	v_cmp_ne_u32_e32 vcc_lo, 0xff, v2
	s_delay_alu instid0(VALU_DEP_2) | instskip(NEXT) | instid1(VALU_DEP_1)
	v_cvt_f16_f32_e32 v3, v3
	v_cndmask_b32_e32 v3, 0x7e00, v3, vcc_lo
	v_cmp_ne_u32_e32 vcc_lo, 0, v2
	s_delay_alu instid0(VALU_DEP_2)
	v_cndmask_b32_e32 v2, 0, v3, vcc_lo
	s_branch .LBB84_1194
.LBB84_1193:
	s_mov_b32 s31, -1
                                        ; implicit-def: $vgpr2
.LBB84_1194:
	s_mov_b32 s35, 0
.LBB84_1195:
	s_delay_alu instid0(SALU_CYCLE_1)
	s_and_b32 vcc_lo, exec_lo, s35
	s_cbranch_vccz .LBB84_1199
; %bb.1196:
	s_cmp_eq_u32 s30, 29
	s_cbranch_scc0 .LBB84_1198
; %bb.1197:
	s_wait_loadcnt 0x0
	global_load_b64 v[2:3], v[0:1], off
	s_mov_b32 s31, 0
	s_mov_b32 s34, -1
	s_mov_b32 s35, 0
	s_wait_loadcnt 0x0
	v_clz_i32_u32_e32 v4, v3
	s_delay_alu instid0(VALU_DEP_1) | instskip(NEXT) | instid1(VALU_DEP_1)
	v_min_u32_e32 v4, 32, v4
	v_lshlrev_b64_e32 v[2:3], v4, v[2:3]
	s_delay_alu instid0(VALU_DEP_1) | instskip(NEXT) | instid1(VALU_DEP_1)
	v_min_u32_e32 v2, 1, v2
	v_dual_sub_nc_u32 v3, 32, v4 :: v_dual_bitop2_b32 v2, v3, v2 bitop3:0x54
	s_delay_alu instid0(VALU_DEP_1) | instskip(NEXT) | instid1(VALU_DEP_1)
	v_cvt_f32_u32_e32 v2, v2
	v_ldexp_f32 v2, v2, v3
	s_delay_alu instid0(VALU_DEP_1)
	v_cvt_f16_f32_e32 v2, v2
	s_branch .LBB84_1200
.LBB84_1198:
	s_mov_b32 s31, -1
                                        ; implicit-def: $vgpr2
.LBB84_1199:
	s_mov_b32 s35, 0
.LBB84_1200:
	s_delay_alu instid0(SALU_CYCLE_1)
	s_and_b32 vcc_lo, exec_lo, s35
	s_cbranch_vccz .LBB84_1218
; %bb.1201:
	s_cmp_lt_i32 s30, 27
	s_cbranch_scc1 .LBB84_1204
; %bb.1202:
	s_cmp_gt_i32 s30, 27
	s_cbranch_scc0 .LBB84_1205
; %bb.1203:
	s_wait_loadcnt 0x0
	global_load_b32 v2, v[0:1], off
	s_mov_b32 s34, 0
	s_wait_loadcnt 0x0
	v_cvt_f32_u32_e32 v2, v2
	s_delay_alu instid0(VALU_DEP_1)
	v_cvt_f16_f32_e32 v2, v2
	s_branch .LBB84_1206
.LBB84_1204:
	s_mov_b32 s34, -1
                                        ; implicit-def: $vgpr2
	s_branch .LBB84_1209
.LBB84_1205:
	s_mov_b32 s34, -1
                                        ; implicit-def: $vgpr2
.LBB84_1206:
	s_delay_alu instid0(SALU_CYCLE_1)
	s_and_not1_b32 vcc_lo, exec_lo, s34
	s_cbranch_vccnz .LBB84_1208
; %bb.1207:
	s_wait_loadcnt 0x0
	global_load_u16 v2, v[0:1], off
	s_wait_loadcnt 0x0
	v_cvt_f16_u16_e32 v2, v2
.LBB84_1208:
	s_mov_b32 s34, 0
.LBB84_1209:
	s_delay_alu instid0(SALU_CYCLE_1)
	s_and_not1_b32 vcc_lo, exec_lo, s34
	s_cbranch_vccnz .LBB84_1217
; %bb.1210:
	s_wait_loadcnt 0x0
	global_load_u8 v3, v[0:1], off
	s_mov_b32 s34, 0
	s_mov_b32 s35, exec_lo
	s_wait_loadcnt 0x0
	v_cmpx_lt_i16_e32 0x7f, v3
	s_xor_b32 s35, exec_lo, s35
	s_cbranch_execz .LBB84_1231
; %bb.1211:
	s_mov_b32 s34, -1
	s_mov_b32 s36, exec_lo
	v_cmpx_eq_u16_e32 0x80, v3
; %bb.1212:
	s_xor_b32 s34, exec_lo, -1
; %bb.1213:
	s_or_b32 exec_lo, exec_lo, s36
	s_delay_alu instid0(SALU_CYCLE_1)
	s_and_b32 s34, s34, exec_lo
	s_or_saveexec_b32 s35, s35
	v_mov_b32_e32 v2, 0x7e00
	s_xor_b32 exec_lo, exec_lo, s35
	s_cbranch_execnz .LBB84_1232
.LBB84_1214:
	s_or_b32 exec_lo, exec_lo, s35
	s_and_saveexec_b32 s35, s34
	s_cbranch_execz .LBB84_1216
.LBB84_1215:
	v_and_b32_e32 v2, 0xffff, v3
	s_delay_alu instid0(VALU_DEP_1) | instskip(SKIP_1) | instid1(VALU_DEP_2)
	v_and_b32_e32 v4, 7, v2
	v_bfe_u32 v8, v2, 3, 4
	v_clz_i32_u32_e32 v5, v4
	s_delay_alu instid0(VALU_DEP_2) | instskip(NEXT) | instid1(VALU_DEP_2)
	v_cmp_eq_u32_e32 vcc_lo, 0, v8
	v_min_u32_e32 v5, 32, v5
	s_delay_alu instid0(VALU_DEP_1) | instskip(NEXT) | instid1(VALU_DEP_1)
	v_subrev_nc_u32_e32 v7, 28, v5
	v_dual_lshlrev_b32 v2, v7, v2 :: v_dual_sub_nc_u32 v5, 29, v5
	s_delay_alu instid0(VALU_DEP_1) | instskip(NEXT) | instid1(VALU_DEP_2)
	v_dual_lshlrev_b32 v3, 24, v3 :: v_dual_bitop2_b32 v2, 7, v2 bitop3:0x40
	v_cndmask_b32_e32 v5, v8, v5, vcc_lo
	s_delay_alu instid0(VALU_DEP_2) | instskip(NEXT) | instid1(VALU_DEP_3)
	v_cndmask_b32_e32 v2, v4, v2, vcc_lo
	v_and_b32_e32 v3, 0x80000000, v3
	s_delay_alu instid0(VALU_DEP_3) | instskip(NEXT) | instid1(VALU_DEP_3)
	v_lshl_add_u32 v4, v5, 23, 0x3b800000
	v_lshlrev_b32_e32 v2, 20, v2
	s_delay_alu instid0(VALU_DEP_1) | instskip(NEXT) | instid1(VALU_DEP_1)
	v_or3_b32 v2, v3, v4, v2
	v_cvt_f16_f32_e32 v2, v2
.LBB84_1216:
	s_or_b32 exec_lo, exec_lo, s35
.LBB84_1217:
	s_mov_b32 s34, -1
.LBB84_1218:
	s_mov_b32 s35, 0
.LBB84_1219:
	s_delay_alu instid0(SALU_CYCLE_1)
	s_and_b32 vcc_lo, exec_lo, s35
	s_cbranch_vccz .LBB84_1252
; %bb.1220:
	s_cmp_gt_i32 s30, 22
	s_cbranch_scc0 .LBB84_1230
; %bb.1221:
	s_cmp_lt_i32 s30, 24
	s_cbranch_scc1 .LBB84_1233
; %bb.1222:
	s_cmp_gt_i32 s30, 24
	s_cbranch_scc0 .LBB84_1234
; %bb.1223:
	s_wait_loadcnt 0x0
	global_load_u8 v3, v[0:1], off
	s_mov_b32 s34, exec_lo
	s_wait_loadcnt 0x0
	v_cmpx_lt_i16_e32 0x7f, v3
	s_xor_b32 s34, exec_lo, s34
	s_cbranch_execz .LBB84_1246
; %bb.1224:
	s_mov_b32 s33, -1
	s_mov_b32 s35, exec_lo
	v_cmpx_eq_u16_e32 0x80, v3
; %bb.1225:
	s_xor_b32 s33, exec_lo, -1
; %bb.1226:
	s_or_b32 exec_lo, exec_lo, s35
	s_delay_alu instid0(SALU_CYCLE_1)
	s_and_b32 s33, s33, exec_lo
	s_or_saveexec_b32 s34, s34
	v_mov_b32_e32 v2, 0x7e00
	s_xor_b32 exec_lo, exec_lo, s34
	s_cbranch_execnz .LBB84_1247
.LBB84_1227:
	s_or_b32 exec_lo, exec_lo, s34
	s_and_saveexec_b32 s34, s33
	s_cbranch_execz .LBB84_1229
.LBB84_1228:
	v_and_b32_e32 v2, 0xffff, v3
	s_delay_alu instid0(VALU_DEP_1) | instskip(SKIP_1) | instid1(VALU_DEP_2)
	v_and_b32_e32 v4, 3, v2
	v_bfe_u32 v8, v2, 2, 5
	v_clz_i32_u32_e32 v5, v4
	s_delay_alu instid0(VALU_DEP_2) | instskip(NEXT) | instid1(VALU_DEP_2)
	v_cmp_eq_u32_e32 vcc_lo, 0, v8
	v_min_u32_e32 v5, 32, v5
	s_delay_alu instid0(VALU_DEP_1) | instskip(NEXT) | instid1(VALU_DEP_1)
	v_subrev_nc_u32_e32 v7, 29, v5
	v_dual_lshlrev_b32 v2, v7, v2 :: v_dual_sub_nc_u32 v5, 30, v5
	s_delay_alu instid0(VALU_DEP_1) | instskip(NEXT) | instid1(VALU_DEP_2)
	v_dual_lshlrev_b32 v3, 24, v3 :: v_dual_bitop2_b32 v2, 3, v2 bitop3:0x40
	v_cndmask_b32_e32 v5, v8, v5, vcc_lo
	s_delay_alu instid0(VALU_DEP_2) | instskip(NEXT) | instid1(VALU_DEP_3)
	v_cndmask_b32_e32 v2, v4, v2, vcc_lo
	v_and_b32_e32 v3, 0x80000000, v3
	s_delay_alu instid0(VALU_DEP_3) | instskip(NEXT) | instid1(VALU_DEP_3)
	v_lshl_add_u32 v4, v5, 23, 0x37800000
	v_lshlrev_b32_e32 v2, 21, v2
	s_delay_alu instid0(VALU_DEP_1) | instskip(NEXT) | instid1(VALU_DEP_1)
	v_or3_b32 v2, v3, v4, v2
	v_cvt_f16_f32_e32 v2, v2
.LBB84_1229:
	s_or_b32 exec_lo, exec_lo, s34
	s_mov_b32 s33, 0
	s_branch .LBB84_1235
.LBB84_1230:
	s_mov_b32 s33, -1
                                        ; implicit-def: $vgpr2
	s_branch .LBB84_1241
.LBB84_1231:
	s_or_saveexec_b32 s35, s35
	v_mov_b32_e32 v2, 0x7e00
	s_xor_b32 exec_lo, exec_lo, s35
	s_cbranch_execz .LBB84_1214
.LBB84_1232:
	v_cmp_ne_u16_e32 vcc_lo, 0, v3
	v_mov_b32_e32 v2, v3
	s_and_not1_b32 s34, s34, exec_lo
	s_and_b32 s36, vcc_lo, exec_lo
	s_delay_alu instid0(SALU_CYCLE_1)
	s_or_b32 s34, s34, s36
	s_or_b32 exec_lo, exec_lo, s35
	s_and_saveexec_b32 s35, s34
	s_cbranch_execnz .LBB84_1215
	s_branch .LBB84_1216
.LBB84_1233:
	s_mov_b32 s33, -1
                                        ; implicit-def: $vgpr2
	s_branch .LBB84_1238
.LBB84_1234:
	s_mov_b32 s33, -1
                                        ; implicit-def: $vgpr2
.LBB84_1235:
	s_delay_alu instid0(SALU_CYCLE_1)
	s_and_b32 vcc_lo, exec_lo, s33
	s_cbranch_vccz .LBB84_1237
; %bb.1236:
	s_wait_loadcnt 0x0
	global_load_u8 v2, v[0:1], off
	s_wait_loadcnt 0x0
	v_lshlrev_b32_e32 v2, 24, v2
	s_delay_alu instid0(VALU_DEP_1) | instskip(NEXT) | instid1(VALU_DEP_1)
	v_and_b32_e32 v3, 0x7f000000, v2
	v_clz_i32_u32_e32 v4, v3
	v_add_nc_u32_e32 v7, 0x1000000, v3
	v_cmp_ne_u32_e32 vcc_lo, 0, v3
	s_delay_alu instid0(VALU_DEP_3) | instskip(NEXT) | instid1(VALU_DEP_1)
	v_min_u32_e32 v4, 32, v4
	v_sub_nc_u32_e64 v4, v4, 4 clamp
	s_delay_alu instid0(VALU_DEP_1) | instskip(NEXT) | instid1(VALU_DEP_1)
	v_dual_lshlrev_b32 v5, v4, v3 :: v_dual_lshlrev_b32 v4, 23, v4
	v_lshrrev_b32_e32 v5, 4, v5
	s_delay_alu instid0(VALU_DEP_1) | instskip(NEXT) | instid1(VALU_DEP_1)
	v_dual_sub_nc_u32 v4, v5, v4 :: v_dual_ashrrev_i32 v5, 8, v7
	v_add_nc_u32_e32 v4, 0x3c000000, v4
	s_delay_alu instid0(VALU_DEP_1) | instskip(NEXT) | instid1(VALU_DEP_1)
	v_and_or_b32 v4, 0x7f800000, v5, v4
	v_cndmask_b32_e32 v3, 0, v4, vcc_lo
	s_delay_alu instid0(VALU_DEP_1) | instskip(NEXT) | instid1(VALU_DEP_1)
	v_and_or_b32 v2, 0x80000000, v2, v3
	v_cvt_f16_f32_e32 v2, v2
.LBB84_1237:
	s_mov_b32 s33, 0
.LBB84_1238:
	s_delay_alu instid0(SALU_CYCLE_1)
	s_and_not1_b32 vcc_lo, exec_lo, s33
	s_cbranch_vccnz .LBB84_1240
; %bb.1239:
	s_wait_loadcnt 0x0
	global_load_u8 v2, v[0:1], off
	s_wait_loadcnt 0x0
	v_lshlrev_b32_e32 v3, 25, v2
	v_lshlrev_b16 v2, 8, v2
	s_delay_alu instid0(VALU_DEP_1) | instskip(SKIP_1) | instid1(VALU_DEP_2)
	v_and_or_b32 v5, 0x7f00, v2, 0.5
	v_bfe_i32 v2, v2, 0, 16
	v_dual_add_f32 v5, -0.5, v5 :: v_dual_lshrrev_b32 v4, 4, v3
	v_cmp_gt_u32_e32 vcc_lo, 0x8000000, v3
	s_delay_alu instid0(VALU_DEP_2) | instskip(NEXT) | instid1(VALU_DEP_1)
	v_or_b32_e32 v4, 0x70000000, v4
	v_mul_f32_e32 v4, 0x7800000, v4
	s_delay_alu instid0(VALU_DEP_1) | instskip(NEXT) | instid1(VALU_DEP_1)
	v_cndmask_b32_e32 v3, v4, v5, vcc_lo
	v_and_or_b32 v2, 0x80000000, v2, v3
	s_delay_alu instid0(VALU_DEP_1)
	v_cvt_f16_f32_e32 v2, v2
.LBB84_1240:
	s_mov_b32 s33, 0
	s_mov_b32 s34, -1
.LBB84_1241:
	s_and_not1_b32 vcc_lo, exec_lo, s33
	s_mov_b32 s33, 0
	s_cbranch_vccnz .LBB84_1252
; %bb.1242:
	s_cmp_gt_i32 s30, 14
	s_cbranch_scc0 .LBB84_1245
; %bb.1243:
	s_cmp_eq_u32 s30, 15
	s_cbranch_scc0 .LBB84_1248
; %bb.1244:
	s_wait_loadcnt 0x0
	global_load_u16 v2, v[0:1], off
	s_mov_b32 s31, 0
	s_mov_b32 s34, -1
	s_wait_loadcnt 0x0
	v_lshlrev_b32_e32 v2, 16, v2
	s_delay_alu instid0(VALU_DEP_1)
	v_cvt_f16_f32_e32 v2, v2
	s_branch .LBB84_1250
.LBB84_1245:
	s_mov_b32 s33, -1
	s_branch .LBB84_1249
.LBB84_1246:
	s_or_saveexec_b32 s34, s34
	v_mov_b32_e32 v2, 0x7e00
	s_xor_b32 exec_lo, exec_lo, s34
	s_cbranch_execz .LBB84_1227
.LBB84_1247:
	v_cmp_ne_u16_e32 vcc_lo, 0, v3
	v_mov_b32_e32 v2, v3
	s_and_not1_b32 s33, s33, exec_lo
	s_and_b32 s35, vcc_lo, exec_lo
	s_delay_alu instid0(SALU_CYCLE_1)
	s_or_b32 s33, s33, s35
	s_or_b32 exec_lo, exec_lo, s34
	s_and_saveexec_b32 s34, s33
	s_cbranch_execnz .LBB84_1228
	s_branch .LBB84_1229
.LBB84_1248:
	s_mov_b32 s31, -1
.LBB84_1249:
                                        ; implicit-def: $vgpr2
.LBB84_1250:
	s_and_b32 vcc_lo, exec_lo, s33
	s_mov_b32 s33, 0
	s_cbranch_vccz .LBB84_1252
; %bb.1251:
	s_cmp_lg_u32 s30, 11
	s_mov_b32 s33, -1
	s_cselect_b32 s30, -1, 0
	s_and_not1_b32 s31, s31, exec_lo
	s_and_b32 s30, s30, exec_lo
	s_delay_alu instid0(SALU_CYCLE_1)
	s_or_b32 s31, s31, s30
.LBB84_1252:
	s_mov_b32 s30, 0
.LBB84_1253:
	s_and_not1_b32 s35, s27, exec_lo
	s_and_b32 s31, s31, exec_lo
	s_and_b32 s36, s34, exec_lo
	;; [unrolled: 1-line block ×4, first 2 shown]
	s_or_b32 s35, s35, s31
.LBB84_1254:
	s_wait_xcnt 0x0
	s_or_b32 exec_lo, exec_lo, s18
	s_delay_alu instid0(SALU_CYCLE_1)
	s_and_not1_b32 s18, s27, exec_lo
	s_and_b32 s27, s35, exec_lo
	s_and_b32 s33, s36, exec_lo
	;; [unrolled: 1-line block ×4, first 2 shown]
	s_or_b32 s27, s18, s27
.LBB84_1255:
	s_or_b32 exec_lo, exec_lo, s26
	s_delay_alu instid0(SALU_CYCLE_1)
	s_and_not1_b32 s18, s23, exec_lo
	s_and_b32 s23, s29, exec_lo
	s_and_not1_b32 s24, s24, exec_lo
	s_and_b32 s26, s28, exec_lo
	s_or_b32 s23, s18, s23
	s_and_not1_b32 s18, s22, exec_lo
	s_and_b32 s22, s27, exec_lo
	s_or_b32 s24, s24, s26
	s_and_b32 s29, s33, exec_lo
	s_and_b32 s28, s31, exec_lo
	;; [unrolled: 1-line block ×3, first 2 shown]
	s_or_b32 s22, s18, s22
.LBB84_1256:
	s_or_b32 exec_lo, exec_lo, s25
	s_delay_alu instid0(SALU_CYCLE_1)
	s_and_not1_b32 s17, s17, exec_lo
	s_and_b32 s18, s23, exec_lo
	s_and_not1_b32 s19, s19, exec_lo
	s_and_b32 s23, s24, exec_lo
	s_or_b32 s17, s17, s18
	s_and_not1_b32 s18, s20, exec_lo
	s_and_b32 s20, s22, exec_lo
	s_or_b32 s19, s19, s23
	s_and_b32 s23, s29, exec_lo
	s_and_b32 s24, s28, exec_lo
	;; [unrolled: 1-line block ×3, first 2 shown]
	s_or_b32 s20, s18, s20
	s_or_b32 exec_lo, exec_lo, s21
	s_mov_b32 s18, 0
	s_and_saveexec_b32 s21, s20
	s_cbranch_execz .LBB84_394
.LBB84_1257:
	s_mov_b32 s18, exec_lo
	s_and_not1_b32 s22, s22, exec_lo
	s_trap 2
	s_or_b32 exec_lo, exec_lo, s21
	s_and_saveexec_b32 s20, s22
	s_delay_alu instid0(SALU_CYCLE_1)
	s_xor_b32 s20, exec_lo, s20
	s_cbranch_execnz .LBB84_395
.LBB84_1258:
	s_or_b32 exec_lo, exec_lo, s20
	s_and_saveexec_b32 s20, s24
	s_cbranch_execz .LBB84_1304
.LBB84_1259:
	s_sext_i32_i16 s21, s0
	s_delay_alu instid0(SALU_CYCLE_1)
	s_cmp_lt_i32 s21, 5
	s_cbranch_scc1 .LBB84_1264
; %bb.1260:
	s_cmp_lt_i32 s21, 8
	s_cbranch_scc1 .LBB84_1265
; %bb.1261:
	;; [unrolled: 3-line block ×3, first 2 shown]
	s_cmp_gt_i32 s21, 9
	s_cbranch_scc0 .LBB84_1267
; %bb.1263:
	s_wait_loadcnt 0x0
	global_load_b64 v[2:3], v[0:1], off
	s_mov_b32 s21, 0
	s_wait_loadcnt 0x0
	v_and_or_b32 v2, 0x1ff, v3, v2
	v_lshrrev_b32_e32 v4, 8, v3
	v_bfe_u32 v5, v3, 20, 11
	v_lshrrev_b32_e32 v3, 16, v3
	s_delay_alu instid0(VALU_DEP_4) | instskip(NEXT) | instid1(VALU_DEP_3)
	v_cmp_ne_u32_e32 vcc_lo, 0, v2
	v_sub_nc_u32_e32 v7, 0x3f1, v5
	v_add_nc_u32_e32 v5, 0xfffffc10, v5
	v_cndmask_b32_e64 v2, 0, 1, vcc_lo
	s_delay_alu instid0(VALU_DEP_1) | instskip(NEXT) | instid1(VALU_DEP_4)
	v_and_or_b32 v2, 0xffe, v4, v2
	v_med3_i32 v4, v7, 0, 13
	s_delay_alu instid0(VALU_DEP_2) | instskip(NEXT) | instid1(VALU_DEP_1)
	v_or_b32_e32 v7, 0x1000, v2
	v_lshrrev_b32_e32 v8, v4, v7
	s_delay_alu instid0(VALU_DEP_1) | instskip(NEXT) | instid1(VALU_DEP_1)
	v_lshlrev_b32_e32 v4, v4, v8
	v_cmp_ne_u32_e32 vcc_lo, v4, v7
	v_lshl_or_b32 v7, v5, 12, v2
	v_cndmask_b32_e64 v4, 0, 1, vcc_lo
	v_cmp_gt_i32_e32 vcc_lo, 1, v5
	s_delay_alu instid0(VALU_DEP_2) | instskip(NEXT) | instid1(VALU_DEP_1)
	v_or_b32_e32 v4, v8, v4
	v_cndmask_b32_e32 v4, v7, v4, vcc_lo
	s_delay_alu instid0(VALU_DEP_1) | instskip(NEXT) | instid1(VALU_DEP_1)
	v_dual_lshrrev_b32 v4, 2, v4 :: v_dual_bitop2_b32 v7, 7, v4 bitop3:0x40
	v_cmp_lt_i32_e32 vcc_lo, 5, v7
	v_cndmask_b32_e64 v8, 0, 1, vcc_lo
	v_cmp_eq_u32_e32 vcc_lo, 3, v7
	v_cndmask_b32_e64 v7, 0, 1, vcc_lo
	v_cmp_ne_u32_e32 vcc_lo, 0, v2
	s_delay_alu instid0(VALU_DEP_2) | instskip(SKIP_1) | instid1(VALU_DEP_2)
	v_or_b32_e32 v7, v7, v8
	v_mov_b32_e32 v8, 0x7e00
	v_add_nc_u32_e32 v4, v4, v7
	s_delay_alu instid0(VALU_DEP_2) | instskip(SKIP_1) | instid1(VALU_DEP_3)
	v_cndmask_b32_e32 v2, 0x7c00, v8, vcc_lo
	v_cmp_gt_i32_e32 vcc_lo, 31, v5
	v_cndmask_b32_e32 v4, 0x7c00, v4, vcc_lo
	v_cmp_eq_u32_e32 vcc_lo, 0x40f, v5
	s_delay_alu instid0(VALU_DEP_2) | instskip(NEXT) | instid1(VALU_DEP_1)
	v_cndmask_b32_e32 v2, v4, v2, vcc_lo
	v_and_or_b32 v2, 0x8000, v3, v2
	s_branch .LBB84_1268
.LBB84_1264:
                                        ; implicit-def: $vgpr2
	s_branch .LBB84_1285
.LBB84_1265:
                                        ; implicit-def: $vgpr2
	s_branch .LBB84_1274
.LBB84_1266:
	s_mov_b32 s21, -1
                                        ; implicit-def: $vgpr2
	s_branch .LBB84_1271
.LBB84_1267:
	s_mov_b32 s21, -1
                                        ; implicit-def: $vgpr2
.LBB84_1268:
	s_delay_alu instid0(SALU_CYCLE_1)
	s_and_not1_b32 vcc_lo, exec_lo, s21
	s_cbranch_vccnz .LBB84_1270
; %bb.1269:
	s_wait_loadcnt 0x0
	global_load_b32 v2, v[0:1], off
	s_wait_loadcnt 0x0
	v_cvt_f16_f32_e32 v2, v2
.LBB84_1270:
	s_mov_b32 s21, 0
.LBB84_1271:
	s_delay_alu instid0(SALU_CYCLE_1)
	s_and_not1_b32 vcc_lo, exec_lo, s21
	s_cbranch_vccnz .LBB84_1273
; %bb.1272:
	s_wait_loadcnt 0x0
	global_load_b32 v2, v[0:1], off
.LBB84_1273:
	s_cbranch_execnz .LBB84_1284
.LBB84_1274:
	s_sext_i32_i16 s21, s0
	s_delay_alu instid0(SALU_CYCLE_1)
	s_cmp_lt_i32 s21, 6
	s_cbranch_scc1 .LBB84_1277
; %bb.1275:
	s_cmp_gt_i32 s21, 6
	s_cbranch_scc0 .LBB84_1278
; %bb.1276:
	s_wait_loadcnt 0x0
	global_load_b64 v[2:3], v[0:1], off
	s_mov_b32 s21, 0
	s_wait_loadcnt 0x0
	v_and_or_b32 v2, 0x1ff, v3, v2
	v_lshrrev_b32_e32 v4, 8, v3
	v_bfe_u32 v5, v3, 20, 11
	v_lshrrev_b32_e32 v3, 16, v3
	s_delay_alu instid0(VALU_DEP_4) | instskip(NEXT) | instid1(VALU_DEP_3)
	v_cmp_ne_u32_e32 vcc_lo, 0, v2
	v_sub_nc_u32_e32 v7, 0x3f1, v5
	v_add_nc_u32_e32 v5, 0xfffffc10, v5
	v_cndmask_b32_e64 v2, 0, 1, vcc_lo
	s_delay_alu instid0(VALU_DEP_1) | instskip(NEXT) | instid1(VALU_DEP_4)
	v_and_or_b32 v2, 0xffe, v4, v2
	v_med3_i32 v4, v7, 0, 13
	s_delay_alu instid0(VALU_DEP_2) | instskip(NEXT) | instid1(VALU_DEP_1)
	v_or_b32_e32 v7, 0x1000, v2
	v_lshrrev_b32_e32 v8, v4, v7
	s_delay_alu instid0(VALU_DEP_1) | instskip(NEXT) | instid1(VALU_DEP_1)
	v_lshlrev_b32_e32 v4, v4, v8
	v_cmp_ne_u32_e32 vcc_lo, v4, v7
	v_lshl_or_b32 v7, v5, 12, v2
	v_cndmask_b32_e64 v4, 0, 1, vcc_lo
	v_cmp_gt_i32_e32 vcc_lo, 1, v5
	s_delay_alu instid0(VALU_DEP_2) | instskip(NEXT) | instid1(VALU_DEP_1)
	v_or_b32_e32 v4, v8, v4
	v_cndmask_b32_e32 v4, v7, v4, vcc_lo
	s_delay_alu instid0(VALU_DEP_1) | instskip(NEXT) | instid1(VALU_DEP_1)
	v_dual_lshrrev_b32 v4, 2, v4 :: v_dual_bitop2_b32 v7, 7, v4 bitop3:0x40
	v_cmp_lt_i32_e32 vcc_lo, 5, v7
	v_cndmask_b32_e64 v8, 0, 1, vcc_lo
	v_cmp_eq_u32_e32 vcc_lo, 3, v7
	v_cndmask_b32_e64 v7, 0, 1, vcc_lo
	v_cmp_ne_u32_e32 vcc_lo, 0, v2
	s_delay_alu instid0(VALU_DEP_2) | instskip(SKIP_1) | instid1(VALU_DEP_2)
	v_or_b32_e32 v7, v7, v8
	v_mov_b32_e32 v8, 0x7e00
	v_add_nc_u32_e32 v4, v4, v7
	s_delay_alu instid0(VALU_DEP_2) | instskip(SKIP_1) | instid1(VALU_DEP_3)
	v_cndmask_b32_e32 v2, 0x7c00, v8, vcc_lo
	v_cmp_gt_i32_e32 vcc_lo, 31, v5
	v_cndmask_b32_e32 v4, 0x7c00, v4, vcc_lo
	v_cmp_eq_u32_e32 vcc_lo, 0x40f, v5
	s_delay_alu instid0(VALU_DEP_2) | instskip(NEXT) | instid1(VALU_DEP_1)
	v_cndmask_b32_e32 v2, v4, v2, vcc_lo
	v_and_or_b32 v2, 0x8000, v3, v2
	s_branch .LBB84_1279
.LBB84_1277:
	s_mov_b32 s21, -1
                                        ; implicit-def: $vgpr2
	s_branch .LBB84_1282
.LBB84_1278:
	s_mov_b32 s21, -1
                                        ; implicit-def: $vgpr2
.LBB84_1279:
	s_delay_alu instid0(SALU_CYCLE_1)
	s_and_not1_b32 vcc_lo, exec_lo, s21
	s_cbranch_vccnz .LBB84_1281
; %bb.1280:
	s_wait_loadcnt 0x0
	global_load_b32 v2, v[0:1], off
	s_wait_loadcnt 0x0
	v_cvt_f16_f32_e32 v2, v2
.LBB84_1281:
	s_mov_b32 s21, 0
.LBB84_1282:
	s_delay_alu instid0(SALU_CYCLE_1)
	s_and_not1_b32 vcc_lo, exec_lo, s21
	s_cbranch_vccnz .LBB84_1284
; %bb.1283:
	s_wait_loadcnt 0x0
	global_load_u16 v2, v[0:1], off
.LBB84_1284:
	s_cbranch_execnz .LBB84_1303
.LBB84_1285:
	s_sext_i32_i16 s21, s0
	s_delay_alu instid0(SALU_CYCLE_1)
	s_cmp_lt_i32 s21, 2
	s_cbranch_scc1 .LBB84_1289
; %bb.1286:
	s_cmp_lt_i32 s21, 3
	s_cbranch_scc1 .LBB84_1290
; %bb.1287:
	s_cmp_gt_i32 s21, 3
	s_cbranch_scc0 .LBB84_1291
; %bb.1288:
	s_wait_loadcnt 0x0
	global_load_b64 v[2:3], v[0:1], off
	s_mov_b32 s21, 0
	s_wait_loadcnt 0x0
	v_xor_b32_e32 v4, v2, v3
	v_cls_i32_e32 v5, v3
	s_delay_alu instid0(VALU_DEP_2) | instskip(NEXT) | instid1(VALU_DEP_1)
	v_ashrrev_i32_e32 v4, 31, v4
	v_add_nc_u32_e32 v4, 32, v4
	s_delay_alu instid0(VALU_DEP_1) | instskip(NEXT) | instid1(VALU_DEP_1)
	v_add_min_u32_e64 v4, v5, -1, v4
	v_lshlrev_b64_e32 v[2:3], v4, v[2:3]
	s_delay_alu instid0(VALU_DEP_1) | instskip(NEXT) | instid1(VALU_DEP_1)
	v_min_u32_e32 v2, 1, v2
	v_dual_sub_nc_u32 v3, 32, v4 :: v_dual_bitop2_b32 v2, v3, v2 bitop3:0x54
	s_delay_alu instid0(VALU_DEP_1) | instskip(NEXT) | instid1(VALU_DEP_1)
	v_cvt_f32_i32_e32 v2, v2
	v_ldexp_f32 v2, v2, v3
	s_delay_alu instid0(VALU_DEP_1)
	v_cvt_f16_f32_e32 v2, v2
	s_branch .LBB84_1292
.LBB84_1289:
                                        ; implicit-def: $vgpr2
	s_branch .LBB84_1298
.LBB84_1290:
	s_mov_b32 s21, -1
                                        ; implicit-def: $vgpr2
	s_branch .LBB84_1295
.LBB84_1291:
	s_mov_b32 s21, -1
                                        ; implicit-def: $vgpr2
.LBB84_1292:
	s_delay_alu instid0(SALU_CYCLE_1)
	s_and_not1_b32 vcc_lo, exec_lo, s21
	s_cbranch_vccnz .LBB84_1294
; %bb.1293:
	s_wait_loadcnt 0x0
	global_load_b32 v2, v[0:1], off
	s_wait_loadcnt 0x0
	v_cvt_f32_i32_e32 v2, v2
	s_delay_alu instid0(VALU_DEP_1)
	v_cvt_f16_f32_e32 v2, v2
.LBB84_1294:
	s_mov_b32 s21, 0
.LBB84_1295:
	s_delay_alu instid0(SALU_CYCLE_1)
	s_and_not1_b32 vcc_lo, exec_lo, s21
	s_cbranch_vccnz .LBB84_1297
; %bb.1296:
	s_wait_loadcnt 0x0
	global_load_u16 v2, v[0:1], off
	s_wait_loadcnt 0x0
	v_cvt_f16_i16_e32 v2, v2
.LBB84_1297:
	s_cbranch_execnz .LBB84_1303
.LBB84_1298:
	s_sext_i32_i16 s0, s0
	s_delay_alu instid0(SALU_CYCLE_1)
	s_cmp_gt_i32 s0, 0
	s_mov_b32 s0, 0
	s_cbranch_scc0 .LBB84_1300
; %bb.1299:
	s_wait_loadcnt 0x0
	global_load_i8 v2, v[0:1], off
	s_wait_loadcnt 0x0
	v_cvt_f16_i16_e32 v2, v2
	s_branch .LBB84_1301
.LBB84_1300:
	s_mov_b32 s0, -1
                                        ; implicit-def: $vgpr2
.LBB84_1301:
	s_delay_alu instid0(SALU_CYCLE_1)
	s_and_not1_b32 vcc_lo, exec_lo, s0
	s_cbranch_vccnz .LBB84_1303
; %bb.1302:
	global_load_u8 v0, v[0:1], off
	s_wait_loadcnt 0x0
	v_cvt_f16_u16_e32 v2, v0
.LBB84_1303:
	s_or_b32 s23, s23, exec_lo
.LBB84_1304:
	s_wait_xcnt 0x0
	s_or_b32 exec_lo, exec_lo, s20
	s_mov_b32 s22, 0
	s_mov_b32 s24, 0
	;; [unrolled: 1-line block ×3, first 2 shown]
                                        ; implicit-def: $sgpr0
                                        ; implicit-def: $vgpr0_vgpr1
                                        ; implicit-def: $vgpr3
	s_and_saveexec_b32 s20, s23
	s_cbranch_execz .LBB84_1312
; %bb.1305:
	v_mul_lo_u32 v0, v6, s10
	s_and_b32 s0, s1, 0xff
	s_delay_alu instid0(SALU_CYCLE_1) | instskip(NEXT) | instid1(VALU_DEP_1)
	s_cmp_lt_i32 s0, 11
	v_ashrrev_i32_e32 v1, 31, v0
	s_delay_alu instid0(VALU_DEP_1)
	v_add_nc_u64_e32 v[0:1], s[12:13], v[0:1]
	s_cbranch_scc1 .LBB84_1315
; %bb.1306:
	s_and_b32 s21, 0xffff, s0
	s_mov_b32 s23, 0
	s_cmp_gt_i32 s21, 25
	s_cbranch_scc0 .LBB84_1316
; %bb.1307:
	s_cmp_gt_i32 s21, 28
	s_cbranch_scc0 .LBB84_1317
; %bb.1308:
	;; [unrolled: 3-line block ×4, first 2 shown]
	s_cmp_eq_u32 s21, 46
	s_mov_b32 s25, 0
	s_cbranch_scc0 .LBB84_1320
; %bb.1311:
	s_wait_loadcnt 0x0
	global_load_b32 v3, v[0:1], off
	s_mov_b32 s24, -1
	s_wait_loadcnt 0x0
	v_lshlrev_b32_e32 v3, 16, v3
	s_delay_alu instid0(VALU_DEP_1)
	v_cvt_f16_f32_e32 v3, v3
	s_branch .LBB84_1322
.LBB84_1312:
	s_or_b32 exec_lo, exec_lo, s20
	s_and_saveexec_b32 s20, s19
	s_cbranch_execnz .LBB84_1385
.LBB84_1313:
	s_or_b32 exec_lo, exec_lo, s20
	s_and_saveexec_b32 s19, s22
	s_delay_alu instid0(SALU_CYCLE_1)
	s_xor_b32 s19, exec_lo, s19
	s_cbranch_execz .LBB84_1386
.LBB84_1314:
	s_wait_loadcnt 0x0
	global_load_u8 v3, v[0:1], off
	s_or_b32 s21, s21, exec_lo
	s_wait_loadcnt 0x0
	v_cmp_ne_u16_e32 vcc_lo, 0, v3
	v_cndmask_b32_e64 v3, 0, 0x3c00, vcc_lo
	s_wait_xcnt 0x0
	s_or_b32 exec_lo, exec_lo, s19
	s_and_saveexec_b32 s19, s24
	s_cbranch_execz .LBB84_1432
	s_branch .LBB84_1387
.LBB84_1315:
	s_mov_b32 s25, -1
	s_mov_b32 s23, 0
	s_mov_b32 s22, s19
                                        ; implicit-def: $vgpr3
	s_branch .LBB84_1384
.LBB84_1316:
	s_mov_b32 s22, s19
                                        ; implicit-def: $vgpr3
	s_cbranch_execnz .LBB84_1351
	s_branch .LBB84_1383
.LBB84_1317:
	s_mov_b32 s25, -1
	s_mov_b32 s22, s19
                                        ; implicit-def: $vgpr3
	s_branch .LBB84_1332
.LBB84_1318:
	s_mov_b32 s25, -1
	s_mov_b32 s22, s19
                                        ; implicit-def: $vgpr3
	s_branch .LBB84_1327
.LBB84_1319:
	s_mov_b32 s25, -1
	s_mov_b32 s22, s19
	s_branch .LBB84_1321
.LBB84_1320:
	s_mov_b32 s22, -1
.LBB84_1321:
                                        ; implicit-def: $vgpr3
.LBB84_1322:
	s_and_b32 vcc_lo, exec_lo, s25
	s_cbranch_vccz .LBB84_1326
; %bb.1323:
	s_cmp_eq_u32 s21, 44
	s_cbranch_scc0 .LBB84_1325
; %bb.1324:
	s_wait_loadcnt 0x0
	global_load_u8 v3, v[0:1], off
	s_mov_b32 s22, 0
	s_mov_b32 s24, -1
	s_wait_loadcnt 0x0
	v_lshlrev_b32_e32 v4, 23, v3
	v_cmp_ne_u32_e32 vcc_lo, 0xff, v3
	s_delay_alu instid0(VALU_DEP_2) | instskip(NEXT) | instid1(VALU_DEP_1)
	v_cvt_f16_f32_e32 v4, v4
	v_cndmask_b32_e32 v4, 0x7e00, v4, vcc_lo
	v_cmp_ne_u32_e32 vcc_lo, 0, v3
	s_delay_alu instid0(VALU_DEP_2)
	v_cndmask_b32_e32 v3, 0, v4, vcc_lo
	s_branch .LBB84_1326
.LBB84_1325:
	s_mov_b32 s22, -1
                                        ; implicit-def: $vgpr3
.LBB84_1326:
	s_mov_b32 s25, 0
.LBB84_1327:
	s_delay_alu instid0(SALU_CYCLE_1)
	s_and_b32 vcc_lo, exec_lo, s25
	s_cbranch_vccz .LBB84_1331
; %bb.1328:
	s_cmp_eq_u32 s21, 29
	s_cbranch_scc0 .LBB84_1330
; %bb.1329:
	global_load_b64 v[4:5], v[0:1], off
	s_mov_b32 s22, 0
	s_mov_b32 s24, -1
	s_mov_b32 s25, 0
	s_wait_loadcnt 0x0
	v_clz_i32_u32_e32 v3, v5
	s_delay_alu instid0(VALU_DEP_1) | instskip(NEXT) | instid1(VALU_DEP_1)
	v_min_u32_e32 v3, 32, v3
	v_lshlrev_b64_e32 v[4:5], v3, v[4:5]
	v_sub_nc_u32_e32 v3, 32, v3
	s_delay_alu instid0(VALU_DEP_2) | instskip(NEXT) | instid1(VALU_DEP_1)
	v_min_u32_e32 v4, 1, v4
	v_or_b32_e32 v4, v5, v4
	s_delay_alu instid0(VALU_DEP_1) | instskip(NEXT) | instid1(VALU_DEP_1)
	v_cvt_f32_u32_e32 v4, v4
	v_ldexp_f32 v3, v4, v3
	s_delay_alu instid0(VALU_DEP_1)
	v_cvt_f16_f32_e32 v3, v3
	s_branch .LBB84_1332
.LBB84_1330:
	s_mov_b32 s22, -1
                                        ; implicit-def: $vgpr3
.LBB84_1331:
	s_mov_b32 s25, 0
.LBB84_1332:
	s_delay_alu instid0(SALU_CYCLE_1)
	s_and_b32 vcc_lo, exec_lo, s25
	s_cbranch_vccz .LBB84_1350
; %bb.1333:
	s_cmp_lt_i32 s21, 27
	s_cbranch_scc1 .LBB84_1336
; %bb.1334:
	s_cmp_gt_i32 s21, 27
	s_cbranch_scc0 .LBB84_1337
; %bb.1335:
	s_wait_loadcnt 0x0
	global_load_b32 v3, v[0:1], off
	s_mov_b32 s24, 0
	s_wait_loadcnt 0x0
	v_cvt_f32_u32_e32 v3, v3
	s_delay_alu instid0(VALU_DEP_1)
	v_cvt_f16_f32_e32 v3, v3
	s_branch .LBB84_1338
.LBB84_1336:
	s_mov_b32 s24, -1
                                        ; implicit-def: $vgpr3
	s_branch .LBB84_1341
.LBB84_1337:
	s_mov_b32 s24, -1
                                        ; implicit-def: $vgpr3
.LBB84_1338:
	s_delay_alu instid0(SALU_CYCLE_1)
	s_and_not1_b32 vcc_lo, exec_lo, s24
	s_cbranch_vccnz .LBB84_1340
; %bb.1339:
	s_wait_loadcnt 0x0
	global_load_u16 v3, v[0:1], off
	s_wait_loadcnt 0x0
	v_cvt_f16_u16_e32 v3, v3
.LBB84_1340:
	s_mov_b32 s24, 0
.LBB84_1341:
	s_delay_alu instid0(SALU_CYCLE_1)
	s_and_not1_b32 vcc_lo, exec_lo, s24
	s_cbranch_vccnz .LBB84_1349
; %bb.1342:
	global_load_u8 v4, v[0:1], off
	s_mov_b32 s24, 0
	s_mov_b32 s25, exec_lo
	s_wait_loadcnt 0x0
	v_cmpx_lt_i16_e32 0x7f, v4
	s_xor_b32 s25, exec_lo, s25
	s_cbranch_execz .LBB84_1362
; %bb.1343:
	s_mov_b32 s24, -1
	s_mov_b32 s26, exec_lo
	v_cmpx_eq_u16_e32 0x80, v4
; %bb.1344:
	s_xor_b32 s24, exec_lo, -1
; %bb.1345:
	s_or_b32 exec_lo, exec_lo, s26
	s_delay_alu instid0(SALU_CYCLE_1)
	s_and_b32 s24, s24, exec_lo
	s_or_saveexec_b32 s25, s25
	v_mov_b32_e32 v3, 0x7e00
	s_xor_b32 exec_lo, exec_lo, s25
	s_cbranch_execnz .LBB84_1363
.LBB84_1346:
	s_or_b32 exec_lo, exec_lo, s25
	s_and_saveexec_b32 s25, s24
	s_cbranch_execz .LBB84_1348
.LBB84_1347:
	v_and_b32_e32 v3, 0xffff, v4
	s_delay_alu instid0(VALU_DEP_1) | instskip(SKIP_1) | instid1(VALU_DEP_2)
	v_dual_lshlrev_b32 v4, 24, v4 :: v_dual_bitop2_b32 v5, 7, v3 bitop3:0x40
	v_bfe_u32 v9, v3, 3, 4
	v_and_b32_e32 v4, 0x80000000, v4
	s_delay_alu instid0(VALU_DEP_3) | instskip(NEXT) | instid1(VALU_DEP_3)
	v_clz_i32_u32_e32 v7, v5
	v_cmp_eq_u32_e32 vcc_lo, 0, v9
	s_delay_alu instid0(VALU_DEP_2) | instskip(NEXT) | instid1(VALU_DEP_1)
	v_min_u32_e32 v7, 32, v7
	v_subrev_nc_u32_e32 v8, 28, v7
	v_sub_nc_u32_e32 v7, 29, v7
	s_delay_alu instid0(VALU_DEP_2) | instskip(NEXT) | instid1(VALU_DEP_2)
	v_lshlrev_b32_e32 v3, v8, v3
	v_cndmask_b32_e32 v7, v9, v7, vcc_lo
	s_delay_alu instid0(VALU_DEP_2) | instskip(NEXT) | instid1(VALU_DEP_1)
	v_and_b32_e32 v3, 7, v3
	v_cndmask_b32_e32 v3, v5, v3, vcc_lo
	s_delay_alu instid0(VALU_DEP_3) | instskip(NEXT) | instid1(VALU_DEP_2)
	v_lshl_add_u32 v5, v7, 23, 0x3b800000
	v_lshlrev_b32_e32 v3, 20, v3
	s_delay_alu instid0(VALU_DEP_1) | instskip(NEXT) | instid1(VALU_DEP_1)
	v_or3_b32 v3, v4, v5, v3
	v_cvt_f16_f32_e32 v3, v3
.LBB84_1348:
	s_or_b32 exec_lo, exec_lo, s25
.LBB84_1349:
	s_mov_b32 s24, -1
.LBB84_1350:
	s_branch .LBB84_1383
.LBB84_1351:
	s_cmp_gt_i32 s21, 22
	s_cbranch_scc0 .LBB84_1361
; %bb.1352:
	s_cmp_lt_i32 s21, 24
	s_cbranch_scc1 .LBB84_1364
; %bb.1353:
	s_cmp_gt_i32 s21, 24
	s_cbranch_scc0 .LBB84_1365
; %bb.1354:
	global_load_u8 v4, v[0:1], off
	s_mov_b32 s24, exec_lo
	s_wait_loadcnt 0x0
	v_cmpx_lt_i16_e32 0x7f, v4
	s_xor_b32 s24, exec_lo, s24
	s_cbranch_execz .LBB84_1377
; %bb.1355:
	s_mov_b32 s23, -1
	s_mov_b32 s25, exec_lo
	v_cmpx_eq_u16_e32 0x80, v4
; %bb.1356:
	s_xor_b32 s23, exec_lo, -1
; %bb.1357:
	s_or_b32 exec_lo, exec_lo, s25
	s_delay_alu instid0(SALU_CYCLE_1)
	s_and_b32 s23, s23, exec_lo
	s_or_saveexec_b32 s24, s24
	v_mov_b32_e32 v3, 0x7e00
	s_xor_b32 exec_lo, exec_lo, s24
	s_cbranch_execnz .LBB84_1378
.LBB84_1358:
	s_or_b32 exec_lo, exec_lo, s24
	s_and_saveexec_b32 s24, s23
	s_cbranch_execz .LBB84_1360
.LBB84_1359:
	v_and_b32_e32 v3, 0xffff, v4
	s_delay_alu instid0(VALU_DEP_1) | instskip(SKIP_1) | instid1(VALU_DEP_2)
	v_dual_lshlrev_b32 v4, 24, v4 :: v_dual_bitop2_b32 v5, 3, v3 bitop3:0x40
	v_bfe_u32 v9, v3, 2, 5
	v_and_b32_e32 v4, 0x80000000, v4
	s_delay_alu instid0(VALU_DEP_3) | instskip(NEXT) | instid1(VALU_DEP_3)
	v_clz_i32_u32_e32 v7, v5
	v_cmp_eq_u32_e32 vcc_lo, 0, v9
	s_delay_alu instid0(VALU_DEP_2) | instskip(NEXT) | instid1(VALU_DEP_1)
	v_min_u32_e32 v7, 32, v7
	v_subrev_nc_u32_e32 v8, 29, v7
	v_sub_nc_u32_e32 v7, 30, v7
	s_delay_alu instid0(VALU_DEP_2) | instskip(NEXT) | instid1(VALU_DEP_2)
	v_lshlrev_b32_e32 v3, v8, v3
	v_cndmask_b32_e32 v7, v9, v7, vcc_lo
	s_delay_alu instid0(VALU_DEP_2) | instskip(NEXT) | instid1(VALU_DEP_1)
	v_and_b32_e32 v3, 3, v3
	v_cndmask_b32_e32 v3, v5, v3, vcc_lo
	s_delay_alu instid0(VALU_DEP_3) | instskip(NEXT) | instid1(VALU_DEP_2)
	v_lshl_add_u32 v5, v7, 23, 0x37800000
	v_lshlrev_b32_e32 v3, 21, v3
	s_delay_alu instid0(VALU_DEP_1) | instskip(NEXT) | instid1(VALU_DEP_1)
	v_or3_b32 v3, v4, v5, v3
	v_cvt_f16_f32_e32 v3, v3
.LBB84_1360:
	s_or_b32 exec_lo, exec_lo, s24
	s_mov_b32 s23, 0
	s_branch .LBB84_1366
.LBB84_1361:
	s_mov_b32 s23, -1
                                        ; implicit-def: $vgpr3
	s_branch .LBB84_1372
.LBB84_1362:
	s_or_saveexec_b32 s25, s25
	v_mov_b32_e32 v3, 0x7e00
	s_xor_b32 exec_lo, exec_lo, s25
	s_cbranch_execz .LBB84_1346
.LBB84_1363:
	v_cmp_ne_u16_e32 vcc_lo, 0, v4
	v_mov_b32_e32 v3, v4
	s_and_not1_b32 s24, s24, exec_lo
	s_and_b32 s26, vcc_lo, exec_lo
	s_delay_alu instid0(SALU_CYCLE_1)
	s_or_b32 s24, s24, s26
	s_or_b32 exec_lo, exec_lo, s25
	s_and_saveexec_b32 s25, s24
	s_cbranch_execnz .LBB84_1347
	s_branch .LBB84_1348
.LBB84_1364:
	s_mov_b32 s23, -1
                                        ; implicit-def: $vgpr3
	s_branch .LBB84_1369
.LBB84_1365:
	s_mov_b32 s23, -1
                                        ; implicit-def: $vgpr3
.LBB84_1366:
	s_delay_alu instid0(SALU_CYCLE_1)
	s_and_b32 vcc_lo, exec_lo, s23
	s_cbranch_vccz .LBB84_1368
; %bb.1367:
	s_wait_loadcnt 0x0
	global_load_u8 v3, v[0:1], off
	s_wait_loadcnt 0x0
	v_lshlrev_b32_e32 v3, 24, v3
	s_delay_alu instid0(VALU_DEP_1) | instskip(NEXT) | instid1(VALU_DEP_1)
	v_and_b32_e32 v4, 0x7f000000, v3
	v_clz_i32_u32_e32 v5, v4
	v_add_nc_u32_e32 v8, 0x1000000, v4
	v_cmp_ne_u32_e32 vcc_lo, 0, v4
	s_delay_alu instid0(VALU_DEP_3) | instskip(NEXT) | instid1(VALU_DEP_1)
	v_min_u32_e32 v5, 32, v5
	v_sub_nc_u32_e64 v5, v5, 4 clamp
	s_delay_alu instid0(VALU_DEP_1) | instskip(NEXT) | instid1(VALU_DEP_1)
	v_dual_lshlrev_b32 v7, v5, v4 :: v_dual_lshlrev_b32 v5, 23, v5
	v_lshrrev_b32_e32 v7, 4, v7
	s_delay_alu instid0(VALU_DEP_1) | instskip(NEXT) | instid1(VALU_DEP_1)
	v_dual_sub_nc_u32 v5, v7, v5 :: v_dual_ashrrev_i32 v7, 8, v8
	v_add_nc_u32_e32 v5, 0x3c000000, v5
	s_delay_alu instid0(VALU_DEP_1) | instskip(NEXT) | instid1(VALU_DEP_1)
	v_and_or_b32 v5, 0x7f800000, v7, v5
	v_cndmask_b32_e32 v4, 0, v5, vcc_lo
	s_delay_alu instid0(VALU_DEP_1) | instskip(NEXT) | instid1(VALU_DEP_1)
	v_and_or_b32 v3, 0x80000000, v3, v4
	v_cvt_f16_f32_e32 v3, v3
.LBB84_1368:
	s_mov_b32 s23, 0
.LBB84_1369:
	s_delay_alu instid0(SALU_CYCLE_1)
	s_and_not1_b32 vcc_lo, exec_lo, s23
	s_cbranch_vccnz .LBB84_1371
; %bb.1370:
	s_wait_loadcnt 0x0
	global_load_u8 v3, v[0:1], off
	s_wait_loadcnt 0x0
	v_lshlrev_b32_e32 v4, 25, v3
	v_lshlrev_b16 v3, 8, v3
	s_delay_alu instid0(VALU_DEP_1) | instskip(NEXT) | instid1(VALU_DEP_3)
	v_and_or_b32 v7, 0x7f00, v3, 0.5
	v_lshrrev_b32_e32 v5, 4, v4
	v_bfe_i32 v3, v3, 0, 16
	s_delay_alu instid0(VALU_DEP_3) | instskip(NEXT) | instid1(VALU_DEP_3)
	v_add_f32_e32 v7, -0.5, v7
	v_or_b32_e32 v5, 0x70000000, v5
	s_delay_alu instid0(VALU_DEP_1) | instskip(SKIP_1) | instid1(VALU_DEP_2)
	v_mul_f32_e32 v5, 0x7800000, v5
	v_cmp_gt_u32_e32 vcc_lo, 0x8000000, v4
	v_cndmask_b32_e32 v4, v5, v7, vcc_lo
	s_delay_alu instid0(VALU_DEP_1) | instskip(NEXT) | instid1(VALU_DEP_1)
	v_and_or_b32 v3, 0x80000000, v3, v4
	v_cvt_f16_f32_e32 v3, v3
.LBB84_1371:
	s_mov_b32 s23, 0
	s_mov_b32 s24, -1
.LBB84_1372:
	s_and_not1_b32 vcc_lo, exec_lo, s23
	s_mov_b32 s23, 0
	s_cbranch_vccnz .LBB84_1383
; %bb.1373:
	s_cmp_gt_i32 s21, 14
	s_cbranch_scc0 .LBB84_1376
; %bb.1374:
	s_cmp_eq_u32 s21, 15
	s_cbranch_scc0 .LBB84_1379
; %bb.1375:
	s_wait_loadcnt 0x0
	global_load_u16 v3, v[0:1], off
	s_mov_b32 s22, 0
	s_mov_b32 s24, -1
	s_wait_loadcnt 0x0
	v_lshlrev_b32_e32 v3, 16, v3
	s_delay_alu instid0(VALU_DEP_1)
	v_cvt_f16_f32_e32 v3, v3
	s_branch .LBB84_1381
.LBB84_1376:
	s_mov_b32 s23, -1
	s_branch .LBB84_1380
.LBB84_1377:
	s_or_saveexec_b32 s24, s24
	v_mov_b32_e32 v3, 0x7e00
	s_xor_b32 exec_lo, exec_lo, s24
	s_cbranch_execz .LBB84_1358
.LBB84_1378:
	v_cmp_ne_u16_e32 vcc_lo, 0, v4
	v_mov_b32_e32 v3, v4
	s_and_not1_b32 s23, s23, exec_lo
	s_and_b32 s25, vcc_lo, exec_lo
	s_delay_alu instid0(SALU_CYCLE_1)
	s_or_b32 s23, s23, s25
	s_or_b32 exec_lo, exec_lo, s24
	s_and_saveexec_b32 s24, s23
	s_cbranch_execnz .LBB84_1359
	s_branch .LBB84_1360
.LBB84_1379:
	s_mov_b32 s22, -1
.LBB84_1380:
                                        ; implicit-def: $vgpr3
.LBB84_1381:
	s_and_b32 vcc_lo, exec_lo, s23
	s_mov_b32 s23, 0
	s_cbranch_vccz .LBB84_1383
; %bb.1382:
	s_cmp_lg_u32 s21, 11
	s_mov_b32 s23, -1
	s_cselect_b32 s21, -1, 0
	s_and_not1_b32 s22, s22, exec_lo
	s_and_b32 s21, s21, exec_lo
	s_delay_alu instid0(SALU_CYCLE_1)
	s_or_b32 s22, s22, s21
.LBB84_1383:
	s_mov_b32 s25, 0
.LBB84_1384:
	s_and_b32 s21, s24, exec_lo
	s_and_b32 s24, s25, exec_lo
	s_and_not1_b32 s19, s19, exec_lo
	s_and_b32 s25, s22, exec_lo
	s_and_b32 s22, s23, exec_lo
	s_or_b32 s19, s19, s25
	s_wait_xcnt 0x0
	s_or_b32 exec_lo, exec_lo, s20
	s_and_saveexec_b32 s20, s19
	s_cbranch_execz .LBB84_1313
.LBB84_1385:
	s_or_b32 s18, s18, exec_lo
	s_and_not1_b32 s22, s22, exec_lo
	s_trap 2
	s_or_b32 exec_lo, exec_lo, s20
	s_and_saveexec_b32 s19, s22
	s_delay_alu instid0(SALU_CYCLE_1)
	s_xor_b32 s19, exec_lo, s19
	s_cbranch_execnz .LBB84_1314
.LBB84_1386:
	s_or_b32 exec_lo, exec_lo, s19
	s_and_saveexec_b32 s19, s24
	s_cbranch_execz .LBB84_1432
.LBB84_1387:
	s_sext_i32_i16 s20, s0
	s_delay_alu instid0(SALU_CYCLE_1)
	s_cmp_lt_i32 s20, 5
	s_cbranch_scc1 .LBB84_1392
; %bb.1388:
	s_cmp_lt_i32 s20, 8
	s_cbranch_scc1 .LBB84_1393
; %bb.1389:
	s_cmp_lt_i32 s20, 9
	s_cbranch_scc1 .LBB84_1394
; %bb.1390:
	s_cmp_gt_i32 s20, 9
	s_cbranch_scc0 .LBB84_1395
; %bb.1391:
	global_load_b64 v[4:5], v[0:1], off
	s_mov_b32 s20, 0
	s_wait_loadcnt 0x0
	v_and_or_b32 v3, 0x1ff, v5, v4
	v_lshrrev_b32_e32 v4, 8, v5
	v_bfe_u32 v7, v5, 20, 11
	s_delay_alu instid0(VALU_DEP_3) | instskip(NEXT) | instid1(VALU_DEP_2)
	v_cmp_ne_u32_e32 vcc_lo, 0, v3
	v_sub_nc_u32_e32 v8, 0x3f1, v7
	v_cndmask_b32_e64 v3, 0, 1, vcc_lo
	s_delay_alu instid0(VALU_DEP_1) | instskip(NEXT) | instid1(VALU_DEP_3)
	v_and_or_b32 v3, 0xffe, v4, v3
	v_med3_i32 v4, v8, 0, 13
	s_delay_alu instid0(VALU_DEP_2) | instskip(NEXT) | instid1(VALU_DEP_1)
	v_or_b32_e32 v8, 0x1000, v3
	v_lshrrev_b32_e32 v9, v4, v8
	s_delay_alu instid0(VALU_DEP_1) | instskip(NEXT) | instid1(VALU_DEP_1)
	v_lshlrev_b32_e32 v4, v4, v9
	v_cmp_ne_u32_e32 vcc_lo, v4, v8
	v_cndmask_b32_e64 v4, 0, 1, vcc_lo
	s_delay_alu instid0(VALU_DEP_1) | instskip(SKIP_1) | instid1(VALU_DEP_1)
	v_or_b32_e32 v4, v9, v4
	v_add_nc_u32_e32 v7, 0xfffffc10, v7
	v_lshl_or_b32 v8, v7, 12, v3
	v_cmp_gt_i32_e32 vcc_lo, 1, v7
	s_delay_alu instid0(VALU_DEP_2) | instskip(NEXT) | instid1(VALU_DEP_1)
	v_cndmask_b32_e32 v4, v8, v4, vcc_lo
	v_dual_lshrrev_b32 v4, 2, v4 :: v_dual_bitop2_b32 v8, 7, v4 bitop3:0x40
	s_delay_alu instid0(VALU_DEP_1) | instskip(SKIP_4) | instid1(VALU_DEP_2)
	v_cmp_lt_i32_e32 vcc_lo, 5, v8
	v_cndmask_b32_e64 v9, 0, 1, vcc_lo
	v_cmp_eq_u32_e32 vcc_lo, 3, v8
	v_cndmask_b32_e64 v8, 0, 1, vcc_lo
	v_cmp_ne_u32_e32 vcc_lo, 0, v3
	v_or_b32_e32 v8, v8, v9
	s_delay_alu instid0(VALU_DEP_1) | instskip(NEXT) | instid1(VALU_DEP_1)
	v_dual_mov_b32 v9, 0x7e00 :: v_dual_add_nc_u32 v4, v4, v8
	v_cndmask_b32_e32 v3, 0x7c00, v9, vcc_lo
	v_cmp_gt_i32_e32 vcc_lo, 31, v7
	s_delay_alu instid0(VALU_DEP_3) | instskip(SKIP_1) | instid1(VALU_DEP_2)
	v_cndmask_b32_e32 v4, 0x7c00, v4, vcc_lo
	v_cmp_eq_u32_e32 vcc_lo, 0x40f, v7
	v_dual_cndmask_b32 v3, v4, v3 :: v_dual_lshrrev_b32 v4, 16, v5
	s_delay_alu instid0(VALU_DEP_1)
	v_and_or_b32 v3, 0x8000, v4, v3
	s_branch .LBB84_1396
.LBB84_1392:
                                        ; implicit-def: $vgpr3
	s_branch .LBB84_1413
.LBB84_1393:
                                        ; implicit-def: $vgpr3
	s_branch .LBB84_1402
.LBB84_1394:
	s_mov_b32 s20, -1
                                        ; implicit-def: $vgpr3
	s_branch .LBB84_1399
.LBB84_1395:
	s_mov_b32 s20, -1
                                        ; implicit-def: $vgpr3
.LBB84_1396:
	s_delay_alu instid0(SALU_CYCLE_1)
	s_and_not1_b32 vcc_lo, exec_lo, s20
	s_cbranch_vccnz .LBB84_1398
; %bb.1397:
	s_wait_loadcnt 0x0
	global_load_b32 v3, v[0:1], off
	s_wait_loadcnt 0x0
	v_cvt_f16_f32_e32 v3, v3
.LBB84_1398:
	s_mov_b32 s20, 0
.LBB84_1399:
	s_delay_alu instid0(SALU_CYCLE_1)
	s_and_not1_b32 vcc_lo, exec_lo, s20
	s_cbranch_vccnz .LBB84_1401
; %bb.1400:
	s_wait_loadcnt 0x0
	global_load_b32 v3, v[0:1], off
.LBB84_1401:
	s_cbranch_execnz .LBB84_1412
.LBB84_1402:
	s_sext_i32_i16 s20, s0
	s_delay_alu instid0(SALU_CYCLE_1)
	s_cmp_lt_i32 s20, 6
	s_cbranch_scc1 .LBB84_1405
; %bb.1403:
	s_cmp_gt_i32 s20, 6
	s_cbranch_scc0 .LBB84_1406
; %bb.1404:
	global_load_b64 v[4:5], v[0:1], off
	s_mov_b32 s20, 0
	s_wait_loadcnt 0x0
	v_and_or_b32 v3, 0x1ff, v5, v4
	v_lshrrev_b32_e32 v4, 8, v5
	v_bfe_u32 v7, v5, 20, 11
	s_delay_alu instid0(VALU_DEP_3) | instskip(NEXT) | instid1(VALU_DEP_2)
	v_cmp_ne_u32_e32 vcc_lo, 0, v3
	v_sub_nc_u32_e32 v8, 0x3f1, v7
	v_cndmask_b32_e64 v3, 0, 1, vcc_lo
	s_delay_alu instid0(VALU_DEP_1) | instskip(NEXT) | instid1(VALU_DEP_3)
	v_and_or_b32 v3, 0xffe, v4, v3
	v_med3_i32 v4, v8, 0, 13
	s_delay_alu instid0(VALU_DEP_2) | instskip(NEXT) | instid1(VALU_DEP_1)
	v_or_b32_e32 v8, 0x1000, v3
	v_lshrrev_b32_e32 v9, v4, v8
	s_delay_alu instid0(VALU_DEP_1) | instskip(NEXT) | instid1(VALU_DEP_1)
	v_lshlrev_b32_e32 v4, v4, v9
	v_cmp_ne_u32_e32 vcc_lo, v4, v8
	v_cndmask_b32_e64 v4, 0, 1, vcc_lo
	s_delay_alu instid0(VALU_DEP_1) | instskip(SKIP_1) | instid1(VALU_DEP_1)
	v_or_b32_e32 v4, v9, v4
	v_add_nc_u32_e32 v7, 0xfffffc10, v7
	v_lshl_or_b32 v8, v7, 12, v3
	v_cmp_gt_i32_e32 vcc_lo, 1, v7
	s_delay_alu instid0(VALU_DEP_2) | instskip(NEXT) | instid1(VALU_DEP_1)
	v_cndmask_b32_e32 v4, v8, v4, vcc_lo
	v_dual_lshrrev_b32 v4, 2, v4 :: v_dual_bitop2_b32 v8, 7, v4 bitop3:0x40
	s_delay_alu instid0(VALU_DEP_1) | instskip(SKIP_4) | instid1(VALU_DEP_2)
	v_cmp_lt_i32_e32 vcc_lo, 5, v8
	v_cndmask_b32_e64 v9, 0, 1, vcc_lo
	v_cmp_eq_u32_e32 vcc_lo, 3, v8
	v_cndmask_b32_e64 v8, 0, 1, vcc_lo
	v_cmp_ne_u32_e32 vcc_lo, 0, v3
	v_or_b32_e32 v8, v8, v9
	s_delay_alu instid0(VALU_DEP_1) | instskip(NEXT) | instid1(VALU_DEP_1)
	v_dual_mov_b32 v9, 0x7e00 :: v_dual_add_nc_u32 v4, v4, v8
	v_cndmask_b32_e32 v3, 0x7c00, v9, vcc_lo
	v_cmp_gt_i32_e32 vcc_lo, 31, v7
	s_delay_alu instid0(VALU_DEP_3) | instskip(SKIP_1) | instid1(VALU_DEP_2)
	v_cndmask_b32_e32 v4, 0x7c00, v4, vcc_lo
	v_cmp_eq_u32_e32 vcc_lo, 0x40f, v7
	v_dual_cndmask_b32 v3, v4, v3 :: v_dual_lshrrev_b32 v4, 16, v5
	s_delay_alu instid0(VALU_DEP_1)
	v_and_or_b32 v3, 0x8000, v4, v3
	s_branch .LBB84_1407
.LBB84_1405:
	s_mov_b32 s20, -1
                                        ; implicit-def: $vgpr3
	s_branch .LBB84_1410
.LBB84_1406:
	s_mov_b32 s20, -1
                                        ; implicit-def: $vgpr3
.LBB84_1407:
	s_delay_alu instid0(SALU_CYCLE_1)
	s_and_not1_b32 vcc_lo, exec_lo, s20
	s_cbranch_vccnz .LBB84_1409
; %bb.1408:
	s_wait_loadcnt 0x0
	global_load_b32 v3, v[0:1], off
	s_wait_loadcnt 0x0
	v_cvt_f16_f32_e32 v3, v3
.LBB84_1409:
	s_mov_b32 s20, 0
.LBB84_1410:
	s_delay_alu instid0(SALU_CYCLE_1)
	s_and_not1_b32 vcc_lo, exec_lo, s20
	s_cbranch_vccnz .LBB84_1412
; %bb.1411:
	s_wait_loadcnt 0x0
	global_load_u16 v3, v[0:1], off
.LBB84_1412:
	s_cbranch_execnz .LBB84_1431
.LBB84_1413:
	s_sext_i32_i16 s20, s0
	s_delay_alu instid0(SALU_CYCLE_1)
	s_cmp_lt_i32 s20, 2
	s_cbranch_scc1 .LBB84_1417
; %bb.1414:
	s_cmp_lt_i32 s20, 3
	s_cbranch_scc1 .LBB84_1418
; %bb.1415:
	s_cmp_gt_i32 s20, 3
	s_cbranch_scc0 .LBB84_1419
; %bb.1416:
	global_load_b64 v[4:5], v[0:1], off
	s_mov_b32 s20, 0
	s_wait_loadcnt 0x0
	v_xor_b32_e32 v3, v4, v5
	v_cls_i32_e32 v7, v5
	s_delay_alu instid0(VALU_DEP_2) | instskip(NEXT) | instid1(VALU_DEP_1)
	v_ashrrev_i32_e32 v3, 31, v3
	v_add_nc_u32_e32 v3, 32, v3
	s_delay_alu instid0(VALU_DEP_1) | instskip(NEXT) | instid1(VALU_DEP_1)
	v_add_min_u32_e64 v3, v7, -1, v3
	v_lshlrev_b64_e32 v[4:5], v3, v[4:5]
	v_sub_nc_u32_e32 v3, 32, v3
	s_delay_alu instid0(VALU_DEP_2) | instskip(NEXT) | instid1(VALU_DEP_1)
	v_min_u32_e32 v4, 1, v4
	v_or_b32_e32 v4, v5, v4
	s_delay_alu instid0(VALU_DEP_1) | instskip(NEXT) | instid1(VALU_DEP_1)
	v_cvt_f32_i32_e32 v4, v4
	v_ldexp_f32 v3, v4, v3
	s_delay_alu instid0(VALU_DEP_1)
	v_cvt_f16_f32_e32 v3, v3
	s_branch .LBB84_1420
.LBB84_1417:
                                        ; implicit-def: $vgpr3
	s_branch .LBB84_1426
.LBB84_1418:
	s_mov_b32 s20, -1
                                        ; implicit-def: $vgpr3
	s_branch .LBB84_1423
.LBB84_1419:
	s_mov_b32 s20, -1
                                        ; implicit-def: $vgpr3
.LBB84_1420:
	s_delay_alu instid0(SALU_CYCLE_1)
	s_and_not1_b32 vcc_lo, exec_lo, s20
	s_cbranch_vccnz .LBB84_1422
; %bb.1421:
	s_wait_loadcnt 0x0
	global_load_b32 v3, v[0:1], off
	s_wait_loadcnt 0x0
	v_cvt_f32_i32_e32 v3, v3
	s_delay_alu instid0(VALU_DEP_1)
	v_cvt_f16_f32_e32 v3, v3
.LBB84_1422:
	s_mov_b32 s20, 0
.LBB84_1423:
	s_delay_alu instid0(SALU_CYCLE_1)
	s_and_not1_b32 vcc_lo, exec_lo, s20
	s_cbranch_vccnz .LBB84_1425
; %bb.1424:
	s_wait_loadcnt 0x0
	global_load_u16 v3, v[0:1], off
	s_wait_loadcnt 0x0
	v_cvt_f16_i16_e32 v3, v3
.LBB84_1425:
	s_cbranch_execnz .LBB84_1431
.LBB84_1426:
	s_sext_i32_i16 s0, s0
	s_delay_alu instid0(SALU_CYCLE_1)
	s_cmp_gt_i32 s0, 0
	s_mov_b32 s0, 0
	s_cbranch_scc0 .LBB84_1428
; %bb.1427:
	s_wait_loadcnt 0x0
	global_load_i8 v3, v[0:1], off
	s_wait_loadcnt 0x0
	v_cvt_f16_i16_e32 v3, v3
	s_branch .LBB84_1429
.LBB84_1428:
	s_mov_b32 s0, -1
                                        ; implicit-def: $vgpr3
.LBB84_1429:
	s_delay_alu instid0(SALU_CYCLE_1)
	s_and_not1_b32 vcc_lo, exec_lo, s0
	s_cbranch_vccnz .LBB84_1431
; %bb.1430:
	global_load_u8 v0, v[0:1], off
	s_wait_loadcnt 0x0
	v_cvt_f16_u16_e32 v3, v0
.LBB84_1431:
	s_or_b32 s21, s21, exec_lo
.LBB84_1432:
	s_wait_xcnt 0x0
	s_or_b32 exec_lo, exec_lo, s19
	s_mov_b32 s0, 0
	s_mov_b32 s22, 0
                                        ; implicit-def: $sgpr19
                                        ; implicit-def: $vgpr0_vgpr1
	s_and_saveexec_b32 s20, s21
	s_cbranch_execz .LBB84_1442
; %bb.1433:
	s_wait_loadcnt 0x0
	v_cvt_f32_f16_e32 v0, v3
	s_mov_b32 s0, exec_lo
	s_delay_alu instid0(VALU_DEP_1) | instskip(NEXT) | instid1(VALU_DEP_1)
	v_mul_f32_e32 v0, s11, v0
	v_cmpx_nlt_f32_e32 s2, v0
	s_cbranch_execz .LBB84_1435
; %bb.1434:
	v_mul_f32_e32 v1, 0x3fb8aa3b, v0
	v_cmp_ngt_f32_e32 vcc_lo, 0xc2ce8ed0, v0
	v_cvt_f32_f16_e32 v2, v2
	s_delay_alu instid0(VALU_DEP_3) | instskip(SKIP_1) | instid1(VALU_DEP_1)
	v_rndne_f32_e32 v3, v1
	v_fma_f32 v4, 0x3fb8aa3b, v0, -v1
	v_dual_sub_f32 v1, v1, v3 :: v_dual_fmamk_f32 v4, v0, 0x32a5705f, v4
	v_cvt_i32_f32_e32 v3, v3
	s_delay_alu instid0(VALU_DEP_2) | instskip(NEXT) | instid1(VALU_DEP_1)
	v_add_f32_e32 v1, v1, v4
	v_exp_f32_e32 v1, v1
	v_nop
	s_delay_alu instid0(TRANS32_DEP_1) | instskip(NEXT) | instid1(VALU_DEP_1)
	v_ldexp_f32 v1, v1, v3
	v_cndmask_b32_e32 v1, 0, v1, vcc_lo
	v_cmp_nlt_f32_e32 vcc_lo, 0x42b17218, v0
	s_delay_alu instid0(VALU_DEP_2) | instskip(NEXT) | instid1(VALU_DEP_1)
	v_cndmask_b32_e32 v0, 0x7f800000, v1, vcc_lo
	v_dual_mul_f32 v1, v0, v2 :: v_dual_add_f32 v0, 1.0, v0
	s_delay_alu instid0(VALU_DEP_1) | instskip(NEXT) | instid1(VALU_DEP_1)
	v_div_scale_f32 v2, null, v0, v0, v1
	v_rcp_f32_e32 v3, v2
	v_nop
	s_delay_alu instid0(TRANS32_DEP_1) | instskip(NEXT) | instid1(VALU_DEP_1)
	v_fma_f32 v4, -v2, v3, 1.0
	v_fmac_f32_e32 v3, v4, v3
	v_div_scale_f32 v4, vcc_lo, v1, v0, v1
	s_delay_alu instid0(VALU_DEP_1) | instskip(NEXT) | instid1(VALU_DEP_1)
	v_mul_f32_e32 v5, v4, v3
	v_fma_f32 v7, -v2, v5, v4
	s_delay_alu instid0(VALU_DEP_1) | instskip(NEXT) | instid1(VALU_DEP_1)
	v_fmac_f32_e32 v5, v7, v3
	v_fma_f32 v2, -v2, v5, v4
	s_delay_alu instid0(VALU_DEP_1) | instskip(NEXT) | instid1(VALU_DEP_1)
	v_div_fmas_f32 v2, v2, v3, v5
	v_div_fixup_f32 v0, v2, v0, v1
	s_delay_alu instid0(VALU_DEP_1)
	v_cvt_f16_f32_e32 v2, v0
.LBB84_1435:
	s_or_b32 exec_lo, exec_lo, s0
	v_mul_lo_u32 v0, v6, s8
	s_and_b32 s19, s3, 0xff
	s_delay_alu instid0(SALU_CYCLE_1) | instskip(NEXT) | instid1(VALU_DEP_1)
	s_cmp_lt_i32 s19, 11
	v_ashrrev_i32_e32 v1, 31, v0
	s_delay_alu instid0(VALU_DEP_1)
	v_add_nc_u64_e32 v[0:1], s[4:5], v[0:1]
	s_cbranch_scc1 .LBB84_1445
; %bb.1436:
	s_and_b32 s21, 0xffff, s19
	s_mov_b32 s22, -1
	s_cmp_gt_i32 s21, 25
	s_mov_b32 s0, s17
	s_cbranch_scc0 .LBB84_1473
; %bb.1437:
	s_cmp_gt_i32 s21, 28
	s_mov_b32 s0, s17
	s_cbranch_scc0 .LBB84_1457
; %bb.1438:
	;; [unrolled: 4-line block ×4, first 2 shown]
	s_cmp_eq_u32 s21, 46
	s_mov_b32 s0, -1
	s_cbranch_scc0 .LBB84_1446
; %bb.1441:
	v_cvt_f32_f16_e32 v3, v2
	v_cmp_o_f16_e32 vcc_lo, v2, v2
	s_mov_b32 s0, 0
	s_mov_b32 s22, 0
	s_delay_alu instid0(VALU_DEP_2) | instskip(NEXT) | instid1(VALU_DEP_1)
	v_bfe_u32 v4, v3, 16, 1
	v_add3_u32 v3, v3, v4, 0x7fff
	s_delay_alu instid0(VALU_DEP_1) | instskip(NEXT) | instid1(VALU_DEP_1)
	v_lshrrev_b32_e32 v3, 16, v3
	v_cndmask_b32_e32 v3, 0x7fc0, v3, vcc_lo
	global_store_b32 v[0:1], v3, off
	s_branch .LBB84_1447
.LBB84_1442:
	s_or_b32 exec_lo, exec_lo, s20
	s_and_saveexec_b32 s20, s17
	s_cbranch_execnz .LBB84_1515
.LBB84_1443:
	s_or_b32 exec_lo, exec_lo, s20
	s_and_saveexec_b32 s17, s0
	s_delay_alu instid0(SALU_CYCLE_1)
	s_xor_b32 s0, exec_lo, s17
	s_cbranch_execz .LBB84_1516
.LBB84_1444:
	s_wait_loadcnt 0x0
	v_and_b32_e32 v3, 0x7fff, v2
	s_delay_alu instid0(VALU_DEP_1)
	v_cmp_ne_u16_e32 vcc_lo, 0, v3
	v_cndmask_b32_e64 v3, 0, 1, vcc_lo
	global_store_b8 v[0:1], v3, off
	s_wait_xcnt 0x0
	s_or_b32 exec_lo, exec_lo, s0
	s_and_saveexec_b32 s0, s22
	s_delay_alu instid0(SALU_CYCLE_1)
	s_xor_b32 s0, exec_lo, s0
	s_cbranch_execz .LBB84_1554
	s_branch .LBB84_1517
.LBB84_1445:
	s_mov_b32 s23, 0
	s_mov_b32 s22, -1
	s_mov_b32 s0, s17
	s_branch .LBB84_1514
.LBB84_1446:
	s_mov_b32 s22, 0
.LBB84_1447:
	s_delay_alu instid0(SALU_CYCLE_1)
	s_and_b32 vcc_lo, exec_lo, s22
	s_cbranch_vccz .LBB84_1452
; %bb.1448:
	s_cmp_eq_u32 s21, 44
	s_mov_b32 s0, -1
	s_cbranch_scc0 .LBB84_1452
; %bb.1449:
	s_wait_xcnt 0x0
	v_cvt_f32_f16_e32 v3, v2
	v_mov_b32_e32 v4, 0xff
	s_mov_b32 s22, exec_lo
	s_delay_alu instid0(VALU_DEP_2) | instskip(NEXT) | instid1(VALU_DEP_1)
	v_bfe_u32 v5, v3, 23, 8
	v_cmpx_ne_u32_e32 0xff, v5
	s_cbranch_execz .LBB84_1451
; %bb.1450:
	v_and_b32_e32 v4, 0x400000, v3
	v_and_or_b32 v5, 0x3fffff, v3, v5
	v_lshrrev_b32_e32 v3, 23, v3
	s_delay_alu instid0(VALU_DEP_3) | instskip(NEXT) | instid1(VALU_DEP_3)
	v_cmp_ne_u32_e32 vcc_lo, 0, v4
	v_cmp_ne_u32_e64 s0, 0, v5
	s_and_b32 s0, vcc_lo, s0
	s_delay_alu instid0(SALU_CYCLE_1) | instskip(NEXT) | instid1(VALU_DEP_1)
	v_cndmask_b32_e64 v4, 0, 1, s0
	v_add_nc_u32_e32 v4, v3, v4
.LBB84_1451:
	s_or_b32 exec_lo, exec_lo, s22
	s_mov_b32 s0, 0
	global_store_b8 v[0:1], v4, off
.LBB84_1452:
	s_mov_b32 s22, 0
.LBB84_1453:
	s_delay_alu instid0(SALU_CYCLE_1)
	s_and_b32 vcc_lo, exec_lo, s22
	s_cbranch_vccz .LBB84_1456
; %bb.1454:
	s_cmp_eq_u32 s21, 29
	s_mov_b32 s0, -1
	s_cbranch_scc0 .LBB84_1456
; %bb.1455:
	s_wait_xcnt 0x0
	v_cvt_f32_f16_e32 v3, v2
	v_mov_b32_e32 v5, 0
	s_mov_b32 s0, 0
	s_mov_b32 s22, 0
	s_delay_alu instid0(VALU_DEP_2)
	v_cvt_u32_f32_e32 v4, v3
	global_store_b64 v[0:1], v[4:5], off
	s_branch .LBB84_1457
.LBB84_1456:
	s_mov_b32 s22, 0
.LBB84_1457:
	s_delay_alu instid0(SALU_CYCLE_1)
	s_and_b32 vcc_lo, exec_lo, s22
	s_cbranch_vccz .LBB84_1472
; %bb.1458:
	s_cmp_lt_i32 s21, 27
	s_mov_b32 s22, -1
	s_cbranch_scc1 .LBB84_1464
; %bb.1459:
	s_cmp_gt_i32 s21, 27
	s_cbranch_scc0 .LBB84_1461
; %bb.1460:
	s_wait_xcnt 0x0
	v_cvt_f32_f16_e32 v3, v2
	s_mov_b32 s22, 0
	s_delay_alu instid0(VALU_DEP_1)
	v_cvt_u32_f32_e32 v3, v3
	global_store_b32 v[0:1], v3, off
.LBB84_1461:
	s_and_not1_b32 vcc_lo, exec_lo, s22
	s_cbranch_vccnz .LBB84_1463
; %bb.1462:
	s_wait_xcnt 0x0
	v_cvt_u16_f16_e32 v3, v2
	global_store_b16 v[0:1], v3, off
.LBB84_1463:
	s_mov_b32 s22, 0
.LBB84_1464:
	s_delay_alu instid0(SALU_CYCLE_1)
	s_and_not1_b32 vcc_lo, exec_lo, s22
	s_cbranch_vccnz .LBB84_1472
; %bb.1465:
	s_wait_xcnt 0x0
	v_cvt_f32_f16_e32 v3, v2
	v_mov_b32_e32 v5, 0x80
	s_mov_b32 s22, exec_lo
	s_delay_alu instid0(VALU_DEP_2) | instskip(NEXT) | instid1(VALU_DEP_1)
	v_and_b32_e32 v4, 0x7fffffff, v3
	v_cmpx_gt_u32_e32 0x43800000, v4
	s_cbranch_execz .LBB84_1471
; %bb.1466:
	v_cmp_lt_u32_e32 vcc_lo, 0x3bffffff, v4
	s_mov_b32 s23, 0
                                        ; implicit-def: $vgpr4
	s_and_saveexec_b32 s24, vcc_lo
	s_delay_alu instid0(SALU_CYCLE_1)
	s_xor_b32 s24, exec_lo, s24
	s_cbranch_execz .LBB84_1569
; %bb.1467:
	v_bfe_u32 v4, v3, 20, 1
	s_mov_b32 s23, exec_lo
	s_delay_alu instid0(VALU_DEP_1) | instskip(NEXT) | instid1(VALU_DEP_1)
	v_add3_u32 v4, v3, v4, 0x487ffff
	v_lshrrev_b32_e32 v4, 20, v4
	s_and_not1_saveexec_b32 s24, s24
	s_cbranch_execnz .LBB84_1570
.LBB84_1468:
	s_or_b32 exec_lo, exec_lo, s24
	v_mov_b32_e32 v5, 0
	s_and_saveexec_b32 s24, s23
.LBB84_1469:
	v_lshrrev_b32_e32 v3, 24, v3
	s_delay_alu instid0(VALU_DEP_1)
	v_and_or_b32 v5, 0x80, v3, v4
.LBB84_1470:
	s_or_b32 exec_lo, exec_lo, s24
.LBB84_1471:
	s_delay_alu instid0(SALU_CYCLE_1)
	s_or_b32 exec_lo, exec_lo, s22
	global_store_b8 v[0:1], v5, off
.LBB84_1472:
	s_mov_b32 s22, 0
.LBB84_1473:
	s_delay_alu instid0(SALU_CYCLE_1)
	s_and_b32 vcc_lo, exec_lo, s22
	s_mov_b32 s22, 0
	s_cbranch_vccz .LBB84_1513
; %bb.1474:
	s_cmp_gt_i32 s21, 22
	s_mov_b32 s23, -1
	s_cbranch_scc0 .LBB84_1506
; %bb.1475:
	s_cmp_lt_i32 s21, 24
	s_cbranch_scc1 .LBB84_1495
; %bb.1476:
	s_cmp_gt_i32 s21, 24
	s_cbranch_scc0 .LBB84_1484
; %bb.1477:
	s_wait_xcnt 0x0
	v_cvt_f32_f16_e32 v3, v2
	v_mov_b32_e32 v5, 0x80
	s_mov_b32 s23, exec_lo
	s_delay_alu instid0(VALU_DEP_2) | instskip(NEXT) | instid1(VALU_DEP_1)
	v_and_b32_e32 v4, 0x7fffffff, v3
	v_cmpx_gt_u32_e32 0x47800000, v4
	s_cbranch_execz .LBB84_1483
; %bb.1478:
	v_cmp_lt_u32_e32 vcc_lo, 0x37ffffff, v4
	s_mov_b32 s24, 0
                                        ; implicit-def: $vgpr4
	s_and_saveexec_b32 s25, vcc_lo
	s_delay_alu instid0(SALU_CYCLE_1)
	s_xor_b32 s25, exec_lo, s25
	s_cbranch_execz .LBB84_1695
; %bb.1479:
	v_bfe_u32 v4, v3, 21, 1
	s_mov_b32 s24, exec_lo
	s_delay_alu instid0(VALU_DEP_1) | instskip(NEXT) | instid1(VALU_DEP_1)
	v_add3_u32 v4, v3, v4, 0x88fffff
	v_lshrrev_b32_e32 v4, 21, v4
	s_and_not1_saveexec_b32 s25, s25
	s_cbranch_execnz .LBB84_1696
.LBB84_1480:
	s_or_b32 exec_lo, exec_lo, s25
	v_mov_b32_e32 v5, 0
	s_and_saveexec_b32 s25, s24
.LBB84_1481:
	v_lshrrev_b32_e32 v3, 24, v3
	s_delay_alu instid0(VALU_DEP_1)
	v_and_or_b32 v5, 0x80, v3, v4
.LBB84_1482:
	s_or_b32 exec_lo, exec_lo, s25
.LBB84_1483:
	s_delay_alu instid0(SALU_CYCLE_1)
	s_or_b32 exec_lo, exec_lo, s23
	s_mov_b32 s23, 0
	global_store_b8 v[0:1], v5, off
.LBB84_1484:
	s_and_b32 vcc_lo, exec_lo, s23
	s_cbranch_vccz .LBB84_1494
; %bb.1485:
	s_wait_xcnt 0x0
	v_cvt_f32_f16_e32 v3, v2
	s_mov_b32 s23, exec_lo
                                        ; implicit-def: $vgpr4
	s_delay_alu instid0(VALU_DEP_1) | instskip(NEXT) | instid1(VALU_DEP_1)
	v_and_b32_e32 v5, 0x7fffffff, v3
	v_cmpx_gt_u32_e32 0x43f00000, v5
	s_xor_b32 s23, exec_lo, s23
	s_cbranch_execz .LBB84_1491
; %bb.1486:
	s_mov_b32 s24, exec_lo
                                        ; implicit-def: $vgpr4
	v_cmpx_lt_u32_e32 0x3c7fffff, v5
	s_xor_b32 s24, exec_lo, s24
; %bb.1487:
	v_bfe_u32 v4, v3, 20, 1
	s_delay_alu instid0(VALU_DEP_1) | instskip(NEXT) | instid1(VALU_DEP_1)
	v_add3_u32 v4, v3, v4, 0x407ffff
	v_and_b32_e32 v5, 0xff00000, v4
	v_lshrrev_b32_e32 v4, 20, v4
	s_delay_alu instid0(VALU_DEP_2) | instskip(NEXT) | instid1(VALU_DEP_2)
	v_cmp_ne_u32_e32 vcc_lo, 0x7f00000, v5
	v_cndmask_b32_e32 v4, 0x7e, v4, vcc_lo
; %bb.1488:
	s_and_not1_saveexec_b32 s24, s24
; %bb.1489:
	v_add_f32_e64 v4, 0x46800000, |v3|
; %bb.1490:
	s_or_b32 exec_lo, exec_lo, s24
                                        ; implicit-def: $vgpr5
.LBB84_1491:
	s_and_not1_saveexec_b32 s23, s23
; %bb.1492:
	v_mov_b32_e32 v4, 0x7f
	v_cmp_lt_u32_e32 vcc_lo, 0x7f800000, v5
	s_delay_alu instid0(VALU_DEP_2)
	v_cndmask_b32_e32 v4, 0x7e, v4, vcc_lo
; %bb.1493:
	s_or_b32 exec_lo, exec_lo, s23
	v_lshrrev_b32_e32 v3, 24, v3
	s_delay_alu instid0(VALU_DEP_1)
	v_and_or_b32 v3, 0x80, v3, v4
	global_store_b8 v[0:1], v3, off
.LBB84_1494:
	s_mov_b32 s23, 0
.LBB84_1495:
	s_delay_alu instid0(SALU_CYCLE_1)
	s_and_not1_b32 vcc_lo, exec_lo, s23
	s_cbranch_vccnz .LBB84_1505
; %bb.1496:
	s_wait_xcnt 0x0
	v_cvt_f32_f16_e32 v3, v2
	s_mov_b32 s23, exec_lo
                                        ; implicit-def: $vgpr4
	s_delay_alu instid0(VALU_DEP_1) | instskip(NEXT) | instid1(VALU_DEP_1)
	v_and_b32_e32 v5, 0x7fffffff, v3
	v_cmpx_gt_u32_e32 0x47800000, v5
	s_xor_b32 s23, exec_lo, s23
	s_cbranch_execz .LBB84_1502
; %bb.1497:
	s_mov_b32 s24, exec_lo
                                        ; implicit-def: $vgpr4
	v_cmpx_lt_u32_e32 0x387fffff, v5
	s_xor_b32 s24, exec_lo, s24
; %bb.1498:
	v_bfe_u32 v4, v3, 21, 1
	s_delay_alu instid0(VALU_DEP_1) | instskip(NEXT) | instid1(VALU_DEP_1)
	v_add3_u32 v4, v3, v4, 0x80fffff
	v_lshrrev_b32_e32 v4, 21, v4
; %bb.1499:
	s_and_not1_saveexec_b32 s24, s24
; %bb.1500:
	v_add_f32_e64 v4, 0x43000000, |v3|
; %bb.1501:
	s_or_b32 exec_lo, exec_lo, s24
                                        ; implicit-def: $vgpr5
.LBB84_1502:
	s_and_not1_saveexec_b32 s23, s23
; %bb.1503:
	v_mov_b32_e32 v4, 0x7f
	v_cmp_lt_u32_e32 vcc_lo, 0x7f800000, v5
	s_delay_alu instid0(VALU_DEP_2)
	v_cndmask_b32_e32 v4, 0x7c, v4, vcc_lo
; %bb.1504:
	s_or_b32 exec_lo, exec_lo, s23
	v_lshrrev_b32_e32 v3, 24, v3
	s_delay_alu instid0(VALU_DEP_1)
	v_and_or_b32 v3, 0x80, v3, v4
	global_store_b8 v[0:1], v3, off
.LBB84_1505:
	s_mov_b32 s23, 0
.LBB84_1506:
	s_delay_alu instid0(SALU_CYCLE_1)
	s_and_not1_b32 vcc_lo, exec_lo, s23
	s_mov_b32 s23, 0
	s_cbranch_vccnz .LBB84_1514
; %bb.1507:
	s_cmp_gt_i32 s21, 14
	s_mov_b32 s23, -1
	s_cbranch_scc0 .LBB84_1511
; %bb.1508:
	s_cmp_eq_u32 s21, 15
	s_mov_b32 s0, -1
	s_cbranch_scc0 .LBB84_1510
; %bb.1509:
	s_wait_xcnt 0x0
	v_cvt_f32_f16_e32 v3, v2
	v_cmp_o_f16_e32 vcc_lo, v2, v2
	s_mov_b32 s0, 0
	s_delay_alu instid0(VALU_DEP_2) | instskip(NEXT) | instid1(VALU_DEP_1)
	v_bfe_u32 v4, v3, 16, 1
	v_add3_u32 v3, v3, v4, 0x7fff
	s_delay_alu instid0(VALU_DEP_1) | instskip(NEXT) | instid1(VALU_DEP_1)
	v_lshrrev_b32_e32 v3, 16, v3
	v_cndmask_b32_e32 v3, 0x7fc0, v3, vcc_lo
	global_store_b16 v[0:1], v3, off
.LBB84_1510:
	s_mov_b32 s23, 0
.LBB84_1511:
	s_delay_alu instid0(SALU_CYCLE_1)
	s_and_b32 vcc_lo, exec_lo, s23
	s_mov_b32 s23, 0
	s_cbranch_vccz .LBB84_1514
; %bb.1512:
	s_cmp_lg_u32 s21, 11
	s_mov_b32 s23, -1
	s_cselect_b32 s21, -1, 0
	s_and_not1_b32 s0, s0, exec_lo
	s_and_b32 s21, s21, exec_lo
	s_delay_alu instid0(SALU_CYCLE_1)
	s_or_b32 s0, s0, s21
	s_branch .LBB84_1514
.LBB84_1513:
	s_mov_b32 s23, 0
.LBB84_1514:
	s_and_not1_b32 s17, s17, exec_lo
	s_and_b32 s21, s0, exec_lo
	s_and_b32 s22, s22, exec_lo
	;; [unrolled: 1-line block ×3, first 2 shown]
	s_or_b32 s17, s17, s21
	s_wait_xcnt 0x0
	s_or_b32 exec_lo, exec_lo, s20
	s_and_saveexec_b32 s20, s17
	s_cbranch_execz .LBB84_1443
.LBB84_1515:
	s_or_b32 s18, s18, exec_lo
	s_and_not1_b32 s0, s0, exec_lo
	s_trap 2
	s_or_b32 exec_lo, exec_lo, s20
	s_and_saveexec_b32 s17, s0
	s_delay_alu instid0(SALU_CYCLE_1)
	s_xor_b32 s0, exec_lo, s17
	s_cbranch_execnz .LBB84_1444
.LBB84_1516:
	s_or_b32 exec_lo, exec_lo, s0
	s_and_saveexec_b32 s0, s22
	s_delay_alu instid0(SALU_CYCLE_1)
	s_xor_b32 s0, exec_lo, s0
	s_cbranch_execz .LBB84_1554
.LBB84_1517:
	s_sext_i32_i16 s20, s19
	s_mov_b32 s17, -1
	s_cmp_lt_i32 s20, 5
	s_cbranch_scc1 .LBB84_1538
; %bb.1518:
	s_cmp_lt_i32 s20, 8
	s_cbranch_scc1 .LBB84_1528
; %bb.1519:
	;; [unrolled: 3-line block ×3, first 2 shown]
	s_cmp_gt_i32 s20, 9
	s_cbranch_scc0 .LBB84_1522
; %bb.1521:
	s_wait_loadcnt 0x0
	v_cvt_f32_f16_e32 v3, v2
	v_mov_b32_e32 v6, 0
	s_mov_b32 s17, 0
	s_delay_alu instid0(VALU_DEP_2) | instskip(NEXT) | instid1(VALU_DEP_2)
	v_cvt_f64_f32_e32 v[4:5], v3
	v_mov_b32_e32 v7, v6
	global_store_b128 v[0:1], v[4:7], off
.LBB84_1522:
	s_and_not1_b32 vcc_lo, exec_lo, s17
	s_cbranch_vccnz .LBB84_1524
; %bb.1523:
	s_wait_loadcnt 0x0
	v_cvt_f32_f16_e32 v4, v2
	v_mov_b32_e32 v5, 0
	global_store_b64 v[0:1], v[4:5], off
.LBB84_1524:
	s_mov_b32 s17, 0
.LBB84_1525:
	s_delay_alu instid0(SALU_CYCLE_1)
	s_and_not1_b32 vcc_lo, exec_lo, s17
	s_cbranch_vccnz .LBB84_1527
; %bb.1526:
	s_wait_loadcnt 0x0
	v_and_b32_e32 v3, 0xffff, v2
	global_store_b32 v[0:1], v3, off
.LBB84_1527:
	s_mov_b32 s17, 0
.LBB84_1528:
	s_delay_alu instid0(SALU_CYCLE_1)
	s_and_not1_b32 vcc_lo, exec_lo, s17
	s_cbranch_vccnz .LBB84_1537
; %bb.1529:
	s_sext_i32_i16 s20, s19
	s_mov_b32 s17, -1
	s_cmp_lt_i32 s20, 6
	s_cbranch_scc1 .LBB84_1535
; %bb.1530:
	s_cmp_gt_i32 s20, 6
	s_cbranch_scc0 .LBB84_1532
; %bb.1531:
	s_wait_loadcnt 0x0
	v_cvt_f32_f16_e32 v3, v2
	s_mov_b32 s17, 0
	s_delay_alu instid0(VALU_DEP_1)
	v_cvt_f64_f32_e32 v[4:5], v3
	global_store_b64 v[0:1], v[4:5], off
.LBB84_1532:
	s_and_not1_b32 vcc_lo, exec_lo, s17
	s_cbranch_vccnz .LBB84_1534
; %bb.1533:
	s_wait_loadcnt 0x0
	v_cvt_f32_f16_e32 v3, v2
	global_store_b32 v[0:1], v3, off
.LBB84_1534:
	s_mov_b32 s17, 0
.LBB84_1535:
	s_delay_alu instid0(SALU_CYCLE_1)
	s_and_not1_b32 vcc_lo, exec_lo, s17
	s_cbranch_vccnz .LBB84_1537
; %bb.1536:
	s_wait_loadcnt 0x0
	global_store_b16 v[0:1], v2, off
.LBB84_1537:
	s_mov_b32 s17, 0
.LBB84_1538:
	s_delay_alu instid0(SALU_CYCLE_1)
	s_and_not1_b32 vcc_lo, exec_lo, s17
	s_cbranch_vccnz .LBB84_1554
; %bb.1539:
	s_sext_i32_i16 s20, s19
	s_mov_b32 s17, -1
	s_cmp_lt_i32 s20, 2
	s_cbranch_scc1 .LBB84_1549
; %bb.1540:
	s_cmp_lt_i32 s20, 3
	s_cbranch_scc1 .LBB84_1546
; %bb.1541:
	s_cmp_gt_i32 s20, 3
	s_cbranch_scc0 .LBB84_1543
; %bb.1542:
	s_wait_loadcnt 0x0
	v_cvt_f32_f16_e32 v3, v2
	s_mov_b32 s17, 0
	s_delay_alu instid0(VALU_DEP_1) | instskip(NEXT) | instid1(VALU_DEP_1)
	v_cvt_i32_f32_e32 v4, v3
	v_ashrrev_i32_e32 v5, 31, v4
	global_store_b64 v[0:1], v[4:5], off
.LBB84_1543:
	s_and_not1_b32 vcc_lo, exec_lo, s17
	s_cbranch_vccnz .LBB84_1545
; %bb.1544:
	s_wait_loadcnt 0x0
	v_cvt_f32_f16_e32 v3, v2
	s_delay_alu instid0(VALU_DEP_1)
	v_cvt_i32_f32_e32 v3, v3
	global_store_b32 v[0:1], v3, off
.LBB84_1545:
	s_mov_b32 s17, 0
.LBB84_1546:
	s_delay_alu instid0(SALU_CYCLE_1)
	s_and_not1_b32 vcc_lo, exec_lo, s17
	s_cbranch_vccnz .LBB84_1548
; %bb.1547:
	s_wait_loadcnt 0x0
	v_cvt_i16_f16_e32 v3, v2
	global_store_b16 v[0:1], v3, off
.LBB84_1548:
	s_mov_b32 s17, 0
.LBB84_1549:
	s_delay_alu instid0(SALU_CYCLE_1)
	s_and_not1_b32 vcc_lo, exec_lo, s17
	s_cbranch_vccnz .LBB84_1554
; %bb.1550:
	s_sext_i32_i16 s17, s19
	s_delay_alu instid0(SALU_CYCLE_1)
	s_cmp_gt_i32 s17, 0
	s_mov_b32 s17, -1
	s_cbranch_scc0 .LBB84_1552
; %bb.1551:
	s_wait_loadcnt 0x0
	v_cvt_i16_f16_e32 v3, v2
	s_mov_b32 s17, 0
	global_store_b8 v[0:1], v3, off
.LBB84_1552:
	s_and_not1_b32 vcc_lo, exec_lo, s17
	s_cbranch_vccnz .LBB84_1554
; %bb.1553:
	s_wait_loadcnt 0x0
	v_cvt_f32_f16_e32 v2, v2
	s_delay_alu instid0(VALU_DEP_1)
	v_cvt_i32_f32_e32 v2, v2
	global_store_b8 v[0:1], v2, off
.LBB84_1554:
	s_wait_xcnt 0x0
	s_or_b32 exec_lo, exec_lo, s0
	s_delay_alu instid0(SALU_CYCLE_1)
	s_and_b32 s17, s18, exec_lo
                                        ; implicit-def: $vgpr6
.LBB84_1555:
	s_or_saveexec_b32 s16, s16
	s_mov_b32 s0, 0
                                        ; implicit-def: $sgpr18
                                        ; implicit-def: $vgpr0_vgpr1
                                        ; implicit-def: $vgpr4
	s_xor_b32 exec_lo, exec_lo, s16
	s_cbranch_execz .LBB84_2686
; %bb.1556:
	v_mul_lo_u32 v0, s9, v6
	s_and_b32 s0, s15, 0xff
	s_delay_alu instid0(SALU_CYCLE_1) | instskip(NEXT) | instid1(VALU_DEP_1)
	s_cmp_lt_i32 s0, 11
	v_ashrrev_i32_e32 v1, 31, v0
	s_wait_loadcnt 0x0
	s_delay_alu instid0(VALU_DEP_1)
	v_add_nc_u64_e32 v[2:3], s[6:7], v[0:1]
	s_cbranch_scc1 .LBB84_1563
; %bb.1557:
	s_and_b32 s14, 0xffff, s0
	s_mov_b32 s18, 0
	s_cmp_gt_i32 s14, 25
	s_cbranch_scc0 .LBB84_1565
; %bb.1558:
	s_cmp_gt_i32 s14, 28
	s_cbranch_scc0 .LBB84_1566
; %bb.1559:
	;; [unrolled: 3-line block ×4, first 2 shown]
	s_cmp_eq_u32 s14, 46
	s_mov_b32 s20, 0
	s_cbranch_scc0 .LBB84_1571
; %bb.1562:
	global_load_b32 v1, v[2:3], off
	s_mov_b32 s15, 0
	s_mov_b32 s19, -1
	s_wait_loadcnt 0x0
	v_lshlrev_b32_e32 v1, 16, v1
	s_delay_alu instid0(VALU_DEP_1)
	v_cvt_f16_f32_e32 v7, v1
	s_branch .LBB84_1573
.LBB84_1563:
	s_mov_b32 s19, 0
	s_mov_b32 s14, s17
                                        ; implicit-def: $vgpr7
	s_cbranch_execnz .LBB84_1636
.LBB84_1564:
	s_and_not1_b32 vcc_lo, exec_lo, s19
	s_cbranch_vccz .LBB84_1681
	s_branch .LBB84_2684
.LBB84_1565:
	s_mov_b32 s19, 0
	s_mov_b32 s15, 0
                                        ; implicit-def: $vgpr7
	s_cbranch_execnz .LBB84_1601
	s_branch .LBB84_1632
.LBB84_1566:
	s_mov_b32 s20, -1
	s_mov_b32 s19, 0
	s_mov_b32 s15, 0
                                        ; implicit-def: $vgpr7
	s_branch .LBB84_1582
.LBB84_1567:
	s_mov_b32 s19, 0
	s_mov_b32 s15, 0
                                        ; implicit-def: $vgpr7
	s_cbranch_execnz .LBB84_1578
	s_branch .LBB84_1581
.LBB84_1568:
	s_mov_b32 s20, -1
	s_mov_b32 s19, 0
	s_mov_b32 s15, 0
	s_branch .LBB84_1572
.LBB84_1569:
	s_and_not1_saveexec_b32 s24, s24
	s_cbranch_execz .LBB84_1468
.LBB84_1570:
	v_add_f32_e64 v4, 0x46000000, |v3|
	s_and_not1_b32 s23, s23, exec_lo
	s_delay_alu instid0(VALU_DEP_1) | instskip(NEXT) | instid1(VALU_DEP_1)
	v_and_b32_e32 v4, 0xff, v4
	v_cmp_ne_u32_e32 vcc_lo, 0, v4
	s_and_b32 s25, vcc_lo, exec_lo
	s_delay_alu instid0(SALU_CYCLE_1)
	s_or_b32 s23, s23, s25
	s_or_b32 exec_lo, exec_lo, s24
	v_mov_b32_e32 v5, 0
	s_and_saveexec_b32 s24, s23
	s_cbranch_execnz .LBB84_1469
	s_branch .LBB84_1470
.LBB84_1571:
	s_mov_b32 s15, -1
	s_mov_b32 s19, 0
.LBB84_1572:
                                        ; implicit-def: $vgpr7
.LBB84_1573:
	s_and_b32 vcc_lo, exec_lo, s20
	s_cbranch_vccz .LBB84_1576
; %bb.1574:
	s_cmp_eq_u32 s14, 44
	s_cbranch_scc0 .LBB84_1577
; %bb.1575:
	global_load_u8 v1, v[2:3], off
	s_mov_b32 s15, 0
	s_mov_b32 s19, -1
	s_wait_loadcnt 0x0
	v_lshlrev_b32_e32 v4, 23, v1
	v_cmp_ne_u32_e32 vcc_lo, 0xff, v1
	s_delay_alu instid0(VALU_DEP_2) | instskip(NEXT) | instid1(VALU_DEP_1)
	v_cvt_f16_f32_e32 v4, v4
	v_cndmask_b32_e32 v4, 0x7e00, v4, vcc_lo
	v_cmp_ne_u32_e32 vcc_lo, 0, v1
	s_delay_alu instid0(VALU_DEP_2)
	v_cndmask_b32_e32 v7, 0, v4, vcc_lo
.LBB84_1576:
	s_branch .LBB84_1581
.LBB84_1577:
	s_mov_b32 s15, -1
                                        ; implicit-def: $vgpr7
	s_branch .LBB84_1581
.LBB84_1578:
	s_cmp_eq_u32 s14, 29
	s_cbranch_scc0 .LBB84_1580
; %bb.1579:
	global_load_b64 v[4:5], v[2:3], off
	s_mov_b32 s15, 0
	s_mov_b32 s19, -1
	s_mov_b32 s20, 0
	s_wait_loadcnt 0x0
	v_clz_i32_u32_e32 v1, v5
	s_delay_alu instid0(VALU_DEP_1) | instskip(NEXT) | instid1(VALU_DEP_1)
	v_min_u32_e32 v1, 32, v1
	v_lshlrev_b64_e32 v[4:5], v1, v[4:5]
	v_sub_nc_u32_e32 v1, 32, v1
	s_delay_alu instid0(VALU_DEP_2) | instskip(NEXT) | instid1(VALU_DEP_1)
	v_min_u32_e32 v4, 1, v4
	v_or_b32_e32 v4, v5, v4
	s_delay_alu instid0(VALU_DEP_1) | instskip(NEXT) | instid1(VALU_DEP_1)
	v_cvt_f32_u32_e32 v4, v4
	v_ldexp_f32 v1, v4, v1
	s_delay_alu instid0(VALU_DEP_1)
	v_cvt_f16_f32_e32 v7, v1
	s_branch .LBB84_1582
.LBB84_1580:
	s_mov_b32 s15, -1
                                        ; implicit-def: $vgpr7
.LBB84_1581:
	s_mov_b32 s20, 0
.LBB84_1582:
	s_delay_alu instid0(SALU_CYCLE_1)
	s_and_b32 vcc_lo, exec_lo, s20
	s_cbranch_vccz .LBB84_1600
; %bb.1583:
	s_cmp_lt_i32 s14, 27
	s_cbranch_scc1 .LBB84_1586
; %bb.1584:
	s_cmp_gt_i32 s14, 27
	s_cbranch_scc0 .LBB84_1587
; %bb.1585:
	global_load_b32 v1, v[2:3], off
	s_mov_b32 s19, 0
	s_wait_loadcnt 0x0
	v_cvt_f32_u32_e32 v1, v1
	s_delay_alu instid0(VALU_DEP_1)
	v_cvt_f16_f32_e32 v7, v1
	s_branch .LBB84_1588
.LBB84_1586:
	s_mov_b32 s19, -1
                                        ; implicit-def: $vgpr7
	s_branch .LBB84_1591
.LBB84_1587:
	s_mov_b32 s19, -1
                                        ; implicit-def: $vgpr7
.LBB84_1588:
	s_delay_alu instid0(SALU_CYCLE_1)
	s_and_not1_b32 vcc_lo, exec_lo, s19
	s_cbranch_vccnz .LBB84_1590
; %bb.1589:
	global_load_u16 v1, v[2:3], off
	s_wait_loadcnt 0x0
	v_cvt_f16_u16_e32 v7, v1
.LBB84_1590:
	s_mov_b32 s19, 0
.LBB84_1591:
	s_delay_alu instid0(SALU_CYCLE_1)
	s_and_not1_b32 vcc_lo, exec_lo, s19
	s_cbranch_vccnz .LBB84_1599
; %bb.1592:
	global_load_u8 v1, v[2:3], off
	s_mov_b32 s19, 0
	s_mov_b32 s20, exec_lo
	s_wait_loadcnt 0x0
	v_cmpx_lt_i16_e32 0x7f, v1
	s_xor_b32 s20, exec_lo, s20
	s_cbranch_execz .LBB84_1612
; %bb.1593:
	s_mov_b32 s19, -1
	s_mov_b32 s21, exec_lo
	v_cmpx_eq_u16_e32 0x80, v1
; %bb.1594:
	s_xor_b32 s19, exec_lo, -1
; %bb.1595:
	s_or_b32 exec_lo, exec_lo, s21
	s_delay_alu instid0(SALU_CYCLE_1)
	s_and_b32 s19, s19, exec_lo
	s_or_saveexec_b32 s20, s20
	v_mov_b32_e32 v7, 0x7e00
	s_xor_b32 exec_lo, exec_lo, s20
	s_cbranch_execnz .LBB84_1613
.LBB84_1596:
	s_or_b32 exec_lo, exec_lo, s20
	s_and_saveexec_b32 s20, s19
	s_cbranch_execz .LBB84_1598
.LBB84_1597:
	v_and_b32_e32 v4, 0xffff, v1
	s_delay_alu instid0(VALU_DEP_1) | instskip(SKIP_1) | instid1(VALU_DEP_2)
	v_and_b32_e32 v5, 7, v4
	v_bfe_u32 v9, v4, 3, 4
	v_clz_i32_u32_e32 v7, v5
	s_delay_alu instid0(VALU_DEP_2) | instskip(NEXT) | instid1(VALU_DEP_2)
	v_cmp_eq_u32_e32 vcc_lo, 0, v9
	v_min_u32_e32 v7, 32, v7
	s_delay_alu instid0(VALU_DEP_1) | instskip(NEXT) | instid1(VALU_DEP_1)
	v_subrev_nc_u32_e32 v8, 28, v7
	v_dual_lshlrev_b32 v4, v8, v4 :: v_dual_sub_nc_u32 v7, 29, v7
	s_delay_alu instid0(VALU_DEP_1) | instskip(NEXT) | instid1(VALU_DEP_2)
	v_dual_lshlrev_b32 v1, 24, v1 :: v_dual_bitop2_b32 v4, 7, v4 bitop3:0x40
	v_cndmask_b32_e32 v7, v9, v7, vcc_lo
	s_delay_alu instid0(VALU_DEP_2) | instskip(NEXT) | instid1(VALU_DEP_3)
	v_cndmask_b32_e32 v4, v5, v4, vcc_lo
	v_and_b32_e32 v1, 0x80000000, v1
	s_delay_alu instid0(VALU_DEP_3) | instskip(NEXT) | instid1(VALU_DEP_3)
	v_lshl_add_u32 v5, v7, 23, 0x3b800000
	v_lshlrev_b32_e32 v4, 20, v4
	s_delay_alu instid0(VALU_DEP_1) | instskip(NEXT) | instid1(VALU_DEP_1)
	v_or3_b32 v1, v1, v5, v4
	v_cvt_f16_f32_e32 v7, v1
.LBB84_1598:
	s_or_b32 exec_lo, exec_lo, s20
.LBB84_1599:
	s_mov_b32 s19, -1
.LBB84_1600:
	s_branch .LBB84_1632
.LBB84_1601:
	s_cmp_gt_i32 s14, 22
	s_cbranch_scc0 .LBB84_1611
; %bb.1602:
	s_cmp_lt_i32 s14, 24
	s_cbranch_scc1 .LBB84_1614
; %bb.1603:
	s_cmp_gt_i32 s14, 24
	s_cbranch_scc0 .LBB84_1615
; %bb.1604:
	global_load_u8 v1, v[2:3], off
	s_mov_b32 s19, exec_lo
	s_wait_loadcnt 0x0
	v_cmpx_lt_i16_e32 0x7f, v1
	s_xor_b32 s19, exec_lo, s19
	s_cbranch_execz .LBB84_1626
; %bb.1605:
	s_mov_b32 s18, -1
	s_mov_b32 s20, exec_lo
	v_cmpx_eq_u16_e32 0x80, v1
; %bb.1606:
	s_xor_b32 s18, exec_lo, -1
; %bb.1607:
	s_or_b32 exec_lo, exec_lo, s20
	s_delay_alu instid0(SALU_CYCLE_1)
	s_and_b32 s18, s18, exec_lo
	s_or_saveexec_b32 s19, s19
	v_mov_b32_e32 v7, 0x7e00
	s_xor_b32 exec_lo, exec_lo, s19
	s_cbranch_execnz .LBB84_1627
.LBB84_1608:
	s_or_b32 exec_lo, exec_lo, s19
	s_and_saveexec_b32 s19, s18
	s_cbranch_execz .LBB84_1610
.LBB84_1609:
	v_and_b32_e32 v4, 0xffff, v1
	s_delay_alu instid0(VALU_DEP_1) | instskip(SKIP_1) | instid1(VALU_DEP_2)
	v_and_b32_e32 v5, 3, v4
	v_bfe_u32 v9, v4, 2, 5
	v_clz_i32_u32_e32 v7, v5
	s_delay_alu instid0(VALU_DEP_2) | instskip(NEXT) | instid1(VALU_DEP_2)
	v_cmp_eq_u32_e32 vcc_lo, 0, v9
	v_min_u32_e32 v7, 32, v7
	s_delay_alu instid0(VALU_DEP_1) | instskip(NEXT) | instid1(VALU_DEP_1)
	v_subrev_nc_u32_e32 v8, 29, v7
	v_dual_lshlrev_b32 v4, v8, v4 :: v_dual_sub_nc_u32 v7, 30, v7
	s_delay_alu instid0(VALU_DEP_1) | instskip(NEXT) | instid1(VALU_DEP_2)
	v_dual_lshlrev_b32 v1, 24, v1 :: v_dual_bitop2_b32 v4, 3, v4 bitop3:0x40
	v_cndmask_b32_e32 v7, v9, v7, vcc_lo
	s_delay_alu instid0(VALU_DEP_2) | instskip(NEXT) | instid1(VALU_DEP_3)
	v_cndmask_b32_e32 v4, v5, v4, vcc_lo
	v_and_b32_e32 v1, 0x80000000, v1
	s_delay_alu instid0(VALU_DEP_3) | instskip(NEXT) | instid1(VALU_DEP_3)
	v_lshl_add_u32 v5, v7, 23, 0x37800000
	v_lshlrev_b32_e32 v4, 21, v4
	s_delay_alu instid0(VALU_DEP_1) | instskip(NEXT) | instid1(VALU_DEP_1)
	v_or3_b32 v1, v1, v5, v4
	v_cvt_f16_f32_e32 v7, v1
.LBB84_1610:
	s_or_b32 exec_lo, exec_lo, s19
	s_mov_b32 s18, 0
	s_branch .LBB84_1616
.LBB84_1611:
                                        ; implicit-def: $vgpr7
	s_mov_b32 s18, 0
	s_branch .LBB84_1622
.LBB84_1612:
	s_or_saveexec_b32 s20, s20
	v_mov_b32_e32 v7, 0x7e00
	s_xor_b32 exec_lo, exec_lo, s20
	s_cbranch_execz .LBB84_1596
.LBB84_1613:
	v_cmp_ne_u16_e32 vcc_lo, 0, v1
	v_mov_b32_e32 v7, v1
	s_and_not1_b32 s19, s19, exec_lo
	s_and_b32 s21, vcc_lo, exec_lo
	s_delay_alu instid0(SALU_CYCLE_1)
	s_or_b32 s19, s19, s21
	s_or_b32 exec_lo, exec_lo, s20
	s_and_saveexec_b32 s20, s19
	s_cbranch_execnz .LBB84_1597
	s_branch .LBB84_1598
.LBB84_1614:
	s_mov_b32 s18, -1
                                        ; implicit-def: $vgpr7
	s_branch .LBB84_1619
.LBB84_1615:
	s_mov_b32 s18, -1
                                        ; implicit-def: $vgpr7
.LBB84_1616:
	s_delay_alu instid0(SALU_CYCLE_1)
	s_and_b32 vcc_lo, exec_lo, s18
	s_cbranch_vccz .LBB84_1618
; %bb.1617:
	global_load_u8 v1, v[2:3], off
	s_wait_loadcnt 0x0
	v_lshlrev_b32_e32 v1, 24, v1
	s_delay_alu instid0(VALU_DEP_1) | instskip(NEXT) | instid1(VALU_DEP_1)
	v_and_b32_e32 v4, 0x7f000000, v1
	v_clz_i32_u32_e32 v5, v4
	v_add_nc_u32_e32 v8, 0x1000000, v4
	v_cmp_ne_u32_e32 vcc_lo, 0, v4
	s_delay_alu instid0(VALU_DEP_3) | instskip(NEXT) | instid1(VALU_DEP_1)
	v_min_u32_e32 v5, 32, v5
	v_sub_nc_u32_e64 v5, v5, 4 clamp
	s_delay_alu instid0(VALU_DEP_1) | instskip(NEXT) | instid1(VALU_DEP_1)
	v_dual_lshlrev_b32 v7, v5, v4 :: v_dual_lshlrev_b32 v5, 23, v5
	v_lshrrev_b32_e32 v7, 4, v7
	s_delay_alu instid0(VALU_DEP_1) | instskip(NEXT) | instid1(VALU_DEP_1)
	v_dual_sub_nc_u32 v5, v7, v5 :: v_dual_ashrrev_i32 v7, 8, v8
	v_add_nc_u32_e32 v5, 0x3c000000, v5
	s_delay_alu instid0(VALU_DEP_1) | instskip(NEXT) | instid1(VALU_DEP_1)
	v_and_or_b32 v5, 0x7f800000, v7, v5
	v_cndmask_b32_e32 v4, 0, v5, vcc_lo
	s_delay_alu instid0(VALU_DEP_1) | instskip(NEXT) | instid1(VALU_DEP_1)
	v_and_or_b32 v1, 0x80000000, v1, v4
	v_cvt_f16_f32_e32 v7, v1
.LBB84_1618:
	s_mov_b32 s18, 0
.LBB84_1619:
	s_delay_alu instid0(SALU_CYCLE_1)
	s_and_not1_b32 vcc_lo, exec_lo, s18
	s_cbranch_vccnz .LBB84_1621
; %bb.1620:
	global_load_u8 v1, v[2:3], off
	s_wait_loadcnt 0x0
	v_lshlrev_b32_e32 v4, 25, v1
	v_lshlrev_b16 v1, 8, v1
	s_delay_alu instid0(VALU_DEP_1) | instskip(SKIP_1) | instid1(VALU_DEP_2)
	v_and_or_b32 v7, 0x7f00, v1, 0.5
	v_bfe_i32 v1, v1, 0, 16
	v_dual_add_f32 v7, -0.5, v7 :: v_dual_lshrrev_b32 v5, 4, v4
	v_cmp_gt_u32_e32 vcc_lo, 0x8000000, v4
	s_delay_alu instid0(VALU_DEP_2) | instskip(NEXT) | instid1(VALU_DEP_1)
	v_or_b32_e32 v5, 0x70000000, v5
	v_mul_f32_e32 v5, 0x7800000, v5
	s_delay_alu instid0(VALU_DEP_1) | instskip(NEXT) | instid1(VALU_DEP_1)
	v_cndmask_b32_e32 v4, v5, v7, vcc_lo
	v_and_or_b32 v1, 0x80000000, v1, v4
	s_delay_alu instid0(VALU_DEP_1)
	v_cvt_f16_f32_e32 v7, v1
.LBB84_1621:
	s_mov_b32 s19, -1
	s_mov_b32 s18, 0
	s_cbranch_execnz .LBB84_1632
.LBB84_1622:
	s_cmp_gt_i32 s14, 14
	s_cbranch_scc0 .LBB84_1625
; %bb.1623:
	s_cmp_eq_u32 s14, 15
	s_cbranch_scc0 .LBB84_1628
; %bb.1624:
	global_load_u16 v1, v[2:3], off
	s_mov_b32 s15, 0
	s_mov_b32 s19, -1
	s_wait_loadcnt 0x0
	v_lshlrev_b32_e32 v1, 16, v1
	s_delay_alu instid0(VALU_DEP_1)
	v_cvt_f16_f32_e32 v7, v1
	s_branch .LBB84_1630
.LBB84_1625:
	s_mov_b32 s18, -1
	s_branch .LBB84_1629
.LBB84_1626:
	s_or_saveexec_b32 s19, s19
	v_mov_b32_e32 v7, 0x7e00
	s_xor_b32 exec_lo, exec_lo, s19
	s_cbranch_execz .LBB84_1608
.LBB84_1627:
	v_cmp_ne_u16_e32 vcc_lo, 0, v1
	v_mov_b32_e32 v7, v1
	s_and_not1_b32 s18, s18, exec_lo
	s_and_b32 s20, vcc_lo, exec_lo
	s_delay_alu instid0(SALU_CYCLE_1)
	s_or_b32 s18, s18, s20
	s_or_b32 exec_lo, exec_lo, s19
	s_and_saveexec_b32 s19, s18
	s_cbranch_execnz .LBB84_1609
	s_branch .LBB84_1610
.LBB84_1628:
	s_mov_b32 s15, -1
.LBB84_1629:
                                        ; implicit-def: $vgpr7
.LBB84_1630:
	s_and_b32 vcc_lo, exec_lo, s18
	s_mov_b32 s18, 0
	s_cbranch_vccz .LBB84_1632
; %bb.1631:
	s_cmp_lg_u32 s14, 11
	s_mov_b32 s18, -1
	s_cselect_b32 s15, -1, 0
.LBB84_1632:
	s_delay_alu instid0(SALU_CYCLE_1)
	s_and_b32 vcc_lo, exec_lo, s15
	s_mov_b32 s14, s17
	s_cbranch_vccnz .LBB84_1693
; %bb.1633:
	s_and_not1_b32 vcc_lo, exec_lo, s18
	s_cbranch_vccnz .LBB84_1635
.LBB84_1634:
	global_load_u8 v1, v[2:3], off
	s_mov_b32 s19, -1
	s_wait_loadcnt 0x0
	v_cmp_ne_u16_e32 vcc_lo, 0, v1
	v_cndmask_b32_e64 v7, 0, 0x3c00, vcc_lo
.LBB84_1635:
	s_branch .LBB84_1564
.LBB84_1636:
	s_and_b32 s15, 0xffff, s0
	s_delay_alu instid0(SALU_CYCLE_1)
	s_cmp_lt_i32 s15, 5
	s_cbranch_scc1 .LBB84_1641
; %bb.1637:
	s_cmp_lt_i32 s15, 8
	s_cbranch_scc1 .LBB84_1642
; %bb.1638:
	;; [unrolled: 3-line block ×3, first 2 shown]
	s_cmp_gt_i32 s15, 9
	s_cbranch_scc0 .LBB84_1644
; %bb.1640:
	global_load_b64 v[4:5], v[2:3], off
	s_mov_b32 s18, 0
	s_wait_loadcnt 0x0
	v_and_or_b32 v1, 0x1ff, v5, v4
	v_lshrrev_b32_e32 v4, 8, v5
	v_bfe_u32 v7, v5, 20, 11
	s_delay_alu instid0(VALU_DEP_3) | instskip(NEXT) | instid1(VALU_DEP_2)
	v_cmp_ne_u32_e32 vcc_lo, 0, v1
	v_sub_nc_u32_e32 v8, 0x3f1, v7
	v_cndmask_b32_e64 v1, 0, 1, vcc_lo
	s_delay_alu instid0(VALU_DEP_1) | instskip(NEXT) | instid1(VALU_DEP_3)
	v_and_or_b32 v1, 0xffe, v4, v1
	v_med3_i32 v4, v8, 0, 13
	s_delay_alu instid0(VALU_DEP_2) | instskip(NEXT) | instid1(VALU_DEP_1)
	v_or_b32_e32 v8, 0x1000, v1
	v_lshrrev_b32_e32 v9, v4, v8
	s_delay_alu instid0(VALU_DEP_1) | instskip(NEXT) | instid1(VALU_DEP_1)
	v_lshlrev_b32_e32 v4, v4, v9
	v_cmp_ne_u32_e32 vcc_lo, v4, v8
	v_cndmask_b32_e64 v4, 0, 1, vcc_lo
	s_delay_alu instid0(VALU_DEP_1) | instskip(SKIP_1) | instid1(VALU_DEP_1)
	v_or_b32_e32 v4, v9, v4
	v_add_nc_u32_e32 v7, 0xfffffc10, v7
	v_lshl_or_b32 v8, v7, 12, v1
	v_cmp_gt_i32_e32 vcc_lo, 1, v7
	s_delay_alu instid0(VALU_DEP_2) | instskip(NEXT) | instid1(VALU_DEP_1)
	v_cndmask_b32_e32 v4, v8, v4, vcc_lo
	v_dual_lshrrev_b32 v4, 2, v4 :: v_dual_bitop2_b32 v8, 7, v4 bitop3:0x40
	s_delay_alu instid0(VALU_DEP_1) | instskip(SKIP_4) | instid1(VALU_DEP_2)
	v_cmp_lt_i32_e32 vcc_lo, 5, v8
	v_cndmask_b32_e64 v9, 0, 1, vcc_lo
	v_cmp_eq_u32_e32 vcc_lo, 3, v8
	v_cndmask_b32_e64 v8, 0, 1, vcc_lo
	v_cmp_ne_u32_e32 vcc_lo, 0, v1
	v_or_b32_e32 v8, v8, v9
	s_delay_alu instid0(VALU_DEP_1) | instskip(NEXT) | instid1(VALU_DEP_1)
	v_dual_mov_b32 v9, 0x7e00 :: v_dual_add_nc_u32 v4, v4, v8
	v_cndmask_b32_e32 v1, 0x7c00, v9, vcc_lo
	v_cmp_gt_i32_e32 vcc_lo, 31, v7
	s_delay_alu instid0(VALU_DEP_3) | instskip(SKIP_1) | instid1(VALU_DEP_2)
	v_cndmask_b32_e32 v4, 0x7c00, v4, vcc_lo
	v_cmp_eq_u32_e32 vcc_lo, 0x40f, v7
	v_cndmask_b32_e32 v1, v4, v1, vcc_lo
	v_lshrrev_b32_e32 v4, 16, v5
	s_delay_alu instid0(VALU_DEP_1)
	v_and_or_b32 v7, 0x8000, v4, v1
	s_branch .LBB84_1645
.LBB84_1641:
                                        ; implicit-def: $vgpr7
	s_branch .LBB84_1662
.LBB84_1642:
                                        ; implicit-def: $vgpr7
	s_branch .LBB84_1651
.LBB84_1643:
	s_mov_b32 s18, -1
                                        ; implicit-def: $vgpr7
	s_branch .LBB84_1648
.LBB84_1644:
	s_mov_b32 s18, -1
                                        ; implicit-def: $vgpr7
.LBB84_1645:
	s_delay_alu instid0(SALU_CYCLE_1)
	s_and_not1_b32 vcc_lo, exec_lo, s18
	s_cbranch_vccnz .LBB84_1647
; %bb.1646:
	global_load_b32 v1, v[2:3], off
	s_wait_loadcnt 0x0
	v_cvt_f16_f32_e32 v7, v1
.LBB84_1647:
	s_mov_b32 s18, 0
.LBB84_1648:
	s_delay_alu instid0(SALU_CYCLE_1)
	s_and_not1_b32 vcc_lo, exec_lo, s18
	s_cbranch_vccnz .LBB84_1650
; %bb.1649:
	global_load_b32 v7, v[2:3], off
.LBB84_1650:
	s_cbranch_execnz .LBB84_1661
.LBB84_1651:
	s_cmp_lt_i32 s15, 6
	s_cbranch_scc1 .LBB84_1654
; %bb.1652:
	s_cmp_gt_i32 s15, 6
	s_cbranch_scc0 .LBB84_1655
; %bb.1653:
	global_load_b64 v[4:5], v[2:3], off
	s_mov_b32 s18, 0
	s_wait_loadcnt 0x0
	v_and_or_b32 v1, 0x1ff, v5, v4
	v_lshrrev_b32_e32 v4, 8, v5
	v_bfe_u32 v7, v5, 20, 11
	s_delay_alu instid0(VALU_DEP_3) | instskip(NEXT) | instid1(VALU_DEP_2)
	v_cmp_ne_u32_e32 vcc_lo, 0, v1
	v_sub_nc_u32_e32 v8, 0x3f1, v7
	v_cndmask_b32_e64 v1, 0, 1, vcc_lo
	s_delay_alu instid0(VALU_DEP_1) | instskip(NEXT) | instid1(VALU_DEP_3)
	v_and_or_b32 v1, 0xffe, v4, v1
	v_med3_i32 v4, v8, 0, 13
	s_delay_alu instid0(VALU_DEP_2) | instskip(NEXT) | instid1(VALU_DEP_1)
	v_or_b32_e32 v8, 0x1000, v1
	v_lshrrev_b32_e32 v9, v4, v8
	s_delay_alu instid0(VALU_DEP_1) | instskip(NEXT) | instid1(VALU_DEP_1)
	v_lshlrev_b32_e32 v4, v4, v9
	v_cmp_ne_u32_e32 vcc_lo, v4, v8
	v_cndmask_b32_e64 v4, 0, 1, vcc_lo
	s_delay_alu instid0(VALU_DEP_1) | instskip(SKIP_1) | instid1(VALU_DEP_1)
	v_or_b32_e32 v4, v9, v4
	v_add_nc_u32_e32 v7, 0xfffffc10, v7
	v_lshl_or_b32 v8, v7, 12, v1
	v_cmp_gt_i32_e32 vcc_lo, 1, v7
	s_delay_alu instid0(VALU_DEP_2) | instskip(NEXT) | instid1(VALU_DEP_1)
	v_cndmask_b32_e32 v4, v8, v4, vcc_lo
	v_dual_lshrrev_b32 v4, 2, v4 :: v_dual_bitop2_b32 v8, 7, v4 bitop3:0x40
	s_delay_alu instid0(VALU_DEP_1) | instskip(SKIP_4) | instid1(VALU_DEP_2)
	v_cmp_lt_i32_e32 vcc_lo, 5, v8
	v_cndmask_b32_e64 v9, 0, 1, vcc_lo
	v_cmp_eq_u32_e32 vcc_lo, 3, v8
	v_cndmask_b32_e64 v8, 0, 1, vcc_lo
	v_cmp_ne_u32_e32 vcc_lo, 0, v1
	v_or_b32_e32 v8, v8, v9
	s_delay_alu instid0(VALU_DEP_1) | instskip(NEXT) | instid1(VALU_DEP_1)
	v_dual_mov_b32 v9, 0x7e00 :: v_dual_add_nc_u32 v4, v4, v8
	v_cndmask_b32_e32 v1, 0x7c00, v9, vcc_lo
	v_cmp_gt_i32_e32 vcc_lo, 31, v7
	s_delay_alu instid0(VALU_DEP_3) | instskip(SKIP_1) | instid1(VALU_DEP_2)
	v_cndmask_b32_e32 v4, 0x7c00, v4, vcc_lo
	v_cmp_eq_u32_e32 vcc_lo, 0x40f, v7
	v_cndmask_b32_e32 v1, v4, v1, vcc_lo
	v_lshrrev_b32_e32 v4, 16, v5
	s_delay_alu instid0(VALU_DEP_1)
	v_and_or_b32 v7, 0x8000, v4, v1
	s_branch .LBB84_1656
.LBB84_1654:
	s_mov_b32 s18, -1
                                        ; implicit-def: $vgpr7
	s_branch .LBB84_1659
.LBB84_1655:
	s_mov_b32 s18, -1
                                        ; implicit-def: $vgpr7
.LBB84_1656:
	s_delay_alu instid0(SALU_CYCLE_1)
	s_and_not1_b32 vcc_lo, exec_lo, s18
	s_cbranch_vccnz .LBB84_1658
; %bb.1657:
	global_load_b32 v1, v[2:3], off
	s_wait_loadcnt 0x0
	v_cvt_f16_f32_e32 v7, v1
.LBB84_1658:
	s_mov_b32 s18, 0
.LBB84_1659:
	s_delay_alu instid0(SALU_CYCLE_1)
	s_and_not1_b32 vcc_lo, exec_lo, s18
	s_cbranch_vccnz .LBB84_1661
; %bb.1660:
	s_wait_loadcnt 0x0
	global_load_u16 v7, v[2:3], off
.LBB84_1661:
	s_cbranch_execnz .LBB84_1680
.LBB84_1662:
	s_cmp_lt_i32 s15, 2
	s_cbranch_scc1 .LBB84_1666
; %bb.1663:
	s_cmp_lt_i32 s15, 3
	s_cbranch_scc1 .LBB84_1667
; %bb.1664:
	s_cmp_gt_i32 s15, 3
	s_cbranch_scc0 .LBB84_1668
; %bb.1665:
	global_load_b64 v[4:5], v[2:3], off
	s_mov_b32 s18, 0
	s_wait_loadcnt 0x0
	v_xor_b32_e32 v1, v4, v5
	v_cls_i32_e32 v7, v5
	s_delay_alu instid0(VALU_DEP_2) | instskip(NEXT) | instid1(VALU_DEP_1)
	v_ashrrev_i32_e32 v1, 31, v1
	v_add_nc_u32_e32 v1, 32, v1
	s_delay_alu instid0(VALU_DEP_1) | instskip(NEXT) | instid1(VALU_DEP_1)
	v_add_min_u32_e64 v1, v7, -1, v1
	v_lshlrev_b64_e32 v[4:5], v1, v[4:5]
	v_sub_nc_u32_e32 v1, 32, v1
	s_delay_alu instid0(VALU_DEP_2) | instskip(NEXT) | instid1(VALU_DEP_1)
	v_min_u32_e32 v4, 1, v4
	v_or_b32_e32 v4, v5, v4
	s_delay_alu instid0(VALU_DEP_1) | instskip(NEXT) | instid1(VALU_DEP_1)
	v_cvt_f32_i32_e32 v4, v4
	v_ldexp_f32 v1, v4, v1
	s_delay_alu instid0(VALU_DEP_1)
	v_cvt_f16_f32_e32 v7, v1
	s_branch .LBB84_1669
.LBB84_1666:
                                        ; implicit-def: $vgpr7
	s_branch .LBB84_1675
.LBB84_1667:
	s_mov_b32 s18, -1
                                        ; implicit-def: $vgpr7
	s_branch .LBB84_1672
.LBB84_1668:
	s_mov_b32 s18, -1
                                        ; implicit-def: $vgpr7
.LBB84_1669:
	s_delay_alu instid0(SALU_CYCLE_1)
	s_and_not1_b32 vcc_lo, exec_lo, s18
	s_cbranch_vccnz .LBB84_1671
; %bb.1670:
	global_load_b32 v1, v[2:3], off
	s_wait_loadcnt 0x0
	v_cvt_f32_i32_e32 v1, v1
	s_delay_alu instid0(VALU_DEP_1)
	v_cvt_f16_f32_e32 v7, v1
.LBB84_1671:
	s_mov_b32 s18, 0
.LBB84_1672:
	s_delay_alu instid0(SALU_CYCLE_1)
	s_and_not1_b32 vcc_lo, exec_lo, s18
	s_cbranch_vccnz .LBB84_1674
; %bb.1673:
	global_load_u16 v1, v[2:3], off
	s_wait_loadcnt 0x0
	v_cvt_f16_i16_e32 v7, v1
.LBB84_1674:
	s_cbranch_execnz .LBB84_1680
.LBB84_1675:
	s_cmp_gt_i32 s15, 0
	s_mov_b32 s15, 0
	s_cbranch_scc0 .LBB84_1677
; %bb.1676:
	global_load_i8 v1, v[2:3], off
	s_wait_loadcnt 0x0
	v_cvt_f16_i16_e32 v7, v1
	s_branch .LBB84_1678
.LBB84_1677:
	s_mov_b32 s15, -1
                                        ; implicit-def: $vgpr7
.LBB84_1678:
	s_delay_alu instid0(SALU_CYCLE_1)
	s_and_not1_b32 vcc_lo, exec_lo, s15
	s_cbranch_vccnz .LBB84_1680
; %bb.1679:
	global_load_u8 v1, v[2:3], off
	s_wait_loadcnt 0x0
	v_cvt_f16_u16_e32 v7, v1
.LBB84_1680:
.LBB84_1681:
	s_wait_xcnt 0x0
	v_mul_lo_u32 v2, s10, v6
	s_and_b32 s1, s1, 0xff
	s_delay_alu instid0(SALU_CYCLE_1) | instskip(NEXT) | instid1(VALU_DEP_1)
	s_cmp_lt_i32 s1, 11
	v_ashrrev_i32_e32 v3, 31, v2
	s_delay_alu instid0(VALU_DEP_1)
	v_add_nc_u64_e32 v[4:5], s[12:13], v[2:3]
	s_cbranch_scc1 .LBB84_1688
; %bb.1682:
	s_and_b32 s15, 0xffff, s1
	s_mov_b32 s19, 0
	s_cmp_gt_i32 s15, 25
	s_cbranch_scc0 .LBB84_1690
; %bb.1683:
	s_cmp_gt_i32 s15, 28
	s_cbranch_scc0 .LBB84_1691
; %bb.1684:
	;; [unrolled: 3-line block ×4, first 2 shown]
	s_cmp_eq_u32 s15, 46
	s_mov_b32 s21, 0
	s_cbranch_scc0 .LBB84_1697
; %bb.1687:
	global_load_b32 v1, v[4:5], off
	s_mov_b32 s18, 0
	s_mov_b32 s20, -1
	s_wait_loadcnt 0x0
	v_lshlrev_b32_e32 v1, 16, v1
	s_delay_alu instid0(VALU_DEP_1)
	v_cvt_f16_f32_e32 v1, v1
	s_branch .LBB84_1699
.LBB84_1688:
	s_mov_b32 s20, 0
                                        ; implicit-def: $vgpr1
	s_cbranch_execnz .LBB84_1764
.LBB84_1689:
	s_and_not1_b32 vcc_lo, exec_lo, s20
	s_cbranch_vccnz .LBB84_2684
	s_branch .LBB84_1811
.LBB84_1690:
	s_mov_b32 s20, 0
	s_mov_b32 s18, 0
                                        ; implicit-def: $vgpr1
	s_cbranch_execnz .LBB84_1728
	s_branch .LBB84_1760
.LBB84_1691:
	s_mov_b32 s21, -1
	s_mov_b32 s20, 0
	s_mov_b32 s18, 0
                                        ; implicit-def: $vgpr1
	s_branch .LBB84_1709
.LBB84_1692:
	s_mov_b32 s21, -1
	s_mov_b32 s20, 0
	s_mov_b32 s18, 0
                                        ; implicit-def: $vgpr1
	s_branch .LBB84_1704
.LBB84_1693:
	s_or_b32 s14, s17, exec_lo
	s_trap 2
	s_cbranch_execz .LBB84_1634
	s_branch .LBB84_1635
.LBB84_1694:
	s_mov_b32 s21, -1
	s_mov_b32 s20, 0
	s_mov_b32 s18, 0
	s_branch .LBB84_1698
.LBB84_1695:
	s_and_not1_saveexec_b32 s25, s25
	s_cbranch_execz .LBB84_1480
.LBB84_1696:
	v_add_f32_e64 v4, 0x42800000, |v3|
	s_and_not1_b32 s24, s24, exec_lo
	s_delay_alu instid0(VALU_DEP_1) | instskip(NEXT) | instid1(VALU_DEP_1)
	v_and_b32_e32 v4, 0xff, v4
	v_cmp_ne_u32_e32 vcc_lo, 0, v4
	s_and_b32 s26, vcc_lo, exec_lo
	s_delay_alu instid0(SALU_CYCLE_1)
	s_or_b32 s24, s24, s26
	s_or_b32 exec_lo, exec_lo, s25
	v_mov_b32_e32 v5, 0
	s_and_saveexec_b32 s25, s24
	s_cbranch_execnz .LBB84_1481
	s_branch .LBB84_1482
.LBB84_1697:
	s_mov_b32 s18, -1
	s_mov_b32 s20, 0
.LBB84_1698:
                                        ; implicit-def: $vgpr1
.LBB84_1699:
	s_and_b32 vcc_lo, exec_lo, s21
	s_cbranch_vccz .LBB84_1703
; %bb.1700:
	s_cmp_eq_u32 s15, 44
	s_cbranch_scc0 .LBB84_1702
; %bb.1701:
	global_load_u8 v1, v[4:5], off
	s_mov_b32 s18, 0
	s_mov_b32 s20, -1
	s_wait_loadcnt 0x0
	v_lshlrev_b32_e32 v3, 23, v1
	v_cmp_ne_u32_e32 vcc_lo, 0xff, v1
	s_delay_alu instid0(VALU_DEP_2) | instskip(NEXT) | instid1(VALU_DEP_1)
	v_cvt_f16_f32_e32 v3, v3
	v_cndmask_b32_e32 v3, 0x7e00, v3, vcc_lo
	v_cmp_ne_u32_e32 vcc_lo, 0, v1
	s_delay_alu instid0(VALU_DEP_2)
	v_cndmask_b32_e32 v1, 0, v3, vcc_lo
	s_branch .LBB84_1703
.LBB84_1702:
	s_mov_b32 s18, -1
                                        ; implicit-def: $vgpr1
.LBB84_1703:
	s_mov_b32 s21, 0
.LBB84_1704:
	s_delay_alu instid0(SALU_CYCLE_1)
	s_and_b32 vcc_lo, exec_lo, s21
	s_cbranch_vccz .LBB84_1708
; %bb.1705:
	s_cmp_eq_u32 s15, 29
	s_cbranch_scc0 .LBB84_1707
; %bb.1706:
	global_load_b64 v[8:9], v[4:5], off
	s_mov_b32 s18, 0
	s_mov_b32 s20, -1
	s_mov_b32 s21, 0
	s_wait_loadcnt 0x0
	v_clz_i32_u32_e32 v1, v9
	s_delay_alu instid0(VALU_DEP_1) | instskip(NEXT) | instid1(VALU_DEP_1)
	v_min_u32_e32 v1, 32, v1
	v_lshlrev_b64_e32 v[8:9], v1, v[8:9]
	v_sub_nc_u32_e32 v1, 32, v1
	s_delay_alu instid0(VALU_DEP_2) | instskip(NEXT) | instid1(VALU_DEP_1)
	v_min_u32_e32 v3, 1, v8
	v_or_b32_e32 v3, v9, v3
	s_delay_alu instid0(VALU_DEP_1) | instskip(NEXT) | instid1(VALU_DEP_1)
	v_cvt_f32_u32_e32 v3, v3
	v_ldexp_f32 v1, v3, v1
	s_delay_alu instid0(VALU_DEP_1)
	v_cvt_f16_f32_e32 v1, v1
	s_branch .LBB84_1709
.LBB84_1707:
	s_mov_b32 s18, -1
                                        ; implicit-def: $vgpr1
.LBB84_1708:
	s_mov_b32 s21, 0
.LBB84_1709:
	s_delay_alu instid0(SALU_CYCLE_1)
	s_and_b32 vcc_lo, exec_lo, s21
	s_cbranch_vccz .LBB84_1727
; %bb.1710:
	s_cmp_lt_i32 s15, 27
	s_cbranch_scc1 .LBB84_1713
; %bb.1711:
	s_cmp_gt_i32 s15, 27
	s_cbranch_scc0 .LBB84_1714
; %bb.1712:
	global_load_b32 v1, v[4:5], off
	s_mov_b32 s20, 0
	s_wait_loadcnt 0x0
	v_cvt_f32_u32_e32 v1, v1
	s_delay_alu instid0(VALU_DEP_1)
	v_cvt_f16_f32_e32 v1, v1
	s_branch .LBB84_1715
.LBB84_1713:
	s_mov_b32 s20, -1
                                        ; implicit-def: $vgpr1
	s_branch .LBB84_1718
.LBB84_1714:
	s_mov_b32 s20, -1
                                        ; implicit-def: $vgpr1
.LBB84_1715:
	s_delay_alu instid0(SALU_CYCLE_1)
	s_and_not1_b32 vcc_lo, exec_lo, s20
	s_cbranch_vccnz .LBB84_1717
; %bb.1716:
	global_load_u16 v1, v[4:5], off
	s_wait_loadcnt 0x0
	v_cvt_f16_u16_e32 v1, v1
.LBB84_1717:
	s_mov_b32 s20, 0
.LBB84_1718:
	s_delay_alu instid0(SALU_CYCLE_1)
	s_and_not1_b32 vcc_lo, exec_lo, s20
	s_cbranch_vccnz .LBB84_1726
; %bb.1719:
	global_load_u8 v3, v[4:5], off
	s_mov_b32 s20, 0
	s_mov_b32 s21, exec_lo
	s_wait_loadcnt 0x0
	v_cmpx_lt_i16_e32 0x7f, v3
	s_xor_b32 s21, exec_lo, s21
	s_cbranch_execz .LBB84_1739
; %bb.1720:
	s_mov_b32 s20, -1
	s_mov_b32 s22, exec_lo
	v_cmpx_eq_u16_e32 0x80, v3
; %bb.1721:
	s_xor_b32 s20, exec_lo, -1
; %bb.1722:
	s_or_b32 exec_lo, exec_lo, s22
	s_delay_alu instid0(SALU_CYCLE_1)
	s_and_b32 s20, s20, exec_lo
	s_or_saveexec_b32 s21, s21
	v_mov_b32_e32 v1, 0x7e00
	s_xor_b32 exec_lo, exec_lo, s21
	s_cbranch_execnz .LBB84_1740
.LBB84_1723:
	s_or_b32 exec_lo, exec_lo, s21
	s_and_saveexec_b32 s21, s20
	s_cbranch_execz .LBB84_1725
.LBB84_1724:
	v_and_b32_e32 v1, 0xffff, v3
	s_delay_alu instid0(VALU_DEP_1) | instskip(SKIP_1) | instid1(VALU_DEP_2)
	v_dual_lshlrev_b32 v3, 24, v3 :: v_dual_bitop2_b32 v8, 7, v1 bitop3:0x40
	v_bfe_u32 v11, v1, 3, 4
	v_and_b32_e32 v3, 0x80000000, v3
	s_delay_alu instid0(VALU_DEP_3) | instskip(NEXT) | instid1(VALU_DEP_3)
	v_clz_i32_u32_e32 v9, v8
	v_cmp_eq_u32_e32 vcc_lo, 0, v11
	s_delay_alu instid0(VALU_DEP_2) | instskip(NEXT) | instid1(VALU_DEP_1)
	v_min_u32_e32 v9, 32, v9
	v_subrev_nc_u32_e32 v10, 28, v9
	v_sub_nc_u32_e32 v9, 29, v9
	s_delay_alu instid0(VALU_DEP_2) | instskip(NEXT) | instid1(VALU_DEP_2)
	v_lshlrev_b32_e32 v1, v10, v1
	v_cndmask_b32_e32 v9, v11, v9, vcc_lo
	s_delay_alu instid0(VALU_DEP_2) | instskip(NEXT) | instid1(VALU_DEP_1)
	v_and_b32_e32 v1, 7, v1
	v_cndmask_b32_e32 v1, v8, v1, vcc_lo
	s_delay_alu instid0(VALU_DEP_3) | instskip(NEXT) | instid1(VALU_DEP_2)
	v_lshl_add_u32 v8, v9, 23, 0x3b800000
	v_lshlrev_b32_e32 v1, 20, v1
	s_delay_alu instid0(VALU_DEP_1) | instskip(NEXT) | instid1(VALU_DEP_1)
	v_or3_b32 v1, v3, v8, v1
	v_cvt_f16_f32_e32 v1, v1
.LBB84_1725:
	s_or_b32 exec_lo, exec_lo, s21
.LBB84_1726:
	s_mov_b32 s20, -1
.LBB84_1727:
	s_branch .LBB84_1760
.LBB84_1728:
	s_cmp_gt_i32 s15, 22
	s_cbranch_scc0 .LBB84_1738
; %bb.1729:
	s_cmp_lt_i32 s15, 24
	s_cbranch_scc1 .LBB84_1741
; %bb.1730:
	s_cmp_gt_i32 s15, 24
	s_cbranch_scc0 .LBB84_1742
; %bb.1731:
	global_load_u8 v3, v[4:5], off
	s_mov_b32 s20, exec_lo
	s_wait_loadcnt 0x0
	v_cmpx_lt_i16_e32 0x7f, v3
	s_xor_b32 s20, exec_lo, s20
	s_cbranch_execz .LBB84_1754
; %bb.1732:
	s_mov_b32 s19, -1
	s_mov_b32 s21, exec_lo
	v_cmpx_eq_u16_e32 0x80, v3
; %bb.1733:
	s_xor_b32 s19, exec_lo, -1
; %bb.1734:
	s_or_b32 exec_lo, exec_lo, s21
	s_delay_alu instid0(SALU_CYCLE_1)
	s_and_b32 s19, s19, exec_lo
	s_or_saveexec_b32 s20, s20
	v_mov_b32_e32 v1, 0x7e00
	s_xor_b32 exec_lo, exec_lo, s20
	s_cbranch_execnz .LBB84_1755
.LBB84_1735:
	s_or_b32 exec_lo, exec_lo, s20
	s_and_saveexec_b32 s20, s19
	s_cbranch_execz .LBB84_1737
.LBB84_1736:
	v_and_b32_e32 v1, 0xffff, v3
	s_delay_alu instid0(VALU_DEP_1) | instskip(SKIP_1) | instid1(VALU_DEP_2)
	v_dual_lshlrev_b32 v3, 24, v3 :: v_dual_bitop2_b32 v8, 3, v1 bitop3:0x40
	v_bfe_u32 v11, v1, 2, 5
	v_and_b32_e32 v3, 0x80000000, v3
	s_delay_alu instid0(VALU_DEP_3) | instskip(NEXT) | instid1(VALU_DEP_3)
	v_clz_i32_u32_e32 v9, v8
	v_cmp_eq_u32_e32 vcc_lo, 0, v11
	s_delay_alu instid0(VALU_DEP_2) | instskip(NEXT) | instid1(VALU_DEP_1)
	v_min_u32_e32 v9, 32, v9
	v_subrev_nc_u32_e32 v10, 29, v9
	v_sub_nc_u32_e32 v9, 30, v9
	s_delay_alu instid0(VALU_DEP_2) | instskip(NEXT) | instid1(VALU_DEP_2)
	v_lshlrev_b32_e32 v1, v10, v1
	v_cndmask_b32_e32 v9, v11, v9, vcc_lo
	s_delay_alu instid0(VALU_DEP_2) | instskip(NEXT) | instid1(VALU_DEP_1)
	v_and_b32_e32 v1, 3, v1
	v_cndmask_b32_e32 v1, v8, v1, vcc_lo
	s_delay_alu instid0(VALU_DEP_3) | instskip(NEXT) | instid1(VALU_DEP_2)
	v_lshl_add_u32 v8, v9, 23, 0x37800000
	v_lshlrev_b32_e32 v1, 21, v1
	s_delay_alu instid0(VALU_DEP_1) | instskip(NEXT) | instid1(VALU_DEP_1)
	v_or3_b32 v1, v3, v8, v1
	v_cvt_f16_f32_e32 v1, v1
.LBB84_1737:
	s_or_b32 exec_lo, exec_lo, s20
	s_mov_b32 s19, 0
	s_branch .LBB84_1743
.LBB84_1738:
	s_mov_b32 s19, -1
                                        ; implicit-def: $vgpr1
	s_branch .LBB84_1749
.LBB84_1739:
	s_or_saveexec_b32 s21, s21
	v_mov_b32_e32 v1, 0x7e00
	s_xor_b32 exec_lo, exec_lo, s21
	s_cbranch_execz .LBB84_1723
.LBB84_1740:
	v_cmp_ne_u16_e32 vcc_lo, 0, v3
	v_mov_b32_e32 v1, v3
	s_and_not1_b32 s20, s20, exec_lo
	s_and_b32 s22, vcc_lo, exec_lo
	s_delay_alu instid0(SALU_CYCLE_1)
	s_or_b32 s20, s20, s22
	s_or_b32 exec_lo, exec_lo, s21
	s_and_saveexec_b32 s21, s20
	s_cbranch_execnz .LBB84_1724
	s_branch .LBB84_1725
.LBB84_1741:
	s_mov_b32 s19, -1
                                        ; implicit-def: $vgpr1
	s_branch .LBB84_1746
.LBB84_1742:
	s_mov_b32 s19, -1
                                        ; implicit-def: $vgpr1
.LBB84_1743:
	s_delay_alu instid0(SALU_CYCLE_1)
	s_and_b32 vcc_lo, exec_lo, s19
	s_cbranch_vccz .LBB84_1745
; %bb.1744:
	global_load_u8 v1, v[4:5], off
	s_wait_loadcnt 0x0
	v_lshlrev_b32_e32 v1, 24, v1
	s_delay_alu instid0(VALU_DEP_1) | instskip(NEXT) | instid1(VALU_DEP_1)
	v_and_b32_e32 v3, 0x7f000000, v1
	v_clz_i32_u32_e32 v8, v3
	v_cmp_ne_u32_e32 vcc_lo, 0, v3
	v_add_nc_u32_e32 v10, 0x1000000, v3
	s_delay_alu instid0(VALU_DEP_3) | instskip(NEXT) | instid1(VALU_DEP_1)
	v_min_u32_e32 v8, 32, v8
	v_sub_nc_u32_e64 v8, v8, 4 clamp
	s_delay_alu instid0(VALU_DEP_1) | instskip(NEXT) | instid1(VALU_DEP_1)
	v_dual_lshlrev_b32 v9, v8, v3 :: v_dual_lshlrev_b32 v8, 23, v8
	v_lshrrev_b32_e32 v9, 4, v9
	s_delay_alu instid0(VALU_DEP_1) | instskip(NEXT) | instid1(VALU_DEP_1)
	v_dual_sub_nc_u32 v8, v9, v8 :: v_dual_ashrrev_i32 v9, 8, v10
	v_add_nc_u32_e32 v8, 0x3c000000, v8
	s_delay_alu instid0(VALU_DEP_1) | instskip(NEXT) | instid1(VALU_DEP_1)
	v_and_or_b32 v8, 0x7f800000, v9, v8
	v_cndmask_b32_e32 v3, 0, v8, vcc_lo
	s_delay_alu instid0(VALU_DEP_1) | instskip(NEXT) | instid1(VALU_DEP_1)
	v_and_or_b32 v1, 0x80000000, v1, v3
	v_cvt_f16_f32_e32 v1, v1
.LBB84_1745:
	s_mov_b32 s19, 0
.LBB84_1746:
	s_delay_alu instid0(SALU_CYCLE_1)
	s_and_not1_b32 vcc_lo, exec_lo, s19
	s_cbranch_vccnz .LBB84_1748
; %bb.1747:
	global_load_u8 v1, v[4:5], off
	s_wait_loadcnt 0x0
	v_lshlrev_b32_e32 v3, 25, v1
	v_lshlrev_b16 v1, 8, v1
	s_delay_alu instid0(VALU_DEP_1) | instskip(NEXT) | instid1(VALU_DEP_3)
	v_and_or_b32 v9, 0x7f00, v1, 0.5
	v_lshrrev_b32_e32 v8, 4, v3
	v_bfe_i32 v1, v1, 0, 16
	s_delay_alu instid0(VALU_DEP_3) | instskip(NEXT) | instid1(VALU_DEP_3)
	v_add_f32_e32 v9, -0.5, v9
	v_or_b32_e32 v8, 0x70000000, v8
	s_delay_alu instid0(VALU_DEP_1) | instskip(SKIP_1) | instid1(VALU_DEP_2)
	v_mul_f32_e32 v8, 0x7800000, v8
	v_cmp_gt_u32_e32 vcc_lo, 0x8000000, v3
	v_cndmask_b32_e32 v3, v8, v9, vcc_lo
	s_delay_alu instid0(VALU_DEP_1) | instskip(NEXT) | instid1(VALU_DEP_1)
	v_and_or_b32 v1, 0x80000000, v1, v3
	v_cvt_f16_f32_e32 v1, v1
.LBB84_1748:
	s_mov_b32 s19, 0
	s_mov_b32 s20, -1
.LBB84_1749:
	s_and_not1_b32 vcc_lo, exec_lo, s19
	s_mov_b32 s19, 0
	s_cbranch_vccnz .LBB84_1760
; %bb.1750:
	s_cmp_gt_i32 s15, 14
	s_cbranch_scc0 .LBB84_1753
; %bb.1751:
	s_cmp_eq_u32 s15, 15
	s_cbranch_scc0 .LBB84_1756
; %bb.1752:
	global_load_u16 v1, v[4:5], off
	s_mov_b32 s18, 0
	s_mov_b32 s20, -1
	s_wait_loadcnt 0x0
	v_lshlrev_b32_e32 v1, 16, v1
	s_delay_alu instid0(VALU_DEP_1)
	v_cvt_f16_f32_e32 v1, v1
	s_branch .LBB84_1758
.LBB84_1753:
	s_mov_b32 s19, -1
	s_branch .LBB84_1757
.LBB84_1754:
	s_or_saveexec_b32 s20, s20
	v_mov_b32_e32 v1, 0x7e00
	s_xor_b32 exec_lo, exec_lo, s20
	s_cbranch_execz .LBB84_1735
.LBB84_1755:
	v_cmp_ne_u16_e32 vcc_lo, 0, v3
	v_mov_b32_e32 v1, v3
	s_and_not1_b32 s19, s19, exec_lo
	s_and_b32 s21, vcc_lo, exec_lo
	s_delay_alu instid0(SALU_CYCLE_1)
	s_or_b32 s19, s19, s21
	s_or_b32 exec_lo, exec_lo, s20
	s_and_saveexec_b32 s20, s19
	s_cbranch_execnz .LBB84_1736
	s_branch .LBB84_1737
.LBB84_1756:
	s_mov_b32 s18, -1
.LBB84_1757:
                                        ; implicit-def: $vgpr1
.LBB84_1758:
	s_and_b32 vcc_lo, exec_lo, s19
	s_mov_b32 s19, 0
	s_cbranch_vccz .LBB84_1760
; %bb.1759:
	s_cmp_lg_u32 s15, 11
	s_mov_b32 s19, -1
	s_cselect_b32 s18, -1, 0
.LBB84_1760:
	s_delay_alu instid0(SALU_CYCLE_1)
	s_and_b32 vcc_lo, exec_lo, s18
	s_cbranch_vccnz .LBB84_1825
; %bb.1761:
	s_and_not1_b32 vcc_lo, exec_lo, s19
	s_cbranch_vccnz .LBB84_1763
.LBB84_1762:
	global_load_u8 v1, v[4:5], off
	s_mov_b32 s20, -1
	s_wait_loadcnt 0x0
	v_cmp_ne_u16_e32 vcc_lo, 0, v1
	v_cndmask_b32_e64 v1, 0, 0x3c00, vcc_lo
.LBB84_1763:
	s_branch .LBB84_1689
.LBB84_1764:
	s_and_b32 s15, 0xffff, s1
	s_delay_alu instid0(SALU_CYCLE_1)
	s_cmp_lt_i32 s15, 5
	s_cbranch_scc1 .LBB84_1769
; %bb.1765:
	s_cmp_lt_i32 s15, 8
	s_cbranch_scc1 .LBB84_1770
; %bb.1766:
	;; [unrolled: 3-line block ×3, first 2 shown]
	s_cmp_gt_i32 s15, 9
	s_cbranch_scc0 .LBB84_1772
; %bb.1768:
	global_load_b64 v[8:9], v[4:5], off
	s_mov_b32 s18, 0
	s_wait_loadcnt 0x0
	v_and_or_b32 v1, 0x1ff, v9, v8
	v_lshrrev_b32_e32 v3, 8, v9
	v_bfe_u32 v8, v9, 20, 11
	s_delay_alu instid0(VALU_DEP_3) | instskip(NEXT) | instid1(VALU_DEP_2)
	v_cmp_ne_u32_e32 vcc_lo, 0, v1
	v_sub_nc_u32_e32 v10, 0x3f1, v8
	v_add_nc_u32_e32 v8, 0xfffffc10, v8
	v_cndmask_b32_e64 v1, 0, 1, vcc_lo
	s_delay_alu instid0(VALU_DEP_1) | instskip(NEXT) | instid1(VALU_DEP_4)
	v_and_or_b32 v1, 0xffe, v3, v1
	v_med3_i32 v3, v10, 0, 13
	s_delay_alu instid0(VALU_DEP_2) | instskip(NEXT) | instid1(VALU_DEP_1)
	v_or_b32_e32 v10, 0x1000, v1
	v_lshrrev_b32_e32 v11, v3, v10
	s_delay_alu instid0(VALU_DEP_1) | instskip(NEXT) | instid1(VALU_DEP_1)
	v_lshlrev_b32_e32 v3, v3, v11
	v_cmp_ne_u32_e32 vcc_lo, v3, v10
	v_lshl_or_b32 v10, v8, 12, v1
	v_cndmask_b32_e64 v3, 0, 1, vcc_lo
	v_cmp_gt_i32_e32 vcc_lo, 1, v8
	s_delay_alu instid0(VALU_DEP_2) | instskip(NEXT) | instid1(VALU_DEP_1)
	v_or_b32_e32 v3, v11, v3
	v_cndmask_b32_e32 v3, v10, v3, vcc_lo
	s_delay_alu instid0(VALU_DEP_1) | instskip(NEXT) | instid1(VALU_DEP_1)
	v_dual_lshrrev_b32 v3, 2, v3 :: v_dual_bitop2_b32 v10, 7, v3 bitop3:0x40
	v_cmp_lt_i32_e32 vcc_lo, 5, v10
	v_cndmask_b32_e64 v11, 0, 1, vcc_lo
	v_cmp_eq_u32_e32 vcc_lo, 3, v10
	v_cndmask_b32_e64 v10, 0, 1, vcc_lo
	v_cmp_ne_u32_e32 vcc_lo, 0, v1
	s_delay_alu instid0(VALU_DEP_2) | instskip(SKIP_1) | instid1(VALU_DEP_2)
	v_or_b32_e32 v10, v10, v11
	v_mov_b32_e32 v11, 0x7e00
	v_add_nc_u32_e32 v3, v3, v10
	s_delay_alu instid0(VALU_DEP_2) | instskip(SKIP_1) | instid1(VALU_DEP_3)
	v_cndmask_b32_e32 v1, 0x7c00, v11, vcc_lo
	v_cmp_gt_i32_e32 vcc_lo, 31, v8
	v_cndmask_b32_e32 v3, 0x7c00, v3, vcc_lo
	v_cmp_eq_u32_e32 vcc_lo, 0x40f, v8
	s_delay_alu instid0(VALU_DEP_2) | instskip(SKIP_1) | instid1(VALU_DEP_1)
	v_cndmask_b32_e32 v1, v3, v1, vcc_lo
	v_lshrrev_b32_e32 v3, 16, v9
	v_and_or_b32 v1, 0x8000, v3, v1
	s_branch .LBB84_1773
.LBB84_1769:
                                        ; implicit-def: $vgpr1
	s_branch .LBB84_1791
.LBB84_1770:
	s_mov_b32 s18, -1
                                        ; implicit-def: $vgpr1
	s_branch .LBB84_1779
.LBB84_1771:
	s_mov_b32 s18, -1
                                        ; implicit-def: $vgpr1
	s_branch .LBB84_1776
.LBB84_1772:
	s_mov_b32 s18, -1
                                        ; implicit-def: $vgpr1
.LBB84_1773:
	s_delay_alu instid0(SALU_CYCLE_1)
	s_and_not1_b32 vcc_lo, exec_lo, s18
	s_cbranch_vccnz .LBB84_1775
; %bb.1774:
	global_load_b32 v1, v[4:5], off
	s_wait_loadcnt 0x0
	v_cvt_f16_f32_e32 v1, v1
.LBB84_1775:
	s_mov_b32 s18, 0
.LBB84_1776:
	s_delay_alu instid0(SALU_CYCLE_1)
	s_and_not1_b32 vcc_lo, exec_lo, s18
	s_cbranch_vccnz .LBB84_1778
; %bb.1777:
	global_load_b32 v1, v[4:5], off
.LBB84_1778:
	s_mov_b32 s18, 0
.LBB84_1779:
	s_delay_alu instid0(SALU_CYCLE_1)
	s_and_not1_b32 vcc_lo, exec_lo, s18
	s_cbranch_vccnz .LBB84_1790
; %bb.1780:
	s_cmp_lt_i32 s15, 6
	s_cbranch_scc1 .LBB84_1783
; %bb.1781:
	s_cmp_gt_i32 s15, 6
	s_cbranch_scc0 .LBB84_1784
; %bb.1782:
	global_load_b64 v[8:9], v[4:5], off
	s_mov_b32 s18, 0
	s_wait_loadcnt 0x0
	v_and_or_b32 v1, 0x1ff, v9, v8
	v_lshrrev_b32_e32 v3, 8, v9
	v_bfe_u32 v8, v9, 20, 11
	s_delay_alu instid0(VALU_DEP_3) | instskip(NEXT) | instid1(VALU_DEP_2)
	v_cmp_ne_u32_e32 vcc_lo, 0, v1
	v_sub_nc_u32_e32 v10, 0x3f1, v8
	v_add_nc_u32_e32 v8, 0xfffffc10, v8
	v_cndmask_b32_e64 v1, 0, 1, vcc_lo
	s_delay_alu instid0(VALU_DEP_1) | instskip(NEXT) | instid1(VALU_DEP_4)
	v_and_or_b32 v1, 0xffe, v3, v1
	v_med3_i32 v3, v10, 0, 13
	s_delay_alu instid0(VALU_DEP_2) | instskip(NEXT) | instid1(VALU_DEP_1)
	v_or_b32_e32 v10, 0x1000, v1
	v_lshrrev_b32_e32 v11, v3, v10
	s_delay_alu instid0(VALU_DEP_1) | instskip(NEXT) | instid1(VALU_DEP_1)
	v_lshlrev_b32_e32 v3, v3, v11
	v_cmp_ne_u32_e32 vcc_lo, v3, v10
	v_lshl_or_b32 v10, v8, 12, v1
	v_cndmask_b32_e64 v3, 0, 1, vcc_lo
	v_cmp_gt_i32_e32 vcc_lo, 1, v8
	s_delay_alu instid0(VALU_DEP_2) | instskip(NEXT) | instid1(VALU_DEP_1)
	v_or_b32_e32 v3, v11, v3
	v_cndmask_b32_e32 v3, v10, v3, vcc_lo
	s_delay_alu instid0(VALU_DEP_1) | instskip(NEXT) | instid1(VALU_DEP_1)
	v_dual_lshrrev_b32 v3, 2, v3 :: v_dual_bitop2_b32 v10, 7, v3 bitop3:0x40
	v_cmp_lt_i32_e32 vcc_lo, 5, v10
	v_cndmask_b32_e64 v11, 0, 1, vcc_lo
	v_cmp_eq_u32_e32 vcc_lo, 3, v10
	v_cndmask_b32_e64 v10, 0, 1, vcc_lo
	v_cmp_ne_u32_e32 vcc_lo, 0, v1
	s_delay_alu instid0(VALU_DEP_2) | instskip(SKIP_1) | instid1(VALU_DEP_2)
	v_or_b32_e32 v10, v10, v11
	v_mov_b32_e32 v11, 0x7e00
	v_add_nc_u32_e32 v3, v3, v10
	s_delay_alu instid0(VALU_DEP_2) | instskip(SKIP_1) | instid1(VALU_DEP_3)
	v_cndmask_b32_e32 v1, 0x7c00, v11, vcc_lo
	v_cmp_gt_i32_e32 vcc_lo, 31, v8
	v_cndmask_b32_e32 v3, 0x7c00, v3, vcc_lo
	v_cmp_eq_u32_e32 vcc_lo, 0x40f, v8
	s_delay_alu instid0(VALU_DEP_2) | instskip(SKIP_1) | instid1(VALU_DEP_1)
	v_cndmask_b32_e32 v1, v3, v1, vcc_lo
	v_lshrrev_b32_e32 v3, 16, v9
	v_and_or_b32 v1, 0x8000, v3, v1
	s_branch .LBB84_1785
.LBB84_1783:
	s_mov_b32 s18, -1
                                        ; implicit-def: $vgpr1
	s_branch .LBB84_1788
.LBB84_1784:
	s_mov_b32 s18, -1
                                        ; implicit-def: $vgpr1
.LBB84_1785:
	s_delay_alu instid0(SALU_CYCLE_1)
	s_and_not1_b32 vcc_lo, exec_lo, s18
	s_cbranch_vccnz .LBB84_1787
; %bb.1786:
	s_wait_loadcnt 0x0
	global_load_b32 v1, v[4:5], off
	s_wait_loadcnt 0x0
	v_cvt_f16_f32_e32 v1, v1
.LBB84_1787:
	s_mov_b32 s18, 0
.LBB84_1788:
	s_delay_alu instid0(SALU_CYCLE_1)
	s_and_not1_b32 vcc_lo, exec_lo, s18
	s_cbranch_vccnz .LBB84_1790
; %bb.1789:
	s_wait_loadcnt 0x0
	global_load_u16 v1, v[4:5], off
.LBB84_1790:
	s_cbranch_execnz .LBB84_1810
.LBB84_1791:
	s_cmp_lt_i32 s15, 2
	s_cbranch_scc1 .LBB84_1795
; %bb.1792:
	s_cmp_lt_i32 s15, 3
	s_cbranch_scc1 .LBB84_1796
; %bb.1793:
	s_cmp_gt_i32 s15, 3
	s_cbranch_scc0 .LBB84_1797
; %bb.1794:
	global_load_b64 v[8:9], v[4:5], off
	s_mov_b32 s18, 0
	s_wait_loadcnt 0x0
	v_xor_b32_e32 v1, v8, v9
	v_cls_i32_e32 v3, v9
	s_delay_alu instid0(VALU_DEP_2) | instskip(NEXT) | instid1(VALU_DEP_1)
	v_ashrrev_i32_e32 v1, 31, v1
	v_add_nc_u32_e32 v1, 32, v1
	s_delay_alu instid0(VALU_DEP_1) | instskip(NEXT) | instid1(VALU_DEP_1)
	v_add_min_u32_e64 v1, v3, -1, v1
	v_lshlrev_b64_e32 v[8:9], v1, v[8:9]
	v_sub_nc_u32_e32 v1, 32, v1
	s_delay_alu instid0(VALU_DEP_2) | instskip(NEXT) | instid1(VALU_DEP_1)
	v_min_u32_e32 v3, 1, v8
	v_or_b32_e32 v3, v9, v3
	s_delay_alu instid0(VALU_DEP_1) | instskip(NEXT) | instid1(VALU_DEP_1)
	v_cvt_f32_i32_e32 v3, v3
	v_ldexp_f32 v1, v3, v1
	s_delay_alu instid0(VALU_DEP_1)
	v_cvt_f16_f32_e32 v1, v1
	s_branch .LBB84_1798
.LBB84_1795:
	s_mov_b32 s18, -1
                                        ; implicit-def: $vgpr1
	s_branch .LBB84_1804
.LBB84_1796:
	s_mov_b32 s18, -1
                                        ; implicit-def: $vgpr1
	s_branch .LBB84_1801
.LBB84_1797:
	s_mov_b32 s18, -1
                                        ; implicit-def: $vgpr1
.LBB84_1798:
	s_delay_alu instid0(SALU_CYCLE_1)
	s_and_not1_b32 vcc_lo, exec_lo, s18
	s_cbranch_vccnz .LBB84_1800
; %bb.1799:
	s_wait_loadcnt 0x0
	global_load_b32 v1, v[4:5], off
	s_wait_loadcnt 0x0
	v_cvt_f32_i32_e32 v1, v1
	s_delay_alu instid0(VALU_DEP_1)
	v_cvt_f16_f32_e32 v1, v1
.LBB84_1800:
	s_mov_b32 s18, 0
.LBB84_1801:
	s_delay_alu instid0(SALU_CYCLE_1)
	s_and_not1_b32 vcc_lo, exec_lo, s18
	s_cbranch_vccnz .LBB84_1803
; %bb.1802:
	s_wait_loadcnt 0x0
	global_load_u16 v1, v[4:5], off
	s_wait_loadcnt 0x0
	v_cvt_f16_i16_e32 v1, v1
.LBB84_1803:
	s_mov_b32 s18, 0
.LBB84_1804:
	s_delay_alu instid0(SALU_CYCLE_1)
	s_and_not1_b32 vcc_lo, exec_lo, s18
	s_cbranch_vccnz .LBB84_1810
; %bb.1805:
	s_cmp_gt_i32 s15, 0
	s_mov_b32 s15, 0
	s_cbranch_scc0 .LBB84_1807
; %bb.1806:
	s_wait_loadcnt 0x0
	global_load_i8 v1, v[4:5], off
	s_wait_loadcnt 0x0
	v_cvt_f16_i16_e32 v1, v1
	s_branch .LBB84_1808
.LBB84_1807:
	s_mov_b32 s15, -1
                                        ; implicit-def: $vgpr1
.LBB84_1808:
	s_delay_alu instid0(SALU_CYCLE_1)
	s_and_not1_b32 vcc_lo, exec_lo, s15
	s_cbranch_vccnz .LBB84_1810
; %bb.1809:
	s_wait_loadcnt 0x0
	global_load_u8 v1, v[4:5], off
	s_wait_loadcnt 0x0
	v_cvt_f16_u16_e32 v1, v1
.LBB84_1810:
.LBB84_1811:
	s_wait_loadcnt 0x0
	s_delay_alu instid0(VALU_DEP_1) | instskip(SKIP_1) | instid1(VALU_DEP_1)
	v_cvt_f32_f16_e32 v1, v1
	s_mov_b32 s15, exec_lo
	v_mul_f32_e32 v1, s11, v1
	s_wait_xcnt 0x0
	s_delay_alu instid0(VALU_DEP_1)
	v_cmpx_nlt_f32_e32 s2, v1
	s_cbranch_execz .LBB84_1813
; %bb.1812:
	v_mul_f32_e32 v3, 0x3fb8aa3b, v1
	v_cmp_ngt_f32_e32 vcc_lo, 0xc2ce8ed0, v1
	s_delay_alu instid0(VALU_DEP_2) | instskip(SKIP_1) | instid1(VALU_DEP_2)
	v_rndne_f32_e32 v4, v3
	v_fma_f32 v5, 0x3fb8aa3b, v1, -v3
	v_sub_f32_e32 v3, v3, v4
	s_delay_alu instid0(VALU_DEP_2) | instskip(SKIP_1) | instid1(VALU_DEP_2)
	v_fmamk_f32 v5, v1, 0x32a5705f, v5
	v_cvt_i32_f32_e32 v4, v4
	v_add_f32_e32 v3, v3, v5
	s_delay_alu instid0(VALU_DEP_1) | instskip(SKIP_1) | instid1(TRANS32_DEP_1)
	v_exp_f32_e32 v3, v3
	v_nop
	v_ldexp_f32 v3, v3, v4
	v_cvt_f32_f16_e32 v4, v7
	s_delay_alu instid0(VALU_DEP_2) | instskip(SKIP_1) | instid1(VALU_DEP_2)
	v_cndmask_b32_e32 v3, 0, v3, vcc_lo
	v_cmp_nlt_f32_e32 vcc_lo, 0x42b17218, v1
	v_cndmask_b32_e32 v1, 0x7f800000, v3, vcc_lo
	s_delay_alu instid0(VALU_DEP_1) | instskip(NEXT) | instid1(VALU_DEP_1)
	v_dual_mul_f32 v3, v1, v4 :: v_dual_add_f32 v1, 1.0, v1
	v_div_scale_f32 v4, null, v1, v1, v3
	s_delay_alu instid0(VALU_DEP_1) | instskip(SKIP_1) | instid1(TRANS32_DEP_1)
	v_rcp_f32_e32 v5, v4
	v_nop
	v_fma_f32 v7, -v4, v5, 1.0
	s_delay_alu instid0(VALU_DEP_1) | instskip(SKIP_1) | instid1(VALU_DEP_1)
	v_fmac_f32_e32 v5, v7, v5
	v_div_scale_f32 v7, vcc_lo, v3, v1, v3
	v_mul_f32_e32 v8, v7, v5
	s_delay_alu instid0(VALU_DEP_1) | instskip(NEXT) | instid1(VALU_DEP_1)
	v_fma_f32 v9, -v4, v8, v7
	v_fmac_f32_e32 v8, v9, v5
	s_delay_alu instid0(VALU_DEP_1) | instskip(NEXT) | instid1(VALU_DEP_1)
	v_fma_f32 v4, -v4, v8, v7
	v_div_fmas_f32 v4, v4, v5, v8
	s_delay_alu instid0(VALU_DEP_1) | instskip(NEXT) | instid1(VALU_DEP_1)
	v_div_fixup_f32 v1, v4, v1, v3
	v_cvt_f16_f32_e32 v7, v1
.LBB84_1813:
	s_or_b32 exec_lo, exec_lo, s15
	s_lshl_b32 s9, s9, 7
	s_cmp_lt_i32 s0, 11
	v_add_nc_u32_e32 v0, s9, v0
	s_delay_alu instid0(VALU_DEP_1) | instskip(NEXT) | instid1(VALU_DEP_1)
	v_ashrrev_i32_e32 v1, 31, v0
	v_add_nc_u64_e32 v[4:5], s[6:7], v[0:1]
	s_cbranch_scc1 .LBB84_1820
; %bb.1814:
	s_and_b32 s15, 0xffff, s0
	s_mov_b32 s19, 0
	s_cmp_gt_i32 s15, 25
	s_cbranch_scc0 .LBB84_1822
; %bb.1815:
	s_cmp_gt_i32 s15, 28
	s_cbranch_scc0 .LBB84_1823
; %bb.1816:
	;; [unrolled: 3-line block ×4, first 2 shown]
	s_cmp_eq_u32 s15, 46
	s_mov_b32 s21, 0
	s_cbranch_scc0 .LBB84_1827
; %bb.1819:
	global_load_b32 v1, v[4:5], off
	s_mov_b32 s18, 0
	s_mov_b32 s20, -1
	s_wait_loadcnt 0x0
	v_lshlrev_b32_e32 v1, 16, v1
	s_delay_alu instid0(VALU_DEP_1)
	v_cvt_f16_f32_e32 v8, v1
	s_branch .LBB84_1829
.LBB84_1820:
	s_mov_b32 s20, 0
                                        ; implicit-def: $vgpr8
	s_cbranch_execnz .LBB84_1895
.LBB84_1821:
	s_and_not1_b32 vcc_lo, exec_lo, s20
	s_cbranch_vccnz .LBB84_2684
	s_branch .LBB84_1943
.LBB84_1822:
	s_mov_b32 s21, -1
	s_mov_b32 s20, 0
	s_mov_b32 s18, 0
                                        ; implicit-def: $vgpr8
	s_branch .LBB84_1858
.LBB84_1823:
	s_mov_b32 s21, -1
	s_mov_b32 s20, 0
	s_mov_b32 s18, 0
                                        ; implicit-def: $vgpr8
	s_branch .LBB84_1839
.LBB84_1824:
	s_mov_b32 s21, -1
	s_mov_b32 s20, 0
	s_mov_b32 s18, 0
                                        ; implicit-def: $vgpr8
	s_branch .LBB84_1834
.LBB84_1825:
	s_or_b32 s14, s14, exec_lo
	s_trap 2
	s_cbranch_execz .LBB84_1762
	s_branch .LBB84_1763
.LBB84_1826:
	s_mov_b32 s21, -1
	s_mov_b32 s20, 0
	s_mov_b32 s18, 0
	s_branch .LBB84_1828
.LBB84_1827:
	s_mov_b32 s18, -1
	s_mov_b32 s20, 0
.LBB84_1828:
                                        ; implicit-def: $vgpr8
.LBB84_1829:
	s_and_b32 vcc_lo, exec_lo, s21
	s_cbranch_vccz .LBB84_1833
; %bb.1830:
	s_cmp_eq_u32 s15, 44
	s_cbranch_scc0 .LBB84_1832
; %bb.1831:
	global_load_u8 v1, v[4:5], off
	s_mov_b32 s18, 0
	s_mov_b32 s20, -1
	s_wait_loadcnt 0x0
	v_lshlrev_b32_e32 v3, 23, v1
	v_cmp_ne_u32_e32 vcc_lo, 0xff, v1
	s_delay_alu instid0(VALU_DEP_2) | instskip(NEXT) | instid1(VALU_DEP_1)
	v_cvt_f16_f32_e32 v3, v3
	v_cndmask_b32_e32 v3, 0x7e00, v3, vcc_lo
	v_cmp_ne_u32_e32 vcc_lo, 0, v1
	s_delay_alu instid0(VALU_DEP_2)
	v_cndmask_b32_e32 v8, 0, v3, vcc_lo
	s_branch .LBB84_1833
.LBB84_1832:
	s_mov_b32 s18, -1
                                        ; implicit-def: $vgpr8
.LBB84_1833:
	s_mov_b32 s21, 0
.LBB84_1834:
	s_delay_alu instid0(SALU_CYCLE_1)
	s_and_b32 vcc_lo, exec_lo, s21
	s_cbranch_vccz .LBB84_1838
; %bb.1835:
	s_cmp_eq_u32 s15, 29
	s_cbranch_scc0 .LBB84_1837
; %bb.1836:
	global_load_b64 v[8:9], v[4:5], off
	s_mov_b32 s18, 0
	s_mov_b32 s20, -1
	s_mov_b32 s21, 0
	s_wait_loadcnt 0x0
	v_clz_i32_u32_e32 v1, v9
	s_delay_alu instid0(VALU_DEP_1) | instskip(NEXT) | instid1(VALU_DEP_1)
	v_min_u32_e32 v1, 32, v1
	v_lshlrev_b64_e32 v[8:9], v1, v[8:9]
	v_sub_nc_u32_e32 v1, 32, v1
	s_delay_alu instid0(VALU_DEP_2) | instskip(NEXT) | instid1(VALU_DEP_1)
	v_min_u32_e32 v3, 1, v8
	v_or_b32_e32 v3, v9, v3
	s_delay_alu instid0(VALU_DEP_1) | instskip(NEXT) | instid1(VALU_DEP_1)
	v_cvt_f32_u32_e32 v3, v3
	v_ldexp_f32 v1, v3, v1
	s_delay_alu instid0(VALU_DEP_1)
	v_cvt_f16_f32_e32 v8, v1
	s_branch .LBB84_1839
.LBB84_1837:
	s_mov_b32 s18, -1
                                        ; implicit-def: $vgpr8
.LBB84_1838:
	s_mov_b32 s21, 0
.LBB84_1839:
	s_delay_alu instid0(SALU_CYCLE_1)
	s_and_b32 vcc_lo, exec_lo, s21
	s_cbranch_vccz .LBB84_1857
; %bb.1840:
	s_cmp_lt_i32 s15, 27
	s_cbranch_scc1 .LBB84_1843
; %bb.1841:
	s_cmp_gt_i32 s15, 27
	s_cbranch_scc0 .LBB84_1844
; %bb.1842:
	global_load_b32 v1, v[4:5], off
	s_mov_b32 s20, 0
	s_wait_loadcnt 0x0
	v_cvt_f32_u32_e32 v1, v1
	s_delay_alu instid0(VALU_DEP_1)
	v_cvt_f16_f32_e32 v8, v1
	s_branch .LBB84_1845
.LBB84_1843:
	s_mov_b32 s20, -1
                                        ; implicit-def: $vgpr8
	s_branch .LBB84_1848
.LBB84_1844:
	s_mov_b32 s20, -1
                                        ; implicit-def: $vgpr8
.LBB84_1845:
	s_delay_alu instid0(SALU_CYCLE_1)
	s_and_not1_b32 vcc_lo, exec_lo, s20
	s_cbranch_vccnz .LBB84_1847
; %bb.1846:
	global_load_u16 v1, v[4:5], off
	s_wait_loadcnt 0x0
	v_cvt_f16_u16_e32 v8, v1
.LBB84_1847:
	s_mov_b32 s20, 0
.LBB84_1848:
	s_delay_alu instid0(SALU_CYCLE_1)
	s_and_not1_b32 vcc_lo, exec_lo, s20
	s_cbranch_vccnz .LBB84_1856
; %bb.1849:
	global_load_u8 v1, v[4:5], off
	s_mov_b32 s20, 0
	s_mov_b32 s21, exec_lo
	s_wait_loadcnt 0x0
	v_cmpx_lt_i16_e32 0x7f, v1
	s_xor_b32 s21, exec_lo, s21
	s_cbranch_execz .LBB84_1870
; %bb.1850:
	s_mov_b32 s20, -1
	s_mov_b32 s22, exec_lo
	v_cmpx_eq_u16_e32 0x80, v1
; %bb.1851:
	s_xor_b32 s20, exec_lo, -1
; %bb.1852:
	s_or_b32 exec_lo, exec_lo, s22
	s_delay_alu instid0(SALU_CYCLE_1)
	s_and_b32 s20, s20, exec_lo
	s_or_saveexec_b32 s21, s21
	v_mov_b32_e32 v8, 0x7e00
	s_xor_b32 exec_lo, exec_lo, s21
	s_cbranch_execnz .LBB84_1871
.LBB84_1853:
	s_or_b32 exec_lo, exec_lo, s21
	s_and_saveexec_b32 s21, s20
	s_cbranch_execz .LBB84_1855
.LBB84_1854:
	v_and_b32_e32 v3, 0xffff, v1
	s_delay_alu instid0(VALU_DEP_1) | instskip(SKIP_1) | instid1(VALU_DEP_2)
	v_and_b32_e32 v8, 7, v3
	v_bfe_u32 v11, v3, 3, 4
	v_clz_i32_u32_e32 v9, v8
	s_delay_alu instid0(VALU_DEP_2) | instskip(NEXT) | instid1(VALU_DEP_2)
	v_cmp_eq_u32_e32 vcc_lo, 0, v11
	v_min_u32_e32 v9, 32, v9
	s_delay_alu instid0(VALU_DEP_1) | instskip(NEXT) | instid1(VALU_DEP_1)
	v_subrev_nc_u32_e32 v10, 28, v9
	v_dual_lshlrev_b32 v3, v10, v3 :: v_dual_sub_nc_u32 v9, 29, v9
	s_delay_alu instid0(VALU_DEP_1) | instskip(NEXT) | instid1(VALU_DEP_1)
	v_dual_lshlrev_b32 v1, 24, v1 :: v_dual_bitop2_b32 v3, 7, v3 bitop3:0x40
	v_dual_cndmask_b32 v3, v8, v3, vcc_lo :: v_dual_cndmask_b32 v9, v11, v9, vcc_lo
	s_delay_alu instid0(VALU_DEP_2) | instskip(NEXT) | instid1(VALU_DEP_2)
	v_and_b32_e32 v1, 0x80000000, v1
	v_lshlrev_b32_e32 v3, 20, v3
	s_delay_alu instid0(VALU_DEP_3) | instskip(NEXT) | instid1(VALU_DEP_1)
	v_lshl_add_u32 v8, v9, 23, 0x3b800000
	v_or3_b32 v1, v1, v8, v3
	s_delay_alu instid0(VALU_DEP_1)
	v_cvt_f16_f32_e32 v8, v1
.LBB84_1855:
	s_or_b32 exec_lo, exec_lo, s21
.LBB84_1856:
	s_mov_b32 s20, -1
.LBB84_1857:
	s_mov_b32 s21, 0
.LBB84_1858:
	s_delay_alu instid0(SALU_CYCLE_1)
	s_and_b32 vcc_lo, exec_lo, s21
	s_cbranch_vccz .LBB84_1891
; %bb.1859:
	s_cmp_gt_i32 s15, 22
	s_cbranch_scc0 .LBB84_1869
; %bb.1860:
	s_cmp_lt_i32 s15, 24
	s_cbranch_scc1 .LBB84_1872
; %bb.1861:
	s_cmp_gt_i32 s15, 24
	s_cbranch_scc0 .LBB84_1873
; %bb.1862:
	global_load_u8 v1, v[4:5], off
	s_mov_b32 s20, exec_lo
	s_wait_loadcnt 0x0
	v_cmpx_lt_i16_e32 0x7f, v1
	s_xor_b32 s20, exec_lo, s20
	s_cbranch_execz .LBB84_1885
; %bb.1863:
	s_mov_b32 s19, -1
	s_mov_b32 s21, exec_lo
	v_cmpx_eq_u16_e32 0x80, v1
; %bb.1864:
	s_xor_b32 s19, exec_lo, -1
; %bb.1865:
	s_or_b32 exec_lo, exec_lo, s21
	s_delay_alu instid0(SALU_CYCLE_1)
	s_and_b32 s19, s19, exec_lo
	s_or_saveexec_b32 s20, s20
	v_mov_b32_e32 v8, 0x7e00
	s_xor_b32 exec_lo, exec_lo, s20
	s_cbranch_execnz .LBB84_1886
.LBB84_1866:
	s_or_b32 exec_lo, exec_lo, s20
	s_and_saveexec_b32 s20, s19
	s_cbranch_execz .LBB84_1868
.LBB84_1867:
	v_and_b32_e32 v3, 0xffff, v1
	s_delay_alu instid0(VALU_DEP_1) | instskip(SKIP_1) | instid1(VALU_DEP_2)
	v_and_b32_e32 v8, 3, v3
	v_bfe_u32 v11, v3, 2, 5
	v_clz_i32_u32_e32 v9, v8
	s_delay_alu instid0(VALU_DEP_2) | instskip(NEXT) | instid1(VALU_DEP_2)
	v_cmp_eq_u32_e32 vcc_lo, 0, v11
	v_min_u32_e32 v9, 32, v9
	s_delay_alu instid0(VALU_DEP_1) | instskip(NEXT) | instid1(VALU_DEP_1)
	v_subrev_nc_u32_e32 v10, 29, v9
	v_dual_lshlrev_b32 v3, v10, v3 :: v_dual_sub_nc_u32 v9, 30, v9
	s_delay_alu instid0(VALU_DEP_1) | instskip(NEXT) | instid1(VALU_DEP_1)
	v_dual_lshlrev_b32 v1, 24, v1 :: v_dual_bitop2_b32 v3, 3, v3 bitop3:0x40
	v_dual_cndmask_b32 v3, v8, v3, vcc_lo :: v_dual_cndmask_b32 v9, v11, v9, vcc_lo
	s_delay_alu instid0(VALU_DEP_2) | instskip(NEXT) | instid1(VALU_DEP_2)
	v_and_b32_e32 v1, 0x80000000, v1
	v_lshlrev_b32_e32 v3, 21, v3
	s_delay_alu instid0(VALU_DEP_3) | instskip(NEXT) | instid1(VALU_DEP_1)
	v_lshl_add_u32 v8, v9, 23, 0x37800000
	v_or3_b32 v1, v1, v8, v3
	s_delay_alu instid0(VALU_DEP_1)
	v_cvt_f16_f32_e32 v8, v1
.LBB84_1868:
	s_or_b32 exec_lo, exec_lo, s20
	s_mov_b32 s19, 0
	s_branch .LBB84_1874
.LBB84_1869:
	s_mov_b32 s19, -1
                                        ; implicit-def: $vgpr8
	s_branch .LBB84_1880
.LBB84_1870:
	s_or_saveexec_b32 s21, s21
	v_mov_b32_e32 v8, 0x7e00
	s_xor_b32 exec_lo, exec_lo, s21
	s_cbranch_execz .LBB84_1853
.LBB84_1871:
	v_cmp_ne_u16_e32 vcc_lo, 0, v1
	v_mov_b32_e32 v8, v1
	s_and_not1_b32 s20, s20, exec_lo
	s_and_b32 s22, vcc_lo, exec_lo
	s_delay_alu instid0(SALU_CYCLE_1)
	s_or_b32 s20, s20, s22
	s_or_b32 exec_lo, exec_lo, s21
	s_and_saveexec_b32 s21, s20
	s_cbranch_execnz .LBB84_1854
	s_branch .LBB84_1855
.LBB84_1872:
	s_mov_b32 s19, -1
                                        ; implicit-def: $vgpr8
	s_branch .LBB84_1877
.LBB84_1873:
	s_mov_b32 s19, -1
                                        ; implicit-def: $vgpr8
.LBB84_1874:
	s_delay_alu instid0(SALU_CYCLE_1)
	s_and_b32 vcc_lo, exec_lo, s19
	s_cbranch_vccz .LBB84_1876
; %bb.1875:
	global_load_u8 v1, v[4:5], off
	s_wait_loadcnt 0x0
	v_lshlrev_b32_e32 v1, 24, v1
	s_delay_alu instid0(VALU_DEP_1) | instskip(NEXT) | instid1(VALU_DEP_1)
	v_and_b32_e32 v3, 0x7f000000, v1
	v_clz_i32_u32_e32 v8, v3
	v_cmp_ne_u32_e32 vcc_lo, 0, v3
	v_add_nc_u32_e32 v10, 0x1000000, v3
	s_delay_alu instid0(VALU_DEP_3) | instskip(NEXT) | instid1(VALU_DEP_1)
	v_min_u32_e32 v8, 32, v8
	v_sub_nc_u32_e64 v8, v8, 4 clamp
	s_delay_alu instid0(VALU_DEP_1) | instskip(NEXT) | instid1(VALU_DEP_1)
	v_dual_lshlrev_b32 v9, v8, v3 :: v_dual_lshlrev_b32 v8, 23, v8
	v_lshrrev_b32_e32 v9, 4, v9
	s_delay_alu instid0(VALU_DEP_1) | instskip(NEXT) | instid1(VALU_DEP_1)
	v_dual_sub_nc_u32 v8, v9, v8 :: v_dual_ashrrev_i32 v9, 8, v10
	v_add_nc_u32_e32 v8, 0x3c000000, v8
	s_delay_alu instid0(VALU_DEP_1) | instskip(NEXT) | instid1(VALU_DEP_1)
	v_and_or_b32 v8, 0x7f800000, v9, v8
	v_cndmask_b32_e32 v3, 0, v8, vcc_lo
	s_delay_alu instid0(VALU_DEP_1) | instskip(NEXT) | instid1(VALU_DEP_1)
	v_and_or_b32 v1, 0x80000000, v1, v3
	v_cvt_f16_f32_e32 v8, v1
.LBB84_1876:
	s_mov_b32 s19, 0
.LBB84_1877:
	s_delay_alu instid0(SALU_CYCLE_1)
	s_and_not1_b32 vcc_lo, exec_lo, s19
	s_cbranch_vccnz .LBB84_1879
; %bb.1878:
	global_load_u8 v1, v[4:5], off
	s_wait_loadcnt 0x0
	v_lshlrev_b32_e32 v3, 25, v1
	v_lshlrev_b16 v1, 8, v1
	s_delay_alu instid0(VALU_DEP_1) | instskip(NEXT) | instid1(VALU_DEP_3)
	v_and_or_b32 v9, 0x7f00, v1, 0.5
	v_lshrrev_b32_e32 v8, 4, v3
	v_bfe_i32 v1, v1, 0, 16
	s_delay_alu instid0(VALU_DEP_3) | instskip(NEXT) | instid1(VALU_DEP_3)
	v_add_f32_e32 v9, -0.5, v9
	v_or_b32_e32 v8, 0x70000000, v8
	s_delay_alu instid0(VALU_DEP_1) | instskip(SKIP_1) | instid1(VALU_DEP_2)
	v_mul_f32_e32 v8, 0x7800000, v8
	v_cmp_gt_u32_e32 vcc_lo, 0x8000000, v3
	v_cndmask_b32_e32 v3, v8, v9, vcc_lo
	s_delay_alu instid0(VALU_DEP_1) | instskip(NEXT) | instid1(VALU_DEP_1)
	v_and_or_b32 v1, 0x80000000, v1, v3
	v_cvt_f16_f32_e32 v8, v1
.LBB84_1879:
	s_mov_b32 s19, 0
	s_mov_b32 s20, -1
.LBB84_1880:
	s_and_not1_b32 vcc_lo, exec_lo, s19
	s_mov_b32 s19, 0
	s_cbranch_vccnz .LBB84_1891
; %bb.1881:
	s_cmp_gt_i32 s15, 14
	s_cbranch_scc0 .LBB84_1884
; %bb.1882:
	s_cmp_eq_u32 s15, 15
	s_cbranch_scc0 .LBB84_1887
; %bb.1883:
	global_load_u16 v1, v[4:5], off
	s_mov_b32 s18, 0
	s_mov_b32 s20, -1
	s_wait_loadcnt 0x0
	v_lshlrev_b32_e32 v1, 16, v1
	s_delay_alu instid0(VALU_DEP_1)
	v_cvt_f16_f32_e32 v8, v1
	s_branch .LBB84_1889
.LBB84_1884:
	s_mov_b32 s19, -1
	s_branch .LBB84_1888
.LBB84_1885:
	s_or_saveexec_b32 s20, s20
	v_mov_b32_e32 v8, 0x7e00
	s_xor_b32 exec_lo, exec_lo, s20
	s_cbranch_execz .LBB84_1866
.LBB84_1886:
	v_cmp_ne_u16_e32 vcc_lo, 0, v1
	v_mov_b32_e32 v8, v1
	s_and_not1_b32 s19, s19, exec_lo
	s_and_b32 s21, vcc_lo, exec_lo
	s_delay_alu instid0(SALU_CYCLE_1)
	s_or_b32 s19, s19, s21
	s_or_b32 exec_lo, exec_lo, s20
	s_and_saveexec_b32 s20, s19
	s_cbranch_execnz .LBB84_1867
	s_branch .LBB84_1868
.LBB84_1887:
	s_mov_b32 s18, -1
.LBB84_1888:
                                        ; implicit-def: $vgpr8
.LBB84_1889:
	s_and_b32 vcc_lo, exec_lo, s19
	s_mov_b32 s19, 0
	s_cbranch_vccz .LBB84_1891
; %bb.1890:
	s_cmp_lg_u32 s15, 11
	s_mov_b32 s19, -1
	s_cselect_b32 s18, -1, 0
.LBB84_1891:
	s_delay_alu instid0(SALU_CYCLE_1)
	s_and_b32 vcc_lo, exec_lo, s18
	s_cbranch_vccnz .LBB84_1954
; %bb.1892:
	s_and_not1_b32 vcc_lo, exec_lo, s19
	s_cbranch_vccnz .LBB84_1894
.LBB84_1893:
	global_load_u8 v1, v[4:5], off
	s_mov_b32 s20, -1
	s_wait_loadcnt 0x0
	v_cmp_ne_u16_e32 vcc_lo, 0, v1
	v_cndmask_b32_e64 v8, 0, 0x3c00, vcc_lo
.LBB84_1894:
	s_branch .LBB84_1821
.LBB84_1895:
	s_and_b32 s15, 0xffff, s0
	s_delay_alu instid0(SALU_CYCLE_1)
	s_cmp_lt_i32 s15, 5
	s_cbranch_scc1 .LBB84_1900
; %bb.1896:
	s_cmp_lt_i32 s15, 8
	s_cbranch_scc1 .LBB84_1901
; %bb.1897:
	;; [unrolled: 3-line block ×3, first 2 shown]
	s_cmp_gt_i32 s15, 9
	s_cbranch_scc0 .LBB84_1903
; %bb.1899:
	global_load_b64 v[8:9], v[4:5], off
	s_mov_b32 s18, 0
	s_wait_loadcnt 0x0
	v_and_or_b32 v1, 0x1ff, v9, v8
	v_lshrrev_b32_e32 v3, 8, v9
	v_bfe_u32 v8, v9, 20, 11
	s_delay_alu instid0(VALU_DEP_3) | instskip(NEXT) | instid1(VALU_DEP_2)
	v_cmp_ne_u32_e32 vcc_lo, 0, v1
	v_sub_nc_u32_e32 v10, 0x3f1, v8
	v_add_nc_u32_e32 v8, 0xfffffc10, v8
	v_cndmask_b32_e64 v1, 0, 1, vcc_lo
	s_delay_alu instid0(VALU_DEP_1) | instskip(NEXT) | instid1(VALU_DEP_4)
	v_and_or_b32 v1, 0xffe, v3, v1
	v_med3_i32 v3, v10, 0, 13
	s_delay_alu instid0(VALU_DEP_2) | instskip(NEXT) | instid1(VALU_DEP_1)
	v_or_b32_e32 v10, 0x1000, v1
	v_lshrrev_b32_e32 v11, v3, v10
	s_delay_alu instid0(VALU_DEP_1) | instskip(NEXT) | instid1(VALU_DEP_1)
	v_lshlrev_b32_e32 v3, v3, v11
	v_cmp_ne_u32_e32 vcc_lo, v3, v10
	v_lshl_or_b32 v10, v8, 12, v1
	v_cndmask_b32_e64 v3, 0, 1, vcc_lo
	v_cmp_gt_i32_e32 vcc_lo, 1, v8
	s_delay_alu instid0(VALU_DEP_2) | instskip(NEXT) | instid1(VALU_DEP_1)
	v_or_b32_e32 v3, v11, v3
	v_cndmask_b32_e32 v3, v10, v3, vcc_lo
	s_delay_alu instid0(VALU_DEP_1) | instskip(NEXT) | instid1(VALU_DEP_1)
	v_dual_lshrrev_b32 v3, 2, v3 :: v_dual_bitop2_b32 v10, 7, v3 bitop3:0x40
	v_cmp_lt_i32_e32 vcc_lo, 5, v10
	v_cndmask_b32_e64 v11, 0, 1, vcc_lo
	v_cmp_eq_u32_e32 vcc_lo, 3, v10
	v_cndmask_b32_e64 v10, 0, 1, vcc_lo
	v_cmp_ne_u32_e32 vcc_lo, 0, v1
	s_delay_alu instid0(VALU_DEP_2) | instskip(SKIP_1) | instid1(VALU_DEP_2)
	v_or_b32_e32 v10, v10, v11
	v_mov_b32_e32 v11, 0x7e00
	v_add_nc_u32_e32 v3, v3, v10
	s_delay_alu instid0(VALU_DEP_2) | instskip(SKIP_1) | instid1(VALU_DEP_3)
	v_cndmask_b32_e32 v1, 0x7c00, v11, vcc_lo
	v_cmp_gt_i32_e32 vcc_lo, 31, v8
	v_cndmask_b32_e32 v3, 0x7c00, v3, vcc_lo
	v_cmp_eq_u32_e32 vcc_lo, 0x40f, v8
	s_delay_alu instid0(VALU_DEP_2) | instskip(SKIP_1) | instid1(VALU_DEP_1)
	v_cndmask_b32_e32 v1, v3, v1, vcc_lo
	v_lshrrev_b32_e32 v3, 16, v9
	v_and_or_b32 v8, 0x8000, v3, v1
	s_branch .LBB84_1904
.LBB84_1900:
	s_mov_b32 s18, -1
                                        ; implicit-def: $vgpr8
	s_branch .LBB84_1922
.LBB84_1901:
	s_mov_b32 s18, -1
                                        ; implicit-def: $vgpr8
	s_branch .LBB84_1910
.LBB84_1902:
	s_mov_b32 s18, -1
                                        ; implicit-def: $vgpr8
	s_branch .LBB84_1907
.LBB84_1903:
	s_mov_b32 s18, -1
                                        ; implicit-def: $vgpr8
.LBB84_1904:
	s_delay_alu instid0(SALU_CYCLE_1)
	s_and_not1_b32 vcc_lo, exec_lo, s18
	s_cbranch_vccnz .LBB84_1906
; %bb.1905:
	global_load_b32 v1, v[4:5], off
	s_wait_loadcnt 0x0
	v_cvt_f16_f32_e32 v8, v1
.LBB84_1906:
	s_mov_b32 s18, 0
.LBB84_1907:
	s_delay_alu instid0(SALU_CYCLE_1)
	s_and_not1_b32 vcc_lo, exec_lo, s18
	s_cbranch_vccnz .LBB84_1909
; %bb.1908:
	global_load_b32 v8, v[4:5], off
.LBB84_1909:
	s_mov_b32 s18, 0
.LBB84_1910:
	s_delay_alu instid0(SALU_CYCLE_1)
	s_and_not1_b32 vcc_lo, exec_lo, s18
	s_cbranch_vccnz .LBB84_1921
; %bb.1911:
	s_cmp_lt_i32 s15, 6
	s_cbranch_scc1 .LBB84_1914
; %bb.1912:
	s_cmp_gt_i32 s15, 6
	s_cbranch_scc0 .LBB84_1915
; %bb.1913:
	s_wait_loadcnt 0x0
	global_load_b64 v[8:9], v[4:5], off
	s_mov_b32 s18, 0
	s_wait_loadcnt 0x0
	v_and_or_b32 v1, 0x1ff, v9, v8
	v_lshrrev_b32_e32 v3, 8, v9
	v_bfe_u32 v8, v9, 20, 11
	s_delay_alu instid0(VALU_DEP_3) | instskip(NEXT) | instid1(VALU_DEP_2)
	v_cmp_ne_u32_e32 vcc_lo, 0, v1
	v_sub_nc_u32_e32 v10, 0x3f1, v8
	v_add_nc_u32_e32 v8, 0xfffffc10, v8
	v_cndmask_b32_e64 v1, 0, 1, vcc_lo
	s_delay_alu instid0(VALU_DEP_1) | instskip(NEXT) | instid1(VALU_DEP_4)
	v_and_or_b32 v1, 0xffe, v3, v1
	v_med3_i32 v3, v10, 0, 13
	s_delay_alu instid0(VALU_DEP_2) | instskip(NEXT) | instid1(VALU_DEP_1)
	v_or_b32_e32 v10, 0x1000, v1
	v_lshrrev_b32_e32 v11, v3, v10
	s_delay_alu instid0(VALU_DEP_1) | instskip(NEXT) | instid1(VALU_DEP_1)
	v_lshlrev_b32_e32 v3, v3, v11
	v_cmp_ne_u32_e32 vcc_lo, v3, v10
	v_lshl_or_b32 v10, v8, 12, v1
	v_cndmask_b32_e64 v3, 0, 1, vcc_lo
	v_cmp_gt_i32_e32 vcc_lo, 1, v8
	s_delay_alu instid0(VALU_DEP_2) | instskip(NEXT) | instid1(VALU_DEP_1)
	v_or_b32_e32 v3, v11, v3
	v_cndmask_b32_e32 v3, v10, v3, vcc_lo
	s_delay_alu instid0(VALU_DEP_1) | instskip(NEXT) | instid1(VALU_DEP_1)
	v_dual_lshrrev_b32 v3, 2, v3 :: v_dual_bitop2_b32 v10, 7, v3 bitop3:0x40
	v_cmp_lt_i32_e32 vcc_lo, 5, v10
	v_cndmask_b32_e64 v11, 0, 1, vcc_lo
	v_cmp_eq_u32_e32 vcc_lo, 3, v10
	v_cndmask_b32_e64 v10, 0, 1, vcc_lo
	v_cmp_ne_u32_e32 vcc_lo, 0, v1
	s_delay_alu instid0(VALU_DEP_2) | instskip(SKIP_1) | instid1(VALU_DEP_2)
	v_or_b32_e32 v10, v10, v11
	v_mov_b32_e32 v11, 0x7e00
	v_add_nc_u32_e32 v3, v3, v10
	s_delay_alu instid0(VALU_DEP_2) | instskip(SKIP_1) | instid1(VALU_DEP_3)
	v_cndmask_b32_e32 v1, 0x7c00, v11, vcc_lo
	v_cmp_gt_i32_e32 vcc_lo, 31, v8
	v_cndmask_b32_e32 v3, 0x7c00, v3, vcc_lo
	v_cmp_eq_u32_e32 vcc_lo, 0x40f, v8
	s_delay_alu instid0(VALU_DEP_2) | instskip(SKIP_1) | instid1(VALU_DEP_1)
	v_cndmask_b32_e32 v1, v3, v1, vcc_lo
	v_lshrrev_b32_e32 v3, 16, v9
	v_and_or_b32 v8, 0x8000, v3, v1
	s_branch .LBB84_1916
.LBB84_1914:
	s_mov_b32 s18, -1
                                        ; implicit-def: $vgpr8
	s_branch .LBB84_1919
.LBB84_1915:
	s_mov_b32 s18, -1
                                        ; implicit-def: $vgpr8
.LBB84_1916:
	s_delay_alu instid0(SALU_CYCLE_1)
	s_and_not1_b32 vcc_lo, exec_lo, s18
	s_cbranch_vccnz .LBB84_1918
; %bb.1917:
	global_load_b32 v1, v[4:5], off
	s_wait_loadcnt 0x0
	v_cvt_f16_f32_e32 v8, v1
.LBB84_1918:
	s_mov_b32 s18, 0
.LBB84_1919:
	s_delay_alu instid0(SALU_CYCLE_1)
	s_and_not1_b32 vcc_lo, exec_lo, s18
	s_cbranch_vccnz .LBB84_1921
; %bb.1920:
	s_wait_loadcnt 0x0
	global_load_u16 v8, v[4:5], off
.LBB84_1921:
	s_mov_b32 s18, 0
.LBB84_1922:
	s_delay_alu instid0(SALU_CYCLE_1)
	s_and_not1_b32 vcc_lo, exec_lo, s18
	s_cbranch_vccnz .LBB84_1942
; %bb.1923:
	s_cmp_lt_i32 s15, 2
	s_cbranch_scc1 .LBB84_1927
; %bb.1924:
	s_cmp_lt_i32 s15, 3
	s_cbranch_scc1 .LBB84_1928
; %bb.1925:
	s_cmp_gt_i32 s15, 3
	s_cbranch_scc0 .LBB84_1929
; %bb.1926:
	s_wait_loadcnt 0x0
	global_load_b64 v[8:9], v[4:5], off
	s_mov_b32 s18, 0
	s_wait_loadcnt 0x0
	v_xor_b32_e32 v1, v8, v9
	v_cls_i32_e32 v3, v9
	s_delay_alu instid0(VALU_DEP_2) | instskip(NEXT) | instid1(VALU_DEP_1)
	v_ashrrev_i32_e32 v1, 31, v1
	v_add_nc_u32_e32 v1, 32, v1
	s_delay_alu instid0(VALU_DEP_1) | instskip(NEXT) | instid1(VALU_DEP_1)
	v_add_min_u32_e64 v1, v3, -1, v1
	v_lshlrev_b64_e32 v[8:9], v1, v[8:9]
	v_sub_nc_u32_e32 v1, 32, v1
	s_delay_alu instid0(VALU_DEP_2) | instskip(NEXT) | instid1(VALU_DEP_1)
	v_min_u32_e32 v3, 1, v8
	v_or_b32_e32 v3, v9, v3
	s_delay_alu instid0(VALU_DEP_1) | instskip(NEXT) | instid1(VALU_DEP_1)
	v_cvt_f32_i32_e32 v3, v3
	v_ldexp_f32 v1, v3, v1
	s_delay_alu instid0(VALU_DEP_1)
	v_cvt_f16_f32_e32 v8, v1
	s_branch .LBB84_1930
.LBB84_1927:
	s_mov_b32 s18, -1
                                        ; implicit-def: $vgpr8
	s_branch .LBB84_1936
.LBB84_1928:
	s_mov_b32 s18, -1
                                        ; implicit-def: $vgpr8
	s_branch .LBB84_1933
.LBB84_1929:
	s_mov_b32 s18, -1
                                        ; implicit-def: $vgpr8
.LBB84_1930:
	s_delay_alu instid0(SALU_CYCLE_1)
	s_and_not1_b32 vcc_lo, exec_lo, s18
	s_cbranch_vccnz .LBB84_1932
; %bb.1931:
	global_load_b32 v1, v[4:5], off
	s_wait_loadcnt 0x0
	v_cvt_f32_i32_e32 v1, v1
	s_delay_alu instid0(VALU_DEP_1)
	v_cvt_f16_f32_e32 v8, v1
.LBB84_1932:
	s_mov_b32 s18, 0
.LBB84_1933:
	s_delay_alu instid0(SALU_CYCLE_1)
	s_and_not1_b32 vcc_lo, exec_lo, s18
	s_cbranch_vccnz .LBB84_1935
; %bb.1934:
	global_load_u16 v1, v[4:5], off
	s_wait_loadcnt 0x0
	v_cvt_f16_i16_e32 v8, v1
.LBB84_1935:
	s_mov_b32 s18, 0
.LBB84_1936:
	s_delay_alu instid0(SALU_CYCLE_1)
	s_and_not1_b32 vcc_lo, exec_lo, s18
	s_cbranch_vccnz .LBB84_1942
; %bb.1937:
	s_cmp_gt_i32 s15, 0
	s_mov_b32 s15, 0
	s_cbranch_scc0 .LBB84_1939
; %bb.1938:
	global_load_i8 v1, v[4:5], off
	s_wait_loadcnt 0x0
	v_cvt_f16_i16_e32 v8, v1
	s_branch .LBB84_1940
.LBB84_1939:
	s_mov_b32 s15, -1
                                        ; implicit-def: $vgpr8
.LBB84_1940:
	s_delay_alu instid0(SALU_CYCLE_1)
	s_and_not1_b32 vcc_lo, exec_lo, s15
	s_cbranch_vccnz .LBB84_1942
; %bb.1941:
	global_load_u8 v1, v[4:5], off
	s_wait_loadcnt 0x0
	v_cvt_f16_u16_e32 v8, v1
.LBB84_1942:
.LBB84_1943:
	s_lshl_b32 s10, s10, 7
	s_cmp_lt_i32 s1, 11
	v_add_nc_u32_e32 v2, s10, v2
	s_delay_alu instid0(VALU_DEP_1) | instskip(SKIP_1) | instid1(VALU_DEP_1)
	v_ashrrev_i32_e32 v3, 31, v2
	s_wait_xcnt 0x0
	v_add_nc_u64_e32 v[4:5], s[12:13], v[2:3]
	s_cbranch_scc1 .LBB84_1950
; %bb.1944:
	s_and_b32 s15, 0xffff, s1
	s_mov_b32 s19, 0
	s_cmp_gt_i32 s15, 25
	s_cbranch_scc0 .LBB84_1951
; %bb.1945:
	s_cmp_gt_i32 s15, 28
	s_cbranch_scc0 .LBB84_1952
; %bb.1946:
	;; [unrolled: 3-line block ×4, first 2 shown]
	s_cmp_eq_u32 s15, 46
	s_mov_b32 s21, 0
	s_cbranch_scc0 .LBB84_1956
; %bb.1949:
	global_load_b32 v1, v[4:5], off
	s_mov_b32 s18, 0
	s_mov_b32 s20, -1
	s_wait_loadcnt 0x0
	v_lshlrev_b32_e32 v1, 16, v1
	s_delay_alu instid0(VALU_DEP_1)
	v_cvt_f16_f32_e32 v1, v1
	s_branch .LBB84_1958
.LBB84_1950:
	s_mov_b32 s15, -1
	s_mov_b32 s20, 0
                                        ; implicit-def: $vgpr1
	s_branch .LBB84_2024
.LBB84_1951:
	s_mov_b32 s21, -1
	s_mov_b32 s20, 0
	s_mov_b32 s18, 0
                                        ; implicit-def: $vgpr1
	s_branch .LBB84_1987
.LBB84_1952:
	s_mov_b32 s21, -1
	s_mov_b32 s20, 0
	s_mov_b32 s18, 0
                                        ; implicit-def: $vgpr1
	s_branch .LBB84_1968
.LBB84_1953:
	s_mov_b32 s21, -1
	s_mov_b32 s20, 0
	s_mov_b32 s18, 0
                                        ; implicit-def: $vgpr1
	s_branch .LBB84_1963
.LBB84_1954:
	s_or_b32 s14, s14, exec_lo
	s_trap 2
	s_cbranch_execz .LBB84_1893
	s_branch .LBB84_1894
.LBB84_1955:
	s_mov_b32 s21, -1
	s_mov_b32 s20, 0
	s_mov_b32 s18, 0
	s_branch .LBB84_1957
.LBB84_1956:
	s_mov_b32 s18, -1
	s_mov_b32 s20, 0
.LBB84_1957:
                                        ; implicit-def: $vgpr1
.LBB84_1958:
	s_and_b32 vcc_lo, exec_lo, s21
	s_cbranch_vccz .LBB84_1962
; %bb.1959:
	s_cmp_eq_u32 s15, 44
	s_cbranch_scc0 .LBB84_1961
; %bb.1960:
	global_load_u8 v1, v[4:5], off
	s_mov_b32 s18, 0
	s_mov_b32 s20, -1
	s_wait_loadcnt 0x0
	v_lshlrev_b32_e32 v3, 23, v1
	v_cmp_ne_u32_e32 vcc_lo, 0xff, v1
	s_delay_alu instid0(VALU_DEP_2) | instskip(NEXT) | instid1(VALU_DEP_1)
	v_cvt_f16_f32_e32 v3, v3
	v_cndmask_b32_e32 v3, 0x7e00, v3, vcc_lo
	v_cmp_ne_u32_e32 vcc_lo, 0, v1
	s_delay_alu instid0(VALU_DEP_2)
	v_cndmask_b32_e32 v1, 0, v3, vcc_lo
	s_branch .LBB84_1962
.LBB84_1961:
	s_mov_b32 s18, -1
                                        ; implicit-def: $vgpr1
.LBB84_1962:
	s_mov_b32 s21, 0
.LBB84_1963:
	s_delay_alu instid0(SALU_CYCLE_1)
	s_and_b32 vcc_lo, exec_lo, s21
	s_cbranch_vccz .LBB84_1967
; %bb.1964:
	s_cmp_eq_u32 s15, 29
	s_cbranch_scc0 .LBB84_1966
; %bb.1965:
	global_load_b64 v[10:11], v[4:5], off
	s_mov_b32 s18, 0
	s_mov_b32 s20, -1
	s_mov_b32 s21, 0
	s_wait_loadcnt 0x0
	v_clz_i32_u32_e32 v1, v11
	s_delay_alu instid0(VALU_DEP_1) | instskip(NEXT) | instid1(VALU_DEP_1)
	v_min_u32_e32 v1, 32, v1
	v_lshlrev_b64_e32 v[10:11], v1, v[10:11]
	v_sub_nc_u32_e32 v1, 32, v1
	s_delay_alu instid0(VALU_DEP_2) | instskip(NEXT) | instid1(VALU_DEP_1)
	v_min_u32_e32 v3, 1, v10
	v_or_b32_e32 v3, v11, v3
	s_delay_alu instid0(VALU_DEP_1) | instskip(NEXT) | instid1(VALU_DEP_1)
	v_cvt_f32_u32_e32 v3, v3
	v_ldexp_f32 v1, v3, v1
	s_delay_alu instid0(VALU_DEP_1)
	v_cvt_f16_f32_e32 v1, v1
	s_branch .LBB84_1968
.LBB84_1966:
	s_mov_b32 s18, -1
                                        ; implicit-def: $vgpr1
.LBB84_1967:
	s_mov_b32 s21, 0
.LBB84_1968:
	s_delay_alu instid0(SALU_CYCLE_1)
	s_and_b32 vcc_lo, exec_lo, s21
	s_cbranch_vccz .LBB84_1986
; %bb.1969:
	s_cmp_lt_i32 s15, 27
	s_cbranch_scc1 .LBB84_1972
; %bb.1970:
	s_cmp_gt_i32 s15, 27
	s_cbranch_scc0 .LBB84_1973
; %bb.1971:
	global_load_b32 v1, v[4:5], off
	s_mov_b32 s20, 0
	s_wait_loadcnt 0x0
	v_cvt_f32_u32_e32 v1, v1
	s_delay_alu instid0(VALU_DEP_1)
	v_cvt_f16_f32_e32 v1, v1
	s_branch .LBB84_1974
.LBB84_1972:
	s_mov_b32 s20, -1
                                        ; implicit-def: $vgpr1
	s_branch .LBB84_1977
.LBB84_1973:
	s_mov_b32 s20, -1
                                        ; implicit-def: $vgpr1
.LBB84_1974:
	s_delay_alu instid0(SALU_CYCLE_1)
	s_and_not1_b32 vcc_lo, exec_lo, s20
	s_cbranch_vccnz .LBB84_1976
; %bb.1975:
	global_load_u16 v1, v[4:5], off
	s_wait_loadcnt 0x0
	v_cvt_f16_u16_e32 v1, v1
.LBB84_1976:
	s_mov_b32 s20, 0
.LBB84_1977:
	s_delay_alu instid0(SALU_CYCLE_1)
	s_and_not1_b32 vcc_lo, exec_lo, s20
	s_cbranch_vccnz .LBB84_1985
; %bb.1978:
	global_load_u8 v3, v[4:5], off
	s_mov_b32 s20, 0
	s_mov_b32 s21, exec_lo
	s_wait_loadcnt 0x0
	v_cmpx_lt_i16_e32 0x7f, v3
	s_xor_b32 s21, exec_lo, s21
	s_cbranch_execz .LBB84_1999
; %bb.1979:
	s_mov_b32 s20, -1
	s_mov_b32 s22, exec_lo
	v_cmpx_eq_u16_e32 0x80, v3
; %bb.1980:
	s_xor_b32 s20, exec_lo, -1
; %bb.1981:
	s_or_b32 exec_lo, exec_lo, s22
	s_delay_alu instid0(SALU_CYCLE_1)
	s_and_b32 s20, s20, exec_lo
	s_or_saveexec_b32 s21, s21
	v_mov_b32_e32 v1, 0x7e00
	s_xor_b32 exec_lo, exec_lo, s21
	s_cbranch_execnz .LBB84_2000
.LBB84_1982:
	s_or_b32 exec_lo, exec_lo, s21
	s_and_saveexec_b32 s21, s20
	s_cbranch_execz .LBB84_1984
.LBB84_1983:
	v_and_b32_e32 v1, 0xffff, v3
	s_delay_alu instid0(VALU_DEP_1) | instskip(SKIP_1) | instid1(VALU_DEP_2)
	v_and_b32_e32 v9, 7, v1
	v_bfe_u32 v12, v1, 3, 4
	v_clz_i32_u32_e32 v10, v9
	s_delay_alu instid0(VALU_DEP_2) | instskip(NEXT) | instid1(VALU_DEP_2)
	v_cmp_eq_u32_e32 vcc_lo, 0, v12
	v_min_u32_e32 v10, 32, v10
	s_delay_alu instid0(VALU_DEP_1) | instskip(NEXT) | instid1(VALU_DEP_1)
	v_subrev_nc_u32_e32 v11, 28, v10
	v_dual_lshlrev_b32 v1, v11, v1 :: v_dual_sub_nc_u32 v10, 29, v10
	s_delay_alu instid0(VALU_DEP_1) | instskip(NEXT) | instid1(VALU_DEP_1)
	v_dual_lshlrev_b32 v3, 24, v3 :: v_dual_bitop2_b32 v1, 7, v1 bitop3:0x40
	v_dual_cndmask_b32 v10, v12, v10 :: v_dual_cndmask_b32 v1, v9, v1
	s_delay_alu instid0(VALU_DEP_2) | instskip(NEXT) | instid1(VALU_DEP_2)
	v_and_b32_e32 v3, 0x80000000, v3
	v_lshl_add_u32 v9, v10, 23, 0x3b800000
	s_delay_alu instid0(VALU_DEP_3) | instskip(NEXT) | instid1(VALU_DEP_1)
	v_lshlrev_b32_e32 v1, 20, v1
	v_or3_b32 v1, v3, v9, v1
	s_delay_alu instid0(VALU_DEP_1)
	v_cvt_f16_f32_e32 v1, v1
.LBB84_1984:
	s_or_b32 exec_lo, exec_lo, s21
.LBB84_1985:
	s_mov_b32 s20, -1
.LBB84_1986:
	s_mov_b32 s21, 0
.LBB84_1987:
	s_delay_alu instid0(SALU_CYCLE_1)
	s_and_b32 vcc_lo, exec_lo, s21
	s_cbranch_vccz .LBB84_2020
; %bb.1988:
	s_cmp_gt_i32 s15, 22
	s_cbranch_scc0 .LBB84_1998
; %bb.1989:
	s_cmp_lt_i32 s15, 24
	s_cbranch_scc1 .LBB84_2001
; %bb.1990:
	s_cmp_gt_i32 s15, 24
	s_cbranch_scc0 .LBB84_2002
; %bb.1991:
	global_load_u8 v3, v[4:5], off
	s_mov_b32 s20, exec_lo
	s_wait_loadcnt 0x0
	v_cmpx_lt_i16_e32 0x7f, v3
	s_xor_b32 s20, exec_lo, s20
	s_cbranch_execz .LBB84_2014
; %bb.1992:
	s_mov_b32 s19, -1
	s_mov_b32 s21, exec_lo
	v_cmpx_eq_u16_e32 0x80, v3
; %bb.1993:
	s_xor_b32 s19, exec_lo, -1
; %bb.1994:
	s_or_b32 exec_lo, exec_lo, s21
	s_delay_alu instid0(SALU_CYCLE_1)
	s_and_b32 s19, s19, exec_lo
	s_or_saveexec_b32 s20, s20
	v_mov_b32_e32 v1, 0x7e00
	s_xor_b32 exec_lo, exec_lo, s20
	s_cbranch_execnz .LBB84_2015
.LBB84_1995:
	s_or_b32 exec_lo, exec_lo, s20
	s_and_saveexec_b32 s20, s19
	s_cbranch_execz .LBB84_1997
.LBB84_1996:
	v_and_b32_e32 v1, 0xffff, v3
	s_delay_alu instid0(VALU_DEP_1) | instskip(SKIP_1) | instid1(VALU_DEP_2)
	v_and_b32_e32 v9, 3, v1
	v_bfe_u32 v12, v1, 2, 5
	v_clz_i32_u32_e32 v10, v9
	s_delay_alu instid0(VALU_DEP_2) | instskip(NEXT) | instid1(VALU_DEP_2)
	v_cmp_eq_u32_e32 vcc_lo, 0, v12
	v_min_u32_e32 v10, 32, v10
	s_delay_alu instid0(VALU_DEP_1) | instskip(NEXT) | instid1(VALU_DEP_1)
	v_subrev_nc_u32_e32 v11, 29, v10
	v_dual_lshlrev_b32 v1, v11, v1 :: v_dual_sub_nc_u32 v10, 30, v10
	s_delay_alu instid0(VALU_DEP_1) | instskip(NEXT) | instid1(VALU_DEP_1)
	v_dual_lshlrev_b32 v3, 24, v3 :: v_dual_bitop2_b32 v1, 3, v1 bitop3:0x40
	v_dual_cndmask_b32 v10, v12, v10 :: v_dual_cndmask_b32 v1, v9, v1
	s_delay_alu instid0(VALU_DEP_2) | instskip(NEXT) | instid1(VALU_DEP_2)
	v_and_b32_e32 v3, 0x80000000, v3
	v_lshl_add_u32 v9, v10, 23, 0x37800000
	s_delay_alu instid0(VALU_DEP_3) | instskip(NEXT) | instid1(VALU_DEP_1)
	v_lshlrev_b32_e32 v1, 21, v1
	v_or3_b32 v1, v3, v9, v1
	s_delay_alu instid0(VALU_DEP_1)
	v_cvt_f16_f32_e32 v1, v1
.LBB84_1997:
	s_or_b32 exec_lo, exec_lo, s20
	s_mov_b32 s19, 0
	s_branch .LBB84_2003
.LBB84_1998:
	s_mov_b32 s19, -1
                                        ; implicit-def: $vgpr1
	s_branch .LBB84_2009
.LBB84_1999:
	s_or_saveexec_b32 s21, s21
	v_mov_b32_e32 v1, 0x7e00
	s_xor_b32 exec_lo, exec_lo, s21
	s_cbranch_execz .LBB84_1982
.LBB84_2000:
	v_cmp_ne_u16_e32 vcc_lo, 0, v3
	v_mov_b32_e32 v1, v3
	s_and_not1_b32 s20, s20, exec_lo
	s_and_b32 s22, vcc_lo, exec_lo
	s_delay_alu instid0(SALU_CYCLE_1)
	s_or_b32 s20, s20, s22
	s_or_b32 exec_lo, exec_lo, s21
	s_and_saveexec_b32 s21, s20
	s_cbranch_execnz .LBB84_1983
	s_branch .LBB84_1984
.LBB84_2001:
	s_mov_b32 s19, -1
                                        ; implicit-def: $vgpr1
	s_branch .LBB84_2006
.LBB84_2002:
	s_mov_b32 s19, -1
                                        ; implicit-def: $vgpr1
.LBB84_2003:
	s_delay_alu instid0(SALU_CYCLE_1)
	s_and_b32 vcc_lo, exec_lo, s19
	s_cbranch_vccz .LBB84_2005
; %bb.2004:
	global_load_u8 v1, v[4:5], off
	s_wait_loadcnt 0x0
	v_lshlrev_b32_e32 v1, 24, v1
	s_delay_alu instid0(VALU_DEP_1) | instskip(NEXT) | instid1(VALU_DEP_1)
	v_and_b32_e32 v3, 0x7f000000, v1
	v_clz_i32_u32_e32 v9, v3
	v_add_nc_u32_e32 v11, 0x1000000, v3
	v_cmp_ne_u32_e32 vcc_lo, 0, v3
	s_delay_alu instid0(VALU_DEP_3) | instskip(NEXT) | instid1(VALU_DEP_1)
	v_min_u32_e32 v9, 32, v9
	v_sub_nc_u32_e64 v9, v9, 4 clamp
	s_delay_alu instid0(VALU_DEP_1) | instskip(NEXT) | instid1(VALU_DEP_1)
	v_dual_lshlrev_b32 v10, v9, v3 :: v_dual_lshlrev_b32 v9, 23, v9
	v_lshrrev_b32_e32 v10, 4, v10
	s_delay_alu instid0(VALU_DEP_1) | instskip(NEXT) | instid1(VALU_DEP_1)
	v_dual_sub_nc_u32 v9, v10, v9 :: v_dual_ashrrev_i32 v10, 8, v11
	v_add_nc_u32_e32 v9, 0x3c000000, v9
	s_delay_alu instid0(VALU_DEP_1) | instskip(NEXT) | instid1(VALU_DEP_1)
	v_and_or_b32 v9, 0x7f800000, v10, v9
	v_cndmask_b32_e32 v3, 0, v9, vcc_lo
	s_delay_alu instid0(VALU_DEP_1) | instskip(NEXT) | instid1(VALU_DEP_1)
	v_and_or_b32 v1, 0x80000000, v1, v3
	v_cvt_f16_f32_e32 v1, v1
.LBB84_2005:
	s_mov_b32 s19, 0
.LBB84_2006:
	s_delay_alu instid0(SALU_CYCLE_1)
	s_and_not1_b32 vcc_lo, exec_lo, s19
	s_cbranch_vccnz .LBB84_2008
; %bb.2007:
	global_load_u8 v1, v[4:5], off
	s_wait_loadcnt 0x0
	v_lshlrev_b32_e32 v3, 25, v1
	v_lshlrev_b16 v1, 8, v1
	s_delay_alu instid0(VALU_DEP_1) | instskip(SKIP_1) | instid1(VALU_DEP_2)
	v_and_or_b32 v10, 0x7f00, v1, 0.5
	v_bfe_i32 v1, v1, 0, 16
	v_dual_add_f32 v10, -0.5, v10 :: v_dual_lshrrev_b32 v9, 4, v3
	v_cmp_gt_u32_e32 vcc_lo, 0x8000000, v3
	s_delay_alu instid0(VALU_DEP_2) | instskip(NEXT) | instid1(VALU_DEP_1)
	v_or_b32_e32 v9, 0x70000000, v9
	v_mul_f32_e32 v9, 0x7800000, v9
	s_delay_alu instid0(VALU_DEP_1) | instskip(NEXT) | instid1(VALU_DEP_1)
	v_cndmask_b32_e32 v3, v9, v10, vcc_lo
	v_and_or_b32 v1, 0x80000000, v1, v3
	s_delay_alu instid0(VALU_DEP_1)
	v_cvt_f16_f32_e32 v1, v1
.LBB84_2008:
	s_mov_b32 s19, 0
	s_mov_b32 s20, -1
.LBB84_2009:
	s_and_not1_b32 vcc_lo, exec_lo, s19
	s_mov_b32 s19, 0
	s_cbranch_vccnz .LBB84_2020
; %bb.2010:
	s_cmp_gt_i32 s15, 14
	s_cbranch_scc0 .LBB84_2013
; %bb.2011:
	s_cmp_eq_u32 s15, 15
	s_cbranch_scc0 .LBB84_2016
; %bb.2012:
	global_load_u16 v1, v[4:5], off
	s_mov_b32 s18, 0
	s_mov_b32 s20, -1
	s_wait_loadcnt 0x0
	v_lshlrev_b32_e32 v1, 16, v1
	s_delay_alu instid0(VALU_DEP_1)
	v_cvt_f16_f32_e32 v1, v1
	s_branch .LBB84_2018
.LBB84_2013:
	s_mov_b32 s19, -1
	s_branch .LBB84_2017
.LBB84_2014:
	s_or_saveexec_b32 s20, s20
	v_mov_b32_e32 v1, 0x7e00
	s_xor_b32 exec_lo, exec_lo, s20
	s_cbranch_execz .LBB84_1995
.LBB84_2015:
	v_cmp_ne_u16_e32 vcc_lo, 0, v3
	v_mov_b32_e32 v1, v3
	s_and_not1_b32 s19, s19, exec_lo
	s_and_b32 s21, vcc_lo, exec_lo
	s_delay_alu instid0(SALU_CYCLE_1)
	s_or_b32 s19, s19, s21
	s_or_b32 exec_lo, exec_lo, s20
	s_and_saveexec_b32 s20, s19
	s_cbranch_execnz .LBB84_1996
	s_branch .LBB84_1997
.LBB84_2016:
	s_mov_b32 s18, -1
.LBB84_2017:
                                        ; implicit-def: $vgpr1
.LBB84_2018:
	s_and_b32 vcc_lo, exec_lo, s19
	s_mov_b32 s19, 0
	s_cbranch_vccz .LBB84_2020
; %bb.2019:
	s_cmp_lg_u32 s15, 11
	s_mov_b32 s19, -1
	s_cselect_b32 s18, -1, 0
.LBB84_2020:
	s_delay_alu instid0(SALU_CYCLE_1)
	s_and_b32 vcc_lo, exec_lo, s18
	s_cbranch_vccnz .LBB84_2087
; %bb.2021:
	s_and_not1_b32 vcc_lo, exec_lo, s19
	s_cbranch_vccnz .LBB84_2023
.LBB84_2022:
	global_load_u8 v1, v[4:5], off
	s_mov_b32 s20, -1
	s_wait_loadcnt 0x0
	v_cmp_ne_u16_e32 vcc_lo, 0, v1
	v_cndmask_b32_e64 v1, 0, 0x3c00, vcc_lo
.LBB84_2023:
	s_mov_b32 s15, 0
.LBB84_2024:
	s_delay_alu instid0(SALU_CYCLE_1)
	s_and_b32 vcc_lo, exec_lo, s15
	s_cbranch_vccz .LBB84_2073
; %bb.2025:
	s_and_b32 s15, 0xffff, s1
	s_delay_alu instid0(SALU_CYCLE_1)
	s_cmp_lt_i32 s15, 5
	s_cbranch_scc1 .LBB84_2030
; %bb.2026:
	s_cmp_lt_i32 s15, 8
	s_cbranch_scc1 .LBB84_2031
; %bb.2027:
	;; [unrolled: 3-line block ×3, first 2 shown]
	s_cmp_gt_i32 s15, 9
	s_cbranch_scc0 .LBB84_2033
; %bb.2029:
	global_load_b64 v[10:11], v[4:5], off
	s_mov_b32 s18, 0
	s_wait_loadcnt 0x0
	v_and_or_b32 v1, 0x1ff, v11, v10
	v_lshrrev_b32_e32 v3, 8, v11
	v_bfe_u32 v9, v11, 20, 11
	s_delay_alu instid0(VALU_DEP_3) | instskip(NEXT) | instid1(VALU_DEP_2)
	v_cmp_ne_u32_e32 vcc_lo, 0, v1
	v_sub_nc_u32_e32 v10, 0x3f1, v9
	v_add_nc_u32_e32 v9, 0xfffffc10, v9
	v_cndmask_b32_e64 v1, 0, 1, vcc_lo
	s_delay_alu instid0(VALU_DEP_1) | instskip(NEXT) | instid1(VALU_DEP_4)
	v_and_or_b32 v1, 0xffe, v3, v1
	v_med3_i32 v3, v10, 0, 13
	s_delay_alu instid0(VALU_DEP_2) | instskip(NEXT) | instid1(VALU_DEP_1)
	v_or_b32_e32 v10, 0x1000, v1
	v_lshrrev_b32_e32 v12, v3, v10
	s_delay_alu instid0(VALU_DEP_1) | instskip(NEXT) | instid1(VALU_DEP_1)
	v_lshlrev_b32_e32 v3, v3, v12
	v_cmp_ne_u32_e32 vcc_lo, v3, v10
	v_lshl_or_b32 v10, v9, 12, v1
	v_cndmask_b32_e64 v3, 0, 1, vcc_lo
	v_cmp_gt_i32_e32 vcc_lo, 1, v9
	s_delay_alu instid0(VALU_DEP_2) | instskip(NEXT) | instid1(VALU_DEP_1)
	v_or_b32_e32 v3, v12, v3
	v_cndmask_b32_e32 v3, v10, v3, vcc_lo
	s_delay_alu instid0(VALU_DEP_1) | instskip(NEXT) | instid1(VALU_DEP_1)
	v_dual_lshrrev_b32 v3, 2, v3 :: v_dual_bitop2_b32 v10, 7, v3 bitop3:0x40
	v_cmp_lt_i32_e32 vcc_lo, 5, v10
	v_cndmask_b32_e64 v12, 0, 1, vcc_lo
	v_cmp_eq_u32_e32 vcc_lo, 3, v10
	v_cndmask_b32_e64 v10, 0, 1, vcc_lo
	v_cmp_ne_u32_e32 vcc_lo, 0, v1
	s_delay_alu instid0(VALU_DEP_2) | instskip(NEXT) | instid1(VALU_DEP_1)
	v_or_b32_e32 v10, v10, v12
	v_dual_mov_b32 v12, 0x7e00 :: v_dual_add_nc_u32 v3, v3, v10
	s_delay_alu instid0(VALU_DEP_1) | instskip(SKIP_1) | instid1(VALU_DEP_3)
	v_cndmask_b32_e32 v1, 0x7c00, v12, vcc_lo
	v_cmp_gt_i32_e32 vcc_lo, 31, v9
	v_cndmask_b32_e32 v3, 0x7c00, v3, vcc_lo
	v_cmp_eq_u32_e32 vcc_lo, 0x40f, v9
	s_delay_alu instid0(VALU_DEP_2) | instskip(NEXT) | instid1(VALU_DEP_1)
	v_dual_cndmask_b32 v1, v3, v1, vcc_lo :: v_dual_lshrrev_b32 v3, 16, v11
	v_and_or_b32 v1, 0x8000, v3, v1
	s_branch .LBB84_2034
.LBB84_2030:
	s_mov_b32 s18, -1
                                        ; implicit-def: $vgpr1
	s_branch .LBB84_2052
.LBB84_2031:
	s_mov_b32 s18, -1
                                        ; implicit-def: $vgpr1
	s_branch .LBB84_2040
.LBB84_2032:
	s_mov_b32 s18, -1
                                        ; implicit-def: $vgpr1
	s_branch .LBB84_2037
.LBB84_2033:
	s_mov_b32 s18, -1
                                        ; implicit-def: $vgpr1
.LBB84_2034:
	s_delay_alu instid0(SALU_CYCLE_1)
	s_and_not1_b32 vcc_lo, exec_lo, s18
	s_cbranch_vccnz .LBB84_2036
; %bb.2035:
	global_load_b32 v1, v[4:5], off
	s_wait_loadcnt 0x0
	v_cvt_f16_f32_e32 v1, v1
.LBB84_2036:
	s_mov_b32 s18, 0
.LBB84_2037:
	s_delay_alu instid0(SALU_CYCLE_1)
	s_and_not1_b32 vcc_lo, exec_lo, s18
	s_cbranch_vccnz .LBB84_2039
; %bb.2038:
	global_load_b32 v1, v[4:5], off
.LBB84_2039:
	s_mov_b32 s18, 0
.LBB84_2040:
	s_delay_alu instid0(SALU_CYCLE_1)
	s_and_not1_b32 vcc_lo, exec_lo, s18
	s_cbranch_vccnz .LBB84_2051
; %bb.2041:
	s_cmp_lt_i32 s15, 6
	s_cbranch_scc1 .LBB84_2044
; %bb.2042:
	s_cmp_gt_i32 s15, 6
	s_cbranch_scc0 .LBB84_2045
; %bb.2043:
	global_load_b64 v[10:11], v[4:5], off
	s_mov_b32 s18, 0
	s_wait_loadcnt 0x0
	v_and_or_b32 v1, 0x1ff, v11, v10
	v_lshrrev_b32_e32 v3, 8, v11
	v_bfe_u32 v9, v11, 20, 11
	s_delay_alu instid0(VALU_DEP_3) | instskip(NEXT) | instid1(VALU_DEP_2)
	v_cmp_ne_u32_e32 vcc_lo, 0, v1
	v_sub_nc_u32_e32 v10, 0x3f1, v9
	v_add_nc_u32_e32 v9, 0xfffffc10, v9
	v_cndmask_b32_e64 v1, 0, 1, vcc_lo
	s_delay_alu instid0(VALU_DEP_1) | instskip(NEXT) | instid1(VALU_DEP_4)
	v_and_or_b32 v1, 0xffe, v3, v1
	v_med3_i32 v3, v10, 0, 13
	s_delay_alu instid0(VALU_DEP_2) | instskip(NEXT) | instid1(VALU_DEP_1)
	v_or_b32_e32 v10, 0x1000, v1
	v_lshrrev_b32_e32 v12, v3, v10
	s_delay_alu instid0(VALU_DEP_1) | instskip(NEXT) | instid1(VALU_DEP_1)
	v_lshlrev_b32_e32 v3, v3, v12
	v_cmp_ne_u32_e32 vcc_lo, v3, v10
	v_lshl_or_b32 v10, v9, 12, v1
	v_cndmask_b32_e64 v3, 0, 1, vcc_lo
	v_cmp_gt_i32_e32 vcc_lo, 1, v9
	s_delay_alu instid0(VALU_DEP_2) | instskip(NEXT) | instid1(VALU_DEP_1)
	v_or_b32_e32 v3, v12, v3
	v_cndmask_b32_e32 v3, v10, v3, vcc_lo
	s_delay_alu instid0(VALU_DEP_1) | instskip(NEXT) | instid1(VALU_DEP_1)
	v_dual_lshrrev_b32 v3, 2, v3 :: v_dual_bitop2_b32 v10, 7, v3 bitop3:0x40
	v_cmp_lt_i32_e32 vcc_lo, 5, v10
	v_cndmask_b32_e64 v12, 0, 1, vcc_lo
	v_cmp_eq_u32_e32 vcc_lo, 3, v10
	v_cndmask_b32_e64 v10, 0, 1, vcc_lo
	v_cmp_ne_u32_e32 vcc_lo, 0, v1
	s_delay_alu instid0(VALU_DEP_2) | instskip(NEXT) | instid1(VALU_DEP_1)
	v_or_b32_e32 v10, v10, v12
	v_dual_mov_b32 v12, 0x7e00 :: v_dual_add_nc_u32 v3, v3, v10
	s_delay_alu instid0(VALU_DEP_1) | instskip(SKIP_1) | instid1(VALU_DEP_3)
	v_cndmask_b32_e32 v1, 0x7c00, v12, vcc_lo
	v_cmp_gt_i32_e32 vcc_lo, 31, v9
	v_cndmask_b32_e32 v3, 0x7c00, v3, vcc_lo
	v_cmp_eq_u32_e32 vcc_lo, 0x40f, v9
	s_delay_alu instid0(VALU_DEP_2) | instskip(NEXT) | instid1(VALU_DEP_1)
	v_dual_cndmask_b32 v1, v3, v1, vcc_lo :: v_dual_lshrrev_b32 v3, 16, v11
	v_and_or_b32 v1, 0x8000, v3, v1
	s_branch .LBB84_2046
.LBB84_2044:
	s_mov_b32 s18, -1
                                        ; implicit-def: $vgpr1
	s_branch .LBB84_2049
.LBB84_2045:
	s_mov_b32 s18, -1
                                        ; implicit-def: $vgpr1
.LBB84_2046:
	s_delay_alu instid0(SALU_CYCLE_1)
	s_and_not1_b32 vcc_lo, exec_lo, s18
	s_cbranch_vccnz .LBB84_2048
; %bb.2047:
	s_wait_loadcnt 0x0
	global_load_b32 v1, v[4:5], off
	s_wait_loadcnt 0x0
	v_cvt_f16_f32_e32 v1, v1
.LBB84_2048:
	s_mov_b32 s18, 0
.LBB84_2049:
	s_delay_alu instid0(SALU_CYCLE_1)
	s_and_not1_b32 vcc_lo, exec_lo, s18
	s_cbranch_vccnz .LBB84_2051
; %bb.2050:
	s_wait_loadcnt 0x0
	global_load_u16 v1, v[4:5], off
.LBB84_2051:
	s_mov_b32 s18, 0
.LBB84_2052:
	s_delay_alu instid0(SALU_CYCLE_1)
	s_and_not1_b32 vcc_lo, exec_lo, s18
	s_cbranch_vccnz .LBB84_2072
; %bb.2053:
	s_cmp_lt_i32 s15, 2
	s_cbranch_scc1 .LBB84_2057
; %bb.2054:
	s_cmp_lt_i32 s15, 3
	s_cbranch_scc1 .LBB84_2058
; %bb.2055:
	s_cmp_gt_i32 s15, 3
	s_cbranch_scc0 .LBB84_2059
; %bb.2056:
	global_load_b64 v[10:11], v[4:5], off
	s_mov_b32 s18, 0
	s_wait_loadcnt 0x0
	v_xor_b32_e32 v1, v10, v11
	v_cls_i32_e32 v3, v11
	s_delay_alu instid0(VALU_DEP_2) | instskip(NEXT) | instid1(VALU_DEP_1)
	v_ashrrev_i32_e32 v1, 31, v1
	v_add_nc_u32_e32 v1, 32, v1
	s_delay_alu instid0(VALU_DEP_1) | instskip(NEXT) | instid1(VALU_DEP_1)
	v_add_min_u32_e64 v1, v3, -1, v1
	v_lshlrev_b64_e32 v[10:11], v1, v[10:11]
	v_sub_nc_u32_e32 v1, 32, v1
	s_delay_alu instid0(VALU_DEP_2) | instskip(NEXT) | instid1(VALU_DEP_1)
	v_min_u32_e32 v3, 1, v10
	v_or_b32_e32 v3, v11, v3
	s_delay_alu instid0(VALU_DEP_1) | instskip(NEXT) | instid1(VALU_DEP_1)
	v_cvt_f32_i32_e32 v3, v3
	v_ldexp_f32 v1, v3, v1
	s_delay_alu instid0(VALU_DEP_1)
	v_cvt_f16_f32_e32 v1, v1
	s_branch .LBB84_2060
.LBB84_2057:
	s_mov_b32 s18, -1
                                        ; implicit-def: $vgpr1
	s_branch .LBB84_2066
.LBB84_2058:
	s_mov_b32 s18, -1
                                        ; implicit-def: $vgpr1
	s_branch .LBB84_2063
.LBB84_2059:
	s_mov_b32 s18, -1
                                        ; implicit-def: $vgpr1
.LBB84_2060:
	s_delay_alu instid0(SALU_CYCLE_1)
	s_and_not1_b32 vcc_lo, exec_lo, s18
	s_cbranch_vccnz .LBB84_2062
; %bb.2061:
	s_wait_loadcnt 0x0
	global_load_b32 v1, v[4:5], off
	s_wait_loadcnt 0x0
	v_cvt_f32_i32_e32 v1, v1
	s_delay_alu instid0(VALU_DEP_1)
	v_cvt_f16_f32_e32 v1, v1
.LBB84_2062:
	s_mov_b32 s18, 0
.LBB84_2063:
	s_delay_alu instid0(SALU_CYCLE_1)
	s_and_not1_b32 vcc_lo, exec_lo, s18
	s_cbranch_vccnz .LBB84_2065
; %bb.2064:
	s_wait_loadcnt 0x0
	global_load_u16 v1, v[4:5], off
	s_wait_loadcnt 0x0
	v_cvt_f16_i16_e32 v1, v1
.LBB84_2065:
	s_mov_b32 s18, 0
.LBB84_2066:
	s_delay_alu instid0(SALU_CYCLE_1)
	s_and_not1_b32 vcc_lo, exec_lo, s18
	s_cbranch_vccnz .LBB84_2072
; %bb.2067:
	s_cmp_gt_i32 s15, 0
	s_mov_b32 s15, 0
	s_cbranch_scc0 .LBB84_2069
; %bb.2068:
	s_wait_loadcnt 0x0
	global_load_i8 v1, v[4:5], off
	s_wait_loadcnt 0x0
	v_cvt_f16_i16_e32 v1, v1
	s_branch .LBB84_2070
.LBB84_2069:
	s_mov_b32 s15, -1
                                        ; implicit-def: $vgpr1
.LBB84_2070:
	s_delay_alu instid0(SALU_CYCLE_1)
	s_and_not1_b32 vcc_lo, exec_lo, s15
	s_cbranch_vccnz .LBB84_2072
; %bb.2071:
	s_wait_loadcnt 0x0
	global_load_u8 v1, v[4:5], off
	s_wait_loadcnt 0x0
	v_cvt_f16_u16_e32 v1, v1
.LBB84_2072:
	s_mov_b32 s20, -1
.LBB84_2073:
	s_delay_alu instid0(SALU_CYCLE_1)
	s_and_not1_b32 vcc_lo, exec_lo, s20
	s_cbranch_vccnz .LBB84_2684
; %bb.2074:
	s_wait_loadcnt 0x0
	v_cvt_f32_f16_e32 v1, v1
	s_mov_b32 s15, exec_lo
	s_delay_alu instid0(VALU_DEP_1) | instskip(SKIP_1) | instid1(VALU_DEP_1)
	v_mul_f32_e32 v1, s11, v1
	s_wait_xcnt 0x0
	v_cmpx_nlt_f32_e32 s2, v1
	s_cbranch_execz .LBB84_2076
; %bb.2075:
	v_mul_f32_e32 v3, 0x3fb8aa3b, v1
	v_cmp_ngt_f32_e32 vcc_lo, 0xc2ce8ed0, v1
	s_delay_alu instid0(VALU_DEP_2) | instskip(SKIP_1) | instid1(VALU_DEP_2)
	v_rndne_f32_e32 v4, v3
	v_fma_f32 v5, 0x3fb8aa3b, v1, -v3
	v_sub_f32_e32 v3, v3, v4
	s_delay_alu instid0(VALU_DEP_2) | instskip(SKIP_1) | instid1(VALU_DEP_2)
	v_fmamk_f32 v5, v1, 0x32a5705f, v5
	v_cvt_i32_f32_e32 v4, v4
	v_add_f32_e32 v3, v3, v5
	s_delay_alu instid0(VALU_DEP_1) | instskip(SKIP_1) | instid1(TRANS32_DEP_1)
	v_exp_f32_e32 v3, v3
	v_nop
	v_ldexp_f32 v3, v3, v4
	v_cvt_f32_f16_e32 v4, v8
	s_delay_alu instid0(VALU_DEP_2) | instskip(SKIP_1) | instid1(VALU_DEP_2)
	v_cndmask_b32_e32 v3, 0, v3, vcc_lo
	v_cmp_nlt_f32_e32 vcc_lo, 0x42b17218, v1
	v_cndmask_b32_e32 v1, 0x7f800000, v3, vcc_lo
	s_delay_alu instid0(VALU_DEP_1) | instskip(NEXT) | instid1(VALU_DEP_1)
	v_dual_mul_f32 v3, v1, v4 :: v_dual_add_f32 v1, 1.0, v1
	v_div_scale_f32 v4, null, v1, v1, v3
	s_delay_alu instid0(VALU_DEP_1) | instskip(SKIP_1) | instid1(TRANS32_DEP_1)
	v_rcp_f32_e32 v5, v4
	v_nop
	v_fma_f32 v8, -v4, v5, 1.0
	s_delay_alu instid0(VALU_DEP_1) | instskip(SKIP_1) | instid1(VALU_DEP_1)
	v_fmac_f32_e32 v5, v8, v5
	v_div_scale_f32 v8, vcc_lo, v3, v1, v3
	v_mul_f32_e32 v9, v8, v5
	s_delay_alu instid0(VALU_DEP_1) | instskip(NEXT) | instid1(VALU_DEP_1)
	v_fma_f32 v10, -v4, v9, v8
	v_fmac_f32_e32 v9, v10, v5
	s_delay_alu instid0(VALU_DEP_1) | instskip(NEXT) | instid1(VALU_DEP_1)
	v_fma_f32 v4, -v4, v9, v8
	v_div_fmas_f32 v4, v4, v5, v9
	s_delay_alu instid0(VALU_DEP_1) | instskip(NEXT) | instid1(VALU_DEP_1)
	v_div_fixup_f32 v1, v4, v1, v3
	v_cvt_f16_f32_e32 v8, v1
.LBB84_2076:
	s_or_b32 exec_lo, exec_lo, s15
	v_add_nc_u32_e32 v0, s9, v0
	s_cmp_lt_i32 s0, 11
	s_delay_alu instid0(VALU_DEP_1) | instskip(NEXT) | instid1(VALU_DEP_1)
	v_ashrrev_i32_e32 v1, 31, v0
	v_add_nc_u64_e32 v[4:5], s[6:7], v[0:1]
	s_cbranch_scc1 .LBB84_2083
; %bb.2077:
	s_and_b32 s15, 0xffff, s0
	s_mov_b32 s19, 0
	s_cmp_gt_i32 s15, 25
	s_cbranch_scc0 .LBB84_2084
; %bb.2078:
	s_cmp_gt_i32 s15, 28
	s_cbranch_scc0 .LBB84_2085
; %bb.2079:
	;; [unrolled: 3-line block ×4, first 2 shown]
	s_cmp_eq_u32 s15, 46
	s_mov_b32 s21, 0
	s_cbranch_scc0 .LBB84_2089
; %bb.2082:
	global_load_b32 v1, v[4:5], off
	s_mov_b32 s18, 0
	s_mov_b32 s20, -1
	s_wait_loadcnt 0x0
	v_lshlrev_b32_e32 v1, 16, v1
	s_delay_alu instid0(VALU_DEP_1)
	v_cvt_f16_f32_e32 v9, v1
	s_branch .LBB84_2091
.LBB84_2083:
	s_mov_b32 s15, -1
	s_mov_b32 s20, 0
                                        ; implicit-def: $vgpr9
	s_branch .LBB84_2157
.LBB84_2084:
	s_mov_b32 s21, -1
	s_mov_b32 s20, 0
	s_mov_b32 s18, 0
                                        ; implicit-def: $vgpr9
	s_branch .LBB84_2120
.LBB84_2085:
	s_mov_b32 s21, -1
	s_mov_b32 s20, 0
	s_mov_b32 s18, 0
                                        ; implicit-def: $vgpr9
	s_branch .LBB84_2101
.LBB84_2086:
	s_mov_b32 s21, -1
	s_mov_b32 s20, 0
	s_mov_b32 s18, 0
                                        ; implicit-def: $vgpr9
	s_branch .LBB84_2096
.LBB84_2087:
	s_or_b32 s14, s14, exec_lo
	s_trap 2
	s_cbranch_execz .LBB84_2022
	s_branch .LBB84_2023
.LBB84_2088:
	s_mov_b32 s21, -1
	s_mov_b32 s20, 0
	s_mov_b32 s18, 0
	s_branch .LBB84_2090
.LBB84_2089:
	s_mov_b32 s18, -1
	s_mov_b32 s20, 0
.LBB84_2090:
                                        ; implicit-def: $vgpr9
.LBB84_2091:
	s_and_b32 vcc_lo, exec_lo, s21
	s_cbranch_vccz .LBB84_2095
; %bb.2092:
	s_cmp_eq_u32 s15, 44
	s_cbranch_scc0 .LBB84_2094
; %bb.2093:
	global_load_u8 v1, v[4:5], off
	s_mov_b32 s18, 0
	s_mov_b32 s20, -1
	s_wait_loadcnt 0x0
	v_lshlrev_b32_e32 v3, 23, v1
	v_cmp_ne_u32_e32 vcc_lo, 0xff, v1
	s_delay_alu instid0(VALU_DEP_2) | instskip(NEXT) | instid1(VALU_DEP_1)
	v_cvt_f16_f32_e32 v3, v3
	v_cndmask_b32_e32 v3, 0x7e00, v3, vcc_lo
	v_cmp_ne_u32_e32 vcc_lo, 0, v1
	s_delay_alu instid0(VALU_DEP_2)
	v_cndmask_b32_e32 v9, 0, v3, vcc_lo
	s_branch .LBB84_2095
.LBB84_2094:
	s_mov_b32 s18, -1
                                        ; implicit-def: $vgpr9
.LBB84_2095:
	s_mov_b32 s21, 0
.LBB84_2096:
	s_delay_alu instid0(SALU_CYCLE_1)
	s_and_b32 vcc_lo, exec_lo, s21
	s_cbranch_vccz .LBB84_2100
; %bb.2097:
	s_cmp_eq_u32 s15, 29
	s_cbranch_scc0 .LBB84_2099
; %bb.2098:
	global_load_b64 v[10:11], v[4:5], off
	s_mov_b32 s18, 0
	s_mov_b32 s20, -1
	s_mov_b32 s21, 0
	s_wait_loadcnt 0x0
	v_clz_i32_u32_e32 v1, v11
	s_delay_alu instid0(VALU_DEP_1) | instskip(NEXT) | instid1(VALU_DEP_1)
	v_min_u32_e32 v1, 32, v1
	v_lshlrev_b64_e32 v[10:11], v1, v[10:11]
	v_sub_nc_u32_e32 v1, 32, v1
	s_delay_alu instid0(VALU_DEP_2) | instskip(NEXT) | instid1(VALU_DEP_1)
	v_min_u32_e32 v3, 1, v10
	v_or_b32_e32 v3, v11, v3
	s_delay_alu instid0(VALU_DEP_1) | instskip(NEXT) | instid1(VALU_DEP_1)
	v_cvt_f32_u32_e32 v3, v3
	v_ldexp_f32 v1, v3, v1
	s_delay_alu instid0(VALU_DEP_1)
	v_cvt_f16_f32_e32 v9, v1
	s_branch .LBB84_2101
.LBB84_2099:
	s_mov_b32 s18, -1
                                        ; implicit-def: $vgpr9
.LBB84_2100:
	s_mov_b32 s21, 0
.LBB84_2101:
	s_delay_alu instid0(SALU_CYCLE_1)
	s_and_b32 vcc_lo, exec_lo, s21
	s_cbranch_vccz .LBB84_2119
; %bb.2102:
	s_cmp_lt_i32 s15, 27
	s_cbranch_scc1 .LBB84_2105
; %bb.2103:
	s_cmp_gt_i32 s15, 27
	s_cbranch_scc0 .LBB84_2106
; %bb.2104:
	global_load_b32 v1, v[4:5], off
	s_mov_b32 s20, 0
	s_wait_loadcnt 0x0
	v_cvt_f32_u32_e32 v1, v1
	s_delay_alu instid0(VALU_DEP_1)
	v_cvt_f16_f32_e32 v9, v1
	s_branch .LBB84_2107
.LBB84_2105:
	s_mov_b32 s20, -1
                                        ; implicit-def: $vgpr9
	s_branch .LBB84_2110
.LBB84_2106:
	s_mov_b32 s20, -1
                                        ; implicit-def: $vgpr9
.LBB84_2107:
	s_delay_alu instid0(SALU_CYCLE_1)
	s_and_not1_b32 vcc_lo, exec_lo, s20
	s_cbranch_vccnz .LBB84_2109
; %bb.2108:
	global_load_u16 v1, v[4:5], off
	s_wait_loadcnt 0x0
	v_cvt_f16_u16_e32 v9, v1
.LBB84_2109:
	s_mov_b32 s20, 0
.LBB84_2110:
	s_delay_alu instid0(SALU_CYCLE_1)
	s_and_not1_b32 vcc_lo, exec_lo, s20
	s_cbranch_vccnz .LBB84_2118
; %bb.2111:
	global_load_u8 v1, v[4:5], off
	s_mov_b32 s20, 0
	s_mov_b32 s21, exec_lo
	s_wait_loadcnt 0x0
	v_cmpx_lt_i16_e32 0x7f, v1
	s_xor_b32 s21, exec_lo, s21
	s_cbranch_execz .LBB84_2132
; %bb.2112:
	s_mov_b32 s20, -1
	s_mov_b32 s22, exec_lo
	v_cmpx_eq_u16_e32 0x80, v1
; %bb.2113:
	s_xor_b32 s20, exec_lo, -1
; %bb.2114:
	s_or_b32 exec_lo, exec_lo, s22
	s_delay_alu instid0(SALU_CYCLE_1)
	s_and_b32 s20, s20, exec_lo
	s_or_saveexec_b32 s21, s21
	v_mov_b32_e32 v9, 0x7e00
	s_xor_b32 exec_lo, exec_lo, s21
	s_cbranch_execnz .LBB84_2133
.LBB84_2115:
	s_or_b32 exec_lo, exec_lo, s21
	s_and_saveexec_b32 s21, s20
	s_cbranch_execz .LBB84_2117
.LBB84_2116:
	v_and_b32_e32 v3, 0xffff, v1
	s_delay_alu instid0(VALU_DEP_1) | instskip(SKIP_1) | instid1(VALU_DEP_2)
	v_and_b32_e32 v9, 7, v3
	v_bfe_u32 v12, v3, 3, 4
	v_clz_i32_u32_e32 v10, v9
	s_delay_alu instid0(VALU_DEP_2) | instskip(NEXT) | instid1(VALU_DEP_2)
	v_cmp_eq_u32_e32 vcc_lo, 0, v12
	v_min_u32_e32 v10, 32, v10
	s_delay_alu instid0(VALU_DEP_1) | instskip(NEXT) | instid1(VALU_DEP_1)
	v_subrev_nc_u32_e32 v11, 28, v10
	v_dual_lshlrev_b32 v3, v11, v3 :: v_dual_sub_nc_u32 v10, 29, v10
	s_delay_alu instid0(VALU_DEP_1) | instskip(NEXT) | instid1(VALU_DEP_1)
	v_dual_lshlrev_b32 v1, 24, v1 :: v_dual_bitop2_b32 v3, 7, v3 bitop3:0x40
	v_dual_cndmask_b32 v10, v12, v10 :: v_dual_cndmask_b32 v3, v9, v3
	s_delay_alu instid0(VALU_DEP_2) | instskip(NEXT) | instid1(VALU_DEP_2)
	v_and_b32_e32 v1, 0x80000000, v1
	v_lshl_add_u32 v9, v10, 23, 0x3b800000
	s_delay_alu instid0(VALU_DEP_3) | instskip(NEXT) | instid1(VALU_DEP_1)
	v_lshlrev_b32_e32 v3, 20, v3
	v_or3_b32 v1, v1, v9, v3
	s_delay_alu instid0(VALU_DEP_1)
	v_cvt_f16_f32_e32 v9, v1
.LBB84_2117:
	s_or_b32 exec_lo, exec_lo, s21
.LBB84_2118:
	s_mov_b32 s20, -1
.LBB84_2119:
	s_mov_b32 s21, 0
.LBB84_2120:
	s_delay_alu instid0(SALU_CYCLE_1)
	s_and_b32 vcc_lo, exec_lo, s21
	s_cbranch_vccz .LBB84_2153
; %bb.2121:
	s_cmp_gt_i32 s15, 22
	s_cbranch_scc0 .LBB84_2131
; %bb.2122:
	s_cmp_lt_i32 s15, 24
	s_cbranch_scc1 .LBB84_2134
; %bb.2123:
	s_cmp_gt_i32 s15, 24
	s_cbranch_scc0 .LBB84_2135
; %bb.2124:
	global_load_u8 v1, v[4:5], off
	s_mov_b32 s20, exec_lo
	s_wait_loadcnt 0x0
	v_cmpx_lt_i16_e32 0x7f, v1
	s_xor_b32 s20, exec_lo, s20
	s_cbranch_execz .LBB84_2147
; %bb.2125:
	s_mov_b32 s19, -1
	s_mov_b32 s21, exec_lo
	v_cmpx_eq_u16_e32 0x80, v1
; %bb.2126:
	s_xor_b32 s19, exec_lo, -1
; %bb.2127:
	s_or_b32 exec_lo, exec_lo, s21
	s_delay_alu instid0(SALU_CYCLE_1)
	s_and_b32 s19, s19, exec_lo
	s_or_saveexec_b32 s20, s20
	v_mov_b32_e32 v9, 0x7e00
	s_xor_b32 exec_lo, exec_lo, s20
	s_cbranch_execnz .LBB84_2148
.LBB84_2128:
	s_or_b32 exec_lo, exec_lo, s20
	s_and_saveexec_b32 s20, s19
	s_cbranch_execz .LBB84_2130
.LBB84_2129:
	v_and_b32_e32 v3, 0xffff, v1
	s_delay_alu instid0(VALU_DEP_1) | instskip(SKIP_1) | instid1(VALU_DEP_2)
	v_and_b32_e32 v9, 3, v3
	v_bfe_u32 v12, v3, 2, 5
	v_clz_i32_u32_e32 v10, v9
	s_delay_alu instid0(VALU_DEP_2) | instskip(NEXT) | instid1(VALU_DEP_2)
	v_cmp_eq_u32_e32 vcc_lo, 0, v12
	v_min_u32_e32 v10, 32, v10
	s_delay_alu instid0(VALU_DEP_1) | instskip(NEXT) | instid1(VALU_DEP_1)
	v_subrev_nc_u32_e32 v11, 29, v10
	v_dual_lshlrev_b32 v3, v11, v3 :: v_dual_sub_nc_u32 v10, 30, v10
	s_delay_alu instid0(VALU_DEP_1) | instskip(NEXT) | instid1(VALU_DEP_1)
	v_dual_lshlrev_b32 v1, 24, v1 :: v_dual_bitop2_b32 v3, 3, v3 bitop3:0x40
	v_dual_cndmask_b32 v10, v12, v10 :: v_dual_cndmask_b32 v3, v9, v3
	s_delay_alu instid0(VALU_DEP_2) | instskip(NEXT) | instid1(VALU_DEP_2)
	v_and_b32_e32 v1, 0x80000000, v1
	v_lshl_add_u32 v9, v10, 23, 0x37800000
	s_delay_alu instid0(VALU_DEP_3) | instskip(NEXT) | instid1(VALU_DEP_1)
	v_lshlrev_b32_e32 v3, 21, v3
	v_or3_b32 v1, v1, v9, v3
	s_delay_alu instid0(VALU_DEP_1)
	v_cvt_f16_f32_e32 v9, v1
.LBB84_2130:
	s_or_b32 exec_lo, exec_lo, s20
	s_mov_b32 s19, 0
	s_branch .LBB84_2136
.LBB84_2131:
	s_mov_b32 s19, -1
                                        ; implicit-def: $vgpr9
	s_branch .LBB84_2142
.LBB84_2132:
	s_or_saveexec_b32 s21, s21
	v_mov_b32_e32 v9, 0x7e00
	s_xor_b32 exec_lo, exec_lo, s21
	s_cbranch_execz .LBB84_2115
.LBB84_2133:
	v_cmp_ne_u16_e32 vcc_lo, 0, v1
	v_mov_b32_e32 v9, v1
	s_and_not1_b32 s20, s20, exec_lo
	s_and_b32 s22, vcc_lo, exec_lo
	s_delay_alu instid0(SALU_CYCLE_1)
	s_or_b32 s20, s20, s22
	s_or_b32 exec_lo, exec_lo, s21
	s_and_saveexec_b32 s21, s20
	s_cbranch_execnz .LBB84_2116
	s_branch .LBB84_2117
.LBB84_2134:
	s_mov_b32 s19, -1
                                        ; implicit-def: $vgpr9
	s_branch .LBB84_2139
.LBB84_2135:
	s_mov_b32 s19, -1
                                        ; implicit-def: $vgpr9
.LBB84_2136:
	s_delay_alu instid0(SALU_CYCLE_1)
	s_and_b32 vcc_lo, exec_lo, s19
	s_cbranch_vccz .LBB84_2138
; %bb.2137:
	global_load_u8 v1, v[4:5], off
	s_wait_loadcnt 0x0
	v_lshlrev_b32_e32 v1, 24, v1
	s_delay_alu instid0(VALU_DEP_1) | instskip(NEXT) | instid1(VALU_DEP_1)
	v_and_b32_e32 v3, 0x7f000000, v1
	v_clz_i32_u32_e32 v9, v3
	v_add_nc_u32_e32 v11, 0x1000000, v3
	v_cmp_ne_u32_e32 vcc_lo, 0, v3
	s_delay_alu instid0(VALU_DEP_3) | instskip(NEXT) | instid1(VALU_DEP_1)
	v_min_u32_e32 v9, 32, v9
	v_sub_nc_u32_e64 v9, v9, 4 clamp
	s_delay_alu instid0(VALU_DEP_1) | instskip(NEXT) | instid1(VALU_DEP_1)
	v_dual_lshlrev_b32 v10, v9, v3 :: v_dual_lshlrev_b32 v9, 23, v9
	v_lshrrev_b32_e32 v10, 4, v10
	s_delay_alu instid0(VALU_DEP_1) | instskip(NEXT) | instid1(VALU_DEP_1)
	v_dual_sub_nc_u32 v9, v10, v9 :: v_dual_ashrrev_i32 v10, 8, v11
	v_add_nc_u32_e32 v9, 0x3c000000, v9
	s_delay_alu instid0(VALU_DEP_1) | instskip(NEXT) | instid1(VALU_DEP_1)
	v_and_or_b32 v9, 0x7f800000, v10, v9
	v_cndmask_b32_e32 v3, 0, v9, vcc_lo
	s_delay_alu instid0(VALU_DEP_1) | instskip(NEXT) | instid1(VALU_DEP_1)
	v_and_or_b32 v1, 0x80000000, v1, v3
	v_cvt_f16_f32_e32 v9, v1
.LBB84_2138:
	s_mov_b32 s19, 0
.LBB84_2139:
	s_delay_alu instid0(SALU_CYCLE_1)
	s_and_not1_b32 vcc_lo, exec_lo, s19
	s_cbranch_vccnz .LBB84_2141
; %bb.2140:
	global_load_u8 v1, v[4:5], off
	s_wait_loadcnt 0x0
	v_lshlrev_b32_e32 v3, 25, v1
	v_lshlrev_b16 v1, 8, v1
	s_delay_alu instid0(VALU_DEP_1) | instskip(SKIP_1) | instid1(VALU_DEP_2)
	v_and_or_b32 v10, 0x7f00, v1, 0.5
	v_bfe_i32 v1, v1, 0, 16
	v_dual_add_f32 v10, -0.5, v10 :: v_dual_lshrrev_b32 v9, 4, v3
	v_cmp_gt_u32_e32 vcc_lo, 0x8000000, v3
	s_delay_alu instid0(VALU_DEP_2) | instskip(NEXT) | instid1(VALU_DEP_1)
	v_or_b32_e32 v9, 0x70000000, v9
	v_mul_f32_e32 v9, 0x7800000, v9
	s_delay_alu instid0(VALU_DEP_1) | instskip(NEXT) | instid1(VALU_DEP_1)
	v_cndmask_b32_e32 v3, v9, v10, vcc_lo
	v_and_or_b32 v1, 0x80000000, v1, v3
	s_delay_alu instid0(VALU_DEP_1)
	v_cvt_f16_f32_e32 v9, v1
.LBB84_2141:
	s_mov_b32 s19, 0
	s_mov_b32 s20, -1
.LBB84_2142:
	s_and_not1_b32 vcc_lo, exec_lo, s19
	s_mov_b32 s19, 0
	s_cbranch_vccnz .LBB84_2153
; %bb.2143:
	s_cmp_gt_i32 s15, 14
	s_cbranch_scc0 .LBB84_2146
; %bb.2144:
	s_cmp_eq_u32 s15, 15
	s_cbranch_scc0 .LBB84_2149
; %bb.2145:
	global_load_u16 v1, v[4:5], off
	s_mov_b32 s18, 0
	s_mov_b32 s20, -1
	s_wait_loadcnt 0x0
	v_lshlrev_b32_e32 v1, 16, v1
	s_delay_alu instid0(VALU_DEP_1)
	v_cvt_f16_f32_e32 v9, v1
	s_branch .LBB84_2151
.LBB84_2146:
	s_mov_b32 s19, -1
	s_branch .LBB84_2150
.LBB84_2147:
	s_or_saveexec_b32 s20, s20
	v_mov_b32_e32 v9, 0x7e00
	s_xor_b32 exec_lo, exec_lo, s20
	s_cbranch_execz .LBB84_2128
.LBB84_2148:
	v_cmp_ne_u16_e32 vcc_lo, 0, v1
	v_mov_b32_e32 v9, v1
	s_and_not1_b32 s19, s19, exec_lo
	s_and_b32 s21, vcc_lo, exec_lo
	s_delay_alu instid0(SALU_CYCLE_1)
	s_or_b32 s19, s19, s21
	s_or_b32 exec_lo, exec_lo, s20
	s_and_saveexec_b32 s20, s19
	s_cbranch_execnz .LBB84_2129
	s_branch .LBB84_2130
.LBB84_2149:
	s_mov_b32 s18, -1
.LBB84_2150:
                                        ; implicit-def: $vgpr9
.LBB84_2151:
	s_and_b32 vcc_lo, exec_lo, s19
	s_mov_b32 s19, 0
	s_cbranch_vccz .LBB84_2153
; %bb.2152:
	s_cmp_lg_u32 s15, 11
	s_mov_b32 s19, -1
	s_cselect_b32 s18, -1, 0
.LBB84_2153:
	s_delay_alu instid0(SALU_CYCLE_1)
	s_and_b32 vcc_lo, exec_lo, s18
	s_cbranch_vccnz .LBB84_2218
; %bb.2154:
	s_and_not1_b32 vcc_lo, exec_lo, s19
	s_cbranch_vccnz .LBB84_2156
.LBB84_2155:
	global_load_u8 v1, v[4:5], off
	s_mov_b32 s20, -1
	s_wait_loadcnt 0x0
	v_cmp_ne_u16_e32 vcc_lo, 0, v1
	v_cndmask_b32_e64 v9, 0, 0x3c00, vcc_lo
.LBB84_2156:
	s_mov_b32 s15, 0
.LBB84_2157:
	s_delay_alu instid0(SALU_CYCLE_1)
	s_and_b32 vcc_lo, exec_lo, s15
	s_cbranch_vccz .LBB84_2206
; %bb.2158:
	s_and_b32 s15, 0xffff, s0
	s_delay_alu instid0(SALU_CYCLE_1)
	s_cmp_lt_i32 s15, 5
	s_cbranch_scc1 .LBB84_2163
; %bb.2159:
	s_cmp_lt_i32 s15, 8
	s_cbranch_scc1 .LBB84_2164
; %bb.2160:
	;; [unrolled: 3-line block ×3, first 2 shown]
	s_cmp_gt_i32 s15, 9
	s_cbranch_scc0 .LBB84_2166
; %bb.2162:
	global_load_b64 v[10:11], v[4:5], off
	s_mov_b32 s18, 0
	s_wait_loadcnt 0x0
	v_and_or_b32 v1, 0x1ff, v11, v10
	v_lshrrev_b32_e32 v3, 8, v11
	v_bfe_u32 v9, v11, 20, 11
	s_delay_alu instid0(VALU_DEP_3) | instskip(NEXT) | instid1(VALU_DEP_2)
	v_cmp_ne_u32_e32 vcc_lo, 0, v1
	v_sub_nc_u32_e32 v10, 0x3f1, v9
	v_add_nc_u32_e32 v9, 0xfffffc10, v9
	v_cndmask_b32_e64 v1, 0, 1, vcc_lo
	s_delay_alu instid0(VALU_DEP_1) | instskip(NEXT) | instid1(VALU_DEP_4)
	v_and_or_b32 v1, 0xffe, v3, v1
	v_med3_i32 v3, v10, 0, 13
	s_delay_alu instid0(VALU_DEP_2) | instskip(NEXT) | instid1(VALU_DEP_1)
	v_or_b32_e32 v10, 0x1000, v1
	v_lshrrev_b32_e32 v12, v3, v10
	s_delay_alu instid0(VALU_DEP_1) | instskip(NEXT) | instid1(VALU_DEP_1)
	v_lshlrev_b32_e32 v3, v3, v12
	v_cmp_ne_u32_e32 vcc_lo, v3, v10
	v_lshl_or_b32 v10, v9, 12, v1
	v_cndmask_b32_e64 v3, 0, 1, vcc_lo
	v_cmp_gt_i32_e32 vcc_lo, 1, v9
	s_delay_alu instid0(VALU_DEP_2) | instskip(NEXT) | instid1(VALU_DEP_1)
	v_or_b32_e32 v3, v12, v3
	v_cndmask_b32_e32 v3, v10, v3, vcc_lo
	s_delay_alu instid0(VALU_DEP_1) | instskip(NEXT) | instid1(VALU_DEP_1)
	v_dual_lshrrev_b32 v3, 2, v3 :: v_dual_bitop2_b32 v10, 7, v3 bitop3:0x40
	v_cmp_lt_i32_e32 vcc_lo, 5, v10
	v_cndmask_b32_e64 v12, 0, 1, vcc_lo
	v_cmp_eq_u32_e32 vcc_lo, 3, v10
	v_cndmask_b32_e64 v10, 0, 1, vcc_lo
	v_cmp_ne_u32_e32 vcc_lo, 0, v1
	s_delay_alu instid0(VALU_DEP_2) | instskip(NEXT) | instid1(VALU_DEP_1)
	v_or_b32_e32 v10, v10, v12
	v_dual_mov_b32 v12, 0x7e00 :: v_dual_add_nc_u32 v3, v3, v10
	s_delay_alu instid0(VALU_DEP_1) | instskip(SKIP_1) | instid1(VALU_DEP_3)
	v_cndmask_b32_e32 v1, 0x7c00, v12, vcc_lo
	v_cmp_gt_i32_e32 vcc_lo, 31, v9
	v_cndmask_b32_e32 v3, 0x7c00, v3, vcc_lo
	v_cmp_eq_u32_e32 vcc_lo, 0x40f, v9
	s_delay_alu instid0(VALU_DEP_2) | instskip(NEXT) | instid1(VALU_DEP_1)
	v_dual_cndmask_b32 v1, v3, v1, vcc_lo :: v_dual_lshrrev_b32 v3, 16, v11
	v_and_or_b32 v9, 0x8000, v3, v1
	s_branch .LBB84_2167
.LBB84_2163:
	s_mov_b32 s18, -1
                                        ; implicit-def: $vgpr9
	s_branch .LBB84_2185
.LBB84_2164:
	s_mov_b32 s18, -1
                                        ; implicit-def: $vgpr9
	s_branch .LBB84_2173
.LBB84_2165:
	s_mov_b32 s18, -1
                                        ; implicit-def: $vgpr9
	s_branch .LBB84_2170
.LBB84_2166:
	s_mov_b32 s18, -1
                                        ; implicit-def: $vgpr9
.LBB84_2167:
	s_delay_alu instid0(SALU_CYCLE_1)
	s_and_not1_b32 vcc_lo, exec_lo, s18
	s_cbranch_vccnz .LBB84_2169
; %bb.2168:
	global_load_b32 v1, v[4:5], off
	s_wait_loadcnt 0x0
	v_cvt_f16_f32_e32 v9, v1
.LBB84_2169:
	s_mov_b32 s18, 0
.LBB84_2170:
	s_delay_alu instid0(SALU_CYCLE_1)
	s_and_not1_b32 vcc_lo, exec_lo, s18
	s_cbranch_vccnz .LBB84_2172
; %bb.2171:
	global_load_b32 v9, v[4:5], off
.LBB84_2172:
	s_mov_b32 s18, 0
.LBB84_2173:
	s_delay_alu instid0(SALU_CYCLE_1)
	s_and_not1_b32 vcc_lo, exec_lo, s18
	s_cbranch_vccnz .LBB84_2184
; %bb.2174:
	s_cmp_lt_i32 s15, 6
	s_cbranch_scc1 .LBB84_2177
; %bb.2175:
	s_cmp_gt_i32 s15, 6
	s_cbranch_scc0 .LBB84_2178
; %bb.2176:
	global_load_b64 v[10:11], v[4:5], off
	s_mov_b32 s18, 0
	s_wait_loadcnt 0x0
	v_and_or_b32 v1, 0x1ff, v11, v10
	v_lshrrev_b32_e32 v3, 8, v11
	v_bfe_u32 v9, v11, 20, 11
	s_delay_alu instid0(VALU_DEP_3) | instskip(NEXT) | instid1(VALU_DEP_2)
	v_cmp_ne_u32_e32 vcc_lo, 0, v1
	v_sub_nc_u32_e32 v10, 0x3f1, v9
	v_add_nc_u32_e32 v9, 0xfffffc10, v9
	v_cndmask_b32_e64 v1, 0, 1, vcc_lo
	s_delay_alu instid0(VALU_DEP_1) | instskip(NEXT) | instid1(VALU_DEP_4)
	v_and_or_b32 v1, 0xffe, v3, v1
	v_med3_i32 v3, v10, 0, 13
	s_delay_alu instid0(VALU_DEP_2) | instskip(NEXT) | instid1(VALU_DEP_1)
	v_or_b32_e32 v10, 0x1000, v1
	v_lshrrev_b32_e32 v12, v3, v10
	s_delay_alu instid0(VALU_DEP_1) | instskip(NEXT) | instid1(VALU_DEP_1)
	v_lshlrev_b32_e32 v3, v3, v12
	v_cmp_ne_u32_e32 vcc_lo, v3, v10
	v_lshl_or_b32 v10, v9, 12, v1
	v_cndmask_b32_e64 v3, 0, 1, vcc_lo
	v_cmp_gt_i32_e32 vcc_lo, 1, v9
	s_delay_alu instid0(VALU_DEP_2) | instskip(NEXT) | instid1(VALU_DEP_1)
	v_or_b32_e32 v3, v12, v3
	v_cndmask_b32_e32 v3, v10, v3, vcc_lo
	s_delay_alu instid0(VALU_DEP_1) | instskip(NEXT) | instid1(VALU_DEP_1)
	v_dual_lshrrev_b32 v3, 2, v3 :: v_dual_bitop2_b32 v10, 7, v3 bitop3:0x40
	v_cmp_lt_i32_e32 vcc_lo, 5, v10
	v_cndmask_b32_e64 v12, 0, 1, vcc_lo
	v_cmp_eq_u32_e32 vcc_lo, 3, v10
	v_cndmask_b32_e64 v10, 0, 1, vcc_lo
	v_cmp_ne_u32_e32 vcc_lo, 0, v1
	s_delay_alu instid0(VALU_DEP_2) | instskip(NEXT) | instid1(VALU_DEP_1)
	v_or_b32_e32 v10, v10, v12
	v_dual_mov_b32 v12, 0x7e00 :: v_dual_add_nc_u32 v3, v3, v10
	s_delay_alu instid0(VALU_DEP_1) | instskip(SKIP_1) | instid1(VALU_DEP_3)
	v_cndmask_b32_e32 v1, 0x7c00, v12, vcc_lo
	v_cmp_gt_i32_e32 vcc_lo, 31, v9
	v_cndmask_b32_e32 v3, 0x7c00, v3, vcc_lo
	v_cmp_eq_u32_e32 vcc_lo, 0x40f, v9
	s_delay_alu instid0(VALU_DEP_2) | instskip(NEXT) | instid1(VALU_DEP_1)
	v_dual_cndmask_b32 v1, v3, v1, vcc_lo :: v_dual_lshrrev_b32 v3, 16, v11
	v_and_or_b32 v9, 0x8000, v3, v1
	s_branch .LBB84_2179
.LBB84_2177:
	s_mov_b32 s18, -1
                                        ; implicit-def: $vgpr9
	s_branch .LBB84_2182
.LBB84_2178:
	s_mov_b32 s18, -1
                                        ; implicit-def: $vgpr9
.LBB84_2179:
	s_delay_alu instid0(SALU_CYCLE_1)
	s_and_not1_b32 vcc_lo, exec_lo, s18
	s_cbranch_vccnz .LBB84_2181
; %bb.2180:
	global_load_b32 v1, v[4:5], off
	s_wait_loadcnt 0x0
	v_cvt_f16_f32_e32 v9, v1
.LBB84_2181:
	s_mov_b32 s18, 0
.LBB84_2182:
	s_delay_alu instid0(SALU_CYCLE_1)
	s_and_not1_b32 vcc_lo, exec_lo, s18
	s_cbranch_vccnz .LBB84_2184
; %bb.2183:
	s_wait_loadcnt 0x0
	global_load_u16 v9, v[4:5], off
.LBB84_2184:
	s_mov_b32 s18, 0
.LBB84_2185:
	s_delay_alu instid0(SALU_CYCLE_1)
	s_and_not1_b32 vcc_lo, exec_lo, s18
	s_cbranch_vccnz .LBB84_2205
; %bb.2186:
	s_cmp_lt_i32 s15, 2
	s_cbranch_scc1 .LBB84_2190
; %bb.2187:
	s_cmp_lt_i32 s15, 3
	s_cbranch_scc1 .LBB84_2191
; %bb.2188:
	s_cmp_gt_i32 s15, 3
	s_cbranch_scc0 .LBB84_2192
; %bb.2189:
	global_load_b64 v[10:11], v[4:5], off
	s_mov_b32 s18, 0
	s_wait_loadcnt 0x0
	v_xor_b32_e32 v1, v10, v11
	v_cls_i32_e32 v3, v11
	s_delay_alu instid0(VALU_DEP_2) | instskip(NEXT) | instid1(VALU_DEP_1)
	v_ashrrev_i32_e32 v1, 31, v1
	v_add_nc_u32_e32 v1, 32, v1
	s_delay_alu instid0(VALU_DEP_1) | instskip(NEXT) | instid1(VALU_DEP_1)
	v_add_min_u32_e64 v1, v3, -1, v1
	v_lshlrev_b64_e32 v[10:11], v1, v[10:11]
	v_sub_nc_u32_e32 v1, 32, v1
	s_delay_alu instid0(VALU_DEP_2) | instskip(NEXT) | instid1(VALU_DEP_1)
	v_min_u32_e32 v3, 1, v10
	v_or_b32_e32 v3, v11, v3
	s_delay_alu instid0(VALU_DEP_1) | instskip(NEXT) | instid1(VALU_DEP_1)
	v_cvt_f32_i32_e32 v3, v3
	v_ldexp_f32 v1, v3, v1
	s_delay_alu instid0(VALU_DEP_1)
	v_cvt_f16_f32_e32 v9, v1
	s_branch .LBB84_2193
.LBB84_2190:
	s_mov_b32 s18, -1
                                        ; implicit-def: $vgpr9
	s_branch .LBB84_2199
.LBB84_2191:
	s_mov_b32 s18, -1
                                        ; implicit-def: $vgpr9
	s_branch .LBB84_2196
.LBB84_2192:
	s_mov_b32 s18, -1
                                        ; implicit-def: $vgpr9
.LBB84_2193:
	s_delay_alu instid0(SALU_CYCLE_1)
	s_and_not1_b32 vcc_lo, exec_lo, s18
	s_cbranch_vccnz .LBB84_2195
; %bb.2194:
	global_load_b32 v1, v[4:5], off
	s_wait_loadcnt 0x0
	v_cvt_f32_i32_e32 v1, v1
	s_delay_alu instid0(VALU_DEP_1)
	v_cvt_f16_f32_e32 v9, v1
.LBB84_2195:
	s_mov_b32 s18, 0
.LBB84_2196:
	s_delay_alu instid0(SALU_CYCLE_1)
	s_and_not1_b32 vcc_lo, exec_lo, s18
	s_cbranch_vccnz .LBB84_2198
; %bb.2197:
	global_load_u16 v1, v[4:5], off
	s_wait_loadcnt 0x0
	v_cvt_f16_i16_e32 v9, v1
.LBB84_2198:
	s_mov_b32 s18, 0
.LBB84_2199:
	s_delay_alu instid0(SALU_CYCLE_1)
	s_and_not1_b32 vcc_lo, exec_lo, s18
	s_cbranch_vccnz .LBB84_2205
; %bb.2200:
	s_cmp_gt_i32 s15, 0
	s_mov_b32 s15, 0
	s_cbranch_scc0 .LBB84_2202
; %bb.2201:
	global_load_i8 v1, v[4:5], off
	s_wait_loadcnt 0x0
	v_cvt_f16_i16_e32 v9, v1
	s_branch .LBB84_2203
.LBB84_2202:
	s_mov_b32 s15, -1
                                        ; implicit-def: $vgpr9
.LBB84_2203:
	s_delay_alu instid0(SALU_CYCLE_1)
	s_and_not1_b32 vcc_lo, exec_lo, s15
	s_cbranch_vccnz .LBB84_2205
; %bb.2204:
	global_load_u8 v1, v[4:5], off
	s_wait_loadcnt 0x0
	v_cvt_f16_u16_e32 v9, v1
.LBB84_2205:
	s_mov_b32 s20, -1
.LBB84_2206:
	s_delay_alu instid0(SALU_CYCLE_1)
	s_and_not1_b32 vcc_lo, exec_lo, s20
	s_cbranch_vccnz .LBB84_2684
; %bb.2207:
	v_add_nc_u32_e32 v2, s10, v2
	s_cmp_lt_i32 s1, 11
	s_delay_alu instid0(VALU_DEP_1) | instskip(SKIP_1) | instid1(VALU_DEP_1)
	v_ashrrev_i32_e32 v3, 31, v2
	s_wait_xcnt 0x0
	v_add_nc_u64_e32 v[4:5], s[12:13], v[2:3]
	s_cbranch_scc1 .LBB84_2214
; %bb.2208:
	s_and_b32 s15, 0xffff, s1
	s_mov_b32 s19, 0
	s_cmp_gt_i32 s15, 25
	s_cbranch_scc0 .LBB84_2215
; %bb.2209:
	s_cmp_gt_i32 s15, 28
	s_cbranch_scc0 .LBB84_2216
; %bb.2210:
	;; [unrolled: 3-line block ×4, first 2 shown]
	s_cmp_eq_u32 s15, 46
	s_mov_b32 s21, 0
	s_cbranch_scc0 .LBB84_2222
; %bb.2213:
	global_load_b32 v1, v[4:5], off
	s_mov_b32 s18, 0
	s_mov_b32 s20, -1
	s_wait_loadcnt 0x0
	v_lshlrev_b32_e32 v1, 16, v1
	s_delay_alu instid0(VALU_DEP_1)
	v_cvt_f16_f32_e32 v1, v1
	s_branch .LBB84_2224
.LBB84_2214:
	s_mov_b32 s15, -1
	s_mov_b32 s20, 0
                                        ; implicit-def: $vgpr1
	s_branch .LBB84_2290
.LBB84_2215:
	s_mov_b32 s21, -1
	s_mov_b32 s20, 0
	s_mov_b32 s18, 0
                                        ; implicit-def: $vgpr1
	s_branch .LBB84_2253
.LBB84_2216:
	s_mov_b32 s21, -1
	s_mov_b32 s20, 0
	s_mov_b32 s18, 0
                                        ; implicit-def: $vgpr1
	s_branch .LBB84_2234
.LBB84_2217:
	s_mov_b32 s21, -1
	s_mov_b32 s20, 0
	s_mov_b32 s18, 0
                                        ; implicit-def: $vgpr1
	s_branch .LBB84_2229
.LBB84_2218:
	s_or_b32 s14, s14, exec_lo
	s_trap 2
	s_cbranch_execz .LBB84_2155
	s_branch .LBB84_2156
.LBB84_2219:
	s_mov_b32 s21, -1
	s_mov_b32 s20, 0
	s_mov_b32 s18, 0
	s_branch .LBB84_2223
.LBB84_2220:
	s_and_not1_saveexec_b32 s34, s34
	s_cbranch_execz .LBB84_1093
.LBB84_2221:
	v_add_f32_e64 v4, 0x42800000, |v3|
	s_and_not1_b32 s33, s33, exec_lo
	s_delay_alu instid0(VALU_DEP_1) | instskip(NEXT) | instid1(VALU_DEP_1)
	v_and_b32_e32 v4, 0xff, v4
	v_cmp_ne_u32_e32 vcc_lo, 0, v4
	s_and_b32 s35, vcc_lo, exec_lo
	s_delay_alu instid0(SALU_CYCLE_1)
	s_or_b32 s33, s33, s35
	s_or_b32 exec_lo, exec_lo, s34
	v_mov_b32_e32 v5, 0
	s_and_saveexec_b32 s34, s33
	s_cbranch_execnz .LBB84_1094
	s_branch .LBB84_1095
.LBB84_2222:
	s_mov_b32 s18, -1
	s_mov_b32 s20, 0
.LBB84_2223:
                                        ; implicit-def: $vgpr1
.LBB84_2224:
	s_and_b32 vcc_lo, exec_lo, s21
	s_cbranch_vccz .LBB84_2228
; %bb.2225:
	s_cmp_eq_u32 s15, 44
	s_cbranch_scc0 .LBB84_2227
; %bb.2226:
	global_load_u8 v1, v[4:5], off
	s_mov_b32 s18, 0
	s_mov_b32 s20, -1
	s_wait_loadcnt 0x0
	v_lshlrev_b32_e32 v3, 23, v1
	v_cmp_ne_u32_e32 vcc_lo, 0xff, v1
	s_delay_alu instid0(VALU_DEP_2) | instskip(NEXT) | instid1(VALU_DEP_1)
	v_cvt_f16_f32_e32 v3, v3
	v_cndmask_b32_e32 v3, 0x7e00, v3, vcc_lo
	v_cmp_ne_u32_e32 vcc_lo, 0, v1
	s_delay_alu instid0(VALU_DEP_2)
	v_cndmask_b32_e32 v1, 0, v3, vcc_lo
	s_branch .LBB84_2228
.LBB84_2227:
	s_mov_b32 s18, -1
                                        ; implicit-def: $vgpr1
.LBB84_2228:
	s_mov_b32 s21, 0
.LBB84_2229:
	s_delay_alu instid0(SALU_CYCLE_1)
	s_and_b32 vcc_lo, exec_lo, s21
	s_cbranch_vccz .LBB84_2233
; %bb.2230:
	s_cmp_eq_u32 s15, 29
	s_cbranch_scc0 .LBB84_2232
; %bb.2231:
	global_load_b64 v[10:11], v[4:5], off
	s_mov_b32 s18, 0
	s_mov_b32 s20, -1
	s_mov_b32 s21, 0
	s_wait_loadcnt 0x0
	v_clz_i32_u32_e32 v1, v11
	s_delay_alu instid0(VALU_DEP_1) | instskip(NEXT) | instid1(VALU_DEP_1)
	v_min_u32_e32 v1, 32, v1
	v_lshlrev_b64_e32 v[10:11], v1, v[10:11]
	v_sub_nc_u32_e32 v1, 32, v1
	s_delay_alu instid0(VALU_DEP_2) | instskip(NEXT) | instid1(VALU_DEP_1)
	v_min_u32_e32 v3, 1, v10
	v_or_b32_e32 v3, v11, v3
	s_delay_alu instid0(VALU_DEP_1) | instskip(NEXT) | instid1(VALU_DEP_1)
	v_cvt_f32_u32_e32 v3, v3
	v_ldexp_f32 v1, v3, v1
	s_delay_alu instid0(VALU_DEP_1)
	v_cvt_f16_f32_e32 v1, v1
	s_branch .LBB84_2234
.LBB84_2232:
	s_mov_b32 s18, -1
                                        ; implicit-def: $vgpr1
.LBB84_2233:
	s_mov_b32 s21, 0
.LBB84_2234:
	s_delay_alu instid0(SALU_CYCLE_1)
	s_and_b32 vcc_lo, exec_lo, s21
	s_cbranch_vccz .LBB84_2252
; %bb.2235:
	s_cmp_lt_i32 s15, 27
	s_cbranch_scc1 .LBB84_2238
; %bb.2236:
	s_cmp_gt_i32 s15, 27
	s_cbranch_scc0 .LBB84_2239
; %bb.2237:
	global_load_b32 v1, v[4:5], off
	s_mov_b32 s20, 0
	s_wait_loadcnt 0x0
	v_cvt_f32_u32_e32 v1, v1
	s_delay_alu instid0(VALU_DEP_1)
	v_cvt_f16_f32_e32 v1, v1
	s_branch .LBB84_2240
.LBB84_2238:
	s_mov_b32 s20, -1
                                        ; implicit-def: $vgpr1
	s_branch .LBB84_2243
.LBB84_2239:
	s_mov_b32 s20, -1
                                        ; implicit-def: $vgpr1
.LBB84_2240:
	s_delay_alu instid0(SALU_CYCLE_1)
	s_and_not1_b32 vcc_lo, exec_lo, s20
	s_cbranch_vccnz .LBB84_2242
; %bb.2241:
	global_load_u16 v1, v[4:5], off
	s_wait_loadcnt 0x0
	v_cvt_f16_u16_e32 v1, v1
.LBB84_2242:
	s_mov_b32 s20, 0
.LBB84_2243:
	s_delay_alu instid0(SALU_CYCLE_1)
	s_and_not1_b32 vcc_lo, exec_lo, s20
	s_cbranch_vccnz .LBB84_2251
; %bb.2244:
	global_load_u8 v3, v[4:5], off
	s_mov_b32 s20, 0
	s_mov_b32 s21, exec_lo
	s_wait_loadcnt 0x0
	v_cmpx_lt_i16_e32 0x7f, v3
	s_xor_b32 s21, exec_lo, s21
	s_cbranch_execz .LBB84_2265
; %bb.2245:
	s_mov_b32 s20, -1
	s_mov_b32 s22, exec_lo
	v_cmpx_eq_u16_e32 0x80, v3
; %bb.2246:
	s_xor_b32 s20, exec_lo, -1
; %bb.2247:
	s_or_b32 exec_lo, exec_lo, s22
	s_delay_alu instid0(SALU_CYCLE_1)
	s_and_b32 s20, s20, exec_lo
	s_or_saveexec_b32 s21, s21
	v_mov_b32_e32 v1, 0x7e00
	s_xor_b32 exec_lo, exec_lo, s21
	s_cbranch_execnz .LBB84_2266
.LBB84_2248:
	s_or_b32 exec_lo, exec_lo, s21
	s_and_saveexec_b32 s21, s20
	s_cbranch_execz .LBB84_2250
.LBB84_2249:
	v_and_b32_e32 v1, 0xffff, v3
	s_delay_alu instid0(VALU_DEP_1) | instskip(SKIP_1) | instid1(VALU_DEP_2)
	v_and_b32_e32 v10, 7, v1
	v_bfe_u32 v13, v1, 3, 4
	v_clz_i32_u32_e32 v11, v10
	s_delay_alu instid0(VALU_DEP_2) | instskip(NEXT) | instid1(VALU_DEP_2)
	v_cmp_eq_u32_e32 vcc_lo, 0, v13
	v_min_u32_e32 v11, 32, v11
	s_delay_alu instid0(VALU_DEP_1) | instskip(NEXT) | instid1(VALU_DEP_1)
	v_subrev_nc_u32_e32 v12, 28, v11
	v_dual_lshlrev_b32 v1, v12, v1 :: v_dual_sub_nc_u32 v11, 29, v11
	s_delay_alu instid0(VALU_DEP_1) | instskip(NEXT) | instid1(VALU_DEP_1)
	v_dual_lshlrev_b32 v3, 24, v3 :: v_dual_bitop2_b32 v1, 7, v1 bitop3:0x40
	v_dual_cndmask_b32 v1, v10, v1, vcc_lo :: v_dual_cndmask_b32 v11, v13, v11, vcc_lo
	s_delay_alu instid0(VALU_DEP_2) | instskip(NEXT) | instid1(VALU_DEP_2)
	v_and_b32_e32 v3, 0x80000000, v3
	v_lshlrev_b32_e32 v1, 20, v1
	s_delay_alu instid0(VALU_DEP_3) | instskip(NEXT) | instid1(VALU_DEP_1)
	v_lshl_add_u32 v10, v11, 23, 0x3b800000
	v_or3_b32 v1, v3, v10, v1
	s_delay_alu instid0(VALU_DEP_1)
	v_cvt_f16_f32_e32 v1, v1
.LBB84_2250:
	s_or_b32 exec_lo, exec_lo, s21
.LBB84_2251:
	s_mov_b32 s20, -1
.LBB84_2252:
	s_mov_b32 s21, 0
.LBB84_2253:
	s_delay_alu instid0(SALU_CYCLE_1)
	s_and_b32 vcc_lo, exec_lo, s21
	s_cbranch_vccz .LBB84_2286
; %bb.2254:
	s_cmp_gt_i32 s15, 22
	s_cbranch_scc0 .LBB84_2264
; %bb.2255:
	s_cmp_lt_i32 s15, 24
	s_cbranch_scc1 .LBB84_2267
; %bb.2256:
	s_cmp_gt_i32 s15, 24
	s_cbranch_scc0 .LBB84_2268
; %bb.2257:
	global_load_u8 v3, v[4:5], off
	s_mov_b32 s20, exec_lo
	s_wait_loadcnt 0x0
	v_cmpx_lt_i16_e32 0x7f, v3
	s_xor_b32 s20, exec_lo, s20
	s_cbranch_execz .LBB84_2280
; %bb.2258:
	s_mov_b32 s19, -1
	s_mov_b32 s21, exec_lo
	v_cmpx_eq_u16_e32 0x80, v3
; %bb.2259:
	s_xor_b32 s19, exec_lo, -1
; %bb.2260:
	s_or_b32 exec_lo, exec_lo, s21
	s_delay_alu instid0(SALU_CYCLE_1)
	s_and_b32 s19, s19, exec_lo
	s_or_saveexec_b32 s20, s20
	v_mov_b32_e32 v1, 0x7e00
	s_xor_b32 exec_lo, exec_lo, s20
	s_cbranch_execnz .LBB84_2281
.LBB84_2261:
	s_or_b32 exec_lo, exec_lo, s20
	s_and_saveexec_b32 s20, s19
	s_cbranch_execz .LBB84_2263
.LBB84_2262:
	v_and_b32_e32 v1, 0xffff, v3
	s_delay_alu instid0(VALU_DEP_1) | instskip(SKIP_1) | instid1(VALU_DEP_2)
	v_and_b32_e32 v10, 3, v1
	v_bfe_u32 v13, v1, 2, 5
	v_clz_i32_u32_e32 v11, v10
	s_delay_alu instid0(VALU_DEP_2) | instskip(NEXT) | instid1(VALU_DEP_2)
	v_cmp_eq_u32_e32 vcc_lo, 0, v13
	v_min_u32_e32 v11, 32, v11
	s_delay_alu instid0(VALU_DEP_1) | instskip(NEXT) | instid1(VALU_DEP_1)
	v_subrev_nc_u32_e32 v12, 29, v11
	v_dual_lshlrev_b32 v1, v12, v1 :: v_dual_sub_nc_u32 v11, 30, v11
	s_delay_alu instid0(VALU_DEP_1) | instskip(NEXT) | instid1(VALU_DEP_1)
	v_dual_lshlrev_b32 v3, 24, v3 :: v_dual_bitop2_b32 v1, 3, v1 bitop3:0x40
	v_dual_cndmask_b32 v1, v10, v1, vcc_lo :: v_dual_cndmask_b32 v11, v13, v11, vcc_lo
	s_delay_alu instid0(VALU_DEP_2) | instskip(NEXT) | instid1(VALU_DEP_2)
	v_and_b32_e32 v3, 0x80000000, v3
	v_lshlrev_b32_e32 v1, 21, v1
	s_delay_alu instid0(VALU_DEP_3) | instskip(NEXT) | instid1(VALU_DEP_1)
	v_lshl_add_u32 v10, v11, 23, 0x37800000
	v_or3_b32 v1, v3, v10, v1
	s_delay_alu instid0(VALU_DEP_1)
	v_cvt_f16_f32_e32 v1, v1
.LBB84_2263:
	s_or_b32 exec_lo, exec_lo, s20
	s_mov_b32 s19, 0
	s_branch .LBB84_2269
.LBB84_2264:
	s_mov_b32 s19, -1
                                        ; implicit-def: $vgpr1
	s_branch .LBB84_2275
.LBB84_2265:
	s_or_saveexec_b32 s21, s21
	v_mov_b32_e32 v1, 0x7e00
	s_xor_b32 exec_lo, exec_lo, s21
	s_cbranch_execz .LBB84_2248
.LBB84_2266:
	v_cmp_ne_u16_e32 vcc_lo, 0, v3
	v_mov_b32_e32 v1, v3
	s_and_not1_b32 s20, s20, exec_lo
	s_and_b32 s22, vcc_lo, exec_lo
	s_delay_alu instid0(SALU_CYCLE_1)
	s_or_b32 s20, s20, s22
	s_or_b32 exec_lo, exec_lo, s21
	s_and_saveexec_b32 s21, s20
	s_cbranch_execnz .LBB84_2249
	s_branch .LBB84_2250
.LBB84_2267:
	s_mov_b32 s19, -1
                                        ; implicit-def: $vgpr1
	s_branch .LBB84_2272
.LBB84_2268:
	s_mov_b32 s19, -1
                                        ; implicit-def: $vgpr1
.LBB84_2269:
	s_delay_alu instid0(SALU_CYCLE_1)
	s_and_b32 vcc_lo, exec_lo, s19
	s_cbranch_vccz .LBB84_2271
; %bb.2270:
	global_load_u8 v1, v[4:5], off
	s_wait_loadcnt 0x0
	v_lshlrev_b32_e32 v1, 24, v1
	s_delay_alu instid0(VALU_DEP_1) | instskip(NEXT) | instid1(VALU_DEP_1)
	v_and_b32_e32 v3, 0x7f000000, v1
	v_clz_i32_u32_e32 v10, v3
	v_cmp_ne_u32_e32 vcc_lo, 0, v3
	v_add_nc_u32_e32 v12, 0x1000000, v3
	s_delay_alu instid0(VALU_DEP_3) | instskip(NEXT) | instid1(VALU_DEP_1)
	v_min_u32_e32 v10, 32, v10
	v_sub_nc_u32_e64 v10, v10, 4 clamp
	s_delay_alu instid0(VALU_DEP_1) | instskip(NEXT) | instid1(VALU_DEP_1)
	v_dual_lshlrev_b32 v11, v10, v3 :: v_dual_lshlrev_b32 v10, 23, v10
	v_lshrrev_b32_e32 v11, 4, v11
	s_delay_alu instid0(VALU_DEP_1) | instskip(NEXT) | instid1(VALU_DEP_1)
	v_dual_sub_nc_u32 v10, v11, v10 :: v_dual_ashrrev_i32 v11, 8, v12
	v_add_nc_u32_e32 v10, 0x3c000000, v10
	s_delay_alu instid0(VALU_DEP_1) | instskip(NEXT) | instid1(VALU_DEP_1)
	v_and_or_b32 v10, 0x7f800000, v11, v10
	v_cndmask_b32_e32 v3, 0, v10, vcc_lo
	s_delay_alu instid0(VALU_DEP_1) | instskip(NEXT) | instid1(VALU_DEP_1)
	v_and_or_b32 v1, 0x80000000, v1, v3
	v_cvt_f16_f32_e32 v1, v1
.LBB84_2271:
	s_mov_b32 s19, 0
.LBB84_2272:
	s_delay_alu instid0(SALU_CYCLE_1)
	s_and_not1_b32 vcc_lo, exec_lo, s19
	s_cbranch_vccnz .LBB84_2274
; %bb.2273:
	global_load_u8 v1, v[4:5], off
	s_wait_loadcnt 0x0
	v_lshlrev_b32_e32 v3, 25, v1
	v_lshlrev_b16 v1, 8, v1
	s_delay_alu instid0(VALU_DEP_1) | instskip(SKIP_1) | instid1(VALU_DEP_2)
	v_and_or_b32 v11, 0x7f00, v1, 0.5
	v_bfe_i32 v1, v1, 0, 16
	v_add_f32_e32 v11, -0.5, v11
	v_lshrrev_b32_e32 v10, 4, v3
	v_cmp_gt_u32_e32 vcc_lo, 0x8000000, v3
	s_delay_alu instid0(VALU_DEP_2) | instskip(NEXT) | instid1(VALU_DEP_1)
	v_or_b32_e32 v10, 0x70000000, v10
	v_mul_f32_e32 v10, 0x7800000, v10
	s_delay_alu instid0(VALU_DEP_1) | instskip(NEXT) | instid1(VALU_DEP_1)
	v_cndmask_b32_e32 v3, v10, v11, vcc_lo
	v_and_or_b32 v1, 0x80000000, v1, v3
	s_delay_alu instid0(VALU_DEP_1)
	v_cvt_f16_f32_e32 v1, v1
.LBB84_2274:
	s_mov_b32 s19, 0
	s_mov_b32 s20, -1
.LBB84_2275:
	s_and_not1_b32 vcc_lo, exec_lo, s19
	s_mov_b32 s19, 0
	s_cbranch_vccnz .LBB84_2286
; %bb.2276:
	s_cmp_gt_i32 s15, 14
	s_cbranch_scc0 .LBB84_2279
; %bb.2277:
	s_cmp_eq_u32 s15, 15
	s_cbranch_scc0 .LBB84_2282
; %bb.2278:
	global_load_u16 v1, v[4:5], off
	s_mov_b32 s18, 0
	s_mov_b32 s20, -1
	s_wait_loadcnt 0x0
	v_lshlrev_b32_e32 v1, 16, v1
	s_delay_alu instid0(VALU_DEP_1)
	v_cvt_f16_f32_e32 v1, v1
	s_branch .LBB84_2284
.LBB84_2279:
	s_mov_b32 s19, -1
	s_branch .LBB84_2283
.LBB84_2280:
	s_or_saveexec_b32 s20, s20
	v_mov_b32_e32 v1, 0x7e00
	s_xor_b32 exec_lo, exec_lo, s20
	s_cbranch_execz .LBB84_2261
.LBB84_2281:
	v_cmp_ne_u16_e32 vcc_lo, 0, v3
	v_mov_b32_e32 v1, v3
	s_and_not1_b32 s19, s19, exec_lo
	s_and_b32 s21, vcc_lo, exec_lo
	s_delay_alu instid0(SALU_CYCLE_1)
	s_or_b32 s19, s19, s21
	s_or_b32 exec_lo, exec_lo, s20
	s_and_saveexec_b32 s20, s19
	s_cbranch_execnz .LBB84_2262
	s_branch .LBB84_2263
.LBB84_2282:
	s_mov_b32 s18, -1
.LBB84_2283:
                                        ; implicit-def: $vgpr1
.LBB84_2284:
	s_and_b32 vcc_lo, exec_lo, s19
	s_mov_b32 s19, 0
	s_cbranch_vccz .LBB84_2286
; %bb.2285:
	s_cmp_lg_u32 s15, 11
	s_mov_b32 s19, -1
	s_cselect_b32 s18, -1, 0
.LBB84_2286:
	s_delay_alu instid0(SALU_CYCLE_1)
	s_and_b32 vcc_lo, exec_lo, s18
	s_cbranch_vccnz .LBB84_2353
; %bb.2287:
	s_and_not1_b32 vcc_lo, exec_lo, s19
	s_cbranch_vccnz .LBB84_2289
.LBB84_2288:
	global_load_u8 v1, v[4:5], off
	s_mov_b32 s20, -1
	s_wait_loadcnt 0x0
	v_cmp_ne_u16_e32 vcc_lo, 0, v1
	v_cndmask_b32_e64 v1, 0, 0x3c00, vcc_lo
.LBB84_2289:
	s_mov_b32 s15, 0
.LBB84_2290:
	s_delay_alu instid0(SALU_CYCLE_1)
	s_and_b32 vcc_lo, exec_lo, s15
	s_cbranch_vccz .LBB84_2339
; %bb.2291:
	s_and_b32 s15, 0xffff, s1
	s_delay_alu instid0(SALU_CYCLE_1)
	s_cmp_lt_i32 s15, 5
	s_cbranch_scc1 .LBB84_2296
; %bb.2292:
	s_cmp_lt_i32 s15, 8
	s_cbranch_scc1 .LBB84_2297
; %bb.2293:
	;; [unrolled: 3-line block ×3, first 2 shown]
	s_cmp_gt_i32 s15, 9
	s_cbranch_scc0 .LBB84_2299
; %bb.2295:
	global_load_b64 v[10:11], v[4:5], off
	s_mov_b32 s18, 0
	s_wait_loadcnt 0x0
	v_and_or_b32 v1, 0x1ff, v11, v10
	v_lshrrev_b32_e32 v3, 8, v11
	v_bfe_u32 v10, v11, 20, 11
	s_delay_alu instid0(VALU_DEP_3) | instskip(NEXT) | instid1(VALU_DEP_2)
	v_cmp_ne_u32_e32 vcc_lo, 0, v1
	v_sub_nc_u32_e32 v12, 0x3f1, v10
	v_add_nc_u32_e32 v10, 0xfffffc10, v10
	v_cndmask_b32_e64 v1, 0, 1, vcc_lo
	s_delay_alu instid0(VALU_DEP_1) | instskip(NEXT) | instid1(VALU_DEP_4)
	v_and_or_b32 v1, 0xffe, v3, v1
	v_med3_i32 v3, v12, 0, 13
	s_delay_alu instid0(VALU_DEP_2) | instskip(NEXT) | instid1(VALU_DEP_1)
	v_or_b32_e32 v12, 0x1000, v1
	v_lshrrev_b32_e32 v13, v3, v12
	s_delay_alu instid0(VALU_DEP_1) | instskip(NEXT) | instid1(VALU_DEP_1)
	v_lshlrev_b32_e32 v3, v3, v13
	v_cmp_ne_u32_e32 vcc_lo, v3, v12
	v_lshl_or_b32 v12, v10, 12, v1
	v_cndmask_b32_e64 v3, 0, 1, vcc_lo
	v_cmp_gt_i32_e32 vcc_lo, 1, v10
	s_delay_alu instid0(VALU_DEP_2) | instskip(NEXT) | instid1(VALU_DEP_1)
	v_or_b32_e32 v3, v13, v3
	v_cndmask_b32_e32 v3, v12, v3, vcc_lo
	s_delay_alu instid0(VALU_DEP_1) | instskip(NEXT) | instid1(VALU_DEP_1)
	v_dual_lshrrev_b32 v3, 2, v3 :: v_dual_bitop2_b32 v12, 7, v3 bitop3:0x40
	v_cmp_lt_i32_e32 vcc_lo, 5, v12
	v_cndmask_b32_e64 v13, 0, 1, vcc_lo
	v_cmp_eq_u32_e32 vcc_lo, 3, v12
	v_cndmask_b32_e64 v12, 0, 1, vcc_lo
	v_cmp_ne_u32_e32 vcc_lo, 0, v1
	s_delay_alu instid0(VALU_DEP_2) | instskip(SKIP_1) | instid1(VALU_DEP_2)
	v_or_b32_e32 v12, v12, v13
	v_mov_b32_e32 v13, 0x7e00
	v_add_nc_u32_e32 v3, v3, v12
	s_delay_alu instid0(VALU_DEP_2) | instskip(SKIP_1) | instid1(VALU_DEP_3)
	v_cndmask_b32_e32 v1, 0x7c00, v13, vcc_lo
	v_cmp_gt_i32_e32 vcc_lo, 31, v10
	v_cndmask_b32_e32 v3, 0x7c00, v3, vcc_lo
	v_cmp_eq_u32_e32 vcc_lo, 0x40f, v10
	s_delay_alu instid0(VALU_DEP_2) | instskip(NEXT) | instid1(VALU_DEP_1)
	v_dual_cndmask_b32 v1, v3, v1, vcc_lo :: v_dual_lshrrev_b32 v3, 16, v11
	v_and_or_b32 v1, 0x8000, v3, v1
	s_branch .LBB84_2300
.LBB84_2296:
	s_mov_b32 s18, -1
                                        ; implicit-def: $vgpr1
	s_branch .LBB84_2318
.LBB84_2297:
	s_mov_b32 s18, -1
                                        ; implicit-def: $vgpr1
	s_branch .LBB84_2306
.LBB84_2298:
	s_mov_b32 s18, -1
                                        ; implicit-def: $vgpr1
	s_branch .LBB84_2303
.LBB84_2299:
	s_mov_b32 s18, -1
                                        ; implicit-def: $vgpr1
.LBB84_2300:
	s_delay_alu instid0(SALU_CYCLE_1)
	s_and_not1_b32 vcc_lo, exec_lo, s18
	s_cbranch_vccnz .LBB84_2302
; %bb.2301:
	global_load_b32 v1, v[4:5], off
	s_wait_loadcnt 0x0
	v_cvt_f16_f32_e32 v1, v1
.LBB84_2302:
	s_mov_b32 s18, 0
.LBB84_2303:
	s_delay_alu instid0(SALU_CYCLE_1)
	s_and_not1_b32 vcc_lo, exec_lo, s18
	s_cbranch_vccnz .LBB84_2305
; %bb.2304:
	global_load_b32 v1, v[4:5], off
.LBB84_2305:
	s_mov_b32 s18, 0
.LBB84_2306:
	s_delay_alu instid0(SALU_CYCLE_1)
	s_and_not1_b32 vcc_lo, exec_lo, s18
	s_cbranch_vccnz .LBB84_2317
; %bb.2307:
	s_cmp_lt_i32 s15, 6
	s_cbranch_scc1 .LBB84_2310
; %bb.2308:
	s_cmp_gt_i32 s15, 6
	s_cbranch_scc0 .LBB84_2311
; %bb.2309:
	global_load_b64 v[10:11], v[4:5], off
	s_mov_b32 s18, 0
	s_wait_loadcnt 0x0
	v_and_or_b32 v1, 0x1ff, v11, v10
	v_lshrrev_b32_e32 v3, 8, v11
	v_bfe_u32 v10, v11, 20, 11
	s_delay_alu instid0(VALU_DEP_3) | instskip(NEXT) | instid1(VALU_DEP_2)
	v_cmp_ne_u32_e32 vcc_lo, 0, v1
	v_sub_nc_u32_e32 v12, 0x3f1, v10
	v_add_nc_u32_e32 v10, 0xfffffc10, v10
	v_cndmask_b32_e64 v1, 0, 1, vcc_lo
	s_delay_alu instid0(VALU_DEP_1) | instskip(NEXT) | instid1(VALU_DEP_4)
	v_and_or_b32 v1, 0xffe, v3, v1
	v_med3_i32 v3, v12, 0, 13
	s_delay_alu instid0(VALU_DEP_2) | instskip(NEXT) | instid1(VALU_DEP_1)
	v_or_b32_e32 v12, 0x1000, v1
	v_lshrrev_b32_e32 v13, v3, v12
	s_delay_alu instid0(VALU_DEP_1) | instskip(NEXT) | instid1(VALU_DEP_1)
	v_lshlrev_b32_e32 v3, v3, v13
	v_cmp_ne_u32_e32 vcc_lo, v3, v12
	v_lshl_or_b32 v12, v10, 12, v1
	v_cndmask_b32_e64 v3, 0, 1, vcc_lo
	v_cmp_gt_i32_e32 vcc_lo, 1, v10
	s_delay_alu instid0(VALU_DEP_2) | instskip(NEXT) | instid1(VALU_DEP_1)
	v_or_b32_e32 v3, v13, v3
	v_cndmask_b32_e32 v3, v12, v3, vcc_lo
	s_delay_alu instid0(VALU_DEP_1) | instskip(NEXT) | instid1(VALU_DEP_1)
	v_dual_lshrrev_b32 v3, 2, v3 :: v_dual_bitop2_b32 v12, 7, v3 bitop3:0x40
	v_cmp_lt_i32_e32 vcc_lo, 5, v12
	v_cndmask_b32_e64 v13, 0, 1, vcc_lo
	v_cmp_eq_u32_e32 vcc_lo, 3, v12
	v_cndmask_b32_e64 v12, 0, 1, vcc_lo
	v_cmp_ne_u32_e32 vcc_lo, 0, v1
	s_delay_alu instid0(VALU_DEP_2) | instskip(SKIP_1) | instid1(VALU_DEP_2)
	v_or_b32_e32 v12, v12, v13
	v_mov_b32_e32 v13, 0x7e00
	v_add_nc_u32_e32 v3, v3, v12
	s_delay_alu instid0(VALU_DEP_2) | instskip(SKIP_1) | instid1(VALU_DEP_3)
	v_cndmask_b32_e32 v1, 0x7c00, v13, vcc_lo
	v_cmp_gt_i32_e32 vcc_lo, 31, v10
	v_cndmask_b32_e32 v3, 0x7c00, v3, vcc_lo
	v_cmp_eq_u32_e32 vcc_lo, 0x40f, v10
	s_delay_alu instid0(VALU_DEP_2) | instskip(NEXT) | instid1(VALU_DEP_1)
	v_dual_cndmask_b32 v1, v3, v1, vcc_lo :: v_dual_lshrrev_b32 v3, 16, v11
	v_and_or_b32 v1, 0x8000, v3, v1
	s_branch .LBB84_2312
.LBB84_2310:
	s_mov_b32 s18, -1
                                        ; implicit-def: $vgpr1
	s_branch .LBB84_2315
.LBB84_2311:
	s_mov_b32 s18, -1
                                        ; implicit-def: $vgpr1
.LBB84_2312:
	s_delay_alu instid0(SALU_CYCLE_1)
	s_and_not1_b32 vcc_lo, exec_lo, s18
	s_cbranch_vccnz .LBB84_2314
; %bb.2313:
	s_wait_loadcnt 0x0
	global_load_b32 v1, v[4:5], off
	s_wait_loadcnt 0x0
	v_cvt_f16_f32_e32 v1, v1
.LBB84_2314:
	s_mov_b32 s18, 0
.LBB84_2315:
	s_delay_alu instid0(SALU_CYCLE_1)
	s_and_not1_b32 vcc_lo, exec_lo, s18
	s_cbranch_vccnz .LBB84_2317
; %bb.2316:
	s_wait_loadcnt 0x0
	global_load_u16 v1, v[4:5], off
.LBB84_2317:
	s_mov_b32 s18, 0
.LBB84_2318:
	s_delay_alu instid0(SALU_CYCLE_1)
	s_and_not1_b32 vcc_lo, exec_lo, s18
	s_cbranch_vccnz .LBB84_2338
; %bb.2319:
	s_cmp_lt_i32 s15, 2
	s_cbranch_scc1 .LBB84_2323
; %bb.2320:
	s_cmp_lt_i32 s15, 3
	s_cbranch_scc1 .LBB84_2324
; %bb.2321:
	s_cmp_gt_i32 s15, 3
	s_cbranch_scc0 .LBB84_2325
; %bb.2322:
	global_load_b64 v[10:11], v[4:5], off
	s_mov_b32 s18, 0
	s_wait_loadcnt 0x0
	v_xor_b32_e32 v1, v10, v11
	v_cls_i32_e32 v3, v11
	s_delay_alu instid0(VALU_DEP_2) | instskip(NEXT) | instid1(VALU_DEP_1)
	v_ashrrev_i32_e32 v1, 31, v1
	v_add_nc_u32_e32 v1, 32, v1
	s_delay_alu instid0(VALU_DEP_1) | instskip(NEXT) | instid1(VALU_DEP_1)
	v_add_min_u32_e64 v1, v3, -1, v1
	v_lshlrev_b64_e32 v[10:11], v1, v[10:11]
	v_sub_nc_u32_e32 v1, 32, v1
	s_delay_alu instid0(VALU_DEP_2) | instskip(NEXT) | instid1(VALU_DEP_1)
	v_min_u32_e32 v3, 1, v10
	v_or_b32_e32 v3, v11, v3
	s_delay_alu instid0(VALU_DEP_1) | instskip(NEXT) | instid1(VALU_DEP_1)
	v_cvt_f32_i32_e32 v3, v3
	v_ldexp_f32 v1, v3, v1
	s_delay_alu instid0(VALU_DEP_1)
	v_cvt_f16_f32_e32 v1, v1
	s_branch .LBB84_2326
.LBB84_2323:
	s_mov_b32 s18, -1
                                        ; implicit-def: $vgpr1
	s_branch .LBB84_2332
.LBB84_2324:
	s_mov_b32 s18, -1
                                        ; implicit-def: $vgpr1
	s_branch .LBB84_2329
.LBB84_2325:
	s_mov_b32 s18, -1
                                        ; implicit-def: $vgpr1
.LBB84_2326:
	s_delay_alu instid0(SALU_CYCLE_1)
	s_and_not1_b32 vcc_lo, exec_lo, s18
	s_cbranch_vccnz .LBB84_2328
; %bb.2327:
	s_wait_loadcnt 0x0
	global_load_b32 v1, v[4:5], off
	s_wait_loadcnt 0x0
	v_cvt_f32_i32_e32 v1, v1
	s_delay_alu instid0(VALU_DEP_1)
	v_cvt_f16_f32_e32 v1, v1
.LBB84_2328:
	s_mov_b32 s18, 0
.LBB84_2329:
	s_delay_alu instid0(SALU_CYCLE_1)
	s_and_not1_b32 vcc_lo, exec_lo, s18
	s_cbranch_vccnz .LBB84_2331
; %bb.2330:
	s_wait_loadcnt 0x0
	global_load_u16 v1, v[4:5], off
	s_wait_loadcnt 0x0
	v_cvt_f16_i16_e32 v1, v1
.LBB84_2331:
	s_mov_b32 s18, 0
.LBB84_2332:
	s_delay_alu instid0(SALU_CYCLE_1)
	s_and_not1_b32 vcc_lo, exec_lo, s18
	s_cbranch_vccnz .LBB84_2338
; %bb.2333:
	s_cmp_gt_i32 s15, 0
	s_mov_b32 s15, 0
	s_cbranch_scc0 .LBB84_2335
; %bb.2334:
	s_wait_loadcnt 0x0
	global_load_i8 v1, v[4:5], off
	s_wait_loadcnt 0x0
	v_cvt_f16_i16_e32 v1, v1
	s_branch .LBB84_2336
.LBB84_2335:
	s_mov_b32 s15, -1
                                        ; implicit-def: $vgpr1
.LBB84_2336:
	s_delay_alu instid0(SALU_CYCLE_1)
	s_and_not1_b32 vcc_lo, exec_lo, s15
	s_cbranch_vccnz .LBB84_2338
; %bb.2337:
	s_wait_loadcnt 0x0
	global_load_u8 v1, v[4:5], off
	s_wait_loadcnt 0x0
	v_cvt_f16_u16_e32 v1, v1
.LBB84_2338:
	s_mov_b32 s20, -1
.LBB84_2339:
	s_delay_alu instid0(SALU_CYCLE_1)
	s_and_not1_b32 vcc_lo, exec_lo, s20
	s_cbranch_vccnz .LBB84_2684
; %bb.2340:
	s_wait_loadcnt 0x0
	v_cvt_f32_f16_e32 v1, v1
	s_mov_b32 s15, exec_lo
	s_delay_alu instid0(VALU_DEP_1) | instskip(SKIP_1) | instid1(VALU_DEP_1)
	v_mul_f32_e32 v1, s11, v1
	s_wait_xcnt 0x0
	v_cmpx_nlt_f32_e32 s2, v1
	s_cbranch_execz .LBB84_2342
; %bb.2341:
	v_mul_f32_e32 v3, 0x3fb8aa3b, v1
	v_cmp_ngt_f32_e32 vcc_lo, 0xc2ce8ed0, v1
	s_delay_alu instid0(VALU_DEP_2) | instskip(SKIP_1) | instid1(VALU_DEP_2)
	v_rndne_f32_e32 v4, v3
	v_fma_f32 v5, 0x3fb8aa3b, v1, -v3
	v_sub_f32_e32 v3, v3, v4
	s_delay_alu instid0(VALU_DEP_2) | instskip(SKIP_1) | instid1(VALU_DEP_2)
	v_fmamk_f32 v5, v1, 0x32a5705f, v5
	v_cvt_i32_f32_e32 v4, v4
	v_add_f32_e32 v3, v3, v5
	s_delay_alu instid0(VALU_DEP_1) | instskip(SKIP_1) | instid1(TRANS32_DEP_1)
	v_exp_f32_e32 v3, v3
	v_nop
	v_ldexp_f32 v3, v3, v4
	v_cvt_f32_f16_e32 v4, v9
	s_delay_alu instid0(VALU_DEP_2) | instskip(SKIP_1) | instid1(VALU_DEP_2)
	v_cndmask_b32_e32 v3, 0, v3, vcc_lo
	v_cmp_nlt_f32_e32 vcc_lo, 0x42b17218, v1
	v_cndmask_b32_e32 v1, 0x7f800000, v3, vcc_lo
	s_delay_alu instid0(VALU_DEP_1) | instskip(NEXT) | instid1(VALU_DEP_1)
	v_dual_mul_f32 v3, v1, v4 :: v_dual_add_f32 v1, 1.0, v1
	v_div_scale_f32 v4, null, v1, v1, v3
	s_delay_alu instid0(VALU_DEP_1) | instskip(SKIP_1) | instid1(TRANS32_DEP_1)
	v_rcp_f32_e32 v5, v4
	v_nop
	v_fma_f32 v9, -v4, v5, 1.0
	s_delay_alu instid0(VALU_DEP_1) | instskip(SKIP_1) | instid1(VALU_DEP_1)
	v_fmac_f32_e32 v5, v9, v5
	v_div_scale_f32 v9, vcc_lo, v3, v1, v3
	v_mul_f32_e32 v10, v9, v5
	s_delay_alu instid0(VALU_DEP_1) | instskip(NEXT) | instid1(VALU_DEP_1)
	v_fma_f32 v11, -v4, v10, v9
	v_fmac_f32_e32 v10, v11, v5
	s_delay_alu instid0(VALU_DEP_1) | instskip(NEXT) | instid1(VALU_DEP_1)
	v_fma_f32 v4, -v4, v10, v9
	v_div_fmas_f32 v4, v4, v5, v10
	s_delay_alu instid0(VALU_DEP_1) | instskip(NEXT) | instid1(VALU_DEP_1)
	v_div_fixup_f32 v1, v4, v1, v3
	v_cvt_f16_f32_e32 v9, v1
.LBB84_2342:
	s_or_b32 exec_lo, exec_lo, s15
	v_add_nc_u32_e32 v0, s9, v0
	s_cmp_lt_i32 s0, 11
	s_delay_alu instid0(VALU_DEP_1) | instskip(NEXT) | instid1(VALU_DEP_1)
	v_ashrrev_i32_e32 v1, 31, v0
	v_add_nc_u64_e32 v[0:1], s[6:7], v[0:1]
	s_cbranch_scc1 .LBB84_2349
; %bb.2343:
	s_and_b32 s6, 0xffff, s0
	s_mov_b32 s9, 0
	s_cmp_gt_i32 s6, 25
	s_cbranch_scc0 .LBB84_2350
; %bb.2344:
	s_cmp_gt_i32 s6, 28
	s_cbranch_scc0 .LBB84_2351
; %bb.2345:
	;; [unrolled: 3-line block ×4, first 2 shown]
	s_cmp_eq_u32 s6, 46
	s_mov_b32 s18, 0
	s_cbranch_scc0 .LBB84_2355
; %bb.2348:
	global_load_b32 v3, v[0:1], off
	s_mov_b32 s7, 0
	s_mov_b32 s15, -1
	s_wait_loadcnt 0x0
	v_lshlrev_b32_e32 v3, 16, v3
	s_delay_alu instid0(VALU_DEP_1)
	v_cvt_f16_f32_e32 v4, v3
	s_branch .LBB84_2357
.LBB84_2349:
	s_mov_b32 s6, -1
	s_mov_b32 s15, 0
                                        ; implicit-def: $vgpr4
	s_branch .LBB84_2423
.LBB84_2350:
	s_mov_b32 s18, -1
	s_mov_b32 s15, 0
	s_mov_b32 s7, 0
                                        ; implicit-def: $vgpr4
	s_branch .LBB84_2386
.LBB84_2351:
	s_mov_b32 s18, -1
	s_mov_b32 s15, 0
	s_mov_b32 s7, 0
                                        ; implicit-def: $vgpr4
	s_branch .LBB84_2367
.LBB84_2352:
	s_mov_b32 s18, -1
	s_mov_b32 s15, 0
	s_mov_b32 s7, 0
                                        ; implicit-def: $vgpr4
	s_branch .LBB84_2362
.LBB84_2353:
	s_or_b32 s14, s14, exec_lo
	s_trap 2
	s_cbranch_execz .LBB84_2288
	s_branch .LBB84_2289
.LBB84_2354:
	s_mov_b32 s18, -1
	s_mov_b32 s15, 0
	s_mov_b32 s7, 0
	s_branch .LBB84_2356
.LBB84_2355:
	s_mov_b32 s7, -1
	s_mov_b32 s15, 0
.LBB84_2356:
                                        ; implicit-def: $vgpr4
.LBB84_2357:
	s_and_b32 vcc_lo, exec_lo, s18
	s_cbranch_vccz .LBB84_2361
; %bb.2358:
	s_cmp_eq_u32 s6, 44
	s_cbranch_scc0 .LBB84_2360
; %bb.2359:
	global_load_u8 v3, v[0:1], off
	s_mov_b32 s7, 0
	s_mov_b32 s15, -1
	s_wait_loadcnt 0x0
	v_lshlrev_b32_e32 v4, 23, v3
	v_cmp_ne_u32_e32 vcc_lo, 0xff, v3
	s_delay_alu instid0(VALU_DEP_2) | instskip(NEXT) | instid1(VALU_DEP_1)
	v_cvt_f16_f32_e32 v4, v4
	v_cndmask_b32_e32 v4, 0x7e00, v4, vcc_lo
	v_cmp_ne_u32_e32 vcc_lo, 0, v3
	s_delay_alu instid0(VALU_DEP_2)
	v_cndmask_b32_e32 v4, 0, v4, vcc_lo
	s_branch .LBB84_2361
.LBB84_2360:
	s_mov_b32 s7, -1
                                        ; implicit-def: $vgpr4
.LBB84_2361:
	s_mov_b32 s18, 0
.LBB84_2362:
	s_delay_alu instid0(SALU_CYCLE_1)
	s_and_b32 vcc_lo, exec_lo, s18
	s_cbranch_vccz .LBB84_2366
; %bb.2363:
	s_cmp_eq_u32 s6, 29
	s_cbranch_scc0 .LBB84_2365
; %bb.2364:
	global_load_b64 v[4:5], v[0:1], off
	s_mov_b32 s7, 0
	s_mov_b32 s15, -1
	s_mov_b32 s18, 0
	s_wait_loadcnt 0x0
	v_clz_i32_u32_e32 v3, v5
	s_delay_alu instid0(VALU_DEP_1) | instskip(NEXT) | instid1(VALU_DEP_1)
	v_min_u32_e32 v3, 32, v3
	v_lshlrev_b64_e32 v[4:5], v3, v[4:5]
	v_sub_nc_u32_e32 v3, 32, v3
	s_delay_alu instid0(VALU_DEP_2) | instskip(NEXT) | instid1(VALU_DEP_1)
	v_min_u32_e32 v4, 1, v4
	v_or_b32_e32 v4, v5, v4
	s_delay_alu instid0(VALU_DEP_1) | instskip(NEXT) | instid1(VALU_DEP_1)
	v_cvt_f32_u32_e32 v4, v4
	v_ldexp_f32 v3, v4, v3
	s_delay_alu instid0(VALU_DEP_1)
	v_cvt_f16_f32_e32 v4, v3
	s_branch .LBB84_2367
.LBB84_2365:
	s_mov_b32 s7, -1
                                        ; implicit-def: $vgpr4
.LBB84_2366:
	s_mov_b32 s18, 0
.LBB84_2367:
	s_delay_alu instid0(SALU_CYCLE_1)
	s_and_b32 vcc_lo, exec_lo, s18
	s_cbranch_vccz .LBB84_2385
; %bb.2368:
	s_cmp_lt_i32 s6, 27
	s_cbranch_scc1 .LBB84_2371
; %bb.2369:
	s_cmp_gt_i32 s6, 27
	s_cbranch_scc0 .LBB84_2372
; %bb.2370:
	global_load_b32 v3, v[0:1], off
	s_mov_b32 s15, 0
	s_wait_loadcnt 0x0
	v_cvt_f32_u32_e32 v3, v3
	s_delay_alu instid0(VALU_DEP_1)
	v_cvt_f16_f32_e32 v4, v3
	s_branch .LBB84_2373
.LBB84_2371:
	s_mov_b32 s15, -1
                                        ; implicit-def: $vgpr4
	s_branch .LBB84_2376
.LBB84_2372:
	s_mov_b32 s15, -1
                                        ; implicit-def: $vgpr4
.LBB84_2373:
	s_delay_alu instid0(SALU_CYCLE_1)
	s_and_not1_b32 vcc_lo, exec_lo, s15
	s_cbranch_vccnz .LBB84_2375
; %bb.2374:
	global_load_u16 v3, v[0:1], off
	s_wait_loadcnt 0x0
	v_cvt_f16_u16_e32 v4, v3
.LBB84_2375:
	s_mov_b32 s15, 0
.LBB84_2376:
	s_delay_alu instid0(SALU_CYCLE_1)
	s_and_not1_b32 vcc_lo, exec_lo, s15
	s_cbranch_vccnz .LBB84_2384
; %bb.2377:
	global_load_u8 v3, v[0:1], off
	s_mov_b32 s15, 0
	s_mov_b32 s18, exec_lo
	s_wait_loadcnt 0x0
	v_cmpx_lt_i16_e32 0x7f, v3
	s_xor_b32 s18, exec_lo, s18
	s_cbranch_execz .LBB84_2398
; %bb.2378:
	s_mov_b32 s15, -1
	s_mov_b32 s19, exec_lo
	v_cmpx_eq_u16_e32 0x80, v3
; %bb.2379:
	s_xor_b32 s15, exec_lo, -1
; %bb.2380:
	s_or_b32 exec_lo, exec_lo, s19
	s_delay_alu instid0(SALU_CYCLE_1)
	s_and_b32 s15, s15, exec_lo
	s_or_saveexec_b32 s18, s18
	v_mov_b32_e32 v4, 0x7e00
	s_xor_b32 exec_lo, exec_lo, s18
	s_cbranch_execnz .LBB84_2399
.LBB84_2381:
	s_or_b32 exec_lo, exec_lo, s18
	s_and_saveexec_b32 s18, s15
	s_cbranch_execz .LBB84_2383
.LBB84_2382:
	v_and_b32_e32 v4, 0xffff, v3
	s_delay_alu instid0(VALU_DEP_1) | instskip(SKIP_1) | instid1(VALU_DEP_2)
	v_and_b32_e32 v5, 7, v4
	v_bfe_u32 v12, v4, 3, 4
	v_clz_i32_u32_e32 v10, v5
	s_delay_alu instid0(VALU_DEP_2) | instskip(NEXT) | instid1(VALU_DEP_2)
	v_cmp_eq_u32_e32 vcc_lo, 0, v12
	v_min_u32_e32 v10, 32, v10
	s_delay_alu instid0(VALU_DEP_1) | instskip(NEXT) | instid1(VALU_DEP_1)
	v_subrev_nc_u32_e32 v11, 28, v10
	v_dual_lshlrev_b32 v4, v11, v4 :: v_dual_sub_nc_u32 v10, 29, v10
	s_delay_alu instid0(VALU_DEP_1) | instskip(NEXT) | instid1(VALU_DEP_1)
	v_dual_lshlrev_b32 v3, 24, v3 :: v_dual_bitop2_b32 v4, 7, v4 bitop3:0x40
	v_dual_cndmask_b32 v10, v12, v10, vcc_lo :: v_dual_cndmask_b32 v4, v5, v4, vcc_lo
	s_delay_alu instid0(VALU_DEP_2) | instskip(NEXT) | instid1(VALU_DEP_2)
	v_and_b32_e32 v3, 0x80000000, v3
	v_lshl_add_u32 v5, v10, 23, 0x3b800000
	s_delay_alu instid0(VALU_DEP_3) | instskip(NEXT) | instid1(VALU_DEP_1)
	v_lshlrev_b32_e32 v4, 20, v4
	v_or3_b32 v3, v3, v5, v4
	s_delay_alu instid0(VALU_DEP_1)
	v_cvt_f16_f32_e32 v4, v3
.LBB84_2383:
	s_or_b32 exec_lo, exec_lo, s18
.LBB84_2384:
	s_mov_b32 s15, -1
.LBB84_2385:
	s_mov_b32 s18, 0
.LBB84_2386:
	s_delay_alu instid0(SALU_CYCLE_1)
	s_and_b32 vcc_lo, exec_lo, s18
	s_cbranch_vccz .LBB84_2419
; %bb.2387:
	s_cmp_gt_i32 s6, 22
	s_cbranch_scc0 .LBB84_2397
; %bb.2388:
	s_cmp_lt_i32 s6, 24
	s_cbranch_scc1 .LBB84_2400
; %bb.2389:
	s_cmp_gt_i32 s6, 24
	s_cbranch_scc0 .LBB84_2401
; %bb.2390:
	global_load_u8 v3, v[0:1], off
	s_mov_b32 s15, exec_lo
	s_wait_loadcnt 0x0
	v_cmpx_lt_i16_e32 0x7f, v3
	s_xor_b32 s15, exec_lo, s15
	s_cbranch_execz .LBB84_2413
; %bb.2391:
	s_mov_b32 s9, -1
	s_mov_b32 s18, exec_lo
	v_cmpx_eq_u16_e32 0x80, v3
; %bb.2392:
	s_xor_b32 s9, exec_lo, -1
; %bb.2393:
	s_or_b32 exec_lo, exec_lo, s18
	s_delay_alu instid0(SALU_CYCLE_1)
	s_and_b32 s9, s9, exec_lo
	s_or_saveexec_b32 s15, s15
	v_mov_b32_e32 v4, 0x7e00
	s_xor_b32 exec_lo, exec_lo, s15
	s_cbranch_execnz .LBB84_2414
.LBB84_2394:
	s_or_b32 exec_lo, exec_lo, s15
	s_and_saveexec_b32 s15, s9
	s_cbranch_execz .LBB84_2396
.LBB84_2395:
	v_and_b32_e32 v4, 0xffff, v3
	s_delay_alu instid0(VALU_DEP_1) | instskip(SKIP_1) | instid1(VALU_DEP_2)
	v_and_b32_e32 v5, 3, v4
	v_bfe_u32 v12, v4, 2, 5
	v_clz_i32_u32_e32 v10, v5
	s_delay_alu instid0(VALU_DEP_2) | instskip(NEXT) | instid1(VALU_DEP_2)
	v_cmp_eq_u32_e32 vcc_lo, 0, v12
	v_min_u32_e32 v10, 32, v10
	s_delay_alu instid0(VALU_DEP_1) | instskip(NEXT) | instid1(VALU_DEP_1)
	v_subrev_nc_u32_e32 v11, 29, v10
	v_dual_lshlrev_b32 v4, v11, v4 :: v_dual_sub_nc_u32 v10, 30, v10
	s_delay_alu instid0(VALU_DEP_1) | instskip(NEXT) | instid1(VALU_DEP_1)
	v_dual_lshlrev_b32 v3, 24, v3 :: v_dual_bitop2_b32 v4, 3, v4 bitop3:0x40
	v_dual_cndmask_b32 v10, v12, v10, vcc_lo :: v_dual_cndmask_b32 v4, v5, v4, vcc_lo
	s_delay_alu instid0(VALU_DEP_2) | instskip(NEXT) | instid1(VALU_DEP_2)
	v_and_b32_e32 v3, 0x80000000, v3
	v_lshl_add_u32 v5, v10, 23, 0x37800000
	s_delay_alu instid0(VALU_DEP_3) | instskip(NEXT) | instid1(VALU_DEP_1)
	v_lshlrev_b32_e32 v4, 21, v4
	v_or3_b32 v3, v3, v5, v4
	s_delay_alu instid0(VALU_DEP_1)
	v_cvt_f16_f32_e32 v4, v3
.LBB84_2396:
	s_or_b32 exec_lo, exec_lo, s15
	s_mov_b32 s9, 0
	s_branch .LBB84_2402
.LBB84_2397:
	s_mov_b32 s9, -1
                                        ; implicit-def: $vgpr4
	s_branch .LBB84_2408
.LBB84_2398:
	s_or_saveexec_b32 s18, s18
	v_mov_b32_e32 v4, 0x7e00
	s_xor_b32 exec_lo, exec_lo, s18
	s_cbranch_execz .LBB84_2381
.LBB84_2399:
	v_cmp_ne_u16_e32 vcc_lo, 0, v3
	v_mov_b32_e32 v4, v3
	s_and_not1_b32 s15, s15, exec_lo
	s_and_b32 s19, vcc_lo, exec_lo
	s_delay_alu instid0(SALU_CYCLE_1)
	s_or_b32 s15, s15, s19
	s_or_b32 exec_lo, exec_lo, s18
	s_and_saveexec_b32 s18, s15
	s_cbranch_execnz .LBB84_2382
	s_branch .LBB84_2383
.LBB84_2400:
	s_mov_b32 s9, -1
                                        ; implicit-def: $vgpr4
	s_branch .LBB84_2405
.LBB84_2401:
	s_mov_b32 s9, -1
                                        ; implicit-def: $vgpr4
.LBB84_2402:
	s_delay_alu instid0(SALU_CYCLE_1)
	s_and_b32 vcc_lo, exec_lo, s9
	s_cbranch_vccz .LBB84_2404
; %bb.2403:
	global_load_u8 v3, v[0:1], off
	s_wait_loadcnt 0x0
	v_lshlrev_b32_e32 v3, 24, v3
	s_delay_alu instid0(VALU_DEP_1) | instskip(NEXT) | instid1(VALU_DEP_1)
	v_and_b32_e32 v4, 0x7f000000, v3
	v_clz_i32_u32_e32 v5, v4
	v_cmp_ne_u32_e32 vcc_lo, 0, v4
	v_add_nc_u32_e32 v11, 0x1000000, v4
	s_delay_alu instid0(VALU_DEP_3) | instskip(NEXT) | instid1(VALU_DEP_1)
	v_min_u32_e32 v5, 32, v5
	v_sub_nc_u32_e64 v5, v5, 4 clamp
	s_delay_alu instid0(VALU_DEP_1) | instskip(NEXT) | instid1(VALU_DEP_1)
	v_dual_lshlrev_b32 v10, v5, v4 :: v_dual_lshlrev_b32 v5, 23, v5
	v_lshrrev_b32_e32 v10, 4, v10
	s_delay_alu instid0(VALU_DEP_1) | instskip(NEXT) | instid1(VALU_DEP_1)
	v_dual_sub_nc_u32 v5, v10, v5 :: v_dual_ashrrev_i32 v10, 8, v11
	v_add_nc_u32_e32 v5, 0x3c000000, v5
	s_delay_alu instid0(VALU_DEP_1) | instskip(NEXT) | instid1(VALU_DEP_1)
	v_and_or_b32 v5, 0x7f800000, v10, v5
	v_cndmask_b32_e32 v4, 0, v5, vcc_lo
	s_delay_alu instid0(VALU_DEP_1) | instskip(NEXT) | instid1(VALU_DEP_1)
	v_and_or_b32 v3, 0x80000000, v3, v4
	v_cvt_f16_f32_e32 v4, v3
.LBB84_2404:
	s_mov_b32 s9, 0
.LBB84_2405:
	s_delay_alu instid0(SALU_CYCLE_1)
	s_and_not1_b32 vcc_lo, exec_lo, s9
	s_cbranch_vccnz .LBB84_2407
; %bb.2406:
	global_load_u8 v3, v[0:1], off
	s_wait_loadcnt 0x0
	v_lshlrev_b32_e32 v4, 25, v3
	v_lshlrev_b16 v3, 8, v3
	s_delay_alu instid0(VALU_DEP_1) | instskip(SKIP_1) | instid1(VALU_DEP_2)
	v_and_or_b32 v10, 0x7f00, v3, 0.5
	v_bfe_i32 v3, v3, 0, 16
	v_dual_add_f32 v10, -0.5, v10 :: v_dual_lshrrev_b32 v5, 4, v4
	v_cmp_gt_u32_e32 vcc_lo, 0x8000000, v4
	s_delay_alu instid0(VALU_DEP_2) | instskip(NEXT) | instid1(VALU_DEP_1)
	v_or_b32_e32 v5, 0x70000000, v5
	v_mul_f32_e32 v5, 0x7800000, v5
	s_delay_alu instid0(VALU_DEP_1) | instskip(NEXT) | instid1(VALU_DEP_1)
	v_cndmask_b32_e32 v4, v5, v10, vcc_lo
	v_and_or_b32 v3, 0x80000000, v3, v4
	s_delay_alu instid0(VALU_DEP_1)
	v_cvt_f16_f32_e32 v4, v3
.LBB84_2407:
	s_mov_b32 s9, 0
	s_mov_b32 s15, -1
.LBB84_2408:
	s_and_not1_b32 vcc_lo, exec_lo, s9
	s_mov_b32 s9, 0
	s_cbranch_vccnz .LBB84_2419
; %bb.2409:
	s_cmp_gt_i32 s6, 14
	s_cbranch_scc0 .LBB84_2412
; %bb.2410:
	s_cmp_eq_u32 s6, 15
	s_cbranch_scc0 .LBB84_2415
; %bb.2411:
	global_load_u16 v3, v[0:1], off
	s_mov_b32 s7, 0
	s_mov_b32 s15, -1
	s_wait_loadcnt 0x0
	v_lshlrev_b32_e32 v3, 16, v3
	s_delay_alu instid0(VALU_DEP_1)
	v_cvt_f16_f32_e32 v4, v3
	s_branch .LBB84_2417
.LBB84_2412:
	s_mov_b32 s9, -1
	s_branch .LBB84_2416
.LBB84_2413:
	s_or_saveexec_b32 s15, s15
	v_mov_b32_e32 v4, 0x7e00
	s_xor_b32 exec_lo, exec_lo, s15
	s_cbranch_execz .LBB84_2394
.LBB84_2414:
	v_cmp_ne_u16_e32 vcc_lo, 0, v3
	v_mov_b32_e32 v4, v3
	s_and_not1_b32 s9, s9, exec_lo
	s_and_b32 s18, vcc_lo, exec_lo
	s_delay_alu instid0(SALU_CYCLE_1)
	s_or_b32 s9, s9, s18
	s_or_b32 exec_lo, exec_lo, s15
	s_and_saveexec_b32 s15, s9
	s_cbranch_execnz .LBB84_2395
	s_branch .LBB84_2396
.LBB84_2415:
	s_mov_b32 s7, -1
.LBB84_2416:
                                        ; implicit-def: $vgpr4
.LBB84_2417:
	s_and_b32 vcc_lo, exec_lo, s9
	s_mov_b32 s9, 0
	s_cbranch_vccz .LBB84_2419
; %bb.2418:
	s_cmp_lg_u32 s6, 11
	s_mov_b32 s9, -1
	s_cselect_b32 s7, -1, 0
.LBB84_2419:
	s_delay_alu instid0(SALU_CYCLE_1)
	s_and_b32 vcc_lo, exec_lo, s7
	s_cbranch_vccnz .LBB84_2484
; %bb.2420:
	s_and_not1_b32 vcc_lo, exec_lo, s9
	s_cbranch_vccnz .LBB84_2422
.LBB84_2421:
	global_load_u8 v3, v[0:1], off
	s_mov_b32 s15, -1
	s_wait_loadcnt 0x0
	v_cmp_ne_u16_e32 vcc_lo, 0, v3
	v_cndmask_b32_e64 v4, 0, 0x3c00, vcc_lo
.LBB84_2422:
	s_mov_b32 s6, 0
.LBB84_2423:
	s_delay_alu instid0(SALU_CYCLE_1)
	s_and_b32 vcc_lo, exec_lo, s6
	s_cbranch_vccz .LBB84_2472
; %bb.2424:
	s_and_b32 s0, 0xffff, s0
	s_delay_alu instid0(SALU_CYCLE_1)
	s_cmp_lt_i32 s0, 5
	s_cbranch_scc1 .LBB84_2429
; %bb.2425:
	s_cmp_lt_i32 s0, 8
	s_cbranch_scc1 .LBB84_2430
; %bb.2426:
	;; [unrolled: 3-line block ×3, first 2 shown]
	s_cmp_gt_i32 s0, 9
	s_cbranch_scc0 .LBB84_2432
; %bb.2428:
	global_load_b64 v[4:5], v[0:1], off
	s_mov_b32 s6, 0
	s_wait_loadcnt 0x0
	v_and_or_b32 v3, 0x1ff, v5, v4
	v_lshrrev_b32_e32 v4, 8, v5
	v_bfe_u32 v10, v5, 20, 11
	s_delay_alu instid0(VALU_DEP_3) | instskip(NEXT) | instid1(VALU_DEP_2)
	v_cmp_ne_u32_e32 vcc_lo, 0, v3
	v_sub_nc_u32_e32 v11, 0x3f1, v10
	v_add_nc_u32_e32 v10, 0xfffffc10, v10
	v_cndmask_b32_e64 v3, 0, 1, vcc_lo
	s_delay_alu instid0(VALU_DEP_1) | instskip(NEXT) | instid1(VALU_DEP_4)
	v_and_or_b32 v3, 0xffe, v4, v3
	v_med3_i32 v4, v11, 0, 13
	s_delay_alu instid0(VALU_DEP_2) | instskip(NEXT) | instid1(VALU_DEP_1)
	v_or_b32_e32 v11, 0x1000, v3
	v_lshrrev_b32_e32 v12, v4, v11
	s_delay_alu instid0(VALU_DEP_1) | instskip(NEXT) | instid1(VALU_DEP_1)
	v_lshlrev_b32_e32 v4, v4, v12
	v_cmp_ne_u32_e32 vcc_lo, v4, v11
	v_lshl_or_b32 v11, v10, 12, v3
	v_cndmask_b32_e64 v4, 0, 1, vcc_lo
	v_cmp_gt_i32_e32 vcc_lo, 1, v10
	s_delay_alu instid0(VALU_DEP_2) | instskip(NEXT) | instid1(VALU_DEP_1)
	v_or_b32_e32 v4, v12, v4
	v_cndmask_b32_e32 v4, v11, v4, vcc_lo
	s_delay_alu instid0(VALU_DEP_1) | instskip(NEXT) | instid1(VALU_DEP_1)
	v_dual_lshrrev_b32 v4, 2, v4 :: v_dual_bitop2_b32 v11, 7, v4 bitop3:0x40
	v_cmp_lt_i32_e32 vcc_lo, 5, v11
	v_cndmask_b32_e64 v12, 0, 1, vcc_lo
	v_cmp_eq_u32_e32 vcc_lo, 3, v11
	v_cndmask_b32_e64 v11, 0, 1, vcc_lo
	v_cmp_ne_u32_e32 vcc_lo, 0, v3
	s_delay_alu instid0(VALU_DEP_2) | instskip(SKIP_1) | instid1(VALU_DEP_1)
	v_or_b32_e32 v11, v11, v12
	v_mov_b32_e32 v12, 0x7e00
	v_dual_cndmask_b32 v3, 0x7c00, v12 :: v_dual_add_nc_u32 v4, v4, v11
	v_cmp_gt_i32_e32 vcc_lo, 31, v10
	s_delay_alu instid0(VALU_DEP_2) | instskip(SKIP_1) | instid1(VALU_DEP_2)
	v_cndmask_b32_e32 v4, 0x7c00, v4, vcc_lo
	v_cmp_eq_u32_e32 vcc_lo, 0x40f, v10
	v_dual_cndmask_b32 v3, v4, v3 :: v_dual_lshrrev_b32 v4, 16, v5
	s_delay_alu instid0(VALU_DEP_1)
	v_and_or_b32 v4, 0x8000, v4, v3
	s_branch .LBB84_2433
.LBB84_2429:
	s_mov_b32 s6, -1
                                        ; implicit-def: $vgpr4
	s_branch .LBB84_2451
.LBB84_2430:
	s_mov_b32 s6, -1
                                        ; implicit-def: $vgpr4
	s_branch .LBB84_2439
.LBB84_2431:
	s_mov_b32 s6, -1
                                        ; implicit-def: $vgpr4
	s_branch .LBB84_2436
.LBB84_2432:
	s_mov_b32 s6, -1
                                        ; implicit-def: $vgpr4
.LBB84_2433:
	s_delay_alu instid0(SALU_CYCLE_1)
	s_and_not1_b32 vcc_lo, exec_lo, s6
	s_cbranch_vccnz .LBB84_2435
; %bb.2434:
	global_load_b32 v3, v[0:1], off
	s_wait_loadcnt 0x0
	v_cvt_f16_f32_e32 v4, v3
.LBB84_2435:
	s_mov_b32 s6, 0
.LBB84_2436:
	s_delay_alu instid0(SALU_CYCLE_1)
	s_and_not1_b32 vcc_lo, exec_lo, s6
	s_cbranch_vccnz .LBB84_2438
; %bb.2437:
	global_load_b32 v4, v[0:1], off
.LBB84_2438:
	s_mov_b32 s6, 0
.LBB84_2439:
	s_delay_alu instid0(SALU_CYCLE_1)
	s_and_not1_b32 vcc_lo, exec_lo, s6
	s_cbranch_vccnz .LBB84_2450
; %bb.2440:
	s_cmp_lt_i32 s0, 6
	s_cbranch_scc1 .LBB84_2443
; %bb.2441:
	s_cmp_gt_i32 s0, 6
	s_cbranch_scc0 .LBB84_2444
; %bb.2442:
	s_wait_loadcnt 0x0
	global_load_b64 v[4:5], v[0:1], off
	s_mov_b32 s6, 0
	s_wait_loadcnt 0x0
	v_and_or_b32 v3, 0x1ff, v5, v4
	v_lshrrev_b32_e32 v4, 8, v5
	v_bfe_u32 v10, v5, 20, 11
	s_delay_alu instid0(VALU_DEP_3) | instskip(NEXT) | instid1(VALU_DEP_2)
	v_cmp_ne_u32_e32 vcc_lo, 0, v3
	v_sub_nc_u32_e32 v11, 0x3f1, v10
	v_add_nc_u32_e32 v10, 0xfffffc10, v10
	v_cndmask_b32_e64 v3, 0, 1, vcc_lo
	s_delay_alu instid0(VALU_DEP_1) | instskip(NEXT) | instid1(VALU_DEP_4)
	v_and_or_b32 v3, 0xffe, v4, v3
	v_med3_i32 v4, v11, 0, 13
	s_delay_alu instid0(VALU_DEP_2) | instskip(NEXT) | instid1(VALU_DEP_1)
	v_or_b32_e32 v11, 0x1000, v3
	v_lshrrev_b32_e32 v12, v4, v11
	s_delay_alu instid0(VALU_DEP_1) | instskip(NEXT) | instid1(VALU_DEP_1)
	v_lshlrev_b32_e32 v4, v4, v12
	v_cmp_ne_u32_e32 vcc_lo, v4, v11
	v_lshl_or_b32 v11, v10, 12, v3
	v_cndmask_b32_e64 v4, 0, 1, vcc_lo
	v_cmp_gt_i32_e32 vcc_lo, 1, v10
	s_delay_alu instid0(VALU_DEP_2) | instskip(NEXT) | instid1(VALU_DEP_1)
	v_or_b32_e32 v4, v12, v4
	v_cndmask_b32_e32 v4, v11, v4, vcc_lo
	s_delay_alu instid0(VALU_DEP_1) | instskip(NEXT) | instid1(VALU_DEP_1)
	v_dual_lshrrev_b32 v4, 2, v4 :: v_dual_bitop2_b32 v11, 7, v4 bitop3:0x40
	v_cmp_lt_i32_e32 vcc_lo, 5, v11
	v_cndmask_b32_e64 v12, 0, 1, vcc_lo
	v_cmp_eq_u32_e32 vcc_lo, 3, v11
	v_cndmask_b32_e64 v11, 0, 1, vcc_lo
	v_cmp_ne_u32_e32 vcc_lo, 0, v3
	s_delay_alu instid0(VALU_DEP_2) | instskip(SKIP_1) | instid1(VALU_DEP_1)
	v_or_b32_e32 v11, v11, v12
	v_mov_b32_e32 v12, 0x7e00
	v_dual_cndmask_b32 v3, 0x7c00, v12 :: v_dual_add_nc_u32 v4, v4, v11
	v_cmp_gt_i32_e32 vcc_lo, 31, v10
	s_delay_alu instid0(VALU_DEP_2) | instskip(SKIP_1) | instid1(VALU_DEP_2)
	v_cndmask_b32_e32 v4, 0x7c00, v4, vcc_lo
	v_cmp_eq_u32_e32 vcc_lo, 0x40f, v10
	v_dual_cndmask_b32 v3, v4, v3 :: v_dual_lshrrev_b32 v4, 16, v5
	s_delay_alu instid0(VALU_DEP_1)
	v_and_or_b32 v4, 0x8000, v4, v3
	s_branch .LBB84_2445
.LBB84_2443:
	s_mov_b32 s6, -1
                                        ; implicit-def: $vgpr4
	s_branch .LBB84_2448
.LBB84_2444:
	s_mov_b32 s6, -1
                                        ; implicit-def: $vgpr4
.LBB84_2445:
	s_delay_alu instid0(SALU_CYCLE_1)
	s_and_not1_b32 vcc_lo, exec_lo, s6
	s_cbranch_vccnz .LBB84_2447
; %bb.2446:
	global_load_b32 v3, v[0:1], off
	s_wait_loadcnt 0x0
	v_cvt_f16_f32_e32 v4, v3
.LBB84_2447:
	s_mov_b32 s6, 0
.LBB84_2448:
	s_delay_alu instid0(SALU_CYCLE_1)
	s_and_not1_b32 vcc_lo, exec_lo, s6
	s_cbranch_vccnz .LBB84_2450
; %bb.2449:
	s_wait_loadcnt 0x0
	global_load_u16 v4, v[0:1], off
.LBB84_2450:
	s_mov_b32 s6, 0
.LBB84_2451:
	s_delay_alu instid0(SALU_CYCLE_1)
	s_and_not1_b32 vcc_lo, exec_lo, s6
	s_cbranch_vccnz .LBB84_2471
; %bb.2452:
	s_cmp_lt_i32 s0, 2
	s_cbranch_scc1 .LBB84_2456
; %bb.2453:
	s_cmp_lt_i32 s0, 3
	s_cbranch_scc1 .LBB84_2457
; %bb.2454:
	s_cmp_gt_i32 s0, 3
	s_cbranch_scc0 .LBB84_2458
; %bb.2455:
	s_wait_loadcnt 0x0
	global_load_b64 v[4:5], v[0:1], off
	s_mov_b32 s6, 0
	s_wait_loadcnt 0x0
	v_xor_b32_e32 v3, v4, v5
	v_cls_i32_e32 v10, v5
	s_delay_alu instid0(VALU_DEP_2) | instskip(NEXT) | instid1(VALU_DEP_1)
	v_ashrrev_i32_e32 v3, 31, v3
	v_add_nc_u32_e32 v3, 32, v3
	s_delay_alu instid0(VALU_DEP_1) | instskip(NEXT) | instid1(VALU_DEP_1)
	v_add_min_u32_e64 v3, v10, -1, v3
	v_lshlrev_b64_e32 v[4:5], v3, v[4:5]
	v_sub_nc_u32_e32 v3, 32, v3
	s_delay_alu instid0(VALU_DEP_2) | instskip(NEXT) | instid1(VALU_DEP_1)
	v_min_u32_e32 v4, 1, v4
	v_or_b32_e32 v4, v5, v4
	s_delay_alu instid0(VALU_DEP_1) | instskip(NEXT) | instid1(VALU_DEP_1)
	v_cvt_f32_i32_e32 v4, v4
	v_ldexp_f32 v3, v4, v3
	s_delay_alu instid0(VALU_DEP_1)
	v_cvt_f16_f32_e32 v4, v3
	s_branch .LBB84_2459
.LBB84_2456:
	s_mov_b32 s6, -1
                                        ; implicit-def: $vgpr4
	s_branch .LBB84_2465
.LBB84_2457:
	s_mov_b32 s6, -1
                                        ; implicit-def: $vgpr4
	s_branch .LBB84_2462
.LBB84_2458:
	s_mov_b32 s6, -1
                                        ; implicit-def: $vgpr4
.LBB84_2459:
	s_delay_alu instid0(SALU_CYCLE_1)
	s_and_not1_b32 vcc_lo, exec_lo, s6
	s_cbranch_vccnz .LBB84_2461
; %bb.2460:
	global_load_b32 v3, v[0:1], off
	s_wait_loadcnt 0x0
	v_cvt_f32_i32_e32 v3, v3
	s_delay_alu instid0(VALU_DEP_1)
	v_cvt_f16_f32_e32 v4, v3
.LBB84_2461:
	s_mov_b32 s6, 0
.LBB84_2462:
	s_delay_alu instid0(SALU_CYCLE_1)
	s_and_not1_b32 vcc_lo, exec_lo, s6
	s_cbranch_vccnz .LBB84_2464
; %bb.2463:
	global_load_u16 v3, v[0:1], off
	s_wait_loadcnt 0x0
	v_cvt_f16_i16_e32 v4, v3
.LBB84_2464:
	s_mov_b32 s6, 0
.LBB84_2465:
	s_delay_alu instid0(SALU_CYCLE_1)
	s_and_not1_b32 vcc_lo, exec_lo, s6
	s_cbranch_vccnz .LBB84_2471
; %bb.2466:
	s_cmp_gt_i32 s0, 0
	s_mov_b32 s0, 0
	s_cbranch_scc0 .LBB84_2468
; %bb.2467:
	global_load_i8 v3, v[0:1], off
	s_wait_loadcnt 0x0
	v_cvt_f16_i16_e32 v4, v3
	s_branch .LBB84_2469
.LBB84_2468:
	s_mov_b32 s0, -1
                                        ; implicit-def: $vgpr4
.LBB84_2469:
	s_delay_alu instid0(SALU_CYCLE_1)
	s_and_not1_b32 vcc_lo, exec_lo, s0
	s_cbranch_vccnz .LBB84_2471
; %bb.2470:
	global_load_u8 v0, v[0:1], off
	s_wait_loadcnt 0x0
	v_cvt_f16_u16_e32 v4, v0
.LBB84_2471:
	s_mov_b32 s15, -1
.LBB84_2472:
	s_delay_alu instid0(SALU_CYCLE_1)
	s_and_not1_b32 vcc_lo, exec_lo, s15
	s_cbranch_vccnz .LBB84_2684
; %bb.2473:
	s_wait_xcnt 0x0
	v_add_nc_u32_e32 v0, s10, v2
	s_cmp_lt_i32 s1, 11
	s_delay_alu instid0(VALU_DEP_1) | instskip(NEXT) | instid1(VALU_DEP_1)
	v_ashrrev_i32_e32 v1, 31, v0
	v_add_nc_u64_e32 v[0:1], s[12:13], v[0:1]
	s_cbranch_scc1 .LBB84_2480
; %bb.2474:
	s_and_b32 s0, 0xffff, s1
	s_mov_b32 s7, 0
	s_cmp_gt_i32 s0, 25
	s_cbranch_scc0 .LBB84_2481
; %bb.2475:
	s_cmp_gt_i32 s0, 28
	s_cbranch_scc0 .LBB84_2482
; %bb.2476:
	;; [unrolled: 3-line block ×4, first 2 shown]
	s_cmp_eq_u32 s0, 46
	s_mov_b32 s10, 0
	s_cbranch_scc0 .LBB84_2486
; %bb.2479:
	global_load_b32 v2, v[0:1], off
	s_mov_b32 s6, 0
	s_mov_b32 s9, -1
	s_wait_loadcnt 0x0
	v_lshlrev_b32_e32 v2, 16, v2
	s_delay_alu instid0(VALU_DEP_1)
	v_cvt_f16_f32_e32 v2, v2
	s_branch .LBB84_2488
.LBB84_2480:
	s_mov_b32 s0, -1
	s_mov_b32 s9, 0
                                        ; implicit-def: $vgpr2
	s_branch .LBB84_2554
.LBB84_2481:
	s_mov_b32 s10, -1
	s_mov_b32 s9, 0
	s_mov_b32 s6, 0
                                        ; implicit-def: $vgpr2
	s_branch .LBB84_2517
.LBB84_2482:
	s_mov_b32 s10, -1
	s_mov_b32 s9, 0
	s_mov_b32 s6, 0
                                        ; implicit-def: $vgpr2
	s_branch .LBB84_2498
.LBB84_2483:
	s_mov_b32 s10, -1
	s_mov_b32 s9, 0
	s_mov_b32 s6, 0
                                        ; implicit-def: $vgpr2
	s_branch .LBB84_2493
.LBB84_2484:
	s_or_b32 s14, s14, exec_lo
	s_trap 2
	s_cbranch_execz .LBB84_2421
	s_branch .LBB84_2422
.LBB84_2485:
	s_mov_b32 s10, -1
	s_mov_b32 s9, 0
	s_mov_b32 s6, 0
	s_branch .LBB84_2487
.LBB84_2486:
	s_mov_b32 s6, -1
	s_mov_b32 s9, 0
.LBB84_2487:
                                        ; implicit-def: $vgpr2
.LBB84_2488:
	s_and_b32 vcc_lo, exec_lo, s10
	s_cbranch_vccz .LBB84_2492
; %bb.2489:
	s_cmp_eq_u32 s0, 44
	s_cbranch_scc0 .LBB84_2491
; %bb.2490:
	global_load_u8 v2, v[0:1], off
	s_mov_b32 s6, 0
	s_mov_b32 s9, -1
	s_wait_loadcnt 0x0
	v_lshlrev_b32_e32 v3, 23, v2
	v_cmp_ne_u32_e32 vcc_lo, 0xff, v2
	s_delay_alu instid0(VALU_DEP_2) | instskip(NEXT) | instid1(VALU_DEP_1)
	v_cvt_f16_f32_e32 v3, v3
	v_cndmask_b32_e32 v3, 0x7e00, v3, vcc_lo
	v_cmp_ne_u32_e32 vcc_lo, 0, v2
	s_delay_alu instid0(VALU_DEP_2)
	v_cndmask_b32_e32 v2, 0, v3, vcc_lo
	s_branch .LBB84_2492
.LBB84_2491:
	s_mov_b32 s6, -1
                                        ; implicit-def: $vgpr2
.LBB84_2492:
	s_mov_b32 s10, 0
.LBB84_2493:
	s_delay_alu instid0(SALU_CYCLE_1)
	s_and_b32 vcc_lo, exec_lo, s10
	s_cbranch_vccz .LBB84_2497
; %bb.2494:
	s_cmp_eq_u32 s0, 29
	s_cbranch_scc0 .LBB84_2496
; %bb.2495:
	global_load_b64 v[2:3], v[0:1], off
	s_mov_b32 s6, 0
	s_mov_b32 s9, -1
	s_mov_b32 s10, 0
	s_wait_loadcnt 0x0
	v_clz_i32_u32_e32 v5, v3
	s_delay_alu instid0(VALU_DEP_1) | instskip(NEXT) | instid1(VALU_DEP_1)
	v_min_u32_e32 v5, 32, v5
	v_lshlrev_b64_e32 v[2:3], v5, v[2:3]
	s_delay_alu instid0(VALU_DEP_1) | instskip(NEXT) | instid1(VALU_DEP_1)
	v_min_u32_e32 v2, 1, v2
	v_dual_sub_nc_u32 v3, 32, v5 :: v_dual_bitop2_b32 v2, v3, v2 bitop3:0x54
	s_delay_alu instid0(VALU_DEP_1) | instskip(NEXT) | instid1(VALU_DEP_1)
	v_cvt_f32_u32_e32 v2, v2
	v_ldexp_f32 v2, v2, v3
	s_delay_alu instid0(VALU_DEP_1)
	v_cvt_f16_f32_e32 v2, v2
	s_branch .LBB84_2498
.LBB84_2496:
	s_mov_b32 s6, -1
                                        ; implicit-def: $vgpr2
.LBB84_2497:
	s_mov_b32 s10, 0
.LBB84_2498:
	s_delay_alu instid0(SALU_CYCLE_1)
	s_and_b32 vcc_lo, exec_lo, s10
	s_cbranch_vccz .LBB84_2516
; %bb.2499:
	s_cmp_lt_i32 s0, 27
	s_cbranch_scc1 .LBB84_2502
; %bb.2500:
	s_cmp_gt_i32 s0, 27
	s_cbranch_scc0 .LBB84_2503
; %bb.2501:
	global_load_b32 v2, v[0:1], off
	s_mov_b32 s9, 0
	s_wait_loadcnt 0x0
	v_cvt_f32_u32_e32 v2, v2
	s_delay_alu instid0(VALU_DEP_1)
	v_cvt_f16_f32_e32 v2, v2
	s_branch .LBB84_2504
.LBB84_2502:
	s_mov_b32 s9, -1
                                        ; implicit-def: $vgpr2
	s_branch .LBB84_2507
.LBB84_2503:
	s_mov_b32 s9, -1
                                        ; implicit-def: $vgpr2
.LBB84_2504:
	s_delay_alu instid0(SALU_CYCLE_1)
	s_and_not1_b32 vcc_lo, exec_lo, s9
	s_cbranch_vccnz .LBB84_2506
; %bb.2505:
	global_load_u16 v2, v[0:1], off
	s_wait_loadcnt 0x0
	v_cvt_f16_u16_e32 v2, v2
.LBB84_2506:
	s_mov_b32 s9, 0
.LBB84_2507:
	s_delay_alu instid0(SALU_CYCLE_1)
	s_and_not1_b32 vcc_lo, exec_lo, s9
	s_cbranch_vccnz .LBB84_2515
; %bb.2508:
	global_load_u8 v3, v[0:1], off
	s_mov_b32 s9, 0
	s_mov_b32 s10, exec_lo
	s_wait_loadcnt 0x0
	v_cmpx_lt_i16_e32 0x7f, v3
	s_xor_b32 s10, exec_lo, s10
	s_cbranch_execz .LBB84_2529
; %bb.2509:
	s_mov_b32 s9, -1
	s_mov_b32 s12, exec_lo
	v_cmpx_eq_u16_e32 0x80, v3
; %bb.2510:
	s_xor_b32 s9, exec_lo, -1
; %bb.2511:
	s_or_b32 exec_lo, exec_lo, s12
	s_delay_alu instid0(SALU_CYCLE_1)
	s_and_b32 s9, s9, exec_lo
	s_or_saveexec_b32 s10, s10
	v_mov_b32_e32 v2, 0x7e00
	s_xor_b32 exec_lo, exec_lo, s10
	s_cbranch_execnz .LBB84_2530
.LBB84_2512:
	s_or_b32 exec_lo, exec_lo, s10
	s_and_saveexec_b32 s10, s9
	s_cbranch_execz .LBB84_2514
.LBB84_2513:
	v_and_b32_e32 v2, 0xffff, v3
	s_delay_alu instid0(VALU_DEP_1) | instskip(SKIP_1) | instid1(VALU_DEP_2)
	v_dual_lshlrev_b32 v3, 24, v3 :: v_dual_bitop2_b32 v5, 7, v2 bitop3:0x40
	v_bfe_u32 v12, v2, 3, 4
	v_and_b32_e32 v3, 0x80000000, v3
	s_delay_alu instid0(VALU_DEP_3) | instskip(NEXT) | instid1(VALU_DEP_3)
	v_clz_i32_u32_e32 v10, v5
	v_cmp_eq_u32_e32 vcc_lo, 0, v12
	s_delay_alu instid0(VALU_DEP_2) | instskip(NEXT) | instid1(VALU_DEP_1)
	v_min_u32_e32 v10, 32, v10
	v_subrev_nc_u32_e32 v11, 28, v10
	v_sub_nc_u32_e32 v10, 29, v10
	s_delay_alu instid0(VALU_DEP_2) | instskip(NEXT) | instid1(VALU_DEP_2)
	v_lshlrev_b32_e32 v2, v11, v2
	v_cndmask_b32_e32 v10, v12, v10, vcc_lo
	s_delay_alu instid0(VALU_DEP_2) | instskip(NEXT) | instid1(VALU_DEP_1)
	v_and_b32_e32 v2, 7, v2
	v_cndmask_b32_e32 v2, v5, v2, vcc_lo
	s_delay_alu instid0(VALU_DEP_3) | instskip(NEXT) | instid1(VALU_DEP_2)
	v_lshl_add_u32 v5, v10, 23, 0x3b800000
	v_lshlrev_b32_e32 v2, 20, v2
	s_delay_alu instid0(VALU_DEP_1) | instskip(NEXT) | instid1(VALU_DEP_1)
	v_or3_b32 v2, v3, v5, v2
	v_cvt_f16_f32_e32 v2, v2
.LBB84_2514:
	s_or_b32 exec_lo, exec_lo, s10
.LBB84_2515:
	s_mov_b32 s9, -1
.LBB84_2516:
	s_mov_b32 s10, 0
.LBB84_2517:
	s_delay_alu instid0(SALU_CYCLE_1)
	s_and_b32 vcc_lo, exec_lo, s10
	s_cbranch_vccz .LBB84_2550
; %bb.2518:
	s_cmp_gt_i32 s0, 22
	s_cbranch_scc0 .LBB84_2528
; %bb.2519:
	s_cmp_lt_i32 s0, 24
	s_cbranch_scc1 .LBB84_2531
; %bb.2520:
	s_cmp_gt_i32 s0, 24
	s_cbranch_scc0 .LBB84_2532
; %bb.2521:
	global_load_u8 v3, v[0:1], off
	s_mov_b32 s9, exec_lo
	s_wait_loadcnt 0x0
	v_cmpx_lt_i16_e32 0x7f, v3
	s_xor_b32 s9, exec_lo, s9
	s_cbranch_execz .LBB84_2544
; %bb.2522:
	s_mov_b32 s7, -1
	s_mov_b32 s10, exec_lo
	v_cmpx_eq_u16_e32 0x80, v3
; %bb.2523:
	s_xor_b32 s7, exec_lo, -1
; %bb.2524:
	s_or_b32 exec_lo, exec_lo, s10
	s_delay_alu instid0(SALU_CYCLE_1)
	s_and_b32 s7, s7, exec_lo
	s_or_saveexec_b32 s9, s9
	v_mov_b32_e32 v2, 0x7e00
	s_xor_b32 exec_lo, exec_lo, s9
	s_cbranch_execnz .LBB84_2545
.LBB84_2525:
	s_or_b32 exec_lo, exec_lo, s9
	s_and_saveexec_b32 s9, s7
	s_cbranch_execz .LBB84_2527
.LBB84_2526:
	v_and_b32_e32 v2, 0xffff, v3
	s_delay_alu instid0(VALU_DEP_1) | instskip(SKIP_1) | instid1(VALU_DEP_2)
	v_dual_lshlrev_b32 v3, 24, v3 :: v_dual_bitop2_b32 v5, 3, v2 bitop3:0x40
	v_bfe_u32 v12, v2, 2, 5
	v_and_b32_e32 v3, 0x80000000, v3
	s_delay_alu instid0(VALU_DEP_3) | instskip(NEXT) | instid1(VALU_DEP_3)
	v_clz_i32_u32_e32 v10, v5
	v_cmp_eq_u32_e32 vcc_lo, 0, v12
	s_delay_alu instid0(VALU_DEP_2) | instskip(NEXT) | instid1(VALU_DEP_1)
	v_min_u32_e32 v10, 32, v10
	v_subrev_nc_u32_e32 v11, 29, v10
	v_sub_nc_u32_e32 v10, 30, v10
	s_delay_alu instid0(VALU_DEP_2) | instskip(NEXT) | instid1(VALU_DEP_2)
	v_lshlrev_b32_e32 v2, v11, v2
	v_cndmask_b32_e32 v10, v12, v10, vcc_lo
	s_delay_alu instid0(VALU_DEP_2) | instskip(NEXT) | instid1(VALU_DEP_1)
	v_and_b32_e32 v2, 3, v2
	v_cndmask_b32_e32 v2, v5, v2, vcc_lo
	s_delay_alu instid0(VALU_DEP_3) | instskip(NEXT) | instid1(VALU_DEP_2)
	v_lshl_add_u32 v5, v10, 23, 0x37800000
	v_lshlrev_b32_e32 v2, 21, v2
	s_delay_alu instid0(VALU_DEP_1) | instskip(NEXT) | instid1(VALU_DEP_1)
	v_or3_b32 v2, v3, v5, v2
	v_cvt_f16_f32_e32 v2, v2
.LBB84_2527:
	s_or_b32 exec_lo, exec_lo, s9
	s_mov_b32 s7, 0
	s_branch .LBB84_2533
.LBB84_2528:
	s_mov_b32 s7, -1
                                        ; implicit-def: $vgpr2
	s_branch .LBB84_2539
.LBB84_2529:
	s_or_saveexec_b32 s10, s10
	v_mov_b32_e32 v2, 0x7e00
	s_xor_b32 exec_lo, exec_lo, s10
	s_cbranch_execz .LBB84_2512
.LBB84_2530:
	v_cmp_ne_u16_e32 vcc_lo, 0, v3
	v_mov_b32_e32 v2, v3
	s_and_not1_b32 s9, s9, exec_lo
	s_and_b32 s12, vcc_lo, exec_lo
	s_delay_alu instid0(SALU_CYCLE_1)
	s_or_b32 s9, s9, s12
	s_or_b32 exec_lo, exec_lo, s10
	s_and_saveexec_b32 s10, s9
	s_cbranch_execnz .LBB84_2513
	s_branch .LBB84_2514
.LBB84_2531:
	s_mov_b32 s7, -1
                                        ; implicit-def: $vgpr2
	s_branch .LBB84_2536
.LBB84_2532:
	s_mov_b32 s7, -1
                                        ; implicit-def: $vgpr2
.LBB84_2533:
	s_delay_alu instid0(SALU_CYCLE_1)
	s_and_b32 vcc_lo, exec_lo, s7
	s_cbranch_vccz .LBB84_2535
; %bb.2534:
	global_load_u8 v2, v[0:1], off
	s_wait_loadcnt 0x0
	v_lshlrev_b32_e32 v2, 24, v2
	s_delay_alu instid0(VALU_DEP_1) | instskip(NEXT) | instid1(VALU_DEP_1)
	v_and_b32_e32 v3, 0x7f000000, v2
	v_clz_i32_u32_e32 v5, v3
	v_add_nc_u32_e32 v11, 0x1000000, v3
	v_cmp_ne_u32_e32 vcc_lo, 0, v3
	s_delay_alu instid0(VALU_DEP_3) | instskip(NEXT) | instid1(VALU_DEP_1)
	v_min_u32_e32 v5, 32, v5
	v_sub_nc_u32_e64 v5, v5, 4 clamp
	s_delay_alu instid0(VALU_DEP_1) | instskip(NEXT) | instid1(VALU_DEP_1)
	v_dual_lshlrev_b32 v10, v5, v3 :: v_dual_lshlrev_b32 v5, 23, v5
	v_lshrrev_b32_e32 v10, 4, v10
	s_delay_alu instid0(VALU_DEP_1) | instskip(NEXT) | instid1(VALU_DEP_1)
	v_dual_sub_nc_u32 v5, v10, v5 :: v_dual_ashrrev_i32 v10, 8, v11
	v_add_nc_u32_e32 v5, 0x3c000000, v5
	s_delay_alu instid0(VALU_DEP_1) | instskip(NEXT) | instid1(VALU_DEP_1)
	v_and_or_b32 v5, 0x7f800000, v10, v5
	v_cndmask_b32_e32 v3, 0, v5, vcc_lo
	s_delay_alu instid0(VALU_DEP_1) | instskip(NEXT) | instid1(VALU_DEP_1)
	v_and_or_b32 v2, 0x80000000, v2, v3
	v_cvt_f16_f32_e32 v2, v2
.LBB84_2535:
	s_mov_b32 s7, 0
.LBB84_2536:
	s_delay_alu instid0(SALU_CYCLE_1)
	s_and_not1_b32 vcc_lo, exec_lo, s7
	s_cbranch_vccnz .LBB84_2538
; %bb.2537:
	global_load_u8 v2, v[0:1], off
	s_wait_loadcnt 0x0
	v_lshlrev_b32_e32 v3, 25, v2
	v_lshlrev_b16 v2, 8, v2
	s_delay_alu instid0(VALU_DEP_2) | instskip(NEXT) | instid1(VALU_DEP_2)
	v_cmp_gt_u32_e32 vcc_lo, 0x8000000, v3
	v_and_or_b32 v10, 0x7f00, v2, 0.5
	v_lshrrev_b32_e32 v5, 4, v3
	v_bfe_i32 v2, v2, 0, 16
	s_delay_alu instid0(VALU_DEP_3) | instskip(NEXT) | instid1(VALU_DEP_3)
	v_add_f32_e32 v10, -0.5, v10
	v_or_b32_e32 v5, 0x70000000, v5
	s_delay_alu instid0(VALU_DEP_1) | instskip(NEXT) | instid1(VALU_DEP_1)
	v_mul_f32_e32 v5, 0x7800000, v5
	v_cndmask_b32_e32 v3, v5, v10, vcc_lo
	s_delay_alu instid0(VALU_DEP_1) | instskip(NEXT) | instid1(VALU_DEP_1)
	v_and_or_b32 v2, 0x80000000, v2, v3
	v_cvt_f16_f32_e32 v2, v2
.LBB84_2538:
	s_mov_b32 s7, 0
	s_mov_b32 s9, -1
.LBB84_2539:
	s_and_not1_b32 vcc_lo, exec_lo, s7
	s_mov_b32 s7, 0
	s_cbranch_vccnz .LBB84_2550
; %bb.2540:
	s_cmp_gt_i32 s0, 14
	s_cbranch_scc0 .LBB84_2543
; %bb.2541:
	s_cmp_eq_u32 s0, 15
	s_cbranch_scc0 .LBB84_2546
; %bb.2542:
	global_load_u16 v2, v[0:1], off
	s_mov_b32 s6, 0
	s_mov_b32 s9, -1
	s_wait_loadcnt 0x0
	v_lshlrev_b32_e32 v2, 16, v2
	s_delay_alu instid0(VALU_DEP_1)
	v_cvt_f16_f32_e32 v2, v2
	s_branch .LBB84_2548
.LBB84_2543:
	s_mov_b32 s7, -1
	s_branch .LBB84_2547
.LBB84_2544:
	s_or_saveexec_b32 s9, s9
	v_mov_b32_e32 v2, 0x7e00
	s_xor_b32 exec_lo, exec_lo, s9
	s_cbranch_execz .LBB84_2525
.LBB84_2545:
	v_cmp_ne_u16_e32 vcc_lo, 0, v3
	v_mov_b32_e32 v2, v3
	s_and_not1_b32 s7, s7, exec_lo
	s_and_b32 s10, vcc_lo, exec_lo
	s_delay_alu instid0(SALU_CYCLE_1)
	s_or_b32 s7, s7, s10
	s_or_b32 exec_lo, exec_lo, s9
	s_and_saveexec_b32 s9, s7
	s_cbranch_execnz .LBB84_2526
	s_branch .LBB84_2527
.LBB84_2546:
	s_mov_b32 s6, -1
.LBB84_2547:
                                        ; implicit-def: $vgpr2
.LBB84_2548:
	s_and_b32 vcc_lo, exec_lo, s7
	s_mov_b32 s7, 0
	s_cbranch_vccz .LBB84_2550
; %bb.2549:
	s_cmp_lg_u32 s0, 11
	s_mov_b32 s7, -1
	s_cselect_b32 s6, -1, 0
.LBB84_2550:
	s_delay_alu instid0(SALU_CYCLE_1)
	s_and_b32 vcc_lo, exec_lo, s6
	s_cbranch_vccnz .LBB84_3086
; %bb.2551:
	s_and_not1_b32 vcc_lo, exec_lo, s7
	s_cbranch_vccnz .LBB84_2553
.LBB84_2552:
	global_load_u8 v2, v[0:1], off
	s_mov_b32 s9, -1
	s_wait_loadcnt 0x0
	v_cmp_ne_u16_e32 vcc_lo, 0, v2
	v_cndmask_b32_e64 v2, 0, 0x3c00, vcc_lo
.LBB84_2553:
	s_mov_b32 s0, 0
.LBB84_2554:
	s_delay_alu instid0(SALU_CYCLE_1)
	s_and_b32 vcc_lo, exec_lo, s0
	s_cbranch_vccz .LBB84_2603
; %bb.2555:
	s_and_b32 s0, 0xffff, s1
	s_delay_alu instid0(SALU_CYCLE_1)
	s_cmp_lt_i32 s0, 5
	s_cbranch_scc1 .LBB84_2560
; %bb.2556:
	s_cmp_lt_i32 s0, 8
	s_cbranch_scc1 .LBB84_2561
; %bb.2557:
	;; [unrolled: 3-line block ×3, first 2 shown]
	s_cmp_gt_i32 s0, 9
	s_cbranch_scc0 .LBB84_2563
; %bb.2559:
	global_load_b64 v[2:3], v[0:1], off
	s_mov_b32 s1, 0
	s_wait_loadcnt 0x0
	v_and_or_b32 v2, 0x1ff, v3, v2
	v_lshrrev_b32_e32 v5, 8, v3
	v_bfe_u32 v10, v3, 20, 11
	v_lshrrev_b32_e32 v3, 16, v3
	s_delay_alu instid0(VALU_DEP_4) | instskip(NEXT) | instid1(VALU_DEP_3)
	v_cmp_ne_u32_e32 vcc_lo, 0, v2
	v_sub_nc_u32_e32 v11, 0x3f1, v10
	v_add_nc_u32_e32 v10, 0xfffffc10, v10
	v_cndmask_b32_e64 v2, 0, 1, vcc_lo
	s_delay_alu instid0(VALU_DEP_1) | instskip(NEXT) | instid1(VALU_DEP_4)
	v_and_or_b32 v2, 0xffe, v5, v2
	v_med3_i32 v5, v11, 0, 13
	s_delay_alu instid0(VALU_DEP_2) | instskip(NEXT) | instid1(VALU_DEP_1)
	v_or_b32_e32 v11, 0x1000, v2
	v_lshrrev_b32_e32 v12, v5, v11
	s_delay_alu instid0(VALU_DEP_1) | instskip(NEXT) | instid1(VALU_DEP_1)
	v_lshlrev_b32_e32 v5, v5, v12
	v_cmp_ne_u32_e32 vcc_lo, v5, v11
	v_lshl_or_b32 v11, v10, 12, v2
	v_cndmask_b32_e64 v5, 0, 1, vcc_lo
	v_cmp_gt_i32_e32 vcc_lo, 1, v10
	s_delay_alu instid0(VALU_DEP_2) | instskip(NEXT) | instid1(VALU_DEP_1)
	v_or_b32_e32 v5, v12, v5
	v_cndmask_b32_e32 v5, v11, v5, vcc_lo
	s_delay_alu instid0(VALU_DEP_1) | instskip(NEXT) | instid1(VALU_DEP_1)
	v_dual_lshrrev_b32 v5, 2, v5 :: v_dual_bitop2_b32 v11, 7, v5 bitop3:0x40
	v_cmp_lt_i32_e32 vcc_lo, 5, v11
	v_cndmask_b32_e64 v12, 0, 1, vcc_lo
	v_cmp_eq_u32_e32 vcc_lo, 3, v11
	v_cndmask_b32_e64 v11, 0, 1, vcc_lo
	v_cmp_ne_u32_e32 vcc_lo, 0, v2
	s_delay_alu instid0(VALU_DEP_2) | instskip(NEXT) | instid1(VALU_DEP_1)
	v_or_b32_e32 v11, v11, v12
	v_dual_mov_b32 v12, 0x7e00 :: v_dual_add_nc_u32 v5, v5, v11
	s_delay_alu instid0(VALU_DEP_1) | instskip(SKIP_1) | instid1(VALU_DEP_3)
	v_cndmask_b32_e32 v2, 0x7c00, v12, vcc_lo
	v_cmp_gt_i32_e32 vcc_lo, 31, v10
	v_cndmask_b32_e32 v5, 0x7c00, v5, vcc_lo
	v_cmp_eq_u32_e32 vcc_lo, 0x40f, v10
	s_delay_alu instid0(VALU_DEP_2) | instskip(NEXT) | instid1(VALU_DEP_1)
	v_cndmask_b32_e32 v2, v5, v2, vcc_lo
	v_and_or_b32 v2, 0x8000, v3, v2
	s_branch .LBB84_2564
.LBB84_2560:
	s_mov_b32 s1, -1
                                        ; implicit-def: $vgpr2
	s_branch .LBB84_2582
.LBB84_2561:
	s_mov_b32 s1, -1
                                        ; implicit-def: $vgpr2
	s_branch .LBB84_2570
.LBB84_2562:
	s_mov_b32 s1, -1
                                        ; implicit-def: $vgpr2
	s_branch .LBB84_2567
.LBB84_2563:
	s_mov_b32 s1, -1
                                        ; implicit-def: $vgpr2
.LBB84_2564:
	s_delay_alu instid0(SALU_CYCLE_1)
	s_and_not1_b32 vcc_lo, exec_lo, s1
	s_cbranch_vccnz .LBB84_2566
; %bb.2565:
	global_load_b32 v2, v[0:1], off
	s_wait_loadcnt 0x0
	v_cvt_f16_f32_e32 v2, v2
.LBB84_2566:
	s_mov_b32 s1, 0
.LBB84_2567:
	s_delay_alu instid0(SALU_CYCLE_1)
	s_and_not1_b32 vcc_lo, exec_lo, s1
	s_cbranch_vccnz .LBB84_2569
; %bb.2568:
	global_load_b32 v2, v[0:1], off
.LBB84_2569:
	s_mov_b32 s1, 0
.LBB84_2570:
	s_delay_alu instid0(SALU_CYCLE_1)
	s_and_not1_b32 vcc_lo, exec_lo, s1
	s_cbranch_vccnz .LBB84_2581
; %bb.2571:
	s_cmp_lt_i32 s0, 6
	s_cbranch_scc1 .LBB84_2574
; %bb.2572:
	s_cmp_gt_i32 s0, 6
	s_cbranch_scc0 .LBB84_2575
; %bb.2573:
	s_wait_loadcnt 0x0
	global_load_b64 v[2:3], v[0:1], off
	s_mov_b32 s1, 0
	s_wait_loadcnt 0x0
	v_and_or_b32 v2, 0x1ff, v3, v2
	v_lshrrev_b32_e32 v5, 8, v3
	v_bfe_u32 v10, v3, 20, 11
	v_lshrrev_b32_e32 v3, 16, v3
	s_delay_alu instid0(VALU_DEP_4) | instskip(NEXT) | instid1(VALU_DEP_3)
	v_cmp_ne_u32_e32 vcc_lo, 0, v2
	v_sub_nc_u32_e32 v11, 0x3f1, v10
	v_add_nc_u32_e32 v10, 0xfffffc10, v10
	v_cndmask_b32_e64 v2, 0, 1, vcc_lo
	s_delay_alu instid0(VALU_DEP_1) | instskip(NEXT) | instid1(VALU_DEP_4)
	v_and_or_b32 v2, 0xffe, v5, v2
	v_med3_i32 v5, v11, 0, 13
	s_delay_alu instid0(VALU_DEP_2) | instskip(NEXT) | instid1(VALU_DEP_1)
	v_or_b32_e32 v11, 0x1000, v2
	v_lshrrev_b32_e32 v12, v5, v11
	s_delay_alu instid0(VALU_DEP_1) | instskip(NEXT) | instid1(VALU_DEP_1)
	v_lshlrev_b32_e32 v5, v5, v12
	v_cmp_ne_u32_e32 vcc_lo, v5, v11
	v_lshl_or_b32 v11, v10, 12, v2
	v_cndmask_b32_e64 v5, 0, 1, vcc_lo
	v_cmp_gt_i32_e32 vcc_lo, 1, v10
	s_delay_alu instid0(VALU_DEP_2) | instskip(NEXT) | instid1(VALU_DEP_1)
	v_or_b32_e32 v5, v12, v5
	v_cndmask_b32_e32 v5, v11, v5, vcc_lo
	s_delay_alu instid0(VALU_DEP_1) | instskip(NEXT) | instid1(VALU_DEP_1)
	v_dual_lshrrev_b32 v5, 2, v5 :: v_dual_bitop2_b32 v11, 7, v5 bitop3:0x40
	v_cmp_lt_i32_e32 vcc_lo, 5, v11
	v_cndmask_b32_e64 v12, 0, 1, vcc_lo
	v_cmp_eq_u32_e32 vcc_lo, 3, v11
	v_cndmask_b32_e64 v11, 0, 1, vcc_lo
	v_cmp_ne_u32_e32 vcc_lo, 0, v2
	s_delay_alu instid0(VALU_DEP_2) | instskip(NEXT) | instid1(VALU_DEP_1)
	v_or_b32_e32 v11, v11, v12
	v_dual_mov_b32 v12, 0x7e00 :: v_dual_add_nc_u32 v5, v5, v11
	s_delay_alu instid0(VALU_DEP_1) | instskip(SKIP_1) | instid1(VALU_DEP_3)
	v_cndmask_b32_e32 v2, 0x7c00, v12, vcc_lo
	v_cmp_gt_i32_e32 vcc_lo, 31, v10
	v_cndmask_b32_e32 v5, 0x7c00, v5, vcc_lo
	v_cmp_eq_u32_e32 vcc_lo, 0x40f, v10
	s_delay_alu instid0(VALU_DEP_2) | instskip(NEXT) | instid1(VALU_DEP_1)
	v_cndmask_b32_e32 v2, v5, v2, vcc_lo
	v_and_or_b32 v2, 0x8000, v3, v2
	s_branch .LBB84_2576
.LBB84_2574:
	s_mov_b32 s1, -1
                                        ; implicit-def: $vgpr2
	s_branch .LBB84_2579
.LBB84_2575:
	s_mov_b32 s1, -1
                                        ; implicit-def: $vgpr2
.LBB84_2576:
	s_delay_alu instid0(SALU_CYCLE_1)
	s_and_not1_b32 vcc_lo, exec_lo, s1
	s_cbranch_vccnz .LBB84_2578
; %bb.2577:
	s_wait_loadcnt 0x0
	global_load_b32 v2, v[0:1], off
	s_wait_loadcnt 0x0
	v_cvt_f16_f32_e32 v2, v2
.LBB84_2578:
	s_mov_b32 s1, 0
.LBB84_2579:
	s_delay_alu instid0(SALU_CYCLE_1)
	s_and_not1_b32 vcc_lo, exec_lo, s1
	s_cbranch_vccnz .LBB84_2581
; %bb.2580:
	s_wait_loadcnt 0x0
	global_load_u16 v2, v[0:1], off
.LBB84_2581:
	s_mov_b32 s1, 0
.LBB84_2582:
	s_delay_alu instid0(SALU_CYCLE_1)
	s_and_not1_b32 vcc_lo, exec_lo, s1
	s_cbranch_vccnz .LBB84_2602
; %bb.2583:
	s_cmp_lt_i32 s0, 2
	s_cbranch_scc1 .LBB84_2587
; %bb.2584:
	s_cmp_lt_i32 s0, 3
	s_cbranch_scc1 .LBB84_2588
; %bb.2585:
	s_cmp_gt_i32 s0, 3
	s_cbranch_scc0 .LBB84_2589
; %bb.2586:
	s_wait_loadcnt 0x0
	global_load_b64 v[2:3], v[0:1], off
	s_mov_b32 s1, 0
	s_wait_loadcnt 0x0
	v_xor_b32_e32 v5, v2, v3
	v_cls_i32_e32 v10, v3
	s_delay_alu instid0(VALU_DEP_2) | instskip(NEXT) | instid1(VALU_DEP_1)
	v_ashrrev_i32_e32 v5, 31, v5
	v_add_nc_u32_e32 v5, 32, v5
	s_delay_alu instid0(VALU_DEP_1) | instskip(NEXT) | instid1(VALU_DEP_1)
	v_add_min_u32_e64 v5, v10, -1, v5
	v_lshlrev_b64_e32 v[2:3], v5, v[2:3]
	s_delay_alu instid0(VALU_DEP_1) | instskip(NEXT) | instid1(VALU_DEP_1)
	v_min_u32_e32 v2, 1, v2
	v_dual_sub_nc_u32 v3, 32, v5 :: v_dual_bitop2_b32 v2, v3, v2 bitop3:0x54
	s_delay_alu instid0(VALU_DEP_1) | instskip(NEXT) | instid1(VALU_DEP_1)
	v_cvt_f32_i32_e32 v2, v2
	v_ldexp_f32 v2, v2, v3
	s_delay_alu instid0(VALU_DEP_1)
	v_cvt_f16_f32_e32 v2, v2
	s_branch .LBB84_2590
.LBB84_2587:
	s_mov_b32 s1, -1
                                        ; implicit-def: $vgpr2
	s_branch .LBB84_2596
.LBB84_2588:
	s_mov_b32 s1, -1
                                        ; implicit-def: $vgpr2
	s_branch .LBB84_2593
.LBB84_2589:
	s_mov_b32 s1, -1
                                        ; implicit-def: $vgpr2
.LBB84_2590:
	s_delay_alu instid0(SALU_CYCLE_1)
	s_and_not1_b32 vcc_lo, exec_lo, s1
	s_cbranch_vccnz .LBB84_2592
; %bb.2591:
	s_wait_loadcnt 0x0
	global_load_b32 v2, v[0:1], off
	s_wait_loadcnt 0x0
	v_cvt_f32_i32_e32 v2, v2
	s_delay_alu instid0(VALU_DEP_1)
	v_cvt_f16_f32_e32 v2, v2
.LBB84_2592:
	s_mov_b32 s1, 0
.LBB84_2593:
	s_delay_alu instid0(SALU_CYCLE_1)
	s_and_not1_b32 vcc_lo, exec_lo, s1
	s_cbranch_vccnz .LBB84_2595
; %bb.2594:
	s_wait_loadcnt 0x0
	global_load_u16 v2, v[0:1], off
	s_wait_loadcnt 0x0
	v_cvt_f16_i16_e32 v2, v2
.LBB84_2595:
	s_mov_b32 s1, 0
.LBB84_2596:
	s_delay_alu instid0(SALU_CYCLE_1)
	s_and_not1_b32 vcc_lo, exec_lo, s1
	s_cbranch_vccnz .LBB84_2602
; %bb.2597:
	s_cmp_gt_i32 s0, 0
	s_mov_b32 s0, 0
	s_cbranch_scc0 .LBB84_2599
; %bb.2598:
	s_wait_loadcnt 0x0
	global_load_i8 v2, v[0:1], off
	s_wait_loadcnt 0x0
	v_cvt_f16_i16_e32 v2, v2
	s_branch .LBB84_2600
.LBB84_2599:
	s_mov_b32 s0, -1
                                        ; implicit-def: $vgpr2
.LBB84_2600:
	s_delay_alu instid0(SALU_CYCLE_1)
	s_and_not1_b32 vcc_lo, exec_lo, s0
	s_cbranch_vccnz .LBB84_2602
; %bb.2601:
	global_load_u8 v0, v[0:1], off
	s_wait_loadcnt 0x0
	v_cvt_f16_u16_e32 v2, v0
.LBB84_2602:
	s_mov_b32 s9, -1
.LBB84_2603:
	s_delay_alu instid0(SALU_CYCLE_1)
	s_and_not1_b32 vcc_lo, exec_lo, s9
	s_cbranch_vccnz .LBB84_2684
; %bb.2604:
	s_wait_loadcnt 0x0
	v_cvt_f32_f16_e32 v0, v2
	s_mov_b32 s0, exec_lo
	s_delay_alu instid0(VALU_DEP_1) | instskip(NEXT) | instid1(VALU_DEP_1)
	v_mul_f32_e32 v0, s11, v0
	v_cmpx_nlt_f32_e32 s2, v0
	s_cbranch_execz .LBB84_2606
; %bb.2605:
	v_mul_f32_e32 v1, 0x3fb8aa3b, v0
	v_cmp_ngt_f32_e32 vcc_lo, 0xc2ce8ed0, v0
	s_delay_alu instid0(VALU_DEP_2) | instskip(SKIP_1) | instid1(VALU_DEP_2)
	v_rndne_f32_e32 v2, v1
	v_fma_f32 v3, 0x3fb8aa3b, v0, -v1
	v_sub_f32_e32 v1, v1, v2
	s_delay_alu instid0(VALU_DEP_2) | instskip(SKIP_1) | instid1(VALU_DEP_2)
	v_fmamk_f32 v3, v0, 0x32a5705f, v3
	v_cvt_i32_f32_e32 v2, v2
	v_add_f32_e32 v1, v1, v3
	s_delay_alu instid0(VALU_DEP_1) | instskip(SKIP_1) | instid1(TRANS32_DEP_1)
	v_exp_f32_e32 v1, v1
	v_nop
	v_ldexp_f32 v1, v1, v2
	v_cvt_f32_f16_e32 v2, v4
	s_delay_alu instid0(VALU_DEP_2) | instskip(SKIP_1) | instid1(VALU_DEP_2)
	v_cndmask_b32_e32 v1, 0, v1, vcc_lo
	v_cmp_nlt_f32_e32 vcc_lo, 0x42b17218, v0
	v_cndmask_b32_e32 v0, 0x7f800000, v1, vcc_lo
	s_delay_alu instid0(VALU_DEP_1) | instskip(NEXT) | instid1(VALU_DEP_1)
	v_dual_mul_f32 v1, v0, v2 :: v_dual_add_f32 v0, 1.0, v0
	v_div_scale_f32 v2, null, v0, v0, v1
	s_delay_alu instid0(VALU_DEP_1) | instskip(SKIP_1) | instid1(TRANS32_DEP_1)
	v_rcp_f32_e32 v3, v2
	v_nop
	v_fma_f32 v4, -v2, v3, 1.0
	s_delay_alu instid0(VALU_DEP_1) | instskip(SKIP_1) | instid1(VALU_DEP_1)
	v_fmac_f32_e32 v3, v4, v3
	v_div_scale_f32 v4, vcc_lo, v1, v0, v1
	v_mul_f32_e32 v5, v4, v3
	s_delay_alu instid0(VALU_DEP_1) | instskip(NEXT) | instid1(VALU_DEP_1)
	v_fma_f32 v10, -v2, v5, v4
	v_fmac_f32_e32 v5, v10, v3
	s_delay_alu instid0(VALU_DEP_1) | instskip(NEXT) | instid1(VALU_DEP_1)
	v_fma_f32 v2, -v2, v5, v4
	v_div_fmas_f32 v2, v2, v3, v5
	s_delay_alu instid0(VALU_DEP_1) | instskip(NEXT) | instid1(VALU_DEP_1)
	v_div_fixup_f32 v0, v2, v0, v1
	v_cvt_f16_f32_e32 v4, v0
.LBB84_2606:
	s_or_b32 exec_lo, exec_lo, s0
	v_mul_lo_u32 v0, s8, v6
	s_and_b32 s18, s3, 0xff
	s_delay_alu instid0(SALU_CYCLE_1) | instskip(NEXT) | instid1(VALU_DEP_1)
	s_cmp_lt_i32 s18, 11
	v_ashrrev_i32_e32 v1, 31, v0
	s_delay_alu instid0(VALU_DEP_1)
	v_add_nc_u64_e32 v[2:3], s[4:5], v[0:1]
	s_cbranch_scc1 .LBB84_2729
; %bb.2607:
	s_and_b32 s1, 0xffff, s18
	s_mov_b32 s6, -1
	s_mov_b32 s2, 0
	s_cmp_gt_i32 s1, 25
	s_mov_b32 s3, 0
	s_mov_b32 s0, 0
	s_cbranch_scc0 .LBB84_2640
; %bb.2608:
	s_cmp_gt_i32 s1, 28
	s_cbranch_scc0 .LBB84_2623
; %bb.2609:
	s_cmp_gt_i32 s1, 43
	;; [unrolled: 3-line block ×3, first 2 shown]
	s_cbranch_scc0 .LBB84_2613
; %bb.2611:
	s_mov_b32 s0, -1
	s_mov_b32 s6, 0
	s_cmp_eq_u32 s1, 46
	s_cbranch_scc0 .LBB84_2613
; %bb.2612:
	v_cvt_f32_f16_e32 v1, v7
	v_cmp_o_f16_e32 vcc_lo, v7, v7
	s_mov_b32 s0, 0
	s_mov_b32 s3, -1
	s_delay_alu instid0(VALU_DEP_2) | instskip(NEXT) | instid1(VALU_DEP_1)
	v_bfe_u32 v5, v1, 16, 1
	v_add3_u32 v1, v1, v5, 0x7fff
	s_delay_alu instid0(VALU_DEP_1) | instskip(NEXT) | instid1(VALU_DEP_1)
	v_lshrrev_b32_e32 v1, 16, v1
	v_cndmask_b32_e32 v1, 0x7fc0, v1, vcc_lo
	global_store_b32 v[2:3], v1, off
.LBB84_2613:
	s_and_b32 vcc_lo, exec_lo, s6
	s_cbranch_vccz .LBB84_2618
; %bb.2614:
	s_cmp_eq_u32 s1, 44
	s_mov_b32 s0, -1
	s_cbranch_scc0 .LBB84_2618
; %bb.2615:
	s_wait_xcnt 0x0
	v_cvt_f32_f16_e32 v1, v7
	v_mov_b32_e32 v5, 0xff
	s_mov_b32 s3, exec_lo
	s_delay_alu instid0(VALU_DEP_2) | instskip(NEXT) | instid1(VALU_DEP_1)
	v_bfe_u32 v6, v1, 23, 8
	v_cmpx_ne_u32_e32 0xff, v6
	s_cbranch_execz .LBB84_2617
; %bb.2616:
	v_and_b32_e32 v5, 0x400000, v1
	v_and_or_b32 v6, 0x3fffff, v1, v6
	v_lshrrev_b32_e32 v1, 23, v1
	s_delay_alu instid0(VALU_DEP_3) | instskip(NEXT) | instid1(VALU_DEP_3)
	v_cmp_ne_u32_e32 vcc_lo, 0, v5
	v_cmp_ne_u32_e64 s0, 0, v6
	s_and_b32 s0, vcc_lo, s0
	s_delay_alu instid0(SALU_CYCLE_1) | instskip(NEXT) | instid1(VALU_DEP_1)
	v_cndmask_b32_e64 v5, 0, 1, s0
	v_add_nc_u32_e32 v5, v1, v5
.LBB84_2617:
	s_or_b32 exec_lo, exec_lo, s3
	s_mov_b32 s0, 0
	s_mov_b32 s3, -1
	global_store_b8 v[2:3], v5, off
.LBB84_2618:
	s_mov_b32 s6, 0
.LBB84_2619:
	s_delay_alu instid0(SALU_CYCLE_1)
	s_and_b32 vcc_lo, exec_lo, s6
	s_cbranch_vccz .LBB84_2622
; %bb.2620:
	s_cmp_eq_u32 s1, 29
	s_mov_b32 s0, -1
	s_cbranch_scc0 .LBB84_2622
; %bb.2621:
	s_wait_xcnt 0x0
	v_cvt_f32_f16_e32 v1, v7
	v_mov_b32_e32 v11, 0
	s_mov_b32 s0, 0
	s_mov_b32 s3, -1
	s_delay_alu instid0(VALU_DEP_2)
	v_cvt_u32_f32_e32 v10, v1
	global_store_b64 v[2:3], v[10:11], off
.LBB84_2622:
	s_mov_b32 s6, 0
.LBB84_2623:
	s_delay_alu instid0(SALU_CYCLE_1)
	s_and_b32 vcc_lo, exec_lo, s6
	s_cbranch_vccz .LBB84_2639
; %bb.2624:
	s_cmp_lt_i32 s1, 27
	s_mov_b32 s3, -1
	s_cbranch_scc1 .LBB84_2630
; %bb.2625:
	s_cmp_gt_i32 s1, 27
	s_cbranch_scc0 .LBB84_2627
; %bb.2626:
	s_wait_xcnt 0x0
	v_cvt_f32_f16_e32 v1, v7
	s_mov_b32 s3, 0
	s_delay_alu instid0(VALU_DEP_1)
	v_cvt_u32_f32_e32 v1, v1
	global_store_b32 v[2:3], v1, off
.LBB84_2627:
	s_and_not1_b32 vcc_lo, exec_lo, s3
	s_cbranch_vccnz .LBB84_2629
; %bb.2628:
	s_wait_xcnt 0x0
	v_cvt_u16_f16_e32 v1, v7
	global_store_b16 v[2:3], v1, off
.LBB84_2629:
	s_mov_b32 s3, 0
.LBB84_2630:
	s_delay_alu instid0(SALU_CYCLE_1)
	s_and_not1_b32 vcc_lo, exec_lo, s3
	s_cbranch_vccnz .LBB84_2638
; %bb.2631:
	s_wait_xcnt 0x0
	v_cvt_f32_f16_e32 v1, v7
	v_mov_b32_e32 v6, 0x80
	s_mov_b32 s3, exec_lo
	s_delay_alu instid0(VALU_DEP_2) | instskip(NEXT) | instid1(VALU_DEP_1)
	v_and_b32_e32 v5, 0x7fffffff, v1
	v_cmpx_gt_u32_e32 0x43800000, v5
	s_cbranch_execz .LBB84_2637
; %bb.2632:
	v_cmp_lt_u32_e32 vcc_lo, 0x3bffffff, v5
	s_mov_b32 s6, 0
                                        ; implicit-def: $vgpr5
	s_and_saveexec_b32 s7, vcc_lo
	s_delay_alu instid0(SALU_CYCLE_1)
	s_xor_b32 s7, exec_lo, s7
	s_cbranch_execz .LBB84_3087
; %bb.2633:
	v_bfe_u32 v5, v1, 20, 1
	s_mov_b32 s6, exec_lo
	s_delay_alu instid0(VALU_DEP_1) | instskip(NEXT) | instid1(VALU_DEP_1)
	v_add3_u32 v5, v1, v5, 0x487ffff
	v_lshrrev_b32_e32 v5, 20, v5
	s_and_not1_saveexec_b32 s7, s7
	s_cbranch_execnz .LBB84_3088
.LBB84_2634:
	s_or_b32 exec_lo, exec_lo, s7
	v_mov_b32_e32 v6, 0
	s_and_saveexec_b32 s7, s6
.LBB84_2635:
	v_lshrrev_b32_e32 v1, 24, v1
	s_delay_alu instid0(VALU_DEP_1)
	v_and_or_b32 v6, 0x80, v1, v5
.LBB84_2636:
	s_or_b32 exec_lo, exec_lo, s7
.LBB84_2637:
	s_delay_alu instid0(SALU_CYCLE_1)
	s_or_b32 exec_lo, exec_lo, s3
	global_store_b8 v[2:3], v6, off
.LBB84_2638:
	s_mov_b32 s3, -1
.LBB84_2639:
	s_mov_b32 s6, 0
.LBB84_2640:
	s_delay_alu instid0(SALU_CYCLE_1)
	s_and_b32 vcc_lo, exec_lo, s6
	s_cbranch_vccz .LBB84_2680
; %bb.2641:
	s_cmp_gt_i32 s1, 22
	s_mov_b32 s2, -1
	s_cbranch_scc0 .LBB84_2673
; %bb.2642:
	s_cmp_lt_i32 s1, 24
	s_cbranch_scc1 .LBB84_2662
; %bb.2643:
	s_cmp_gt_i32 s1, 24
	s_cbranch_scc0 .LBB84_2651
; %bb.2644:
	s_wait_xcnt 0x0
	v_cvt_f32_f16_e32 v1, v7
	v_mov_b32_e32 v6, 0x80
	s_mov_b32 s2, exec_lo
	s_delay_alu instid0(VALU_DEP_2) | instskip(NEXT) | instid1(VALU_DEP_1)
	v_and_b32_e32 v5, 0x7fffffff, v1
	v_cmpx_gt_u32_e32 0x47800000, v5
	s_cbranch_execz .LBB84_2650
; %bb.2645:
	v_cmp_lt_u32_e32 vcc_lo, 0x37ffffff, v5
	s_mov_b32 s3, 0
                                        ; implicit-def: $vgpr5
	s_and_saveexec_b32 s6, vcc_lo
	s_delay_alu instid0(SALU_CYCLE_1)
	s_xor_b32 s6, exec_lo, s6
	s_cbranch_execz .LBB84_3090
; %bb.2646:
	v_bfe_u32 v5, v1, 21, 1
	s_mov_b32 s3, exec_lo
	s_delay_alu instid0(VALU_DEP_1) | instskip(NEXT) | instid1(VALU_DEP_1)
	v_add3_u32 v5, v1, v5, 0x88fffff
	v_lshrrev_b32_e32 v5, 21, v5
	s_and_not1_saveexec_b32 s6, s6
	s_cbranch_execnz .LBB84_3091
.LBB84_2647:
	s_or_b32 exec_lo, exec_lo, s6
	v_mov_b32_e32 v6, 0
	s_and_saveexec_b32 s6, s3
.LBB84_2648:
	v_lshrrev_b32_e32 v1, 24, v1
	s_delay_alu instid0(VALU_DEP_1)
	v_and_or_b32 v6, 0x80, v1, v5
.LBB84_2649:
	s_or_b32 exec_lo, exec_lo, s6
.LBB84_2650:
	s_delay_alu instid0(SALU_CYCLE_1)
	s_or_b32 exec_lo, exec_lo, s2
	s_mov_b32 s2, 0
	global_store_b8 v[2:3], v6, off
.LBB84_2651:
	s_and_b32 vcc_lo, exec_lo, s2
	s_cbranch_vccz .LBB84_2661
; %bb.2652:
	s_wait_xcnt 0x0
	v_cvt_f32_f16_e32 v1, v7
	s_mov_b32 s2, exec_lo
                                        ; implicit-def: $vgpr5
	s_delay_alu instid0(VALU_DEP_1) | instskip(NEXT) | instid1(VALU_DEP_1)
	v_and_b32_e32 v6, 0x7fffffff, v1
	v_cmpx_gt_u32_e32 0x43f00000, v6
	s_xor_b32 s2, exec_lo, s2
	s_cbranch_execz .LBB84_2658
; %bb.2653:
	s_mov_b32 s3, exec_lo
                                        ; implicit-def: $vgpr5
	v_cmpx_lt_u32_e32 0x3c7fffff, v6
	s_xor_b32 s3, exec_lo, s3
; %bb.2654:
	v_bfe_u32 v5, v1, 20, 1
	s_delay_alu instid0(VALU_DEP_1) | instskip(NEXT) | instid1(VALU_DEP_1)
	v_add3_u32 v5, v1, v5, 0x407ffff
	v_and_b32_e32 v6, 0xff00000, v5
	v_lshrrev_b32_e32 v5, 20, v5
	s_delay_alu instid0(VALU_DEP_2) | instskip(NEXT) | instid1(VALU_DEP_2)
	v_cmp_ne_u32_e32 vcc_lo, 0x7f00000, v6
	v_cndmask_b32_e32 v5, 0x7e, v5, vcc_lo
; %bb.2655:
	s_and_not1_saveexec_b32 s3, s3
; %bb.2656:
	v_add_f32_e64 v5, 0x46800000, |v1|
; %bb.2657:
	s_or_b32 exec_lo, exec_lo, s3
                                        ; implicit-def: $vgpr6
.LBB84_2658:
	s_and_not1_saveexec_b32 s2, s2
; %bb.2659:
	v_mov_b32_e32 v5, 0x7f
	v_cmp_lt_u32_e32 vcc_lo, 0x7f800000, v6
	s_delay_alu instid0(VALU_DEP_2)
	v_cndmask_b32_e32 v5, 0x7e, v5, vcc_lo
; %bb.2660:
	s_or_b32 exec_lo, exec_lo, s2
	v_lshrrev_b32_e32 v1, 24, v1
	s_delay_alu instid0(VALU_DEP_1)
	v_and_or_b32 v1, 0x80, v1, v5
	global_store_b8 v[2:3], v1, off
.LBB84_2661:
	s_mov_b32 s2, 0
.LBB84_2662:
	s_delay_alu instid0(SALU_CYCLE_1)
	s_and_not1_b32 vcc_lo, exec_lo, s2
	s_cbranch_vccnz .LBB84_2672
; %bb.2663:
	s_wait_xcnt 0x0
	v_cvt_f32_f16_e32 v1, v7
	s_mov_b32 s2, exec_lo
                                        ; implicit-def: $vgpr5
	s_delay_alu instid0(VALU_DEP_1) | instskip(NEXT) | instid1(VALU_DEP_1)
	v_and_b32_e32 v6, 0x7fffffff, v1
	v_cmpx_gt_u32_e32 0x47800000, v6
	s_xor_b32 s2, exec_lo, s2
	s_cbranch_execz .LBB84_2669
; %bb.2664:
	s_mov_b32 s3, exec_lo
                                        ; implicit-def: $vgpr5
	v_cmpx_lt_u32_e32 0x387fffff, v6
	s_xor_b32 s3, exec_lo, s3
; %bb.2665:
	v_bfe_u32 v5, v1, 21, 1
	s_delay_alu instid0(VALU_DEP_1) | instskip(NEXT) | instid1(VALU_DEP_1)
	v_add3_u32 v5, v1, v5, 0x80fffff
	v_lshrrev_b32_e32 v5, 21, v5
; %bb.2666:
	s_and_not1_saveexec_b32 s3, s3
; %bb.2667:
	v_add_f32_e64 v5, 0x43000000, |v1|
; %bb.2668:
	s_or_b32 exec_lo, exec_lo, s3
                                        ; implicit-def: $vgpr6
.LBB84_2669:
	s_and_not1_saveexec_b32 s2, s2
; %bb.2670:
	v_mov_b32_e32 v5, 0x7f
	v_cmp_lt_u32_e32 vcc_lo, 0x7f800000, v6
	s_delay_alu instid0(VALU_DEP_2)
	v_cndmask_b32_e32 v5, 0x7c, v5, vcc_lo
; %bb.2671:
	s_or_b32 exec_lo, exec_lo, s2
	v_lshrrev_b32_e32 v1, 24, v1
	s_delay_alu instid0(VALU_DEP_1)
	v_and_or_b32 v1, 0x80, v1, v5
	global_store_b8 v[2:3], v1, off
.LBB84_2672:
	s_mov_b32 s2, 0
	s_mov_b32 s3, -1
.LBB84_2673:
	s_and_not1_b32 vcc_lo, exec_lo, s2
	s_mov_b32 s2, 0
	s_cbranch_vccnz .LBB84_2680
; %bb.2674:
	s_cmp_gt_i32 s1, 14
	s_mov_b32 s2, -1
	s_cbranch_scc0 .LBB84_2678
; %bb.2675:
	s_cmp_eq_u32 s1, 15
	s_mov_b32 s0, -1
	s_cbranch_scc0 .LBB84_2677
; %bb.2676:
	s_wait_xcnt 0x0
	v_cvt_f32_f16_e32 v1, v7
	v_cmp_o_f16_e32 vcc_lo, v7, v7
	s_mov_b32 s0, 0
	s_mov_b32 s3, -1
	s_delay_alu instid0(VALU_DEP_2) | instskip(NEXT) | instid1(VALU_DEP_1)
	v_bfe_u32 v5, v1, 16, 1
	v_add3_u32 v1, v1, v5, 0x7fff
	s_delay_alu instid0(VALU_DEP_1) | instskip(NEXT) | instid1(VALU_DEP_1)
	v_lshrrev_b32_e32 v1, 16, v1
	v_cndmask_b32_e32 v1, 0x7fc0, v1, vcc_lo
	global_store_b16 v[2:3], v1, off
.LBB84_2677:
	s_mov_b32 s2, 0
.LBB84_2678:
	s_delay_alu instid0(SALU_CYCLE_1)
	s_and_b32 vcc_lo, exec_lo, s2
	s_mov_b32 s2, 0
	s_cbranch_vccz .LBB84_2680
; %bb.2679:
	s_cmp_lg_u32 s1, 11
	s_mov_b32 s2, -1
	s_cselect_b32 s0, -1, 0
.LBB84_2680:
	s_delay_alu instid0(SALU_CYCLE_1)
	s_and_b32 vcc_lo, exec_lo, s0
	s_cbranch_vccnz .LBB84_3089
; %bb.2681:
	s_and_not1_b32 vcc_lo, exec_lo, s2
	s_cbranch_vccnz .LBB84_2683
.LBB84_2682:
	s_wait_xcnt 0x0
	v_and_b32_e32 v1, 0x7fff, v7
	s_mov_b32 s3, -1
	s_delay_alu instid0(VALU_DEP_1)
	v_cmp_ne_u16_e32 vcc_lo, 0, v1
	v_cndmask_b32_e64 v1, 0, 1, vcc_lo
	global_store_b8 v[2:3], v1, off
.LBB84_2683:
	s_mov_b32 s0, 0
	s_branch .LBB84_2730
.LBB84_2684:
	s_mov_b32 s0, 0
	s_mov_b32 s2, 0
                                        ; implicit-def: $sgpr18
                                        ; implicit-def: $vgpr0_vgpr1
                                        ; implicit-def: $vgpr4
.LBB84_2685:
	s_and_not1_b32 s1, s17, exec_lo
	s_and_b32 s3, s14, exec_lo
	s_and_b32 s0, s0, exec_lo
	;; [unrolled: 1-line block ×3, first 2 shown]
	s_or_b32 s17, s1, s3
.LBB84_2686:
	s_wait_xcnt 0x0
	s_or_b32 exec_lo, exec_lo, s16
	s_and_saveexec_b32 s1, s17
	s_cbranch_execz .LBB84_2689
; %bb.2687:
	; divergent unreachable
	s_or_b32 exec_lo, exec_lo, s1
	s_and_saveexec_b32 s1, s14
	s_delay_alu instid0(SALU_CYCLE_1)
	s_xor_b32 s1, exec_lo, s1
	s_cbranch_execnz .LBB84_2690
.LBB84_2688:
	s_or_b32 exec_lo, exec_lo, s1
	s_and_saveexec_b32 s1, s0
	s_cbranch_execnz .LBB84_2691
	s_branch .LBB84_2728
.LBB84_2689:
	s_or_b32 exec_lo, exec_lo, s1
	s_and_saveexec_b32 s1, s14
	s_delay_alu instid0(SALU_CYCLE_1)
	s_xor_b32 s1, exec_lo, s1
	s_cbranch_execz .LBB84_2688
.LBB84_2690:
	s_wait_loadcnt 0x0
	v_and_b32_e32 v2, 0x7fff, v4
	s_delay_alu instid0(VALU_DEP_1)
	v_cmp_ne_u16_e32 vcc_lo, 0, v2
	v_cndmask_b32_e64 v2, 0, 1, vcc_lo
	global_store_b8 v[0:1], v2, off
	s_wait_xcnt 0x0
	s_or_b32 exec_lo, exec_lo, s1
	s_and_saveexec_b32 s1, s0
	s_cbranch_execz .LBB84_2728
.LBB84_2691:
	s_sext_i32_i16 s1, s18
	s_mov_b32 s0, -1
	s_cmp_lt_i32 s1, 5
	s_cbranch_scc1 .LBB84_2712
; %bb.2692:
	s_cmp_lt_i32 s1, 8
	s_cbranch_scc1 .LBB84_2702
; %bb.2693:
	;; [unrolled: 3-line block ×3, first 2 shown]
	s_cmp_gt_i32 s1, 9
	s_cbranch_scc0 .LBB84_2696
; %bb.2695:
	s_wait_loadcnt 0x0
	v_cvt_f32_f16_e32 v2, v4
	v_mov_b32_e32 v8, 0
	s_mov_b32 s0, 0
	s_delay_alu instid0(VALU_DEP_2) | instskip(NEXT) | instid1(VALU_DEP_2)
	v_cvt_f64_f32_e32 v[6:7], v2
	v_mov_b32_e32 v9, v8
	global_store_b128 v[0:1], v[6:9], off
.LBB84_2696:
	s_and_not1_b32 vcc_lo, exec_lo, s0
	s_cbranch_vccnz .LBB84_2698
; %bb.2697:
	s_wait_loadcnt 0x0
	v_cvt_f32_f16_e32 v2, v4
	v_mov_b32_e32 v3, 0
	global_store_b64 v[0:1], v[2:3], off
.LBB84_2698:
	s_mov_b32 s0, 0
.LBB84_2699:
	s_delay_alu instid0(SALU_CYCLE_1)
	s_and_not1_b32 vcc_lo, exec_lo, s0
	s_cbranch_vccnz .LBB84_2701
; %bb.2700:
	s_wait_loadcnt 0x0
	v_and_b32_e32 v2, 0xffff, v4
	global_store_b32 v[0:1], v2, off
.LBB84_2701:
	s_mov_b32 s0, 0
.LBB84_2702:
	s_delay_alu instid0(SALU_CYCLE_1)
	s_and_not1_b32 vcc_lo, exec_lo, s0
	s_cbranch_vccnz .LBB84_2711
; %bb.2703:
	s_sext_i32_i16 s1, s18
	s_mov_b32 s0, -1
	s_cmp_lt_i32 s1, 6
	s_cbranch_scc1 .LBB84_2709
; %bb.2704:
	s_cmp_gt_i32 s1, 6
	s_cbranch_scc0 .LBB84_2706
; %bb.2705:
	s_wait_loadcnt 0x0
	v_cvt_f32_f16_e32 v2, v4
	s_mov_b32 s0, 0
	s_delay_alu instid0(VALU_DEP_1)
	v_cvt_f64_f32_e32 v[2:3], v2
	global_store_b64 v[0:1], v[2:3], off
.LBB84_2706:
	s_and_not1_b32 vcc_lo, exec_lo, s0
	s_cbranch_vccnz .LBB84_2708
; %bb.2707:
	s_wait_loadcnt 0x0
	v_cvt_f32_f16_e32 v2, v4
	global_store_b32 v[0:1], v2, off
.LBB84_2708:
	s_mov_b32 s0, 0
.LBB84_2709:
	s_delay_alu instid0(SALU_CYCLE_1)
	s_and_not1_b32 vcc_lo, exec_lo, s0
	s_cbranch_vccnz .LBB84_2711
; %bb.2710:
	s_wait_loadcnt 0x0
	global_store_b16 v[0:1], v4, off
.LBB84_2711:
	s_mov_b32 s0, 0
.LBB84_2712:
	s_delay_alu instid0(SALU_CYCLE_1)
	s_and_not1_b32 vcc_lo, exec_lo, s0
	s_cbranch_vccnz .LBB84_2728
; %bb.2713:
	s_sext_i32_i16 s1, s18
	s_mov_b32 s0, -1
	s_cmp_lt_i32 s1, 2
	s_cbranch_scc1 .LBB84_2723
; %bb.2714:
	s_cmp_lt_i32 s1, 3
	s_cbranch_scc1 .LBB84_2720
; %bb.2715:
	s_cmp_gt_i32 s1, 3
	s_cbranch_scc0 .LBB84_2717
; %bb.2716:
	s_wait_loadcnt 0x0
	v_cvt_f32_f16_e32 v2, v4
	s_mov_b32 s0, 0
	s_delay_alu instid0(VALU_DEP_1) | instskip(NEXT) | instid1(VALU_DEP_1)
	v_cvt_i32_f32_e32 v2, v2
	v_ashrrev_i32_e32 v3, 31, v2
	global_store_b64 v[0:1], v[2:3], off
.LBB84_2717:
	s_and_not1_b32 vcc_lo, exec_lo, s0
	s_cbranch_vccnz .LBB84_2719
; %bb.2718:
	s_wait_loadcnt 0x0
	v_cvt_f32_f16_e32 v2, v4
	s_delay_alu instid0(VALU_DEP_1)
	v_cvt_i32_f32_e32 v2, v2
	global_store_b32 v[0:1], v2, off
.LBB84_2719:
	s_mov_b32 s0, 0
.LBB84_2720:
	s_delay_alu instid0(SALU_CYCLE_1)
	s_and_not1_b32 vcc_lo, exec_lo, s0
	s_cbranch_vccnz .LBB84_2722
; %bb.2721:
	s_wait_loadcnt 0x0
	v_cvt_i16_f16_e32 v2, v4
	global_store_b16 v[0:1], v2, off
.LBB84_2722:
	s_mov_b32 s0, 0
.LBB84_2723:
	s_delay_alu instid0(SALU_CYCLE_1)
	s_and_not1_b32 vcc_lo, exec_lo, s0
	s_cbranch_vccnz .LBB84_2728
; %bb.2724:
	s_sext_i32_i16 s0, s18
	s_delay_alu instid0(SALU_CYCLE_1)
	s_cmp_gt_i32 s0, 0
	s_mov_b32 s0, -1
	s_cbranch_scc0 .LBB84_2726
; %bb.2725:
	s_wait_loadcnt 0x0
	v_cvt_i16_f16_e32 v2, v4
	s_mov_b32 s0, 0
	global_store_b8 v[0:1], v2, off
.LBB84_2726:
	s_and_not1_b32 vcc_lo, exec_lo, s0
	s_cbranch_vccnz .LBB84_2728
; %bb.2727:
	s_wait_loadcnt 0x0
	v_cvt_f32_f16_e32 v2, v4
	s_delay_alu instid0(VALU_DEP_1)
	v_cvt_i32_f32_e32 v2, v2
	global_store_b8 v[0:1], v2, off
	s_endpgm
.LBB84_2728:
	s_endpgm
.LBB84_2729:
	s_mov_b32 s0, -1
	s_mov_b32 s3, 0
.LBB84_2730:
	s_and_b32 vcc_lo, exec_lo, s0
	s_cbranch_vccz .LBB84_2769
; %bb.2731:
	s_and_b32 s0, 0xffff, s18
	s_mov_b32 s1, -1
	s_cmp_lt_i32 s0, 5
	s_cbranch_scc1 .LBB84_2752
; %bb.2732:
	s_cmp_lt_i32 s0, 8
	s_cbranch_scc1 .LBB84_2742
; %bb.2733:
	;; [unrolled: 3-line block ×3, first 2 shown]
	s_cmp_gt_i32 s0, 9
	s_cbranch_scc0 .LBB84_2736
; %bb.2735:
	s_wait_xcnt 0x0
	v_cvt_f32_f16_e32 v1, v7
	v_mov_b32_e32 v12, 0
	s_mov_b32 s1, 0
	s_delay_alu instid0(VALU_DEP_2) | instskip(NEXT) | instid1(VALU_DEP_2)
	v_cvt_f64_f32_e32 v[10:11], v1
	v_mov_b32_e32 v13, v12
	global_store_b128 v[2:3], v[10:13], off
.LBB84_2736:
	s_and_not1_b32 vcc_lo, exec_lo, s1
	s_cbranch_vccnz .LBB84_2738
; %bb.2737:
	s_wait_xcnt 0x0
	v_cvt_f32_f16_e32 v10, v7
	v_mov_b32_e32 v11, 0
	global_store_b64 v[2:3], v[10:11], off
.LBB84_2738:
	s_mov_b32 s1, 0
.LBB84_2739:
	s_delay_alu instid0(SALU_CYCLE_1)
	s_and_not1_b32 vcc_lo, exec_lo, s1
	s_cbranch_vccnz .LBB84_2741
; %bb.2740:
	s_wait_xcnt 0x0
	v_and_b32_e32 v1, 0xffff, v7
	global_store_b32 v[2:3], v1, off
.LBB84_2741:
	s_mov_b32 s1, 0
.LBB84_2742:
	s_delay_alu instid0(SALU_CYCLE_1)
	s_and_not1_b32 vcc_lo, exec_lo, s1
	s_cbranch_vccnz .LBB84_2751
; %bb.2743:
	s_cmp_lt_i32 s0, 6
	s_mov_b32 s1, -1
	s_cbranch_scc1 .LBB84_2749
; %bb.2744:
	s_cmp_gt_i32 s0, 6
	s_cbranch_scc0 .LBB84_2746
; %bb.2745:
	s_wait_xcnt 0x0
	v_cvt_f32_f16_e32 v1, v7
	s_mov_b32 s1, 0
	s_delay_alu instid0(VALU_DEP_1)
	v_cvt_f64_f32_e32 v[10:11], v1
	global_store_b64 v[2:3], v[10:11], off
.LBB84_2746:
	s_and_not1_b32 vcc_lo, exec_lo, s1
	s_cbranch_vccnz .LBB84_2748
; %bb.2747:
	s_wait_xcnt 0x0
	v_cvt_f32_f16_e32 v1, v7
	global_store_b32 v[2:3], v1, off
.LBB84_2748:
	s_mov_b32 s1, 0
.LBB84_2749:
	s_delay_alu instid0(SALU_CYCLE_1)
	s_and_not1_b32 vcc_lo, exec_lo, s1
	s_cbranch_vccnz .LBB84_2751
; %bb.2750:
	global_store_b16 v[2:3], v7, off
.LBB84_2751:
	s_mov_b32 s1, 0
.LBB84_2752:
	s_delay_alu instid0(SALU_CYCLE_1)
	s_and_not1_b32 vcc_lo, exec_lo, s1
	s_cbranch_vccnz .LBB84_2768
; %bb.2753:
	s_cmp_lt_i32 s0, 2
	s_mov_b32 s1, -1
	s_cbranch_scc1 .LBB84_2763
; %bb.2754:
	s_cmp_lt_i32 s0, 3
	s_cbranch_scc1 .LBB84_2760
; %bb.2755:
	s_cmp_gt_i32 s0, 3
	s_cbranch_scc0 .LBB84_2757
; %bb.2756:
	s_wait_xcnt 0x0
	v_cvt_f32_f16_e32 v1, v7
	s_mov_b32 s1, 0
	s_delay_alu instid0(VALU_DEP_1) | instskip(NEXT) | instid1(VALU_DEP_1)
	v_cvt_i32_f32_e32 v10, v1
	v_ashrrev_i32_e32 v11, 31, v10
	global_store_b64 v[2:3], v[10:11], off
.LBB84_2757:
	s_and_not1_b32 vcc_lo, exec_lo, s1
	s_cbranch_vccnz .LBB84_2759
; %bb.2758:
	s_wait_xcnt 0x0
	v_cvt_f32_f16_e32 v1, v7
	s_delay_alu instid0(VALU_DEP_1)
	v_cvt_i32_f32_e32 v1, v1
	global_store_b32 v[2:3], v1, off
.LBB84_2759:
	s_mov_b32 s1, 0
.LBB84_2760:
	s_delay_alu instid0(SALU_CYCLE_1)
	s_and_not1_b32 vcc_lo, exec_lo, s1
	s_cbranch_vccnz .LBB84_2762
; %bb.2761:
	s_wait_xcnt 0x0
	v_cvt_i16_f16_e32 v1, v7
	global_store_b16 v[2:3], v1, off
.LBB84_2762:
	s_mov_b32 s1, 0
.LBB84_2763:
	s_delay_alu instid0(SALU_CYCLE_1)
	s_and_not1_b32 vcc_lo, exec_lo, s1
	s_cbranch_vccnz .LBB84_2768
; %bb.2764:
	s_cmp_gt_i32 s0, 0
	s_mov_b32 s0, -1
	s_cbranch_scc0 .LBB84_2766
; %bb.2765:
	s_wait_xcnt 0x0
	v_cvt_i16_f16_e32 v1, v7
	s_mov_b32 s0, 0
	global_store_b8 v[2:3], v1, off
.LBB84_2766:
	s_and_not1_b32 vcc_lo, exec_lo, s0
	s_cbranch_vccnz .LBB84_2768
; %bb.2767:
	s_wait_xcnt 0x0
	v_cvt_f32_f16_e32 v1, v7
	s_delay_alu instid0(VALU_DEP_1)
	v_cvt_i32_f32_e32 v1, v1
	global_store_b8 v[2:3], v1, off
.LBB84_2768:
	s_mov_b32 s3, -1
.LBB84_2769:
	s_delay_alu instid0(SALU_CYCLE_1)
	s_and_not1_b32 vcc_lo, exec_lo, s3
	s_cbranch_vccnz .LBB84_3084
; %bb.2770:
	s_lshl_b32 s1, s8, 7
	s_cmp_lt_i32 s18, 11
	v_add_nc_u32_e32 v0, s1, v0
	s_wait_xcnt 0x0
	s_delay_alu instid0(VALU_DEP_1) | instskip(NEXT) | instid1(VALU_DEP_1)
	v_ashrrev_i32_e32 v1, 31, v0
	v_add_nc_u64_e32 v[2:3], s[4:5], v[0:1]
	s_cbranch_scc1 .LBB84_2848
; %bb.2771:
	s_and_b32 s2, 0xffff, s18
	s_mov_b32 s7, -1
	s_mov_b32 s3, 0
	s_cmp_gt_i32 s2, 25
	s_mov_b32 s6, 0
	s_mov_b32 s0, 0
	s_cbranch_scc0 .LBB84_2804
; %bb.2772:
	s_cmp_gt_i32 s2, 28
	s_cbranch_scc0 .LBB84_2787
; %bb.2773:
	s_cmp_gt_i32 s2, 43
	;; [unrolled: 3-line block ×3, first 2 shown]
	s_cbranch_scc0 .LBB84_2777
; %bb.2775:
	s_mov_b32 s0, -1
	s_mov_b32 s7, 0
	s_cmp_eq_u32 s2, 46
	s_cbranch_scc0 .LBB84_2777
; %bb.2776:
	v_cvt_f32_f16_e32 v1, v8
	v_cmp_o_f16_e32 vcc_lo, v8, v8
	s_mov_b32 s0, 0
	s_mov_b32 s6, -1
	s_delay_alu instid0(VALU_DEP_2) | instskip(NEXT) | instid1(VALU_DEP_1)
	v_bfe_u32 v5, v1, 16, 1
	v_add3_u32 v1, v1, v5, 0x7fff
	s_delay_alu instid0(VALU_DEP_1) | instskip(NEXT) | instid1(VALU_DEP_1)
	v_lshrrev_b32_e32 v1, 16, v1
	v_cndmask_b32_e32 v1, 0x7fc0, v1, vcc_lo
	global_store_b32 v[2:3], v1, off
.LBB84_2777:
	s_and_b32 vcc_lo, exec_lo, s7
	s_cbranch_vccz .LBB84_2782
; %bb.2778:
	s_cmp_eq_u32 s2, 44
	s_mov_b32 s0, -1
	s_cbranch_scc0 .LBB84_2782
; %bb.2779:
	s_wait_xcnt 0x0
	v_cvt_f32_f16_e32 v1, v8
	v_mov_b32_e32 v5, 0xff
	s_mov_b32 s6, exec_lo
	s_delay_alu instid0(VALU_DEP_2) | instskip(NEXT) | instid1(VALU_DEP_1)
	v_bfe_u32 v6, v1, 23, 8
	v_cmpx_ne_u32_e32 0xff, v6
	s_cbranch_execz .LBB84_2781
; %bb.2780:
	v_and_b32_e32 v5, 0x400000, v1
	v_and_or_b32 v6, 0x3fffff, v1, v6
	v_lshrrev_b32_e32 v1, 23, v1
	s_delay_alu instid0(VALU_DEP_3) | instskip(NEXT) | instid1(VALU_DEP_3)
	v_cmp_ne_u32_e32 vcc_lo, 0, v5
	v_cmp_ne_u32_e64 s0, 0, v6
	s_and_b32 s0, vcc_lo, s0
	s_delay_alu instid0(SALU_CYCLE_1) | instskip(NEXT) | instid1(VALU_DEP_1)
	v_cndmask_b32_e64 v5, 0, 1, s0
	v_add_nc_u32_e32 v5, v1, v5
.LBB84_2781:
	s_or_b32 exec_lo, exec_lo, s6
	s_mov_b32 s0, 0
	s_mov_b32 s6, -1
	global_store_b8 v[2:3], v5, off
.LBB84_2782:
	s_mov_b32 s7, 0
.LBB84_2783:
	s_delay_alu instid0(SALU_CYCLE_1)
	s_and_b32 vcc_lo, exec_lo, s7
	s_cbranch_vccz .LBB84_2786
; %bb.2784:
	s_cmp_eq_u32 s2, 29
	s_mov_b32 s0, -1
	s_cbranch_scc0 .LBB84_2786
; %bb.2785:
	s_wait_xcnt 0x0
	v_cvt_f32_f16_e32 v1, v8
	v_mov_b32_e32 v7, 0
	s_mov_b32 s0, 0
	s_mov_b32 s6, -1
	s_delay_alu instid0(VALU_DEP_2)
	v_cvt_u32_f32_e32 v6, v1
	global_store_b64 v[2:3], v[6:7], off
.LBB84_2786:
	s_mov_b32 s7, 0
.LBB84_2787:
	s_delay_alu instid0(SALU_CYCLE_1)
	s_and_b32 vcc_lo, exec_lo, s7
	s_cbranch_vccz .LBB84_2803
; %bb.2788:
	s_cmp_lt_i32 s2, 27
	s_mov_b32 s6, -1
	s_cbranch_scc1 .LBB84_2794
; %bb.2789:
	s_cmp_gt_i32 s2, 27
	s_cbranch_scc0 .LBB84_2791
; %bb.2790:
	s_wait_xcnt 0x0
	v_cvt_f32_f16_e32 v1, v8
	s_mov_b32 s6, 0
	s_delay_alu instid0(VALU_DEP_1)
	v_cvt_u32_f32_e32 v1, v1
	global_store_b32 v[2:3], v1, off
.LBB84_2791:
	s_and_not1_b32 vcc_lo, exec_lo, s6
	s_cbranch_vccnz .LBB84_2793
; %bb.2792:
	s_wait_xcnt 0x0
	v_cvt_u16_f16_e32 v1, v8
	global_store_b16 v[2:3], v1, off
.LBB84_2793:
	s_mov_b32 s6, 0
.LBB84_2794:
	s_delay_alu instid0(SALU_CYCLE_1)
	s_and_not1_b32 vcc_lo, exec_lo, s6
	s_cbranch_vccnz .LBB84_2802
; %bb.2795:
	s_wait_xcnt 0x0
	v_cvt_f32_f16_e32 v1, v8
	v_mov_b32_e32 v6, 0x80
	s_mov_b32 s6, exec_lo
	s_delay_alu instid0(VALU_DEP_2) | instskip(NEXT) | instid1(VALU_DEP_1)
	v_and_b32_e32 v5, 0x7fffffff, v1
	v_cmpx_gt_u32_e32 0x43800000, v5
	s_cbranch_execz .LBB84_2801
; %bb.2796:
	v_cmp_lt_u32_e32 vcc_lo, 0x3bffffff, v5
	s_mov_b32 s7, 0
                                        ; implicit-def: $vgpr5
	s_and_saveexec_b32 s8, vcc_lo
	s_delay_alu instid0(SALU_CYCLE_1)
	s_xor_b32 s8, exec_lo, s8
	s_cbranch_execz .LBB84_3092
; %bb.2797:
	v_bfe_u32 v5, v1, 20, 1
	s_mov_b32 s7, exec_lo
	s_delay_alu instid0(VALU_DEP_1) | instskip(NEXT) | instid1(VALU_DEP_1)
	v_add3_u32 v5, v1, v5, 0x487ffff
	v_lshrrev_b32_e32 v5, 20, v5
	s_and_not1_saveexec_b32 s8, s8
	s_cbranch_execnz .LBB84_3093
.LBB84_2798:
	s_or_b32 exec_lo, exec_lo, s8
	v_mov_b32_e32 v6, 0
	s_and_saveexec_b32 s8, s7
.LBB84_2799:
	v_lshrrev_b32_e32 v1, 24, v1
	s_delay_alu instid0(VALU_DEP_1)
	v_and_or_b32 v6, 0x80, v1, v5
.LBB84_2800:
	s_or_b32 exec_lo, exec_lo, s8
.LBB84_2801:
	s_delay_alu instid0(SALU_CYCLE_1)
	s_or_b32 exec_lo, exec_lo, s6
	global_store_b8 v[2:3], v6, off
.LBB84_2802:
	s_mov_b32 s6, -1
.LBB84_2803:
	s_mov_b32 s7, 0
.LBB84_2804:
	s_delay_alu instid0(SALU_CYCLE_1)
	s_and_b32 vcc_lo, exec_lo, s7
	s_cbranch_vccz .LBB84_2844
; %bb.2805:
	s_cmp_gt_i32 s2, 22
	s_mov_b32 s3, -1
	s_cbranch_scc0 .LBB84_2837
; %bb.2806:
	s_cmp_lt_i32 s2, 24
	s_cbranch_scc1 .LBB84_2826
; %bb.2807:
	s_cmp_gt_i32 s2, 24
	s_cbranch_scc0 .LBB84_2815
; %bb.2808:
	s_wait_xcnt 0x0
	v_cvt_f32_f16_e32 v1, v8
	v_mov_b32_e32 v6, 0x80
	s_mov_b32 s3, exec_lo
	s_delay_alu instid0(VALU_DEP_2) | instskip(NEXT) | instid1(VALU_DEP_1)
	v_and_b32_e32 v5, 0x7fffffff, v1
	v_cmpx_gt_u32_e32 0x47800000, v5
	s_cbranch_execz .LBB84_2814
; %bb.2809:
	v_cmp_lt_u32_e32 vcc_lo, 0x37ffffff, v5
	s_mov_b32 s6, 0
                                        ; implicit-def: $vgpr5
	s_and_saveexec_b32 s7, vcc_lo
	s_delay_alu instid0(SALU_CYCLE_1)
	s_xor_b32 s7, exec_lo, s7
	s_cbranch_execz .LBB84_3095
; %bb.2810:
	v_bfe_u32 v5, v1, 21, 1
	s_mov_b32 s6, exec_lo
	s_delay_alu instid0(VALU_DEP_1) | instskip(NEXT) | instid1(VALU_DEP_1)
	v_add3_u32 v5, v1, v5, 0x88fffff
	v_lshrrev_b32_e32 v5, 21, v5
	s_and_not1_saveexec_b32 s7, s7
	s_cbranch_execnz .LBB84_3096
.LBB84_2811:
	s_or_b32 exec_lo, exec_lo, s7
	v_mov_b32_e32 v6, 0
	s_and_saveexec_b32 s7, s6
.LBB84_2812:
	v_lshrrev_b32_e32 v1, 24, v1
	s_delay_alu instid0(VALU_DEP_1)
	v_and_or_b32 v6, 0x80, v1, v5
.LBB84_2813:
	s_or_b32 exec_lo, exec_lo, s7
.LBB84_2814:
	s_delay_alu instid0(SALU_CYCLE_1)
	s_or_b32 exec_lo, exec_lo, s3
	s_mov_b32 s3, 0
	global_store_b8 v[2:3], v6, off
.LBB84_2815:
	s_and_b32 vcc_lo, exec_lo, s3
	s_cbranch_vccz .LBB84_2825
; %bb.2816:
	s_wait_xcnt 0x0
	v_cvt_f32_f16_e32 v1, v8
	s_mov_b32 s3, exec_lo
                                        ; implicit-def: $vgpr5
	s_delay_alu instid0(VALU_DEP_1) | instskip(NEXT) | instid1(VALU_DEP_1)
	v_and_b32_e32 v6, 0x7fffffff, v1
	v_cmpx_gt_u32_e32 0x43f00000, v6
	s_xor_b32 s3, exec_lo, s3
	s_cbranch_execz .LBB84_2822
; %bb.2817:
	s_mov_b32 s6, exec_lo
                                        ; implicit-def: $vgpr5
	v_cmpx_lt_u32_e32 0x3c7fffff, v6
	s_xor_b32 s6, exec_lo, s6
; %bb.2818:
	v_bfe_u32 v5, v1, 20, 1
	s_delay_alu instid0(VALU_DEP_1) | instskip(NEXT) | instid1(VALU_DEP_1)
	v_add3_u32 v5, v1, v5, 0x407ffff
	v_and_b32_e32 v6, 0xff00000, v5
	v_lshrrev_b32_e32 v5, 20, v5
	s_delay_alu instid0(VALU_DEP_2) | instskip(NEXT) | instid1(VALU_DEP_2)
	v_cmp_ne_u32_e32 vcc_lo, 0x7f00000, v6
	v_cndmask_b32_e32 v5, 0x7e, v5, vcc_lo
; %bb.2819:
	s_and_not1_saveexec_b32 s6, s6
; %bb.2820:
	v_add_f32_e64 v5, 0x46800000, |v1|
; %bb.2821:
	s_or_b32 exec_lo, exec_lo, s6
                                        ; implicit-def: $vgpr6
.LBB84_2822:
	s_and_not1_saveexec_b32 s3, s3
; %bb.2823:
	v_mov_b32_e32 v5, 0x7f
	v_cmp_lt_u32_e32 vcc_lo, 0x7f800000, v6
	s_delay_alu instid0(VALU_DEP_2)
	v_cndmask_b32_e32 v5, 0x7e, v5, vcc_lo
; %bb.2824:
	s_or_b32 exec_lo, exec_lo, s3
	v_lshrrev_b32_e32 v1, 24, v1
	s_delay_alu instid0(VALU_DEP_1)
	v_and_or_b32 v1, 0x80, v1, v5
	global_store_b8 v[2:3], v1, off
.LBB84_2825:
	s_mov_b32 s3, 0
.LBB84_2826:
	s_delay_alu instid0(SALU_CYCLE_1)
	s_and_not1_b32 vcc_lo, exec_lo, s3
	s_cbranch_vccnz .LBB84_2836
; %bb.2827:
	s_wait_xcnt 0x0
	v_cvt_f32_f16_e32 v1, v8
	s_mov_b32 s3, exec_lo
                                        ; implicit-def: $vgpr5
	s_delay_alu instid0(VALU_DEP_1) | instskip(NEXT) | instid1(VALU_DEP_1)
	v_and_b32_e32 v6, 0x7fffffff, v1
	v_cmpx_gt_u32_e32 0x47800000, v6
	s_xor_b32 s3, exec_lo, s3
	s_cbranch_execz .LBB84_2833
; %bb.2828:
	s_mov_b32 s6, exec_lo
                                        ; implicit-def: $vgpr5
	v_cmpx_lt_u32_e32 0x387fffff, v6
	s_xor_b32 s6, exec_lo, s6
; %bb.2829:
	v_bfe_u32 v5, v1, 21, 1
	s_delay_alu instid0(VALU_DEP_1) | instskip(NEXT) | instid1(VALU_DEP_1)
	v_add3_u32 v5, v1, v5, 0x80fffff
	v_lshrrev_b32_e32 v5, 21, v5
; %bb.2830:
	s_and_not1_saveexec_b32 s6, s6
; %bb.2831:
	v_add_f32_e64 v5, 0x43000000, |v1|
; %bb.2832:
	s_or_b32 exec_lo, exec_lo, s6
                                        ; implicit-def: $vgpr6
.LBB84_2833:
	s_and_not1_saveexec_b32 s3, s3
; %bb.2834:
	v_mov_b32_e32 v5, 0x7f
	v_cmp_lt_u32_e32 vcc_lo, 0x7f800000, v6
	s_delay_alu instid0(VALU_DEP_2)
	v_cndmask_b32_e32 v5, 0x7c, v5, vcc_lo
; %bb.2835:
	s_or_b32 exec_lo, exec_lo, s3
	v_lshrrev_b32_e32 v1, 24, v1
	s_delay_alu instid0(VALU_DEP_1)
	v_and_or_b32 v1, 0x80, v1, v5
	global_store_b8 v[2:3], v1, off
.LBB84_2836:
	s_mov_b32 s3, 0
	s_mov_b32 s6, -1
.LBB84_2837:
	s_and_not1_b32 vcc_lo, exec_lo, s3
	s_mov_b32 s3, 0
	s_cbranch_vccnz .LBB84_2844
; %bb.2838:
	s_cmp_gt_i32 s2, 14
	s_mov_b32 s3, -1
	s_cbranch_scc0 .LBB84_2842
; %bb.2839:
	s_cmp_eq_u32 s2, 15
	s_mov_b32 s0, -1
	s_cbranch_scc0 .LBB84_2841
; %bb.2840:
	s_wait_xcnt 0x0
	v_cvt_f32_f16_e32 v1, v8
	v_cmp_o_f16_e32 vcc_lo, v8, v8
	s_mov_b32 s0, 0
	s_mov_b32 s6, -1
	s_delay_alu instid0(VALU_DEP_2) | instskip(NEXT) | instid1(VALU_DEP_1)
	v_bfe_u32 v5, v1, 16, 1
	v_add3_u32 v1, v1, v5, 0x7fff
	s_delay_alu instid0(VALU_DEP_1) | instskip(NEXT) | instid1(VALU_DEP_1)
	v_lshrrev_b32_e32 v1, 16, v1
	v_cndmask_b32_e32 v1, 0x7fc0, v1, vcc_lo
	global_store_b16 v[2:3], v1, off
.LBB84_2841:
	s_mov_b32 s3, 0
.LBB84_2842:
	s_delay_alu instid0(SALU_CYCLE_1)
	s_and_b32 vcc_lo, exec_lo, s3
	s_mov_b32 s3, 0
	s_cbranch_vccz .LBB84_2844
; %bb.2843:
	s_cmp_lg_u32 s2, 11
	s_mov_b32 s3, -1
	s_cselect_b32 s0, -1, 0
.LBB84_2844:
	s_delay_alu instid0(SALU_CYCLE_1)
	s_and_b32 vcc_lo, exec_lo, s0
	s_cbranch_vccnz .LBB84_3094
; %bb.2845:
	s_and_not1_b32 vcc_lo, exec_lo, s3
	s_cbranch_vccnz .LBB84_2847
.LBB84_2846:
	s_wait_xcnt 0x0
	v_and_b32_e32 v1, 0x7fff, v8
	s_mov_b32 s6, -1
	s_delay_alu instid0(VALU_DEP_1)
	v_cmp_ne_u16_e32 vcc_lo, 0, v1
	v_cndmask_b32_e64 v1, 0, 1, vcc_lo
	global_store_b8 v[2:3], v1, off
.LBB84_2847:
	s_mov_b32 s0, 0
	s_branch .LBB84_2849
.LBB84_2848:
	s_mov_b32 s0, -1
	s_mov_b32 s6, 0
.LBB84_2849:
	s_and_b32 vcc_lo, exec_lo, s0
	s_cbranch_vccz .LBB84_2888
; %bb.2850:
	s_and_b32 s0, 0xffff, s18
	s_mov_b32 s2, -1
	s_cmp_lt_i32 s0, 5
	s_cbranch_scc1 .LBB84_2871
; %bb.2851:
	s_cmp_lt_i32 s0, 8
	s_cbranch_scc1 .LBB84_2861
; %bb.2852:
	;; [unrolled: 3-line block ×3, first 2 shown]
	s_cmp_gt_i32 s0, 9
	s_cbranch_scc0 .LBB84_2855
; %bb.2854:
	s_wait_xcnt 0x0
	v_cvt_f32_f16_e32 v1, v8
	v_mov_b32_e32 v12, 0
	s_mov_b32 s2, 0
	s_delay_alu instid0(VALU_DEP_2) | instskip(NEXT) | instid1(VALU_DEP_2)
	v_cvt_f64_f32_e32 v[10:11], v1
	v_mov_b32_e32 v13, v12
	global_store_b128 v[2:3], v[10:13], off
.LBB84_2855:
	s_and_not1_b32 vcc_lo, exec_lo, s2
	s_cbranch_vccnz .LBB84_2857
; %bb.2856:
	s_wait_xcnt 0x0
	v_cvt_f32_f16_e32 v6, v8
	v_mov_b32_e32 v7, 0
	global_store_b64 v[2:3], v[6:7], off
.LBB84_2857:
	s_mov_b32 s2, 0
.LBB84_2858:
	s_delay_alu instid0(SALU_CYCLE_1)
	s_and_not1_b32 vcc_lo, exec_lo, s2
	s_cbranch_vccnz .LBB84_2860
; %bb.2859:
	s_wait_xcnt 0x0
	v_and_b32_e32 v1, 0xffff, v8
	global_store_b32 v[2:3], v1, off
.LBB84_2860:
	s_mov_b32 s2, 0
.LBB84_2861:
	s_delay_alu instid0(SALU_CYCLE_1)
	s_and_not1_b32 vcc_lo, exec_lo, s2
	s_cbranch_vccnz .LBB84_2870
; %bb.2862:
	s_cmp_lt_i32 s0, 6
	s_mov_b32 s2, -1
	s_cbranch_scc1 .LBB84_2868
; %bb.2863:
	s_cmp_gt_i32 s0, 6
	s_cbranch_scc0 .LBB84_2865
; %bb.2864:
	s_wait_xcnt 0x0
	v_cvt_f32_f16_e32 v1, v8
	s_mov_b32 s2, 0
	s_delay_alu instid0(VALU_DEP_1)
	v_cvt_f64_f32_e32 v[6:7], v1
	global_store_b64 v[2:3], v[6:7], off
.LBB84_2865:
	s_and_not1_b32 vcc_lo, exec_lo, s2
	s_cbranch_vccnz .LBB84_2867
; %bb.2866:
	s_wait_xcnt 0x0
	v_cvt_f32_f16_e32 v1, v8
	global_store_b32 v[2:3], v1, off
.LBB84_2867:
	s_mov_b32 s2, 0
.LBB84_2868:
	s_delay_alu instid0(SALU_CYCLE_1)
	s_and_not1_b32 vcc_lo, exec_lo, s2
	s_cbranch_vccnz .LBB84_2870
; %bb.2869:
	global_store_b16 v[2:3], v8, off
.LBB84_2870:
	s_mov_b32 s2, 0
.LBB84_2871:
	s_delay_alu instid0(SALU_CYCLE_1)
	s_and_not1_b32 vcc_lo, exec_lo, s2
	s_cbranch_vccnz .LBB84_2887
; %bb.2872:
	s_cmp_lt_i32 s0, 2
	s_mov_b32 s2, -1
	s_cbranch_scc1 .LBB84_2882
; %bb.2873:
	s_cmp_lt_i32 s0, 3
	s_cbranch_scc1 .LBB84_2879
; %bb.2874:
	s_cmp_gt_i32 s0, 3
	s_cbranch_scc0 .LBB84_2876
; %bb.2875:
	s_wait_xcnt 0x0
	v_cvt_f32_f16_e32 v1, v8
	s_mov_b32 s2, 0
	s_delay_alu instid0(VALU_DEP_1) | instskip(NEXT) | instid1(VALU_DEP_1)
	v_cvt_i32_f32_e32 v6, v1
	v_ashrrev_i32_e32 v7, 31, v6
	global_store_b64 v[2:3], v[6:7], off
.LBB84_2876:
	s_and_not1_b32 vcc_lo, exec_lo, s2
	s_cbranch_vccnz .LBB84_2878
; %bb.2877:
	s_wait_xcnt 0x0
	v_cvt_f32_f16_e32 v1, v8
	s_delay_alu instid0(VALU_DEP_1)
	v_cvt_i32_f32_e32 v1, v1
	global_store_b32 v[2:3], v1, off
.LBB84_2878:
	s_mov_b32 s2, 0
.LBB84_2879:
	s_delay_alu instid0(SALU_CYCLE_1)
	s_and_not1_b32 vcc_lo, exec_lo, s2
	s_cbranch_vccnz .LBB84_2881
; %bb.2880:
	s_wait_xcnt 0x0
	v_cvt_i16_f16_e32 v1, v8
	global_store_b16 v[2:3], v1, off
.LBB84_2881:
	s_mov_b32 s2, 0
.LBB84_2882:
	s_delay_alu instid0(SALU_CYCLE_1)
	s_and_not1_b32 vcc_lo, exec_lo, s2
	s_cbranch_vccnz .LBB84_2887
; %bb.2883:
	s_cmp_gt_i32 s0, 0
	s_mov_b32 s0, -1
	s_cbranch_scc0 .LBB84_2885
; %bb.2884:
	s_wait_xcnt 0x0
	v_cvt_i16_f16_e32 v1, v8
	s_mov_b32 s0, 0
	global_store_b8 v[2:3], v1, off
.LBB84_2885:
	s_and_not1_b32 vcc_lo, exec_lo, s0
	s_cbranch_vccnz .LBB84_2887
; %bb.2886:
	s_wait_xcnt 0x0
	v_cvt_f32_f16_e32 v1, v8
	s_delay_alu instid0(VALU_DEP_1)
	v_cvt_i32_f32_e32 v1, v1
	global_store_b8 v[2:3], v1, off
.LBB84_2887:
	s_mov_b32 s6, -1
.LBB84_2888:
	s_delay_alu instid0(SALU_CYCLE_1)
	s_and_not1_b32 vcc_lo, exec_lo, s6
	s_cbranch_vccnz .LBB84_3084
; %bb.2889:
	v_add_nc_u32_e32 v0, s1, v0
	s_cmp_lt_i32 s18, 11
	s_wait_xcnt 0x0
	s_delay_alu instid0(VALU_DEP_1) | instskip(NEXT) | instid1(VALU_DEP_1)
	v_ashrrev_i32_e32 v1, 31, v0
	v_add_nc_u64_e32 v[2:3], s[4:5], v[0:1]
	s_cbranch_scc1 .LBB84_2967
; %bb.2890:
	s_and_b32 s2, 0xffff, s18
	s_mov_b32 s7, -1
	s_mov_b32 s3, 0
	s_cmp_gt_i32 s2, 25
	s_mov_b32 s6, 0
	s_mov_b32 s0, 0
	s_cbranch_scc0 .LBB84_2923
; %bb.2891:
	s_cmp_gt_i32 s2, 28
	s_cbranch_scc0 .LBB84_2906
; %bb.2892:
	s_cmp_gt_i32 s2, 43
	;; [unrolled: 3-line block ×3, first 2 shown]
	s_cbranch_scc0 .LBB84_2896
; %bb.2894:
	s_mov_b32 s0, -1
	s_mov_b32 s7, 0
	s_cmp_eq_u32 s2, 46
	s_cbranch_scc0 .LBB84_2896
; %bb.2895:
	v_cvt_f32_f16_e32 v1, v9
	v_cmp_o_f16_e32 vcc_lo, v9, v9
	s_mov_b32 s0, 0
	s_mov_b32 s6, -1
	s_delay_alu instid0(VALU_DEP_2) | instskip(NEXT) | instid1(VALU_DEP_1)
	v_bfe_u32 v5, v1, 16, 1
	v_add3_u32 v1, v1, v5, 0x7fff
	s_delay_alu instid0(VALU_DEP_1) | instskip(NEXT) | instid1(VALU_DEP_1)
	v_lshrrev_b32_e32 v1, 16, v1
	v_cndmask_b32_e32 v1, 0x7fc0, v1, vcc_lo
	global_store_b32 v[2:3], v1, off
.LBB84_2896:
	s_and_b32 vcc_lo, exec_lo, s7
	s_cbranch_vccz .LBB84_2901
; %bb.2897:
	s_cmp_eq_u32 s2, 44
	s_mov_b32 s0, -1
	s_cbranch_scc0 .LBB84_2901
; %bb.2898:
	s_wait_xcnt 0x0
	v_cvt_f32_f16_e32 v1, v9
	v_mov_b32_e32 v5, 0xff
	s_mov_b32 s6, exec_lo
	s_delay_alu instid0(VALU_DEP_2) | instskip(NEXT) | instid1(VALU_DEP_1)
	v_bfe_u32 v6, v1, 23, 8
	v_cmpx_ne_u32_e32 0xff, v6
	s_cbranch_execz .LBB84_2900
; %bb.2899:
	v_and_b32_e32 v5, 0x400000, v1
	v_and_or_b32 v6, 0x3fffff, v1, v6
	v_lshrrev_b32_e32 v1, 23, v1
	s_delay_alu instid0(VALU_DEP_3) | instskip(NEXT) | instid1(VALU_DEP_3)
	v_cmp_ne_u32_e32 vcc_lo, 0, v5
	v_cmp_ne_u32_e64 s0, 0, v6
	s_and_b32 s0, vcc_lo, s0
	s_delay_alu instid0(SALU_CYCLE_1) | instskip(NEXT) | instid1(VALU_DEP_1)
	v_cndmask_b32_e64 v5, 0, 1, s0
	v_add_nc_u32_e32 v5, v1, v5
.LBB84_2900:
	s_or_b32 exec_lo, exec_lo, s6
	s_mov_b32 s0, 0
	s_mov_b32 s6, -1
	global_store_b8 v[2:3], v5, off
.LBB84_2901:
	s_mov_b32 s7, 0
.LBB84_2902:
	s_delay_alu instid0(SALU_CYCLE_1)
	s_and_b32 vcc_lo, exec_lo, s7
	s_cbranch_vccz .LBB84_2905
; %bb.2903:
	s_cmp_eq_u32 s2, 29
	s_mov_b32 s0, -1
	s_cbranch_scc0 .LBB84_2905
; %bb.2904:
	s_wait_xcnt 0x0
	v_cvt_f32_f16_e32 v1, v9
	v_mov_b32_e32 v7, 0
	s_mov_b32 s0, 0
	s_mov_b32 s6, -1
	s_delay_alu instid0(VALU_DEP_2)
	v_cvt_u32_f32_e32 v6, v1
	global_store_b64 v[2:3], v[6:7], off
.LBB84_2905:
	s_mov_b32 s7, 0
.LBB84_2906:
	s_delay_alu instid0(SALU_CYCLE_1)
	s_and_b32 vcc_lo, exec_lo, s7
	s_cbranch_vccz .LBB84_2922
; %bb.2907:
	s_cmp_lt_i32 s2, 27
	s_mov_b32 s6, -1
	s_cbranch_scc1 .LBB84_2913
; %bb.2908:
	s_cmp_gt_i32 s2, 27
	s_cbranch_scc0 .LBB84_2910
; %bb.2909:
	s_wait_xcnt 0x0
	v_cvt_f32_f16_e32 v1, v9
	s_mov_b32 s6, 0
	s_delay_alu instid0(VALU_DEP_1)
	v_cvt_u32_f32_e32 v1, v1
	global_store_b32 v[2:3], v1, off
.LBB84_2910:
	s_and_not1_b32 vcc_lo, exec_lo, s6
	s_cbranch_vccnz .LBB84_2912
; %bb.2911:
	s_wait_xcnt 0x0
	v_cvt_u16_f16_e32 v1, v9
	global_store_b16 v[2:3], v1, off
.LBB84_2912:
	s_mov_b32 s6, 0
.LBB84_2913:
	s_delay_alu instid0(SALU_CYCLE_1)
	s_and_not1_b32 vcc_lo, exec_lo, s6
	s_cbranch_vccnz .LBB84_2921
; %bb.2914:
	s_wait_xcnt 0x0
	v_cvt_f32_f16_e32 v1, v9
	v_mov_b32_e32 v6, 0x80
	s_mov_b32 s6, exec_lo
	s_delay_alu instid0(VALU_DEP_2) | instskip(NEXT) | instid1(VALU_DEP_1)
	v_and_b32_e32 v5, 0x7fffffff, v1
	v_cmpx_gt_u32_e32 0x43800000, v5
	s_cbranch_execz .LBB84_2920
; %bb.2915:
	v_cmp_lt_u32_e32 vcc_lo, 0x3bffffff, v5
	s_mov_b32 s7, 0
                                        ; implicit-def: $vgpr5
	s_and_saveexec_b32 s8, vcc_lo
	s_delay_alu instid0(SALU_CYCLE_1)
	s_xor_b32 s8, exec_lo, s8
	s_cbranch_execz .LBB84_3097
; %bb.2916:
	v_bfe_u32 v5, v1, 20, 1
	s_mov_b32 s7, exec_lo
	s_delay_alu instid0(VALU_DEP_1) | instskip(NEXT) | instid1(VALU_DEP_1)
	v_add3_u32 v5, v1, v5, 0x487ffff
	v_lshrrev_b32_e32 v5, 20, v5
	s_and_not1_saveexec_b32 s8, s8
	s_cbranch_execnz .LBB84_3098
.LBB84_2917:
	s_or_b32 exec_lo, exec_lo, s8
	v_mov_b32_e32 v6, 0
	s_and_saveexec_b32 s8, s7
.LBB84_2918:
	v_lshrrev_b32_e32 v1, 24, v1
	s_delay_alu instid0(VALU_DEP_1)
	v_and_or_b32 v6, 0x80, v1, v5
.LBB84_2919:
	s_or_b32 exec_lo, exec_lo, s8
.LBB84_2920:
	s_delay_alu instid0(SALU_CYCLE_1)
	s_or_b32 exec_lo, exec_lo, s6
	global_store_b8 v[2:3], v6, off
.LBB84_2921:
	s_mov_b32 s6, -1
.LBB84_2922:
	s_mov_b32 s7, 0
.LBB84_2923:
	s_delay_alu instid0(SALU_CYCLE_1)
	s_and_b32 vcc_lo, exec_lo, s7
	s_cbranch_vccz .LBB84_2963
; %bb.2924:
	s_cmp_gt_i32 s2, 22
	s_mov_b32 s3, -1
	s_cbranch_scc0 .LBB84_2956
; %bb.2925:
	s_cmp_lt_i32 s2, 24
	s_cbranch_scc1 .LBB84_2945
; %bb.2926:
	s_cmp_gt_i32 s2, 24
	s_cbranch_scc0 .LBB84_2934
; %bb.2927:
	s_wait_xcnt 0x0
	v_cvt_f32_f16_e32 v1, v9
	v_mov_b32_e32 v6, 0x80
	s_mov_b32 s3, exec_lo
	s_delay_alu instid0(VALU_DEP_2) | instskip(NEXT) | instid1(VALU_DEP_1)
	v_and_b32_e32 v5, 0x7fffffff, v1
	v_cmpx_gt_u32_e32 0x47800000, v5
	s_cbranch_execz .LBB84_2933
; %bb.2928:
	v_cmp_lt_u32_e32 vcc_lo, 0x37ffffff, v5
	s_mov_b32 s6, 0
                                        ; implicit-def: $vgpr5
	s_and_saveexec_b32 s7, vcc_lo
	s_delay_alu instid0(SALU_CYCLE_1)
	s_xor_b32 s7, exec_lo, s7
	s_cbranch_execz .LBB84_3100
; %bb.2929:
	v_bfe_u32 v5, v1, 21, 1
	s_mov_b32 s6, exec_lo
	s_delay_alu instid0(VALU_DEP_1) | instskip(NEXT) | instid1(VALU_DEP_1)
	v_add3_u32 v5, v1, v5, 0x88fffff
	v_lshrrev_b32_e32 v5, 21, v5
	s_and_not1_saveexec_b32 s7, s7
	s_cbranch_execnz .LBB84_3101
.LBB84_2930:
	s_or_b32 exec_lo, exec_lo, s7
	v_mov_b32_e32 v6, 0
	s_and_saveexec_b32 s7, s6
.LBB84_2931:
	v_lshrrev_b32_e32 v1, 24, v1
	s_delay_alu instid0(VALU_DEP_1)
	v_and_or_b32 v6, 0x80, v1, v5
.LBB84_2932:
	s_or_b32 exec_lo, exec_lo, s7
.LBB84_2933:
	s_delay_alu instid0(SALU_CYCLE_1)
	s_or_b32 exec_lo, exec_lo, s3
	s_mov_b32 s3, 0
	global_store_b8 v[2:3], v6, off
.LBB84_2934:
	s_and_b32 vcc_lo, exec_lo, s3
	s_cbranch_vccz .LBB84_2944
; %bb.2935:
	s_wait_xcnt 0x0
	v_cvt_f32_f16_e32 v1, v9
	s_mov_b32 s3, exec_lo
                                        ; implicit-def: $vgpr5
	s_delay_alu instid0(VALU_DEP_1) | instskip(NEXT) | instid1(VALU_DEP_1)
	v_and_b32_e32 v6, 0x7fffffff, v1
	v_cmpx_gt_u32_e32 0x43f00000, v6
	s_xor_b32 s3, exec_lo, s3
	s_cbranch_execz .LBB84_2941
; %bb.2936:
	s_mov_b32 s6, exec_lo
                                        ; implicit-def: $vgpr5
	v_cmpx_lt_u32_e32 0x3c7fffff, v6
	s_xor_b32 s6, exec_lo, s6
; %bb.2937:
	v_bfe_u32 v5, v1, 20, 1
	s_delay_alu instid0(VALU_DEP_1) | instskip(NEXT) | instid1(VALU_DEP_1)
	v_add3_u32 v5, v1, v5, 0x407ffff
	v_and_b32_e32 v6, 0xff00000, v5
	v_lshrrev_b32_e32 v5, 20, v5
	s_delay_alu instid0(VALU_DEP_2) | instskip(NEXT) | instid1(VALU_DEP_2)
	v_cmp_ne_u32_e32 vcc_lo, 0x7f00000, v6
	v_cndmask_b32_e32 v5, 0x7e, v5, vcc_lo
; %bb.2938:
	s_and_not1_saveexec_b32 s6, s6
; %bb.2939:
	v_add_f32_e64 v5, 0x46800000, |v1|
; %bb.2940:
	s_or_b32 exec_lo, exec_lo, s6
                                        ; implicit-def: $vgpr6
.LBB84_2941:
	s_and_not1_saveexec_b32 s3, s3
; %bb.2942:
	v_mov_b32_e32 v5, 0x7f
	v_cmp_lt_u32_e32 vcc_lo, 0x7f800000, v6
	s_delay_alu instid0(VALU_DEP_2)
	v_cndmask_b32_e32 v5, 0x7e, v5, vcc_lo
; %bb.2943:
	s_or_b32 exec_lo, exec_lo, s3
	v_lshrrev_b32_e32 v1, 24, v1
	s_delay_alu instid0(VALU_DEP_1)
	v_and_or_b32 v1, 0x80, v1, v5
	global_store_b8 v[2:3], v1, off
.LBB84_2944:
	s_mov_b32 s3, 0
.LBB84_2945:
	s_delay_alu instid0(SALU_CYCLE_1)
	s_and_not1_b32 vcc_lo, exec_lo, s3
	s_cbranch_vccnz .LBB84_2955
; %bb.2946:
	s_wait_xcnt 0x0
	v_cvt_f32_f16_e32 v1, v9
	s_mov_b32 s3, exec_lo
                                        ; implicit-def: $vgpr5
	s_delay_alu instid0(VALU_DEP_1) | instskip(NEXT) | instid1(VALU_DEP_1)
	v_and_b32_e32 v6, 0x7fffffff, v1
	v_cmpx_gt_u32_e32 0x47800000, v6
	s_xor_b32 s3, exec_lo, s3
	s_cbranch_execz .LBB84_2952
; %bb.2947:
	s_mov_b32 s6, exec_lo
                                        ; implicit-def: $vgpr5
	v_cmpx_lt_u32_e32 0x387fffff, v6
	s_xor_b32 s6, exec_lo, s6
; %bb.2948:
	v_bfe_u32 v5, v1, 21, 1
	s_delay_alu instid0(VALU_DEP_1) | instskip(NEXT) | instid1(VALU_DEP_1)
	v_add3_u32 v5, v1, v5, 0x80fffff
	v_lshrrev_b32_e32 v5, 21, v5
; %bb.2949:
	s_and_not1_saveexec_b32 s6, s6
; %bb.2950:
	v_add_f32_e64 v5, 0x43000000, |v1|
; %bb.2951:
	s_or_b32 exec_lo, exec_lo, s6
                                        ; implicit-def: $vgpr6
.LBB84_2952:
	s_and_not1_saveexec_b32 s3, s3
; %bb.2953:
	v_mov_b32_e32 v5, 0x7f
	v_cmp_lt_u32_e32 vcc_lo, 0x7f800000, v6
	s_delay_alu instid0(VALU_DEP_2)
	v_cndmask_b32_e32 v5, 0x7c, v5, vcc_lo
; %bb.2954:
	s_or_b32 exec_lo, exec_lo, s3
	v_lshrrev_b32_e32 v1, 24, v1
	s_delay_alu instid0(VALU_DEP_1)
	v_and_or_b32 v1, 0x80, v1, v5
	global_store_b8 v[2:3], v1, off
.LBB84_2955:
	s_mov_b32 s3, 0
	s_mov_b32 s6, -1
.LBB84_2956:
	s_and_not1_b32 vcc_lo, exec_lo, s3
	s_mov_b32 s3, 0
	s_cbranch_vccnz .LBB84_2963
; %bb.2957:
	s_cmp_gt_i32 s2, 14
	s_mov_b32 s3, -1
	s_cbranch_scc0 .LBB84_2961
; %bb.2958:
	s_cmp_eq_u32 s2, 15
	s_mov_b32 s0, -1
	s_cbranch_scc0 .LBB84_2960
; %bb.2959:
	s_wait_xcnt 0x0
	v_cvt_f32_f16_e32 v1, v9
	v_cmp_o_f16_e32 vcc_lo, v9, v9
	s_mov_b32 s0, 0
	s_mov_b32 s6, -1
	s_delay_alu instid0(VALU_DEP_2) | instskip(NEXT) | instid1(VALU_DEP_1)
	v_bfe_u32 v5, v1, 16, 1
	v_add3_u32 v1, v1, v5, 0x7fff
	s_delay_alu instid0(VALU_DEP_1) | instskip(NEXT) | instid1(VALU_DEP_1)
	v_lshrrev_b32_e32 v1, 16, v1
	v_cndmask_b32_e32 v1, 0x7fc0, v1, vcc_lo
	global_store_b16 v[2:3], v1, off
.LBB84_2960:
	s_mov_b32 s3, 0
.LBB84_2961:
	s_delay_alu instid0(SALU_CYCLE_1)
	s_and_b32 vcc_lo, exec_lo, s3
	s_mov_b32 s3, 0
	s_cbranch_vccz .LBB84_2963
; %bb.2962:
	s_cmp_lg_u32 s2, 11
	s_mov_b32 s3, -1
	s_cselect_b32 s0, -1, 0
.LBB84_2963:
	s_delay_alu instid0(SALU_CYCLE_1)
	s_and_b32 vcc_lo, exec_lo, s0
	s_cbranch_vccnz .LBB84_3099
; %bb.2964:
	s_and_not1_b32 vcc_lo, exec_lo, s3
	s_cbranch_vccnz .LBB84_2966
.LBB84_2965:
	s_wait_xcnt 0x0
	v_and_b32_e32 v1, 0x7fff, v9
	s_mov_b32 s6, -1
	s_delay_alu instid0(VALU_DEP_1)
	v_cmp_ne_u16_e32 vcc_lo, 0, v1
	v_cndmask_b32_e64 v1, 0, 1, vcc_lo
	global_store_b8 v[2:3], v1, off
.LBB84_2966:
	s_mov_b32 s0, 0
	s_branch .LBB84_2968
.LBB84_2967:
	s_mov_b32 s0, -1
	s_mov_b32 s6, 0
.LBB84_2968:
	s_and_b32 vcc_lo, exec_lo, s0
	s_cbranch_vccz .LBB84_3007
; %bb.2969:
	s_and_b32 s0, 0xffff, s18
	s_mov_b32 s2, -1
	s_cmp_lt_i32 s0, 5
	s_cbranch_scc1 .LBB84_2990
; %bb.2970:
	s_cmp_lt_i32 s0, 8
	s_cbranch_scc1 .LBB84_2980
; %bb.2971:
	s_cmp_lt_i32 s0, 9
	s_cbranch_scc1 .LBB84_2977
; %bb.2972:
	s_cmp_gt_i32 s0, 9
	s_cbranch_scc0 .LBB84_2974
; %bb.2973:
	s_wait_xcnt 0x0
	v_cvt_f32_f16_e32 v1, v9
	v_mov_b32_e32 v12, 0
	s_mov_b32 s2, 0
	s_delay_alu instid0(VALU_DEP_2) | instskip(NEXT) | instid1(VALU_DEP_2)
	v_cvt_f64_f32_e32 v[10:11], v1
	v_mov_b32_e32 v13, v12
	global_store_b128 v[2:3], v[10:13], off
.LBB84_2974:
	s_and_not1_b32 vcc_lo, exec_lo, s2
	s_cbranch_vccnz .LBB84_2976
; %bb.2975:
	s_wait_xcnt 0x0
	v_cvt_f32_f16_e32 v6, v9
	v_mov_b32_e32 v7, 0
	global_store_b64 v[2:3], v[6:7], off
.LBB84_2976:
	s_mov_b32 s2, 0
.LBB84_2977:
	s_delay_alu instid0(SALU_CYCLE_1)
	s_and_not1_b32 vcc_lo, exec_lo, s2
	s_cbranch_vccnz .LBB84_2979
; %bb.2978:
	s_wait_xcnt 0x0
	v_and_b32_e32 v1, 0xffff, v9
	global_store_b32 v[2:3], v1, off
.LBB84_2979:
	s_mov_b32 s2, 0
.LBB84_2980:
	s_delay_alu instid0(SALU_CYCLE_1)
	s_and_not1_b32 vcc_lo, exec_lo, s2
	s_cbranch_vccnz .LBB84_2989
; %bb.2981:
	s_cmp_lt_i32 s0, 6
	s_mov_b32 s2, -1
	s_cbranch_scc1 .LBB84_2987
; %bb.2982:
	s_cmp_gt_i32 s0, 6
	s_cbranch_scc0 .LBB84_2984
; %bb.2983:
	s_wait_xcnt 0x0
	v_cvt_f32_f16_e32 v1, v9
	s_mov_b32 s2, 0
	s_delay_alu instid0(VALU_DEP_1)
	v_cvt_f64_f32_e32 v[6:7], v1
	global_store_b64 v[2:3], v[6:7], off
.LBB84_2984:
	s_and_not1_b32 vcc_lo, exec_lo, s2
	s_cbranch_vccnz .LBB84_2986
; %bb.2985:
	s_wait_xcnt 0x0
	v_cvt_f32_f16_e32 v1, v9
	global_store_b32 v[2:3], v1, off
.LBB84_2986:
	s_mov_b32 s2, 0
.LBB84_2987:
	s_delay_alu instid0(SALU_CYCLE_1)
	s_and_not1_b32 vcc_lo, exec_lo, s2
	s_cbranch_vccnz .LBB84_2989
; %bb.2988:
	global_store_b16 v[2:3], v9, off
.LBB84_2989:
	s_mov_b32 s2, 0
.LBB84_2990:
	s_delay_alu instid0(SALU_CYCLE_1)
	s_and_not1_b32 vcc_lo, exec_lo, s2
	s_cbranch_vccnz .LBB84_3006
; %bb.2991:
	s_cmp_lt_i32 s0, 2
	s_mov_b32 s2, -1
	s_cbranch_scc1 .LBB84_3001
; %bb.2992:
	s_cmp_lt_i32 s0, 3
	s_cbranch_scc1 .LBB84_2998
; %bb.2993:
	s_cmp_gt_i32 s0, 3
	s_cbranch_scc0 .LBB84_2995
; %bb.2994:
	s_wait_xcnt 0x0
	v_cvt_f32_f16_e32 v1, v9
	s_mov_b32 s2, 0
	s_delay_alu instid0(VALU_DEP_1) | instskip(NEXT) | instid1(VALU_DEP_1)
	v_cvt_i32_f32_e32 v6, v1
	v_ashrrev_i32_e32 v7, 31, v6
	global_store_b64 v[2:3], v[6:7], off
.LBB84_2995:
	s_and_not1_b32 vcc_lo, exec_lo, s2
	s_cbranch_vccnz .LBB84_2997
; %bb.2996:
	s_wait_xcnt 0x0
	v_cvt_f32_f16_e32 v1, v9
	s_delay_alu instid0(VALU_DEP_1)
	v_cvt_i32_f32_e32 v1, v1
	global_store_b32 v[2:3], v1, off
.LBB84_2997:
	s_mov_b32 s2, 0
.LBB84_2998:
	s_delay_alu instid0(SALU_CYCLE_1)
	s_and_not1_b32 vcc_lo, exec_lo, s2
	s_cbranch_vccnz .LBB84_3000
; %bb.2999:
	s_wait_xcnt 0x0
	v_cvt_i16_f16_e32 v1, v9
	global_store_b16 v[2:3], v1, off
.LBB84_3000:
	s_mov_b32 s2, 0
.LBB84_3001:
	s_delay_alu instid0(SALU_CYCLE_1)
	s_and_not1_b32 vcc_lo, exec_lo, s2
	s_cbranch_vccnz .LBB84_3006
; %bb.3002:
	s_cmp_gt_i32 s0, 0
	s_mov_b32 s0, -1
	s_cbranch_scc0 .LBB84_3004
; %bb.3003:
	s_wait_xcnt 0x0
	v_cvt_i16_f16_e32 v1, v9
	s_mov_b32 s0, 0
	global_store_b8 v[2:3], v1, off
.LBB84_3004:
	s_and_not1_b32 vcc_lo, exec_lo, s0
	s_cbranch_vccnz .LBB84_3006
; %bb.3005:
	s_wait_xcnt 0x0
	v_cvt_f32_f16_e32 v1, v9
	s_delay_alu instid0(VALU_DEP_1)
	v_cvt_i32_f32_e32 v1, v1
	global_store_b8 v[2:3], v1, off
.LBB84_3006:
	s_mov_b32 s6, -1
.LBB84_3007:
	s_delay_alu instid0(SALU_CYCLE_1)
	s_and_not1_b32 vcc_lo, exec_lo, s6
	s_cbranch_vccnz .LBB84_3084
; %bb.3008:
	v_add_nc_u32_e32 v0, s1, v0
	s_cmp_lt_i32 s18, 11
	s_wait_xcnt 0x0
	s_delay_alu instid0(VALU_DEP_1) | instskip(NEXT) | instid1(VALU_DEP_1)
	v_ashrrev_i32_e32 v1, 31, v0
	v_add_nc_u64_e32 v[0:1], s[4:5], v[0:1]
	s_cbranch_scc1 .LBB84_3085
; %bb.3009:
	s_and_b32 s1, 0xffff, s18
	s_mov_b32 s3, -1
	s_mov_b32 s2, 0
	s_cmp_gt_i32 s1, 25
	s_mov_b32 s0, 0
	s_cbranch_scc0 .LBB84_3042
; %bb.3010:
	s_cmp_gt_i32 s1, 28
	s_cbranch_scc0 .LBB84_3026
; %bb.3011:
	s_cmp_gt_i32 s1, 43
	;; [unrolled: 3-line block ×3, first 2 shown]
	s_cbranch_scc0 .LBB84_3016
; %bb.3013:
	s_cmp_eq_u32 s1, 46
	s_mov_b32 s0, -1
	s_cbranch_scc0 .LBB84_3015
; %bb.3014:
	v_cvt_f32_f16_e32 v2, v4
	v_cmp_o_f16_e32 vcc_lo, v4, v4
	s_mov_b32 s0, 0
	s_delay_alu instid0(VALU_DEP_2) | instskip(NEXT) | instid1(VALU_DEP_1)
	v_bfe_u32 v3, v2, 16, 1
	v_add3_u32 v2, v2, v3, 0x7fff
	s_delay_alu instid0(VALU_DEP_1) | instskip(NEXT) | instid1(VALU_DEP_1)
	v_lshrrev_b32_e32 v2, 16, v2
	v_cndmask_b32_e32 v2, 0x7fc0, v2, vcc_lo
	global_store_b32 v[0:1], v2, off
.LBB84_3015:
	s_mov_b32 s3, 0
.LBB84_3016:
	s_delay_alu instid0(SALU_CYCLE_1)
	s_and_b32 vcc_lo, exec_lo, s3
	s_cbranch_vccz .LBB84_3021
; %bb.3017:
	s_cmp_eq_u32 s1, 44
	s_mov_b32 s0, -1
	s_cbranch_scc0 .LBB84_3021
; %bb.3018:
	s_wait_xcnt 0x0
	v_cvt_f32_f16_e32 v2, v4
	v_mov_b32_e32 v3, 0xff
	s_mov_b32 s3, exec_lo
	s_delay_alu instid0(VALU_DEP_2) | instskip(NEXT) | instid1(VALU_DEP_1)
	v_bfe_u32 v5, v2, 23, 8
	v_cmpx_ne_u32_e32 0xff, v5
	s_cbranch_execz .LBB84_3020
; %bb.3019:
	v_and_b32_e32 v3, 0x400000, v2
	v_and_or_b32 v5, 0x3fffff, v2, v5
	v_lshrrev_b32_e32 v2, 23, v2
	s_delay_alu instid0(VALU_DEP_3) | instskip(NEXT) | instid1(VALU_DEP_3)
	v_cmp_ne_u32_e32 vcc_lo, 0, v3
	v_cmp_ne_u32_e64 s0, 0, v5
	s_and_b32 s0, vcc_lo, s0
	s_delay_alu instid0(SALU_CYCLE_1) | instskip(NEXT) | instid1(VALU_DEP_1)
	v_cndmask_b32_e64 v3, 0, 1, s0
	v_add_nc_u32_e32 v3, v2, v3
.LBB84_3020:
	s_or_b32 exec_lo, exec_lo, s3
	s_mov_b32 s0, 0
	global_store_b8 v[0:1], v3, off
.LBB84_3021:
	s_mov_b32 s3, 0
.LBB84_3022:
	s_delay_alu instid0(SALU_CYCLE_1)
	s_and_b32 vcc_lo, exec_lo, s3
	s_cbranch_vccz .LBB84_3025
; %bb.3023:
	s_cmp_eq_u32 s1, 29
	s_mov_b32 s0, -1
	s_cbranch_scc0 .LBB84_3025
; %bb.3024:
	s_wait_xcnt 0x0
	v_cvt_f32_f16_e32 v2, v4
	v_mov_b32_e32 v3, 0
	s_mov_b32 s0, 0
	s_delay_alu instid0(VALU_DEP_2)
	v_cvt_u32_f32_e32 v2, v2
	global_store_b64 v[0:1], v[2:3], off
.LBB84_3025:
	s_mov_b32 s3, 0
.LBB84_3026:
	s_delay_alu instid0(SALU_CYCLE_1)
	s_and_b32 vcc_lo, exec_lo, s3
	s_cbranch_vccz .LBB84_3041
; %bb.3027:
	s_cmp_lt_i32 s1, 27
	s_mov_b32 s3, -1
	s_cbranch_scc1 .LBB84_3033
; %bb.3028:
	s_cmp_gt_i32 s1, 27
	s_cbranch_scc0 .LBB84_3030
; %bb.3029:
	s_wait_xcnt 0x0
	v_cvt_f32_f16_e32 v2, v4
	s_mov_b32 s3, 0
	s_delay_alu instid0(VALU_DEP_1)
	v_cvt_u32_f32_e32 v2, v2
	global_store_b32 v[0:1], v2, off
.LBB84_3030:
	s_and_not1_b32 vcc_lo, exec_lo, s3
	s_cbranch_vccnz .LBB84_3032
; %bb.3031:
	s_wait_xcnt 0x0
	v_cvt_u16_f16_e32 v2, v4
	global_store_b16 v[0:1], v2, off
.LBB84_3032:
	s_mov_b32 s3, 0
.LBB84_3033:
	s_delay_alu instid0(SALU_CYCLE_1)
	s_and_not1_b32 vcc_lo, exec_lo, s3
	s_cbranch_vccnz .LBB84_3041
; %bb.3034:
	s_wait_xcnt 0x0
	v_cvt_f32_f16_e32 v2, v4
	v_mov_b32_e32 v5, 0x80
	s_mov_b32 s3, exec_lo
	s_delay_alu instid0(VALU_DEP_2) | instskip(NEXT) | instid1(VALU_DEP_1)
	v_and_b32_e32 v3, 0x7fffffff, v2
	v_cmpx_gt_u32_e32 0x43800000, v3
	s_cbranch_execz .LBB84_3040
; %bb.3035:
	v_cmp_lt_u32_e32 vcc_lo, 0x3bffffff, v3
	s_mov_b32 s4, 0
                                        ; implicit-def: $vgpr3
	s_and_saveexec_b32 s5, vcc_lo
	s_delay_alu instid0(SALU_CYCLE_1)
	s_xor_b32 s5, exec_lo, s5
	s_cbranch_execz .LBB84_3102
; %bb.3036:
	v_bfe_u32 v3, v2, 20, 1
	s_mov_b32 s4, exec_lo
	s_delay_alu instid0(VALU_DEP_1) | instskip(NEXT) | instid1(VALU_DEP_1)
	v_add3_u32 v3, v2, v3, 0x487ffff
	v_lshrrev_b32_e32 v3, 20, v3
	s_and_not1_saveexec_b32 s5, s5
	s_cbranch_execnz .LBB84_3103
.LBB84_3037:
	s_or_b32 exec_lo, exec_lo, s5
	v_mov_b32_e32 v5, 0
	s_and_saveexec_b32 s5, s4
.LBB84_3038:
	v_lshrrev_b32_e32 v2, 24, v2
	s_delay_alu instid0(VALU_DEP_1)
	v_and_or_b32 v5, 0x80, v2, v3
.LBB84_3039:
	s_or_b32 exec_lo, exec_lo, s5
.LBB84_3040:
	s_delay_alu instid0(SALU_CYCLE_1)
	s_or_b32 exec_lo, exec_lo, s3
	global_store_b8 v[0:1], v5, off
.LBB84_3041:
	s_mov_b32 s3, 0
.LBB84_3042:
	s_delay_alu instid0(SALU_CYCLE_1)
	s_and_b32 vcc_lo, exec_lo, s3
	s_cbranch_vccz .LBB84_3082
; %bb.3043:
	s_cmp_gt_i32 s1, 22
	s_mov_b32 s2, -1
	s_cbranch_scc0 .LBB84_3075
; %bb.3044:
	s_cmp_lt_i32 s1, 24
	s_cbranch_scc1 .LBB84_3064
; %bb.3045:
	s_cmp_gt_i32 s1, 24
	s_cbranch_scc0 .LBB84_3053
; %bb.3046:
	s_wait_xcnt 0x0
	v_cvt_f32_f16_e32 v2, v4
	v_mov_b32_e32 v5, 0x80
	s_mov_b32 s2, exec_lo
	s_delay_alu instid0(VALU_DEP_2) | instskip(NEXT) | instid1(VALU_DEP_1)
	v_and_b32_e32 v3, 0x7fffffff, v2
	v_cmpx_gt_u32_e32 0x47800000, v3
	s_cbranch_execz .LBB84_3052
; %bb.3047:
	v_cmp_lt_u32_e32 vcc_lo, 0x37ffffff, v3
	s_mov_b32 s3, 0
                                        ; implicit-def: $vgpr3
	s_and_saveexec_b32 s4, vcc_lo
	s_delay_alu instid0(SALU_CYCLE_1)
	s_xor_b32 s4, exec_lo, s4
	s_cbranch_execz .LBB84_3105
; %bb.3048:
	v_bfe_u32 v3, v2, 21, 1
	s_mov_b32 s3, exec_lo
	s_delay_alu instid0(VALU_DEP_1) | instskip(NEXT) | instid1(VALU_DEP_1)
	v_add3_u32 v3, v2, v3, 0x88fffff
	v_lshrrev_b32_e32 v3, 21, v3
	s_and_not1_saveexec_b32 s4, s4
	s_cbranch_execnz .LBB84_3106
.LBB84_3049:
	s_or_b32 exec_lo, exec_lo, s4
	v_mov_b32_e32 v5, 0
	s_and_saveexec_b32 s4, s3
.LBB84_3050:
	v_lshrrev_b32_e32 v2, 24, v2
	s_delay_alu instid0(VALU_DEP_1)
	v_and_or_b32 v5, 0x80, v2, v3
.LBB84_3051:
	s_or_b32 exec_lo, exec_lo, s4
.LBB84_3052:
	s_delay_alu instid0(SALU_CYCLE_1)
	s_or_b32 exec_lo, exec_lo, s2
	s_mov_b32 s2, 0
	global_store_b8 v[0:1], v5, off
.LBB84_3053:
	s_and_b32 vcc_lo, exec_lo, s2
	s_cbranch_vccz .LBB84_3063
; %bb.3054:
	s_wait_xcnt 0x0
	v_cvt_f32_f16_e32 v2, v4
	s_mov_b32 s2, exec_lo
                                        ; implicit-def: $vgpr3
	s_delay_alu instid0(VALU_DEP_1) | instskip(NEXT) | instid1(VALU_DEP_1)
	v_and_b32_e32 v5, 0x7fffffff, v2
	v_cmpx_gt_u32_e32 0x43f00000, v5
	s_xor_b32 s2, exec_lo, s2
	s_cbranch_execz .LBB84_3060
; %bb.3055:
	s_mov_b32 s3, exec_lo
                                        ; implicit-def: $vgpr3
	v_cmpx_lt_u32_e32 0x3c7fffff, v5
	s_xor_b32 s3, exec_lo, s3
; %bb.3056:
	v_bfe_u32 v3, v2, 20, 1
	s_delay_alu instid0(VALU_DEP_1) | instskip(NEXT) | instid1(VALU_DEP_1)
	v_add3_u32 v3, v2, v3, 0x407ffff
	v_and_b32_e32 v5, 0xff00000, v3
	v_lshrrev_b32_e32 v3, 20, v3
	s_delay_alu instid0(VALU_DEP_2) | instskip(NEXT) | instid1(VALU_DEP_2)
	v_cmp_ne_u32_e32 vcc_lo, 0x7f00000, v5
	v_cndmask_b32_e32 v3, 0x7e, v3, vcc_lo
; %bb.3057:
	s_and_not1_saveexec_b32 s3, s3
; %bb.3058:
	v_add_f32_e64 v3, 0x46800000, |v2|
; %bb.3059:
	s_or_b32 exec_lo, exec_lo, s3
                                        ; implicit-def: $vgpr5
.LBB84_3060:
	s_and_not1_saveexec_b32 s2, s2
; %bb.3061:
	v_mov_b32_e32 v3, 0x7f
	v_cmp_lt_u32_e32 vcc_lo, 0x7f800000, v5
	s_delay_alu instid0(VALU_DEP_2)
	v_cndmask_b32_e32 v3, 0x7e, v3, vcc_lo
; %bb.3062:
	s_or_b32 exec_lo, exec_lo, s2
	v_lshrrev_b32_e32 v2, 24, v2
	s_delay_alu instid0(VALU_DEP_1)
	v_and_or_b32 v2, 0x80, v2, v3
	global_store_b8 v[0:1], v2, off
.LBB84_3063:
	s_mov_b32 s2, 0
.LBB84_3064:
	s_delay_alu instid0(SALU_CYCLE_1)
	s_and_not1_b32 vcc_lo, exec_lo, s2
	s_cbranch_vccnz .LBB84_3074
; %bb.3065:
	s_wait_xcnt 0x0
	v_cvt_f32_f16_e32 v2, v4
	s_mov_b32 s2, exec_lo
                                        ; implicit-def: $vgpr3
	s_delay_alu instid0(VALU_DEP_1) | instskip(NEXT) | instid1(VALU_DEP_1)
	v_and_b32_e32 v5, 0x7fffffff, v2
	v_cmpx_gt_u32_e32 0x47800000, v5
	s_xor_b32 s2, exec_lo, s2
	s_cbranch_execz .LBB84_3071
; %bb.3066:
	s_mov_b32 s3, exec_lo
                                        ; implicit-def: $vgpr3
	v_cmpx_lt_u32_e32 0x387fffff, v5
	s_xor_b32 s3, exec_lo, s3
; %bb.3067:
	v_bfe_u32 v3, v2, 21, 1
	s_delay_alu instid0(VALU_DEP_1) | instskip(NEXT) | instid1(VALU_DEP_1)
	v_add3_u32 v3, v2, v3, 0x80fffff
	v_lshrrev_b32_e32 v3, 21, v3
; %bb.3068:
	s_and_not1_saveexec_b32 s3, s3
; %bb.3069:
	v_add_f32_e64 v3, 0x43000000, |v2|
; %bb.3070:
	s_or_b32 exec_lo, exec_lo, s3
                                        ; implicit-def: $vgpr5
.LBB84_3071:
	s_and_not1_saveexec_b32 s2, s2
; %bb.3072:
	v_mov_b32_e32 v3, 0x7f
	v_cmp_lt_u32_e32 vcc_lo, 0x7f800000, v5
	s_delay_alu instid0(VALU_DEP_2)
	v_cndmask_b32_e32 v3, 0x7c, v3, vcc_lo
; %bb.3073:
	s_or_b32 exec_lo, exec_lo, s2
	v_lshrrev_b32_e32 v2, 24, v2
	s_delay_alu instid0(VALU_DEP_1)
	v_and_or_b32 v2, 0x80, v2, v3
	global_store_b8 v[0:1], v2, off
.LBB84_3074:
	s_mov_b32 s2, 0
.LBB84_3075:
	s_delay_alu instid0(SALU_CYCLE_1)
	s_and_not1_b32 vcc_lo, exec_lo, s2
	s_mov_b32 s2, 0
	s_cbranch_vccnz .LBB84_3082
; %bb.3076:
	s_cmp_gt_i32 s1, 14
	s_mov_b32 s2, -1
	s_cbranch_scc0 .LBB84_3080
; %bb.3077:
	s_cmp_eq_u32 s1, 15
	s_mov_b32 s0, -1
	s_cbranch_scc0 .LBB84_3079
; %bb.3078:
	s_wait_xcnt 0x0
	v_cvt_f32_f16_e32 v2, v4
	v_cmp_o_f16_e32 vcc_lo, v4, v4
	s_mov_b32 s0, 0
	s_delay_alu instid0(VALU_DEP_2) | instskip(NEXT) | instid1(VALU_DEP_1)
	v_bfe_u32 v3, v2, 16, 1
	v_add3_u32 v2, v2, v3, 0x7fff
	s_delay_alu instid0(VALU_DEP_1) | instskip(NEXT) | instid1(VALU_DEP_1)
	v_lshrrev_b32_e32 v2, 16, v2
	v_cndmask_b32_e32 v2, 0x7fc0, v2, vcc_lo
	global_store_b16 v[0:1], v2, off
.LBB84_3079:
	s_mov_b32 s2, 0
.LBB84_3080:
	s_delay_alu instid0(SALU_CYCLE_1)
	s_and_b32 vcc_lo, exec_lo, s2
	s_mov_b32 s2, 0
	s_cbranch_vccz .LBB84_3082
; %bb.3081:
	s_cmp_lg_u32 s1, 11
	s_mov_b32 s2, -1
	s_cselect_b32 s0, -1, 0
.LBB84_3082:
	s_delay_alu instid0(SALU_CYCLE_1)
	s_and_b32 vcc_lo, exec_lo, s0
	s_cbranch_vccnz .LBB84_3104
.LBB84_3083:
	s_mov_b32 s0, 0
	s_branch .LBB84_2685
.LBB84_3084:
	s_mov_b32 s0, 0
	s_mov_b32 s2, 0
                                        ; implicit-def: $sgpr18
                                        ; implicit-def: $vgpr0_vgpr1
	s_branch .LBB84_2685
.LBB84_3085:
	s_mov_b32 s2, 0
	s_mov_b32 s0, -1
	s_branch .LBB84_2685
.LBB84_3086:
	s_or_b32 s14, s14, exec_lo
	s_trap 2
	s_cbranch_execz .LBB84_2552
	s_branch .LBB84_2553
.LBB84_3087:
	s_and_not1_saveexec_b32 s7, s7
	s_cbranch_execz .LBB84_2634
.LBB84_3088:
	v_add_f32_e64 v5, 0x46000000, |v1|
	s_and_not1_b32 s6, s6, exec_lo
	s_delay_alu instid0(VALU_DEP_1) | instskip(NEXT) | instid1(VALU_DEP_1)
	v_and_b32_e32 v5, 0xff, v5
	v_cmp_ne_u32_e32 vcc_lo, 0, v5
	s_and_b32 s9, vcc_lo, exec_lo
	s_delay_alu instid0(SALU_CYCLE_1)
	s_or_b32 s6, s6, s9
	s_or_b32 exec_lo, exec_lo, s7
	v_mov_b32_e32 v6, 0
	s_and_saveexec_b32 s7, s6
	s_cbranch_execnz .LBB84_2635
	s_branch .LBB84_2636
.LBB84_3089:
	s_or_b32 s14, s14, exec_lo
	s_trap 2
	s_cbranch_execz .LBB84_2682
	s_branch .LBB84_2683
.LBB84_3090:
	s_and_not1_saveexec_b32 s6, s6
	s_cbranch_execz .LBB84_2647
.LBB84_3091:
	v_add_f32_e64 v5, 0x42800000, |v1|
	s_and_not1_b32 s3, s3, exec_lo
	s_delay_alu instid0(VALU_DEP_1) | instskip(NEXT) | instid1(VALU_DEP_1)
	v_and_b32_e32 v5, 0xff, v5
	v_cmp_ne_u32_e32 vcc_lo, 0, v5
	s_and_b32 s7, vcc_lo, exec_lo
	s_delay_alu instid0(SALU_CYCLE_1)
	s_or_b32 s3, s3, s7
	s_or_b32 exec_lo, exec_lo, s6
	v_mov_b32_e32 v6, 0
	s_and_saveexec_b32 s6, s3
	s_cbranch_execnz .LBB84_2648
	s_branch .LBB84_2649
.LBB84_3092:
	s_and_not1_saveexec_b32 s8, s8
	s_cbranch_execz .LBB84_2798
.LBB84_3093:
	v_add_f32_e64 v5, 0x46000000, |v1|
	s_and_not1_b32 s7, s7, exec_lo
	s_delay_alu instid0(VALU_DEP_1) | instskip(NEXT) | instid1(VALU_DEP_1)
	v_and_b32_e32 v5, 0xff, v5
	v_cmp_ne_u32_e32 vcc_lo, 0, v5
	s_and_b32 s9, vcc_lo, exec_lo
	s_delay_alu instid0(SALU_CYCLE_1)
	s_or_b32 s7, s7, s9
	s_or_b32 exec_lo, exec_lo, s8
	v_mov_b32_e32 v6, 0
	s_and_saveexec_b32 s8, s7
	s_cbranch_execnz .LBB84_2799
	s_branch .LBB84_2800
.LBB84_3094:
	s_or_b32 s14, s14, exec_lo
	s_trap 2
	s_cbranch_execz .LBB84_2846
	s_branch .LBB84_2847
.LBB84_3095:
	s_and_not1_saveexec_b32 s7, s7
	s_cbranch_execz .LBB84_2811
.LBB84_3096:
	v_add_f32_e64 v5, 0x42800000, |v1|
	s_and_not1_b32 s6, s6, exec_lo
	s_delay_alu instid0(VALU_DEP_1) | instskip(NEXT) | instid1(VALU_DEP_1)
	v_and_b32_e32 v5, 0xff, v5
	v_cmp_ne_u32_e32 vcc_lo, 0, v5
	s_and_b32 s8, vcc_lo, exec_lo
	s_delay_alu instid0(SALU_CYCLE_1)
	s_or_b32 s6, s6, s8
	s_or_b32 exec_lo, exec_lo, s7
	v_mov_b32_e32 v6, 0
	s_and_saveexec_b32 s7, s6
	s_cbranch_execnz .LBB84_2812
	s_branch .LBB84_2813
.LBB84_3097:
	s_and_not1_saveexec_b32 s8, s8
	s_cbranch_execz .LBB84_2917
.LBB84_3098:
	v_add_f32_e64 v5, 0x46000000, |v1|
	s_and_not1_b32 s7, s7, exec_lo
	s_delay_alu instid0(VALU_DEP_1) | instskip(NEXT) | instid1(VALU_DEP_1)
	v_and_b32_e32 v5, 0xff, v5
	v_cmp_ne_u32_e32 vcc_lo, 0, v5
	s_and_b32 s9, vcc_lo, exec_lo
	s_delay_alu instid0(SALU_CYCLE_1)
	s_or_b32 s7, s7, s9
	s_or_b32 exec_lo, exec_lo, s8
	v_mov_b32_e32 v6, 0
	s_and_saveexec_b32 s8, s7
	s_cbranch_execnz .LBB84_2918
	s_branch .LBB84_2919
.LBB84_3099:
	s_or_b32 s14, s14, exec_lo
	s_trap 2
	s_cbranch_execz .LBB84_2965
	s_branch .LBB84_2966
.LBB84_3100:
	s_and_not1_saveexec_b32 s7, s7
	s_cbranch_execz .LBB84_2930
.LBB84_3101:
	v_add_f32_e64 v5, 0x42800000, |v1|
	s_and_not1_b32 s6, s6, exec_lo
	s_delay_alu instid0(VALU_DEP_1) | instskip(NEXT) | instid1(VALU_DEP_1)
	v_and_b32_e32 v5, 0xff, v5
	v_cmp_ne_u32_e32 vcc_lo, 0, v5
	s_and_b32 s8, vcc_lo, exec_lo
	s_delay_alu instid0(SALU_CYCLE_1)
	s_or_b32 s6, s6, s8
	s_or_b32 exec_lo, exec_lo, s7
	v_mov_b32_e32 v6, 0
	s_and_saveexec_b32 s7, s6
	s_cbranch_execnz .LBB84_2931
	s_branch .LBB84_2932
.LBB84_3102:
	s_and_not1_saveexec_b32 s5, s5
	s_cbranch_execz .LBB84_3037
.LBB84_3103:
	v_add_f32_e64 v3, 0x46000000, |v2|
	s_and_not1_b32 s4, s4, exec_lo
	s_delay_alu instid0(VALU_DEP_1) | instskip(NEXT) | instid1(VALU_DEP_1)
	v_and_b32_e32 v3, 0xff, v3
	v_cmp_ne_u32_e32 vcc_lo, 0, v3
	s_and_b32 s6, vcc_lo, exec_lo
	s_delay_alu instid0(SALU_CYCLE_1)
	s_or_b32 s4, s4, s6
	s_or_b32 exec_lo, exec_lo, s5
	v_mov_b32_e32 v5, 0
	s_and_saveexec_b32 s5, s4
	s_cbranch_execnz .LBB84_3038
	s_branch .LBB84_3039
.LBB84_3104:
	s_mov_b32 s2, 0
	s_or_b32 s14, s14, exec_lo
	s_trap 2
	s_branch .LBB84_3083
.LBB84_3105:
	s_and_not1_saveexec_b32 s4, s4
	s_cbranch_execz .LBB84_3049
.LBB84_3106:
	v_add_f32_e64 v3, 0x42800000, |v2|
	s_and_not1_b32 s3, s3, exec_lo
	s_delay_alu instid0(VALU_DEP_1) | instskip(NEXT) | instid1(VALU_DEP_1)
	v_and_b32_e32 v3, 0xff, v3
	v_cmp_ne_u32_e32 vcc_lo, 0, v3
	s_and_b32 s5, vcc_lo, exec_lo
	s_delay_alu instid0(SALU_CYCLE_1)
	s_or_b32 s3, s3, s5
	s_or_b32 exec_lo, exec_lo, s4
	v_mov_b32_e32 v5, 0
	s_and_saveexec_b32 s4, s3
	s_cbranch_execnz .LBB84_3050
	s_branch .LBB84_3051
	.section	.rodata,"a",@progbits
	.p2align	6, 0x0
	.amdhsa_kernel _ZN2at6native32elementwise_kernel_manual_unrollILi128ELi4EZNS0_15gpu_kernel_implIZZZNS0_12_GLOBAL__N_124softplus_backward_kernelERNS_18TensorIteratorBaseERKN3c106ScalarES9_ENKUlvE_clEvENKUlvE1_clEvEUlNS6_4HalfESC_E_EEvS5_RKT_EUlibE_EEviT1_
		.amdhsa_group_segment_fixed_size 0
		.amdhsa_private_segment_fixed_size 0
		.amdhsa_kernarg_size 56
		.amdhsa_user_sgpr_count 2
		.amdhsa_user_sgpr_dispatch_ptr 0
		.amdhsa_user_sgpr_queue_ptr 0
		.amdhsa_user_sgpr_kernarg_segment_ptr 1
		.amdhsa_user_sgpr_dispatch_id 0
		.amdhsa_user_sgpr_kernarg_preload_length 0
		.amdhsa_user_sgpr_kernarg_preload_offset 0
		.amdhsa_user_sgpr_private_segment_size 0
		.amdhsa_wavefront_size32 1
		.amdhsa_uses_dynamic_stack 0
		.amdhsa_enable_private_segment 0
		.amdhsa_system_sgpr_workgroup_id_x 1
		.amdhsa_system_sgpr_workgroup_id_y 0
		.amdhsa_system_sgpr_workgroup_id_z 0
		.amdhsa_system_sgpr_workgroup_info 0
		.amdhsa_system_vgpr_workitem_id 0
		.amdhsa_next_free_vgpr 14
		.amdhsa_next_free_sgpr 37
		.amdhsa_named_barrier_count 0
		.amdhsa_reserve_vcc 1
		.amdhsa_float_round_mode_32 0
		.amdhsa_float_round_mode_16_64 0
		.amdhsa_float_denorm_mode_32 3
		.amdhsa_float_denorm_mode_16_64 3
		.amdhsa_fp16_overflow 0
		.amdhsa_memory_ordered 1
		.amdhsa_forward_progress 1
		.amdhsa_inst_pref_size 255
		.amdhsa_round_robin_scheduling 0
		.amdhsa_exception_fp_ieee_invalid_op 0
		.amdhsa_exception_fp_denorm_src 0
		.amdhsa_exception_fp_ieee_div_zero 0
		.amdhsa_exception_fp_ieee_overflow 0
		.amdhsa_exception_fp_ieee_underflow 0
		.amdhsa_exception_fp_ieee_inexact 0
		.amdhsa_exception_int_div_zero 0
	.end_amdhsa_kernel
	.section	.text._ZN2at6native32elementwise_kernel_manual_unrollILi128ELi4EZNS0_15gpu_kernel_implIZZZNS0_12_GLOBAL__N_124softplus_backward_kernelERNS_18TensorIteratorBaseERKN3c106ScalarES9_ENKUlvE_clEvENKUlvE1_clEvEUlNS6_4HalfESC_E_EEvS5_RKT_EUlibE_EEviT1_,"axG",@progbits,_ZN2at6native32elementwise_kernel_manual_unrollILi128ELi4EZNS0_15gpu_kernel_implIZZZNS0_12_GLOBAL__N_124softplus_backward_kernelERNS_18TensorIteratorBaseERKN3c106ScalarES9_ENKUlvE_clEvENKUlvE1_clEvEUlNS6_4HalfESC_E_EEvS5_RKT_EUlibE_EEviT1_,comdat
.Lfunc_end84:
	.size	_ZN2at6native32elementwise_kernel_manual_unrollILi128ELi4EZNS0_15gpu_kernel_implIZZZNS0_12_GLOBAL__N_124softplus_backward_kernelERNS_18TensorIteratorBaseERKN3c106ScalarES9_ENKUlvE_clEvENKUlvE1_clEvEUlNS6_4HalfESC_E_EEvS5_RKT_EUlibE_EEviT1_, .Lfunc_end84-_ZN2at6native32elementwise_kernel_manual_unrollILi128ELi4EZNS0_15gpu_kernel_implIZZZNS0_12_GLOBAL__N_124softplus_backward_kernelERNS_18TensorIteratorBaseERKN3c106ScalarES9_ENKUlvE_clEvENKUlvE1_clEvEUlNS6_4HalfESC_E_EEvS5_RKT_EUlibE_EEviT1_
                                        ; -- End function
	.set _ZN2at6native32elementwise_kernel_manual_unrollILi128ELi4EZNS0_15gpu_kernel_implIZZZNS0_12_GLOBAL__N_124softplus_backward_kernelERNS_18TensorIteratorBaseERKN3c106ScalarES9_ENKUlvE_clEvENKUlvE1_clEvEUlNS6_4HalfESC_E_EEvS5_RKT_EUlibE_EEviT1_.num_vgpr, 14
	.set _ZN2at6native32elementwise_kernel_manual_unrollILi128ELi4EZNS0_15gpu_kernel_implIZZZNS0_12_GLOBAL__N_124softplus_backward_kernelERNS_18TensorIteratorBaseERKN3c106ScalarES9_ENKUlvE_clEvENKUlvE1_clEvEUlNS6_4HalfESC_E_EEvS5_RKT_EUlibE_EEviT1_.num_agpr, 0
	.set _ZN2at6native32elementwise_kernel_manual_unrollILi128ELi4EZNS0_15gpu_kernel_implIZZZNS0_12_GLOBAL__N_124softplus_backward_kernelERNS_18TensorIteratorBaseERKN3c106ScalarES9_ENKUlvE_clEvENKUlvE1_clEvEUlNS6_4HalfESC_E_EEvS5_RKT_EUlibE_EEviT1_.numbered_sgpr, 37
	.set _ZN2at6native32elementwise_kernel_manual_unrollILi128ELi4EZNS0_15gpu_kernel_implIZZZNS0_12_GLOBAL__N_124softplus_backward_kernelERNS_18TensorIteratorBaseERKN3c106ScalarES9_ENKUlvE_clEvENKUlvE1_clEvEUlNS6_4HalfESC_E_EEvS5_RKT_EUlibE_EEviT1_.num_named_barrier, 0
	.set _ZN2at6native32elementwise_kernel_manual_unrollILi128ELi4EZNS0_15gpu_kernel_implIZZZNS0_12_GLOBAL__N_124softplus_backward_kernelERNS_18TensorIteratorBaseERKN3c106ScalarES9_ENKUlvE_clEvENKUlvE1_clEvEUlNS6_4HalfESC_E_EEvS5_RKT_EUlibE_EEviT1_.private_seg_size, 0
	.set _ZN2at6native32elementwise_kernel_manual_unrollILi128ELi4EZNS0_15gpu_kernel_implIZZZNS0_12_GLOBAL__N_124softplus_backward_kernelERNS_18TensorIteratorBaseERKN3c106ScalarES9_ENKUlvE_clEvENKUlvE1_clEvEUlNS6_4HalfESC_E_EEvS5_RKT_EUlibE_EEviT1_.uses_vcc, 1
	.set _ZN2at6native32elementwise_kernel_manual_unrollILi128ELi4EZNS0_15gpu_kernel_implIZZZNS0_12_GLOBAL__N_124softplus_backward_kernelERNS_18TensorIteratorBaseERKN3c106ScalarES9_ENKUlvE_clEvENKUlvE1_clEvEUlNS6_4HalfESC_E_EEvS5_RKT_EUlibE_EEviT1_.uses_flat_scratch, 0
	.set _ZN2at6native32elementwise_kernel_manual_unrollILi128ELi4EZNS0_15gpu_kernel_implIZZZNS0_12_GLOBAL__N_124softplus_backward_kernelERNS_18TensorIteratorBaseERKN3c106ScalarES9_ENKUlvE_clEvENKUlvE1_clEvEUlNS6_4HalfESC_E_EEvS5_RKT_EUlibE_EEviT1_.has_dyn_sized_stack, 0
	.set _ZN2at6native32elementwise_kernel_manual_unrollILi128ELi4EZNS0_15gpu_kernel_implIZZZNS0_12_GLOBAL__N_124softplus_backward_kernelERNS_18TensorIteratorBaseERKN3c106ScalarES9_ENKUlvE_clEvENKUlvE1_clEvEUlNS6_4HalfESC_E_EEvS5_RKT_EUlibE_EEviT1_.has_recursion, 0
	.set _ZN2at6native32elementwise_kernel_manual_unrollILi128ELi4EZNS0_15gpu_kernel_implIZZZNS0_12_GLOBAL__N_124softplus_backward_kernelERNS_18TensorIteratorBaseERKN3c106ScalarES9_ENKUlvE_clEvENKUlvE1_clEvEUlNS6_4HalfESC_E_EEvS5_RKT_EUlibE_EEviT1_.has_indirect_call, 0
	.section	.AMDGPU.csdata,"",@progbits
; Kernel info:
; codeLenInByte = 66936
; TotalNumSgprs: 39
; NumVgprs: 14
; ScratchSize: 0
; MemoryBound: 0
; FloatMode: 240
; IeeeMode: 1
; LDSByteSize: 0 bytes/workgroup (compile time only)
; SGPRBlocks: 0
; VGPRBlocks: 0
; NumSGPRsForWavesPerEU: 39
; NumVGPRsForWavesPerEU: 14
; NamedBarCnt: 0
; Occupancy: 16
; WaveLimiterHint : 0
; COMPUTE_PGM_RSRC2:SCRATCH_EN: 0
; COMPUTE_PGM_RSRC2:USER_SGPR: 2
; COMPUTE_PGM_RSRC2:TRAP_HANDLER: 0
; COMPUTE_PGM_RSRC2:TGID_X_EN: 1
; COMPUTE_PGM_RSRC2:TGID_Y_EN: 0
; COMPUTE_PGM_RSRC2:TGID_Z_EN: 0
; COMPUTE_PGM_RSRC2:TIDIG_COMP_CNT: 0
	.section	.text._ZN2at6native32elementwise_kernel_manual_unrollILi128ELi4EZNS0_15gpu_kernel_implIZZZNS0_12_GLOBAL__N_124softplus_backward_kernelERNS_18TensorIteratorBaseERKN3c106ScalarES9_ENKUlvE_clEvENKUlvE1_clEvEUlNS6_4HalfESC_E_EEvS5_RKT_EUlibE0_EEviT1_,"axG",@progbits,_ZN2at6native32elementwise_kernel_manual_unrollILi128ELi4EZNS0_15gpu_kernel_implIZZZNS0_12_GLOBAL__N_124softplus_backward_kernelERNS_18TensorIteratorBaseERKN3c106ScalarES9_ENKUlvE_clEvENKUlvE1_clEvEUlNS6_4HalfESC_E_EEvS5_RKT_EUlibE0_EEviT1_,comdat
	.globl	_ZN2at6native32elementwise_kernel_manual_unrollILi128ELi4EZNS0_15gpu_kernel_implIZZZNS0_12_GLOBAL__N_124softplus_backward_kernelERNS_18TensorIteratorBaseERKN3c106ScalarES9_ENKUlvE_clEvENKUlvE1_clEvEUlNS6_4HalfESC_E_EEvS5_RKT_EUlibE0_EEviT1_ ; -- Begin function _ZN2at6native32elementwise_kernel_manual_unrollILi128ELi4EZNS0_15gpu_kernel_implIZZZNS0_12_GLOBAL__N_124softplus_backward_kernelERNS_18TensorIteratorBaseERKN3c106ScalarES9_ENKUlvE_clEvENKUlvE1_clEvEUlNS6_4HalfESC_E_EEvS5_RKT_EUlibE0_EEviT1_
	.p2align	8
	.type	_ZN2at6native32elementwise_kernel_manual_unrollILi128ELi4EZNS0_15gpu_kernel_implIZZZNS0_12_GLOBAL__N_124softplus_backward_kernelERNS_18TensorIteratorBaseERKN3c106ScalarES9_ENKUlvE_clEvENKUlvE1_clEvEUlNS6_4HalfESC_E_EEvS5_RKT_EUlibE0_EEviT1_,@function
_ZN2at6native32elementwise_kernel_manual_unrollILi128ELi4EZNS0_15gpu_kernel_implIZZZNS0_12_GLOBAL__N_124softplus_backward_kernelERNS_18TensorIteratorBaseERKN3c106ScalarES9_ENKUlvE_clEvENKUlvE1_clEvEUlNS6_4HalfESC_E_EEvS5_RKT_EUlibE0_EEviT1_: ; @_ZN2at6native32elementwise_kernel_manual_unrollILi128ELi4EZNS0_15gpu_kernel_implIZZZNS0_12_GLOBAL__N_124softplus_backward_kernelERNS_18TensorIteratorBaseERKN3c106ScalarES9_ENKUlvE_clEvENKUlvE1_clEvEUlNS6_4HalfESC_E_EEvS5_RKT_EUlibE0_EEviT1_
; %bb.0:
	s_clause 0x1
	s_load_b32 s28, s[0:1], 0x8
	s_load_b32 s38, s[0:1], 0x0
	s_bfe_u32 s2, ttmp6, 0x4000c
	s_and_b32 s3, ttmp6, 15
	s_add_co_i32 s2, s2, 1
	s_getreg_b32 s4, hwreg(HW_REG_IB_STS2, 6, 4)
	s_mul_i32 s2, ttmp9, s2
	s_mov_b32 s30, 0
	s_add_co_i32 s3, s3, s2
	s_cmp_eq_u32 s4, 0
	s_mov_b32 s27, -1
	s_cselect_b32 s2, ttmp9, s3
	s_mov_b32 s10, 0
	v_lshl_or_b32 v0, s2, 9, v0
	s_add_nc_u64 s[2:3], s[0:1], 8
	s_wait_xcnt 0x0
	s_mov_b32 s0, exec_lo
	s_delay_alu instid0(VALU_DEP_1) | instskip(SKIP_2) | instid1(SALU_CYCLE_1)
	v_or_b32_e32 v1, 0x180, v0
	s_wait_kmcnt 0x0
	s_add_co_i32 s29, s28, -1
	s_cmp_gt_u32 s29, 1
	s_cselect_b32 s31, -1, 0
	v_cmpx_le_i32_e64 s38, v1
	s_xor_b32 s33, exec_lo, s0
	s_cbranch_execz .LBB85_1601
; %bb.1:
	s_clause 0x5
	s_load_b128 s[12:15], s[2:3], 0x4
	s_load_b64 s[0:1], s[2:3], 0x14
	s_load_b32 s34, s[2:3], 0x1a8
	s_load_b128 s[16:19], s[2:3], 0xc4
	s_load_b64 s[22:23], s[2:3], 0xd4
	s_load_b256 s[4:11], s[2:3], 0x188
	s_cmp_lg_u32 s28, 0
	s_mov_b32 s21, 0
	s_cselect_b32 s39, -1, 0
	s_min_u32 s37, s29, 15
	s_cmp_gt_u32 s28, 1
	s_mov_b32 s25, s21
	s_mov_b32 s42, s21
	;; [unrolled: 1-line block ×3, first 2 shown]
	s_cselect_b32 s36, -1, 0
	s_mov_b32 s40, s21
	s_mov_b32 s43, exec_lo
	s_wait_kmcnt 0x0
	s_mov_b32 s20, s13
	s_mov_b32 s24, s0
	s_lshr_b32 s35, s34, 8
	s_lshr_b32 s13, s34, 16
	v_cmpx_gt_i32_e64 s38, v0
	s_cbranch_execz .LBB85_395
; %bb.2:
	s_and_not1_b32 vcc_lo, exec_lo, s31
	s_cbranch_vccnz .LBB85_8
; %bb.3:
	s_and_not1_b32 vcc_lo, exec_lo, s39
	s_cbranch_vccnz .LBB85_9
; %bb.4:
	v_dual_mov_b32 v2, 0 :: v_dual_mov_b32 v1, v0
	v_dual_mov_b32 v6, 0 :: v_dual_mov_b32 v4, 0
	s_add_co_i32 s0, s37, 1
	s_mov_b64 s[26:27], 0xffffffffffffffe8
	s_and_b32 s0, s0, 30
	s_add_nc_u64 s[26:27], s[2:3], s[26:27]
.LBB85_5:                               ; =>This Inner Loop Header: Depth=1
	s_clause 0x1
	s_load_b128 s[44:47], s[26:27], 0x1c
	s_load_b64 s[40:41], s[26:27], 0x2c
	s_add_co_i32 s0, s0, -2
	s_delay_alu instid0(SALU_CYCLE_1) | instskip(SKIP_2) | instid1(VALU_DEP_1)
	s_cmp_lg_u32 s0, 0
	s_wait_kmcnt 0x0
	v_mul_hi_u32 v3, s45, v1
	v_add_nc_u32_e32 v3, v1, v3
	s_delay_alu instid0(VALU_DEP_1) | instskip(NEXT) | instid1(VALU_DEP_1)
	v_lshrrev_b32_e32 v3, s46, v3
	v_mul_hi_u32 v5, s40, v3
	v_mul_lo_u32 v7, v3, s44
	s_clause 0x1
	s_load_b128 s[48:51], s[26:27], 0xdc
	s_load_b64 s[44:45], s[26:27], 0xec
	s_wait_xcnt 0x0
	s_add_nc_u64 s[26:27], s[26:27], 24
	s_delay_alu instid0(VALU_DEP_1) | instskip(NEXT) | instid1(VALU_DEP_1)
	v_dual_add_nc_u32 v5, v3, v5 :: v_dual_sub_nc_u32 v7, v1, v7
	v_lshrrev_b32_e32 v1, s41, v5
	s_wait_kmcnt 0x0
	s_delay_alu instid0(VALU_DEP_2) | instskip(NEXT) | instid1(VALU_DEP_2)
	v_mad_u32 v2, v7, s48, v2
	v_mul_lo_u32 v5, v1, s47
	v_mad_u32 v4, v7, s50, v4
	v_mad_u32 v6, v7, s49, v6
	s_delay_alu instid0(VALU_DEP_3) | instskip(NEXT) | instid1(VALU_DEP_1)
	v_sub_nc_u32_e32 v3, v3, v5
	v_mad_u32 v2, v3, s51, v2
	s_delay_alu instid0(VALU_DEP_4) | instskip(NEXT) | instid1(VALU_DEP_4)
	v_mad_u32 v4, v3, s45, v4
	v_mad_u32 v6, v3, s44, v6
	s_cbranch_scc1 .LBB85_5
; %bb.6:
	s_bitcmp1_b32 s37, 0
	s_cselect_b32 s0, -1, 0
	s_delay_alu instid0(SALU_CYCLE_1)
	s_and_b32 vcc_lo, exec_lo, s0
	s_cbranch_vccnz .LBB85_10
; %bb.7:
	s_clause 0x1
	s_load_b96 s[40:42], s[26:27], 0x1c
	s_load_b96 s[44:46], s[26:27], 0xdc
	s_wait_kmcnt 0x0
	v_mul_hi_u32 v3, s41, v1
	s_delay_alu instid0(VALU_DEP_1) | instskip(NEXT) | instid1(VALU_DEP_1)
	v_add_nc_u32_e32 v3, v1, v3
	v_lshrrev_b32_e32 v3, s42, v3
	s_delay_alu instid0(VALU_DEP_1) | instskip(NEXT) | instid1(VALU_DEP_1)
	v_mul_lo_u32 v3, v3, s40
	v_sub_nc_u32_e32 v1, v1, v3
	s_delay_alu instid0(VALU_DEP_1)
	v_mad_u32 v2, v1, s44, v2
	v_mad_u32 v6, v1, s45, v6
	;; [unrolled: 1-line block ×3, first 2 shown]
	s_cbranch_execz .LBB85_11
	s_branch .LBB85_13
.LBB85_8:
                                        ; implicit-def: $vgpr4
                                        ; implicit-def: $vgpr6
                                        ; implicit-def: $vgpr2
	s_branch .LBB85_11
.LBB85_9:
	v_dual_mov_b32 v4, 0 :: v_dual_mov_b32 v6, 0
	v_mov_b32_e32 v2, 0
.LBB85_10:
	s_cbranch_execnz .LBB85_13
.LBB85_11:
	v_mov_b32_e32 v1, 0
	s_and_not1_b32 vcc_lo, exec_lo, s36
	s_delay_alu instid0(VALU_DEP_1) | instskip(NEXT) | instid1(VALU_DEP_1)
	v_mul_u64_e32 v[2:3], s[20:21], v[0:1]
	v_add_nc_u32_e32 v2, v0, v3
	s_delay_alu instid0(VALU_DEP_1) | instskip(NEXT) | instid1(VALU_DEP_1)
	v_lshrrev_b32_e32 v8, s14, v2
	v_mul_lo_u32 v2, v8, s12
	s_delay_alu instid0(VALU_DEP_1) | instskip(NEXT) | instid1(VALU_DEP_1)
	v_sub_nc_u32_e32 v3, v0, v2
	v_mul_lo_u32 v2, v3, s16
	v_mul_lo_u32 v4, v3, s18
	v_mul_lo_u32 v6, v3, s17
	s_cbranch_vccnz .LBB85_13
; %bb.12:
	v_mov_b32_e32 v9, v1
	s_delay_alu instid0(VALU_DEP_1) | instskip(NEXT) | instid1(VALU_DEP_1)
	v_mul_u64_e32 v[10:11], s[24:25], v[8:9]
	v_add_nc_u32_e32 v1, v8, v11
	s_delay_alu instid0(VALU_DEP_1) | instskip(NEXT) | instid1(VALU_DEP_1)
	v_lshrrev_b32_e32 v1, s1, v1
	v_mul_lo_u32 v1, v1, s15
	s_delay_alu instid0(VALU_DEP_1) | instskip(NEXT) | instid1(VALU_DEP_1)
	v_sub_nc_u32_e32 v1, v8, v1
	v_mad_u32 v2, v1, s19, v2
	v_mad_u32 v6, v1, s22, v6
	;; [unrolled: 1-line block ×3, first 2 shown]
.LBB85_13:
	v_mov_b32_e32 v7, 0
	s_and_b32 s0, s35, 0xff
	s_delay_alu instid0(SALU_CYCLE_1) | instskip(NEXT) | instid1(VALU_DEP_1)
	s_cmp_lt_i32 s0, 11
	v_add_nc_u64_e32 v[6:7], s[6:7], v[6:7]
	s_cbranch_scc1 .LBB85_20
; %bb.14:
	s_and_b32 s27, 0xffff, s0
	s_delay_alu instid0(SALU_CYCLE_1)
	s_cmp_gt_i32 s27, 25
	s_cbranch_scc0 .LBB85_29
; %bb.15:
	s_cmp_gt_i32 s27, 28
	s_cbranch_scc0 .LBB85_41
; %bb.16:
	;; [unrolled: 3-line block ×4, first 2 shown]
	s_cmp_eq_u32 s27, 46
	s_mov_b32 s41, 0
	s_cbranch_scc0 .LBB85_50
; %bb.19:
	global_load_b32 v1, v[6:7], off
	s_mov_b32 s40, -1
	s_mov_b32 s26, 0
	s_wait_loadcnt 0x0
	v_lshlrev_b32_e32 v1, 16, v1
	s_delay_alu instid0(VALU_DEP_1)
	v_cvt_f16_f32_e32 v1, v1
	s_branch .LBB85_52
.LBB85_20:
	s_mov_b32 s26, 0
	s_mov_b32 s40, 0
                                        ; implicit-def: $vgpr1
	s_cbranch_execnz .LBB85_118
.LBB85_21:
	s_and_not1_b32 vcc_lo, exec_lo, s40
	s_cbranch_vccnz .LBB85_165
.LBB85_22:
	v_mov_b32_e32 v5, 0
	s_and_b32 s0, s13, 0xff
	s_delay_alu instid0(SALU_CYCLE_1) | instskip(NEXT) | instid1(VALU_DEP_1)
	s_cmp_lt_i32 s0, 11
	v_add_nc_u64_e32 v[4:5], s[8:9], v[4:5]
	s_cbranch_scc1 .LBB85_30
; %bb.23:
	s_and_b32 s40, 0xffff, s0
	s_delay_alu instid0(SALU_CYCLE_1)
	s_cmp_gt_i32 s40, 25
	s_cbranch_scc0 .LBB85_42
; %bb.24:
	s_cmp_gt_i32 s40, 28
	s_cbranch_scc0 .LBB85_45
; %bb.25:
	;; [unrolled: 3-line block ×4, first 2 shown]
	s_cmp_eq_u32 s40, 46
	s_mov_b32 s42, 0
	s_cbranch_scc0 .LBB85_166
; %bb.28:
	global_load_b32 v3, v[4:5], off
	s_mov_b32 s41, -1
	s_mov_b32 s27, 0
	s_wait_loadcnt 0x0
	v_lshlrev_b32_e32 v3, 16, v3
	s_delay_alu instid0(VALU_DEP_1)
	v_cvt_f16_f32_e32 v3, v3
	s_branch .LBB85_168
.LBB85_29:
	s_mov_b32 s26, 0
	s_mov_b32 s40, 0
                                        ; implicit-def: $vgpr1
	s_cbranch_execnz .LBB85_83
	s_branch .LBB85_117
.LBB85_30:
	s_mov_b32 s27, 0
	s_mov_b32 s41, 0
                                        ; implicit-def: $vgpr3
	s_cbranch_execnz .LBB85_344
.LBB85_31:
	s_and_not1_b32 vcc_lo, exec_lo, s41
	s_cbranch_vccnz .LBB85_392
.LBB85_32:
	s_wait_loadcnt 0x0
	s_delay_alu instid0(VALU_DEP_1) | instskip(SKIP_1) | instid1(VALU_DEP_1)
	v_cvt_f32_f16_e32 v3, v3
	s_mov_b32 s0, exec_lo
	v_mul_f32_e32 v3, s10, v3
	s_delay_alu instid0(VALU_DEP_1)
	v_cmpx_nlt_f32_e32 s11, v3
	s_cbranch_execz .LBB85_34
; %bb.33:
	v_cvt_f32_f16_e32 v1, v1
	v_mul_f32_e32 v4, 0x3fb8aa3b, v3
	v_cmp_ngt_f32_e32 vcc_lo, 0xc2ce8ed0, v3
	s_delay_alu instid0(VALU_DEP_2) | instskip(SKIP_1) | instid1(VALU_DEP_2)
	v_rndne_f32_e32 v5, v4
	v_fma_f32 v6, 0x3fb8aa3b, v3, -v4
	v_sub_f32_e32 v4, v4, v5
	s_delay_alu instid0(VALU_DEP_2) | instskip(SKIP_1) | instid1(VALU_DEP_2)
	v_fmamk_f32 v6, v3, 0x32a5705f, v6
	v_cvt_i32_f32_e32 v5, v5
	v_add_f32_e32 v4, v4, v6
	s_delay_alu instid0(VALU_DEP_1) | instskip(SKIP_1) | instid1(TRANS32_DEP_1)
	v_exp_f32_e32 v4, v4
	v_nop
	v_ldexp_f32 v4, v4, v5
	s_delay_alu instid0(VALU_DEP_1) | instskip(SKIP_1) | instid1(VALU_DEP_2)
	v_cndmask_b32_e32 v4, 0, v4, vcc_lo
	v_cmp_nlt_f32_e32 vcc_lo, 0x42b17218, v3
	v_cndmask_b32_e32 v3, 0x7f800000, v4, vcc_lo
	s_delay_alu instid0(VALU_DEP_1) | instskip(NEXT) | instid1(VALU_DEP_1)
	v_dual_mul_f32 v1, v3, v1 :: v_dual_add_f32 v3, 1.0, v3
	v_div_scale_f32 v4, null, v3, v3, v1
	s_delay_alu instid0(VALU_DEP_1) | instskip(SKIP_1) | instid1(TRANS32_DEP_1)
	v_rcp_f32_e32 v5, v4
	v_nop
	v_fma_f32 v6, -v4, v5, 1.0
	s_delay_alu instid0(VALU_DEP_1) | instskip(SKIP_1) | instid1(VALU_DEP_1)
	v_fmac_f32_e32 v5, v6, v5
	v_div_scale_f32 v6, vcc_lo, v1, v3, v1
	v_mul_f32_e32 v7, v6, v5
	s_delay_alu instid0(VALU_DEP_1) | instskip(NEXT) | instid1(VALU_DEP_1)
	v_fma_f32 v8, -v4, v7, v6
	v_fmac_f32_e32 v7, v8, v5
	s_delay_alu instid0(VALU_DEP_1) | instskip(NEXT) | instid1(VALU_DEP_1)
	v_fma_f32 v4, -v4, v7, v6
	v_div_fmas_f32 v4, v4, v5, v7
	s_delay_alu instid0(VALU_DEP_1) | instskip(NEXT) | instid1(VALU_DEP_1)
	v_div_fixup_f32 v1, v4, v3, v1
	v_cvt_f16_f32_e32 v1, v1
.LBB85_34:
	s_or_b32 exec_lo, exec_lo, s0
	v_mov_b32_e32 v3, 0
	s_and_b32 s40, s34, 0xff
	s_delay_alu instid0(SALU_CYCLE_1) | instskip(NEXT) | instid1(VALU_DEP_1)
	s_cmp_lt_i32 s40, 11
	v_add_nc_u64_e32 v[2:3], s[4:5], v[2:3]
	s_cbranch_scc1 .LBB85_43
; %bb.35:
	s_and_b32 s41, 0xffff, s40
	s_delay_alu instid0(SALU_CYCLE_1)
	s_cmp_gt_i32 s41, 25
	s_cbranch_scc0 .LBB85_46
; %bb.36:
	s_cmp_gt_i32 s41, 28
	s_cbranch_scc0 .LBB85_49
; %bb.37:
	;; [unrolled: 3-line block ×4, first 2 shown]
	s_mov_b32 s44, 0
	s_mov_b32 s0, -1
	s_cmp_eq_u32 s41, 46
	s_mov_b32 s42, 0
	s_cbranch_scc0 .LBB85_172
; %bb.40:
	v_cvt_f32_f16_e32 v4, v1
	v_cmp_o_f16_e32 vcc_lo, v1, v1
	s_mov_b32 s42, -1
	s_mov_b32 s0, 0
	s_delay_alu instid0(VALU_DEP_2) | instskip(NEXT) | instid1(VALU_DEP_1)
	v_bfe_u32 v5, v4, 16, 1
	v_add3_u32 v4, v4, v5, 0x7fff
	s_delay_alu instid0(VALU_DEP_1) | instskip(NEXT) | instid1(VALU_DEP_1)
	v_lshrrev_b32_e32 v4, 16, v4
	v_cndmask_b32_e32 v4, 0x7fc0, v4, vcc_lo
	global_store_b32 v[2:3], v4, off
	s_branch .LBB85_172
.LBB85_41:
	s_mov_b32 s41, -1
	s_mov_b32 s26, 0
	s_mov_b32 s40, 0
                                        ; implicit-def: $vgpr1
	s_branch .LBB85_64
.LBB85_42:
	s_mov_b32 s42, -1
	s_mov_b32 s27, 0
	s_mov_b32 s41, 0
                                        ; implicit-def: $vgpr3
	s_branch .LBB85_308
.LBB85_43:
	s_mov_b32 s41, -1
	s_mov_b32 s0, 0
	s_mov_b32 s42, 0
	s_branch .LBB85_241
.LBB85_44:
	s_mov_b32 s41, -1
	s_mov_b32 s26, 0
	s_mov_b32 s40, 0
                                        ; implicit-def: $vgpr1
	s_branch .LBB85_59
.LBB85_45:
	s_mov_b32 s42, -1
	s_mov_b32 s27, 0
	s_mov_b32 s41, 0
                                        ; implicit-def: $vgpr3
	s_branch .LBB85_289
.LBB85_46:
	s_mov_b32 s44, -1
	s_mov_b32 s0, 0
	s_mov_b32 s42, 0
	s_branch .LBB85_199
.LBB85_47:
	s_mov_b32 s41, -1
	s_mov_b32 s26, 0
	s_branch .LBB85_51
.LBB85_48:
	s_mov_b32 s42, -1
	s_mov_b32 s27, 0
	s_mov_b32 s41, 0
                                        ; implicit-def: $vgpr3
	s_branch .LBB85_284
.LBB85_49:
	s_mov_b32 s44, -1
	s_mov_b32 s0, 0
	s_mov_b32 s42, 0
	s_branch .LBB85_182
.LBB85_50:
	s_mov_b32 s26, -1
.LBB85_51:
	s_mov_b32 s40, 0
                                        ; implicit-def: $vgpr1
.LBB85_52:
	s_and_b32 vcc_lo, exec_lo, s41
	s_cbranch_vccz .LBB85_58
; %bb.53:
	s_cmp_eq_u32 s27, 44
	s_cbranch_scc0 .LBB85_57
; %bb.54:
	global_load_u8 v1, v[6:7], off
	s_mov_b32 s26, 0
	s_mov_b32 s40, -1
	s_wait_loadcnt 0x0
	v_lshlrev_b32_e32 v3, 23, v1
	v_cmp_ne_u32_e32 vcc_lo, 0xff, v1
	s_delay_alu instid0(VALU_DEP_2) | instskip(NEXT) | instid1(VALU_DEP_1)
	v_cvt_f16_f32_e32 v3, v3
	v_cndmask_b32_e32 v3, 0x7e00, v3, vcc_lo
	v_cmp_ne_u32_e32 vcc_lo, 0, v1
	s_delay_alu instid0(VALU_DEP_2)
	v_cndmask_b32_e32 v1, 0, v3, vcc_lo
	s_branch .LBB85_58
.LBB85_55:
	s_mov_b32 s42, -1
	s_mov_b32 s27, 0
	s_branch .LBB85_167
.LBB85_56:
	s_mov_b32 s44, -1
	s_mov_b32 s0, 0
	s_mov_b32 s42, 0
	s_branch .LBB85_178
.LBB85_57:
	s_mov_b32 s26, -1
                                        ; implicit-def: $vgpr1
.LBB85_58:
	s_mov_b32 s41, 0
.LBB85_59:
	s_delay_alu instid0(SALU_CYCLE_1)
	s_and_b32 vcc_lo, exec_lo, s41
	s_cbranch_vccz .LBB85_63
; %bb.60:
	s_cmp_eq_u32 s27, 29
	s_cbranch_scc0 .LBB85_62
; %bb.61:
	global_load_b64 v[8:9], v[6:7], off
	s_mov_b32 s40, -1
	s_mov_b32 s26, 0
	s_mov_b32 s41, 0
	s_wait_loadcnt 0x0
	v_clz_i32_u32_e32 v1, v9
	s_delay_alu instid0(VALU_DEP_1) | instskip(NEXT) | instid1(VALU_DEP_1)
	v_min_u32_e32 v1, 32, v1
	v_lshlrev_b64_e32 v[8:9], v1, v[8:9]
	v_sub_nc_u32_e32 v1, 32, v1
	s_delay_alu instid0(VALU_DEP_2) | instskip(NEXT) | instid1(VALU_DEP_1)
	v_min_u32_e32 v3, 1, v8
	v_or_b32_e32 v3, v9, v3
	s_delay_alu instid0(VALU_DEP_1) | instskip(NEXT) | instid1(VALU_DEP_1)
	v_cvt_f32_u32_e32 v3, v3
	v_ldexp_f32 v1, v3, v1
	s_delay_alu instid0(VALU_DEP_1)
	v_cvt_f16_f32_e32 v1, v1
	s_branch .LBB85_64
.LBB85_62:
	s_mov_b32 s26, -1
                                        ; implicit-def: $vgpr1
.LBB85_63:
	s_mov_b32 s41, 0
.LBB85_64:
	s_delay_alu instid0(SALU_CYCLE_1)
	s_and_b32 vcc_lo, exec_lo, s41
	s_cbranch_vccz .LBB85_82
; %bb.65:
	s_cmp_lt_i32 s27, 27
	s_cbranch_scc1 .LBB85_68
; %bb.66:
	s_cmp_gt_i32 s27, 27
	s_cbranch_scc0 .LBB85_69
; %bb.67:
	global_load_b32 v1, v[6:7], off
	s_mov_b32 s40, 0
	s_wait_loadcnt 0x0
	v_cvt_f32_u32_e32 v1, v1
	s_delay_alu instid0(VALU_DEP_1)
	v_cvt_f16_f32_e32 v1, v1
	s_branch .LBB85_70
.LBB85_68:
	s_mov_b32 s40, -1
                                        ; implicit-def: $vgpr1
	s_branch .LBB85_73
.LBB85_69:
	s_mov_b32 s40, -1
                                        ; implicit-def: $vgpr1
.LBB85_70:
	s_delay_alu instid0(SALU_CYCLE_1)
	s_and_not1_b32 vcc_lo, exec_lo, s40
	s_cbranch_vccnz .LBB85_72
; %bb.71:
	global_load_u16 v1, v[6:7], off
	s_wait_loadcnt 0x0
	v_cvt_f16_u16_e32 v1, v1
.LBB85_72:
	s_mov_b32 s40, 0
.LBB85_73:
	s_delay_alu instid0(SALU_CYCLE_1)
	s_and_not1_b32 vcc_lo, exec_lo, s40
	s_cbranch_vccnz .LBB85_81
; %bb.74:
	global_load_u8 v3, v[6:7], off
	s_mov_b32 s40, 0
	s_mov_b32 s41, exec_lo
	s_wait_loadcnt 0x0
	v_cmpx_lt_i16_e32 0x7f, v3
	s_xor_b32 s41, exec_lo, s41
	s_cbranch_execz .LBB85_94
; %bb.75:
	s_mov_b32 s40, -1
	s_mov_b32 s42, exec_lo
	v_cmpx_eq_u16_e32 0x80, v3
; %bb.76:
	s_xor_b32 s40, exec_lo, -1
; %bb.77:
	s_or_b32 exec_lo, exec_lo, s42
	s_delay_alu instid0(SALU_CYCLE_1)
	s_and_b32 s40, s40, exec_lo
	s_or_saveexec_b32 s41, s41
	v_mov_b32_e32 v1, 0x7e00
	s_xor_b32 exec_lo, exec_lo, s41
	s_cbranch_execnz .LBB85_95
.LBB85_78:
	s_or_b32 exec_lo, exec_lo, s41
	s_and_saveexec_b32 s41, s40
	s_cbranch_execz .LBB85_80
.LBB85_79:
	v_and_b32_e32 v1, 0xffff, v3
	s_delay_alu instid0(VALU_DEP_1) | instskip(SKIP_1) | instid1(VALU_DEP_2)
	v_and_b32_e32 v5, 7, v1
	v_bfe_u32 v10, v1, 3, 4
	v_clz_i32_u32_e32 v8, v5
	s_delay_alu instid0(VALU_DEP_2) | instskip(NEXT) | instid1(VALU_DEP_2)
	v_cmp_eq_u32_e32 vcc_lo, 0, v10
	v_min_u32_e32 v8, 32, v8
	s_delay_alu instid0(VALU_DEP_1) | instskip(NEXT) | instid1(VALU_DEP_1)
	v_subrev_nc_u32_e32 v9, 28, v8
	v_dual_lshlrev_b32 v1, v9, v1 :: v_dual_sub_nc_u32 v8, 29, v8
	s_delay_alu instid0(VALU_DEP_1) | instskip(NEXT) | instid1(VALU_DEP_1)
	v_dual_lshlrev_b32 v3, 24, v3 :: v_dual_bitop2_b32 v1, 7, v1 bitop3:0x40
	v_dual_cndmask_b32 v8, v10, v8 :: v_dual_cndmask_b32 v1, v5, v1
	s_delay_alu instid0(VALU_DEP_2) | instskip(NEXT) | instid1(VALU_DEP_2)
	v_and_b32_e32 v3, 0x80000000, v3
	v_lshl_add_u32 v5, v8, 23, 0x3b800000
	s_delay_alu instid0(VALU_DEP_3) | instskip(NEXT) | instid1(VALU_DEP_1)
	v_lshlrev_b32_e32 v1, 20, v1
	v_or3_b32 v1, v3, v5, v1
	s_delay_alu instid0(VALU_DEP_1)
	v_cvt_f16_f32_e32 v1, v1
.LBB85_80:
	s_or_b32 exec_lo, exec_lo, s41
.LBB85_81:
	s_mov_b32 s40, -1
.LBB85_82:
	s_branch .LBB85_117
.LBB85_83:
	s_cmp_gt_i32 s27, 22
	s_cbranch_scc0 .LBB85_93
; %bb.84:
	s_cmp_lt_i32 s27, 24
	s_cbranch_scc1 .LBB85_96
; %bb.85:
	s_cmp_gt_i32 s27, 24
	s_cbranch_scc0 .LBB85_97
; %bb.86:
	global_load_u8 v3, v[6:7], off
	s_mov_b32 s40, 0
	s_mov_b32 s41, exec_lo
	s_wait_loadcnt 0x0
	v_cmpx_lt_i16_e32 0x7f, v3
	s_xor_b32 s41, exec_lo, s41
	s_cbranch_execz .LBB85_109
; %bb.87:
	s_mov_b32 s40, -1
	s_mov_b32 s42, exec_lo
	v_cmpx_eq_u16_e32 0x80, v3
; %bb.88:
	s_xor_b32 s40, exec_lo, -1
; %bb.89:
	s_or_b32 exec_lo, exec_lo, s42
	s_delay_alu instid0(SALU_CYCLE_1)
	s_and_b32 s40, s40, exec_lo
	s_or_saveexec_b32 s41, s41
	v_mov_b32_e32 v1, 0x7e00
	s_xor_b32 exec_lo, exec_lo, s41
	s_cbranch_execnz .LBB85_110
.LBB85_90:
	s_or_b32 exec_lo, exec_lo, s41
	s_and_saveexec_b32 s41, s40
	s_cbranch_execz .LBB85_92
.LBB85_91:
	v_and_b32_e32 v1, 0xffff, v3
	s_delay_alu instid0(VALU_DEP_1) | instskip(SKIP_1) | instid1(VALU_DEP_2)
	v_and_b32_e32 v5, 3, v1
	v_bfe_u32 v10, v1, 2, 5
	v_clz_i32_u32_e32 v8, v5
	s_delay_alu instid0(VALU_DEP_2) | instskip(NEXT) | instid1(VALU_DEP_2)
	v_cmp_eq_u32_e32 vcc_lo, 0, v10
	v_min_u32_e32 v8, 32, v8
	s_delay_alu instid0(VALU_DEP_1) | instskip(NEXT) | instid1(VALU_DEP_1)
	v_subrev_nc_u32_e32 v9, 29, v8
	v_dual_lshlrev_b32 v1, v9, v1 :: v_dual_sub_nc_u32 v8, 30, v8
	s_delay_alu instid0(VALU_DEP_1) | instskip(NEXT) | instid1(VALU_DEP_1)
	v_dual_lshlrev_b32 v3, 24, v3 :: v_dual_bitop2_b32 v1, 3, v1 bitop3:0x40
	v_dual_cndmask_b32 v8, v10, v8 :: v_dual_cndmask_b32 v1, v5, v1
	s_delay_alu instid0(VALU_DEP_2) | instskip(NEXT) | instid1(VALU_DEP_2)
	v_and_b32_e32 v3, 0x80000000, v3
	v_lshl_add_u32 v5, v8, 23, 0x37800000
	s_delay_alu instid0(VALU_DEP_3) | instskip(NEXT) | instid1(VALU_DEP_1)
	v_lshlrev_b32_e32 v1, 21, v1
	v_or3_b32 v1, v3, v5, v1
	s_delay_alu instid0(VALU_DEP_1)
	v_cvt_f16_f32_e32 v1, v1
.LBB85_92:
	s_or_b32 exec_lo, exec_lo, s41
	s_mov_b32 s40, 0
	s_branch .LBB85_98
.LBB85_93:
	s_mov_b32 s41, -1
                                        ; implicit-def: $vgpr1
	s_branch .LBB85_104
.LBB85_94:
	s_or_saveexec_b32 s41, s41
	v_mov_b32_e32 v1, 0x7e00
	s_xor_b32 exec_lo, exec_lo, s41
	s_cbranch_execz .LBB85_78
.LBB85_95:
	v_cmp_ne_u16_e32 vcc_lo, 0, v3
	v_mov_b32_e32 v1, v3
	s_and_not1_b32 s40, s40, exec_lo
	s_and_b32 s42, vcc_lo, exec_lo
	s_delay_alu instid0(SALU_CYCLE_1)
	s_or_b32 s40, s40, s42
	s_or_b32 exec_lo, exec_lo, s41
	s_and_saveexec_b32 s41, s40
	s_cbranch_execnz .LBB85_79
	s_branch .LBB85_80
.LBB85_96:
	s_mov_b32 s40, -1
                                        ; implicit-def: $vgpr1
	s_branch .LBB85_101
.LBB85_97:
	s_mov_b32 s40, -1
                                        ; implicit-def: $vgpr1
.LBB85_98:
	s_delay_alu instid0(SALU_CYCLE_1)
	s_and_b32 vcc_lo, exec_lo, s40
	s_cbranch_vccz .LBB85_100
; %bb.99:
	global_load_u8 v1, v[6:7], off
	s_wait_loadcnt 0x0
	v_lshlrev_b32_e32 v1, 24, v1
	s_delay_alu instid0(VALU_DEP_1) | instskip(NEXT) | instid1(VALU_DEP_1)
	v_and_b32_e32 v3, 0x7f000000, v1
	v_clz_i32_u32_e32 v5, v3
	v_add_nc_u32_e32 v9, 0x1000000, v3
	v_cmp_ne_u32_e32 vcc_lo, 0, v3
	s_delay_alu instid0(VALU_DEP_3) | instskip(NEXT) | instid1(VALU_DEP_1)
	v_min_u32_e32 v5, 32, v5
	v_sub_nc_u32_e64 v5, v5, 4 clamp
	s_delay_alu instid0(VALU_DEP_1) | instskip(NEXT) | instid1(VALU_DEP_1)
	v_dual_lshlrev_b32 v8, v5, v3 :: v_dual_lshlrev_b32 v5, 23, v5
	v_lshrrev_b32_e32 v8, 4, v8
	s_delay_alu instid0(VALU_DEP_1) | instskip(SKIP_1) | instid1(VALU_DEP_2)
	v_sub_nc_u32_e32 v5, v8, v5
	v_ashrrev_i32_e32 v8, 8, v9
	v_add_nc_u32_e32 v5, 0x3c000000, v5
	s_delay_alu instid0(VALU_DEP_1) | instskip(NEXT) | instid1(VALU_DEP_1)
	v_and_or_b32 v5, 0x7f800000, v8, v5
	v_cndmask_b32_e32 v3, 0, v5, vcc_lo
	s_delay_alu instid0(VALU_DEP_1) | instskip(NEXT) | instid1(VALU_DEP_1)
	v_and_or_b32 v1, 0x80000000, v1, v3
	v_cvt_f16_f32_e32 v1, v1
.LBB85_100:
	s_mov_b32 s40, 0
.LBB85_101:
	s_delay_alu instid0(SALU_CYCLE_1)
	s_and_not1_b32 vcc_lo, exec_lo, s40
	s_cbranch_vccnz .LBB85_103
; %bb.102:
	global_load_u8 v1, v[6:7], off
	s_wait_loadcnt 0x0
	v_lshlrev_b32_e32 v3, 25, v1
	v_lshlrev_b16 v1, 8, v1
	s_delay_alu instid0(VALU_DEP_1) | instskip(SKIP_1) | instid1(VALU_DEP_2)
	v_and_or_b32 v8, 0x7f00, v1, 0.5
	v_bfe_i32 v1, v1, 0, 16
	v_dual_add_f32 v8, -0.5, v8 :: v_dual_lshrrev_b32 v5, 4, v3
	v_cmp_gt_u32_e32 vcc_lo, 0x8000000, v3
	s_delay_alu instid0(VALU_DEP_2) | instskip(NEXT) | instid1(VALU_DEP_1)
	v_or_b32_e32 v5, 0x70000000, v5
	v_mul_f32_e32 v5, 0x7800000, v5
	s_delay_alu instid0(VALU_DEP_1) | instskip(NEXT) | instid1(VALU_DEP_1)
	v_cndmask_b32_e32 v3, v5, v8, vcc_lo
	v_and_or_b32 v1, 0x80000000, v1, v3
	s_delay_alu instid0(VALU_DEP_1)
	v_cvt_f16_f32_e32 v1, v1
.LBB85_103:
	s_mov_b32 s41, 0
	s_mov_b32 s40, -1
.LBB85_104:
	s_and_not1_b32 vcc_lo, exec_lo, s41
	s_cbranch_vccnz .LBB85_117
; %bb.105:
	s_cmp_gt_i32 s27, 14
	s_cbranch_scc0 .LBB85_108
; %bb.106:
	s_cmp_eq_u32 s27, 15
	s_cbranch_scc0 .LBB85_111
; %bb.107:
	global_load_u16 v1, v[6:7], off
	s_mov_b32 s40, -1
	s_mov_b32 s26, 0
	s_wait_loadcnt 0x0
	v_lshlrev_b32_e32 v1, 16, v1
	s_delay_alu instid0(VALU_DEP_1)
	v_cvt_f16_f32_e32 v1, v1
	s_branch .LBB85_112
.LBB85_108:
	s_mov_b32 s41, -1
                                        ; implicit-def: $vgpr1
	s_branch .LBB85_113
.LBB85_109:
	s_or_saveexec_b32 s41, s41
	v_mov_b32_e32 v1, 0x7e00
	s_xor_b32 exec_lo, exec_lo, s41
	s_cbranch_execz .LBB85_90
.LBB85_110:
	v_cmp_ne_u16_e32 vcc_lo, 0, v3
	v_mov_b32_e32 v1, v3
	s_and_not1_b32 s40, s40, exec_lo
	s_and_b32 s42, vcc_lo, exec_lo
	s_delay_alu instid0(SALU_CYCLE_1)
	s_or_b32 s40, s40, s42
	s_or_b32 exec_lo, exec_lo, s41
	s_and_saveexec_b32 s41, s40
	s_cbranch_execnz .LBB85_91
	s_branch .LBB85_92
.LBB85_111:
	s_mov_b32 s26, -1
                                        ; implicit-def: $vgpr1
.LBB85_112:
	s_mov_b32 s41, 0
.LBB85_113:
	s_delay_alu instid0(SALU_CYCLE_1)
	s_and_b32 vcc_lo, exec_lo, s41
	s_cbranch_vccz .LBB85_117
; %bb.114:
	s_cmp_eq_u32 s27, 11
	s_cbranch_scc0 .LBB85_116
; %bb.115:
	global_load_u8 v1, v[6:7], off
	s_mov_b32 s26, 0
	s_mov_b32 s40, -1
	s_wait_loadcnt 0x0
	v_cmp_ne_u16_e32 vcc_lo, 0, v1
	v_cndmask_b32_e64 v1, 0, 0x3c00, vcc_lo
	s_branch .LBB85_117
.LBB85_116:
	s_mov_b32 s26, -1
                                        ; implicit-def: $vgpr1
.LBB85_117:
	s_branch .LBB85_21
.LBB85_118:
	s_and_b32 s0, 0xffff, s0
	s_delay_alu instid0(SALU_CYCLE_1)
	s_cmp_lt_i32 s0, 5
	s_cbranch_scc1 .LBB85_123
; %bb.119:
	s_cmp_lt_i32 s0, 8
	s_cbranch_scc1 .LBB85_124
; %bb.120:
	;; [unrolled: 3-line block ×3, first 2 shown]
	s_cmp_gt_i32 s0, 9
	s_cbranch_scc0 .LBB85_126
; %bb.122:
	global_load_b64 v[8:9], v[6:7], off
	s_mov_b32 s27, 0
	s_wait_loadcnt 0x0
	v_and_or_b32 v1, 0x1ff, v9, v8
	v_lshrrev_b32_e32 v3, 8, v9
	v_bfe_u32 v5, v9, 20, 11
	s_delay_alu instid0(VALU_DEP_3) | instskip(NEXT) | instid1(VALU_DEP_2)
	v_cmp_ne_u32_e32 vcc_lo, 0, v1
	v_sub_nc_u32_e32 v8, 0x3f1, v5
	v_add_nc_u32_e32 v5, 0xfffffc10, v5
	v_cndmask_b32_e64 v1, 0, 1, vcc_lo
	s_delay_alu instid0(VALU_DEP_1) | instskip(NEXT) | instid1(VALU_DEP_4)
	v_and_or_b32 v1, 0xffe, v3, v1
	v_med3_i32 v3, v8, 0, 13
	s_delay_alu instid0(VALU_DEP_2) | instskip(NEXT) | instid1(VALU_DEP_1)
	v_or_b32_e32 v8, 0x1000, v1
	v_lshrrev_b32_e32 v10, v3, v8
	s_delay_alu instid0(VALU_DEP_1) | instskip(NEXT) | instid1(VALU_DEP_1)
	v_lshlrev_b32_e32 v3, v3, v10
	v_cmp_ne_u32_e32 vcc_lo, v3, v8
	v_lshl_or_b32 v8, v5, 12, v1
	v_cndmask_b32_e64 v3, 0, 1, vcc_lo
	v_cmp_gt_i32_e32 vcc_lo, 1, v5
	s_delay_alu instid0(VALU_DEP_2) | instskip(NEXT) | instid1(VALU_DEP_1)
	v_or_b32_e32 v3, v10, v3
	v_cndmask_b32_e32 v3, v8, v3, vcc_lo
	s_delay_alu instid0(VALU_DEP_1) | instskip(NEXT) | instid1(VALU_DEP_1)
	v_dual_lshrrev_b32 v3, 2, v3 :: v_dual_bitop2_b32 v8, 7, v3 bitop3:0x40
	v_cmp_lt_i32_e32 vcc_lo, 5, v8
	v_cndmask_b32_e64 v10, 0, 1, vcc_lo
	v_cmp_eq_u32_e32 vcc_lo, 3, v8
	v_cndmask_b32_e64 v8, 0, 1, vcc_lo
	v_cmp_ne_u32_e32 vcc_lo, 0, v1
	s_delay_alu instid0(VALU_DEP_2) | instskip(NEXT) | instid1(VALU_DEP_1)
	v_or_b32_e32 v8, v8, v10
	v_dual_mov_b32 v10, 0x7e00 :: v_dual_add_nc_u32 v3, v3, v8
	s_delay_alu instid0(VALU_DEP_1) | instskip(SKIP_1) | instid1(VALU_DEP_3)
	v_cndmask_b32_e32 v1, 0x7c00, v10, vcc_lo
	v_cmp_gt_i32_e32 vcc_lo, 31, v5
	v_cndmask_b32_e32 v3, 0x7c00, v3, vcc_lo
	v_cmp_eq_u32_e32 vcc_lo, 0x40f, v5
	s_delay_alu instid0(VALU_DEP_2) | instskip(SKIP_1) | instid1(VALU_DEP_1)
	v_cndmask_b32_e32 v1, v3, v1, vcc_lo
	v_lshrrev_b32_e32 v3, 16, v9
	v_and_or_b32 v1, 0x8000, v3, v1
	s_branch .LBB85_127
.LBB85_123:
                                        ; implicit-def: $vgpr1
	s_branch .LBB85_145
.LBB85_124:
	s_mov_b32 s27, -1
                                        ; implicit-def: $vgpr1
	s_branch .LBB85_133
.LBB85_125:
	s_mov_b32 s27, -1
                                        ; implicit-def: $vgpr1
	s_branch .LBB85_130
.LBB85_126:
	s_mov_b32 s27, -1
                                        ; implicit-def: $vgpr1
.LBB85_127:
	s_delay_alu instid0(SALU_CYCLE_1)
	s_and_not1_b32 vcc_lo, exec_lo, s27
	s_cbranch_vccnz .LBB85_129
; %bb.128:
	global_load_b32 v1, v[6:7], off
	s_wait_loadcnt 0x0
	v_cvt_f16_f32_e32 v1, v1
.LBB85_129:
	s_mov_b32 s27, 0
.LBB85_130:
	s_delay_alu instid0(SALU_CYCLE_1)
	s_and_not1_b32 vcc_lo, exec_lo, s27
	s_cbranch_vccnz .LBB85_132
; %bb.131:
	global_load_b32 v1, v[6:7], off
.LBB85_132:
	s_mov_b32 s27, 0
.LBB85_133:
	s_delay_alu instid0(SALU_CYCLE_1)
	s_and_not1_b32 vcc_lo, exec_lo, s27
	s_cbranch_vccnz .LBB85_144
; %bb.134:
	s_cmp_lt_i32 s0, 6
	s_cbranch_scc1 .LBB85_137
; %bb.135:
	s_cmp_gt_i32 s0, 6
	s_cbranch_scc0 .LBB85_138
; %bb.136:
	global_load_b64 v[8:9], v[6:7], off
	s_mov_b32 s27, 0
	s_wait_loadcnt 0x0
	v_and_or_b32 v1, 0x1ff, v9, v8
	v_lshrrev_b32_e32 v3, 8, v9
	v_bfe_u32 v5, v9, 20, 11
	s_delay_alu instid0(VALU_DEP_3) | instskip(NEXT) | instid1(VALU_DEP_2)
	v_cmp_ne_u32_e32 vcc_lo, 0, v1
	v_sub_nc_u32_e32 v8, 0x3f1, v5
	v_add_nc_u32_e32 v5, 0xfffffc10, v5
	v_cndmask_b32_e64 v1, 0, 1, vcc_lo
	s_delay_alu instid0(VALU_DEP_1) | instskip(NEXT) | instid1(VALU_DEP_4)
	v_and_or_b32 v1, 0xffe, v3, v1
	v_med3_i32 v3, v8, 0, 13
	s_delay_alu instid0(VALU_DEP_2) | instskip(NEXT) | instid1(VALU_DEP_1)
	v_or_b32_e32 v8, 0x1000, v1
	v_lshrrev_b32_e32 v10, v3, v8
	s_delay_alu instid0(VALU_DEP_1) | instskip(NEXT) | instid1(VALU_DEP_1)
	v_lshlrev_b32_e32 v3, v3, v10
	v_cmp_ne_u32_e32 vcc_lo, v3, v8
	v_lshl_or_b32 v8, v5, 12, v1
	v_cndmask_b32_e64 v3, 0, 1, vcc_lo
	v_cmp_gt_i32_e32 vcc_lo, 1, v5
	s_delay_alu instid0(VALU_DEP_2) | instskip(NEXT) | instid1(VALU_DEP_1)
	v_or_b32_e32 v3, v10, v3
	v_cndmask_b32_e32 v3, v8, v3, vcc_lo
	s_delay_alu instid0(VALU_DEP_1) | instskip(NEXT) | instid1(VALU_DEP_1)
	v_dual_lshrrev_b32 v3, 2, v3 :: v_dual_bitop2_b32 v8, 7, v3 bitop3:0x40
	v_cmp_lt_i32_e32 vcc_lo, 5, v8
	v_cndmask_b32_e64 v10, 0, 1, vcc_lo
	v_cmp_eq_u32_e32 vcc_lo, 3, v8
	v_cndmask_b32_e64 v8, 0, 1, vcc_lo
	v_cmp_ne_u32_e32 vcc_lo, 0, v1
	s_delay_alu instid0(VALU_DEP_2) | instskip(NEXT) | instid1(VALU_DEP_1)
	v_or_b32_e32 v8, v8, v10
	v_dual_mov_b32 v10, 0x7e00 :: v_dual_add_nc_u32 v3, v3, v8
	s_delay_alu instid0(VALU_DEP_1) | instskip(SKIP_1) | instid1(VALU_DEP_3)
	v_cndmask_b32_e32 v1, 0x7c00, v10, vcc_lo
	v_cmp_gt_i32_e32 vcc_lo, 31, v5
	v_cndmask_b32_e32 v3, 0x7c00, v3, vcc_lo
	v_cmp_eq_u32_e32 vcc_lo, 0x40f, v5
	s_delay_alu instid0(VALU_DEP_2) | instskip(SKIP_1) | instid1(VALU_DEP_1)
	v_cndmask_b32_e32 v1, v3, v1, vcc_lo
	v_lshrrev_b32_e32 v3, 16, v9
	v_and_or_b32 v1, 0x8000, v3, v1
	s_branch .LBB85_139
.LBB85_137:
	s_mov_b32 s27, -1
                                        ; implicit-def: $vgpr1
	s_branch .LBB85_142
.LBB85_138:
	s_mov_b32 s27, -1
                                        ; implicit-def: $vgpr1
.LBB85_139:
	s_delay_alu instid0(SALU_CYCLE_1)
	s_and_not1_b32 vcc_lo, exec_lo, s27
	s_cbranch_vccnz .LBB85_141
; %bb.140:
	s_wait_loadcnt 0x0
	global_load_b32 v1, v[6:7], off
	s_wait_loadcnt 0x0
	v_cvt_f16_f32_e32 v1, v1
.LBB85_141:
	s_mov_b32 s27, 0
.LBB85_142:
	s_delay_alu instid0(SALU_CYCLE_1)
	s_and_not1_b32 vcc_lo, exec_lo, s27
	s_cbranch_vccnz .LBB85_144
; %bb.143:
	s_wait_loadcnt 0x0
	global_load_u16 v1, v[6:7], off
.LBB85_144:
	s_cbranch_execnz .LBB85_164
.LBB85_145:
	s_cmp_lt_i32 s0, 2
	s_cbranch_scc1 .LBB85_149
; %bb.146:
	s_cmp_lt_i32 s0, 3
	s_cbranch_scc1 .LBB85_150
; %bb.147:
	s_cmp_gt_i32 s0, 3
	s_cbranch_scc0 .LBB85_151
; %bb.148:
	global_load_b64 v[8:9], v[6:7], off
	s_mov_b32 s27, 0
	s_wait_loadcnt 0x0
	v_xor_b32_e32 v1, v8, v9
	v_cls_i32_e32 v3, v9
	s_delay_alu instid0(VALU_DEP_2) | instskip(NEXT) | instid1(VALU_DEP_1)
	v_ashrrev_i32_e32 v1, 31, v1
	v_add_nc_u32_e32 v1, 32, v1
	s_delay_alu instid0(VALU_DEP_1) | instskip(NEXT) | instid1(VALU_DEP_1)
	v_add_min_u32_e64 v1, v3, -1, v1
	v_lshlrev_b64_e32 v[8:9], v1, v[8:9]
	v_sub_nc_u32_e32 v1, 32, v1
	s_delay_alu instid0(VALU_DEP_2) | instskip(NEXT) | instid1(VALU_DEP_1)
	v_min_u32_e32 v3, 1, v8
	v_or_b32_e32 v3, v9, v3
	s_delay_alu instid0(VALU_DEP_1) | instskip(NEXT) | instid1(VALU_DEP_1)
	v_cvt_f32_i32_e32 v3, v3
	v_ldexp_f32 v1, v3, v1
	s_delay_alu instid0(VALU_DEP_1)
	v_cvt_f16_f32_e32 v1, v1
	s_branch .LBB85_152
.LBB85_149:
	s_mov_b32 s27, -1
                                        ; implicit-def: $vgpr1
	s_branch .LBB85_158
.LBB85_150:
	s_mov_b32 s27, -1
                                        ; implicit-def: $vgpr1
	s_branch .LBB85_155
.LBB85_151:
	s_mov_b32 s27, -1
                                        ; implicit-def: $vgpr1
.LBB85_152:
	s_delay_alu instid0(SALU_CYCLE_1)
	s_and_not1_b32 vcc_lo, exec_lo, s27
	s_cbranch_vccnz .LBB85_154
; %bb.153:
	s_wait_loadcnt 0x0
	global_load_b32 v1, v[6:7], off
	s_wait_loadcnt 0x0
	v_cvt_f32_i32_e32 v1, v1
	s_delay_alu instid0(VALU_DEP_1)
	v_cvt_f16_f32_e32 v1, v1
.LBB85_154:
	s_mov_b32 s27, 0
.LBB85_155:
	s_delay_alu instid0(SALU_CYCLE_1)
	s_and_not1_b32 vcc_lo, exec_lo, s27
	s_cbranch_vccnz .LBB85_157
; %bb.156:
	s_wait_loadcnt 0x0
	global_load_u16 v1, v[6:7], off
	s_wait_loadcnt 0x0
	v_cvt_f16_i16_e32 v1, v1
.LBB85_157:
	s_mov_b32 s27, 0
.LBB85_158:
	s_delay_alu instid0(SALU_CYCLE_1)
	s_and_not1_b32 vcc_lo, exec_lo, s27
	s_cbranch_vccnz .LBB85_164
; %bb.159:
	s_cmp_gt_i32 s0, 0
	s_mov_b32 s0, 0
	s_cbranch_scc0 .LBB85_161
; %bb.160:
	s_wait_loadcnt 0x0
	global_load_i8 v1, v[6:7], off
	s_wait_loadcnt 0x0
	v_cvt_f16_i16_e32 v1, v1
	s_branch .LBB85_162
.LBB85_161:
	s_mov_b32 s0, -1
                                        ; implicit-def: $vgpr1
.LBB85_162:
	s_delay_alu instid0(SALU_CYCLE_1)
	s_and_not1_b32 vcc_lo, exec_lo, s0
	s_cbranch_vccnz .LBB85_164
; %bb.163:
	s_wait_loadcnt 0x0
	global_load_u8 v1, v[6:7], off
	s_wait_loadcnt 0x0
	v_cvt_f16_u16_e32 v1, v1
.LBB85_164:
	s_branch .LBB85_22
.LBB85_165:
	s_mov_b32 s0, 0
	s_mov_b32 s27, 0
	s_branch .LBB85_393
.LBB85_166:
	s_mov_b32 s27, -1
.LBB85_167:
	s_mov_b32 s41, 0
                                        ; implicit-def: $vgpr3
.LBB85_168:
	s_and_b32 vcc_lo, exec_lo, s42
	s_cbranch_vccz .LBB85_283
; %bb.169:
	s_cmp_eq_u32 s40, 44
	s_cbranch_scc0 .LBB85_282
; %bb.170:
	global_load_u8 v3, v[4:5], off
	s_mov_b32 s27, 0
	s_mov_b32 s41, -1
	s_wait_loadcnt 0x0
	v_lshlrev_b32_e32 v6, 23, v3
	v_cmp_ne_u32_e32 vcc_lo, 0xff, v3
	s_delay_alu instid0(VALU_DEP_2) | instskip(NEXT) | instid1(VALU_DEP_1)
	v_cvt_f16_f32_e32 v6, v6
	v_cndmask_b32_e32 v6, 0x7e00, v6, vcc_lo
	v_cmp_ne_u32_e32 vcc_lo, 0, v3
	s_delay_alu instid0(VALU_DEP_2)
	v_cndmask_b32_e32 v3, 0, v6, vcc_lo
	s_branch .LBB85_283
.LBB85_171:
	s_mov_b32 s44, -1
	s_mov_b32 s0, 0
	s_mov_b32 s42, 0
.LBB85_172:
	s_and_b32 vcc_lo, exec_lo, s44
	s_cbranch_vccz .LBB85_177
; %bb.173:
	s_cmp_eq_u32 s41, 44
	s_mov_b32 s0, -1
	s_cbranch_scc0 .LBB85_177
; %bb.174:
	s_wait_xcnt 0x0
	v_cvt_f32_f16_e32 v4, v1
	v_mov_b32_e32 v5, 0xff
	s_mov_b32 s42, exec_lo
	s_delay_alu instid0(VALU_DEP_2) | instskip(NEXT) | instid1(VALU_DEP_1)
	v_bfe_u32 v6, v4, 23, 8
	v_cmpx_ne_u32_e32 0xff, v6
	s_cbranch_execz .LBB85_176
; %bb.175:
	v_and_b32_e32 v5, 0x400000, v4
	v_and_or_b32 v6, 0x3fffff, v4, v6
	v_lshrrev_b32_e32 v4, 23, v4
	s_delay_alu instid0(VALU_DEP_3) | instskip(NEXT) | instid1(VALU_DEP_3)
	v_cmp_ne_u32_e32 vcc_lo, 0, v5
	v_cmp_ne_u32_e64 s0, 0, v6
	s_and_b32 s0, vcc_lo, s0
	s_delay_alu instid0(SALU_CYCLE_1) | instskip(NEXT) | instid1(VALU_DEP_1)
	v_cndmask_b32_e64 v5, 0, 1, s0
	v_add_nc_u32_e32 v5, v4, v5
.LBB85_176:
	s_or_b32 exec_lo, exec_lo, s42
	s_mov_b32 s42, -1
	s_mov_b32 s0, 0
	global_store_b8 v[2:3], v5, off
.LBB85_177:
	s_mov_b32 s44, 0
.LBB85_178:
	s_delay_alu instid0(SALU_CYCLE_1)
	s_and_b32 vcc_lo, exec_lo, s44
	s_cbranch_vccz .LBB85_181
; %bb.179:
	s_cmp_eq_u32 s41, 29
	s_mov_b32 s0, -1
	s_cbranch_scc0 .LBB85_181
; %bb.180:
	s_wait_xcnt 0x0
	v_cvt_f32_f16_e32 v4, v1
	v_mov_b32_e32 v5, 0
	s_mov_b32 s42, -1
	s_mov_b32 s0, 0
	s_mov_b32 s44, 0
	v_cvt_u32_f32_e32 v4, v4
	global_store_b64 v[2:3], v[4:5], off
	s_branch .LBB85_182
.LBB85_181:
	s_mov_b32 s44, 0
.LBB85_182:
	s_delay_alu instid0(SALU_CYCLE_1)
	s_and_b32 vcc_lo, exec_lo, s44
	s_cbranch_vccz .LBB85_198
; %bb.183:
	s_cmp_lt_i32 s41, 27
	s_mov_b32 s42, -1
	s_cbranch_scc1 .LBB85_189
; %bb.184:
	s_cmp_gt_i32 s41, 27
	s_cbranch_scc0 .LBB85_186
; %bb.185:
	s_wait_xcnt 0x0
	v_cvt_f32_f16_e32 v4, v1
	s_mov_b32 s42, 0
	s_delay_alu instid0(VALU_DEP_1)
	v_cvt_u32_f32_e32 v4, v4
	global_store_b32 v[2:3], v4, off
.LBB85_186:
	s_and_not1_b32 vcc_lo, exec_lo, s42
	s_cbranch_vccnz .LBB85_188
; %bb.187:
	s_wait_xcnt 0x0
	v_cvt_u16_f16_e32 v4, v1
	global_store_b16 v[2:3], v4, off
.LBB85_188:
	s_mov_b32 s42, 0
.LBB85_189:
	s_delay_alu instid0(SALU_CYCLE_1)
	s_and_not1_b32 vcc_lo, exec_lo, s42
	s_cbranch_vccnz .LBB85_197
; %bb.190:
	s_wait_xcnt 0x0
	v_cvt_f32_f16_e32 v4, v1
	v_mov_b32_e32 v6, 0x80
	s_mov_b32 s42, exec_lo
	s_delay_alu instid0(VALU_DEP_2) | instskip(NEXT) | instid1(VALU_DEP_1)
	v_and_b32_e32 v5, 0x7fffffff, v4
	v_cmpx_gt_u32_e32 0x43800000, v5
	s_cbranch_execz .LBB85_196
; %bb.191:
	v_cmp_lt_u32_e32 vcc_lo, 0x3bffffff, v5
	s_mov_b32 s44, 0
                                        ; implicit-def: $vgpr5
	s_and_saveexec_b32 s45, vcc_lo
	s_delay_alu instid0(SALU_CYCLE_1)
	s_xor_b32 s45, exec_lo, s45
	s_cbranch_execz .LBB85_435
; %bb.192:
	v_bfe_u32 v5, v4, 20, 1
	s_mov_b32 s44, exec_lo
	s_delay_alu instid0(VALU_DEP_1) | instskip(NEXT) | instid1(VALU_DEP_1)
	v_add3_u32 v5, v4, v5, 0x487ffff
	v_lshrrev_b32_e32 v5, 20, v5
	s_and_not1_saveexec_b32 s45, s45
	s_cbranch_execnz .LBB85_436
.LBB85_193:
	s_or_b32 exec_lo, exec_lo, s45
	v_mov_b32_e32 v6, 0
	s_and_saveexec_b32 s45, s44
.LBB85_194:
	v_lshrrev_b32_e32 v4, 24, v4
	s_delay_alu instid0(VALU_DEP_1)
	v_and_or_b32 v6, 0x80, v4, v5
.LBB85_195:
	s_or_b32 exec_lo, exec_lo, s45
.LBB85_196:
	s_delay_alu instid0(SALU_CYCLE_1)
	s_or_b32 exec_lo, exec_lo, s42
	global_store_b8 v[2:3], v6, off
.LBB85_197:
	s_mov_b32 s42, -1
.LBB85_198:
	s_mov_b32 s44, 0
.LBB85_199:
	s_delay_alu instid0(SALU_CYCLE_1)
	s_and_b32 vcc_lo, exec_lo, s44
	s_cbranch_vccz .LBB85_240
; %bb.200:
	s_cmp_gt_i32 s41, 22
	s_mov_b32 s44, -1
	s_cbranch_scc0 .LBB85_232
; %bb.201:
	s_cmp_lt_i32 s41, 24
	s_mov_b32 s42, -1
	s_cbranch_scc1 .LBB85_221
; %bb.202:
	s_cmp_gt_i32 s41, 24
	s_cbranch_scc0 .LBB85_210
; %bb.203:
	s_wait_xcnt 0x0
	v_cvt_f32_f16_e32 v4, v1
	v_mov_b32_e32 v6, 0x80
	s_mov_b32 s42, exec_lo
	s_delay_alu instid0(VALU_DEP_2) | instskip(NEXT) | instid1(VALU_DEP_1)
	v_and_b32_e32 v5, 0x7fffffff, v4
	v_cmpx_gt_u32_e32 0x47800000, v5
	s_cbranch_execz .LBB85_209
; %bb.204:
	v_cmp_lt_u32_e32 vcc_lo, 0x37ffffff, v5
	s_mov_b32 s44, 0
                                        ; implicit-def: $vgpr5
	s_and_saveexec_b32 s45, vcc_lo
	s_delay_alu instid0(SALU_CYCLE_1)
	s_xor_b32 s45, exec_lo, s45
	s_cbranch_execz .LBB85_554
; %bb.205:
	v_bfe_u32 v5, v4, 21, 1
	s_mov_b32 s44, exec_lo
	s_delay_alu instid0(VALU_DEP_1) | instskip(NEXT) | instid1(VALU_DEP_1)
	v_add3_u32 v5, v4, v5, 0x88fffff
	v_lshrrev_b32_e32 v5, 21, v5
	s_and_not1_saveexec_b32 s45, s45
	s_cbranch_execnz .LBB85_555
.LBB85_206:
	s_or_b32 exec_lo, exec_lo, s45
	v_mov_b32_e32 v6, 0
	s_and_saveexec_b32 s45, s44
.LBB85_207:
	v_lshrrev_b32_e32 v4, 24, v4
	s_delay_alu instid0(VALU_DEP_1)
	v_and_or_b32 v6, 0x80, v4, v5
.LBB85_208:
	s_or_b32 exec_lo, exec_lo, s45
.LBB85_209:
	s_delay_alu instid0(SALU_CYCLE_1)
	s_or_b32 exec_lo, exec_lo, s42
	s_mov_b32 s42, 0
	global_store_b8 v[2:3], v6, off
.LBB85_210:
	s_and_b32 vcc_lo, exec_lo, s42
	s_cbranch_vccz .LBB85_220
; %bb.211:
	s_wait_xcnt 0x0
	v_cvt_f32_f16_e32 v4, v1
	s_mov_b32 s42, exec_lo
                                        ; implicit-def: $vgpr5
	s_delay_alu instid0(VALU_DEP_1) | instskip(NEXT) | instid1(VALU_DEP_1)
	v_and_b32_e32 v6, 0x7fffffff, v4
	v_cmpx_gt_u32_e32 0x43f00000, v6
	s_xor_b32 s42, exec_lo, s42
	s_cbranch_execz .LBB85_217
; %bb.212:
	s_mov_b32 s44, exec_lo
                                        ; implicit-def: $vgpr5
	v_cmpx_lt_u32_e32 0x3c7fffff, v6
	s_xor_b32 s44, exec_lo, s44
; %bb.213:
	v_bfe_u32 v5, v4, 20, 1
	s_delay_alu instid0(VALU_DEP_1) | instskip(NEXT) | instid1(VALU_DEP_1)
	v_add3_u32 v5, v4, v5, 0x407ffff
	v_and_b32_e32 v6, 0xff00000, v5
	v_lshrrev_b32_e32 v5, 20, v5
	s_delay_alu instid0(VALU_DEP_2) | instskip(NEXT) | instid1(VALU_DEP_2)
	v_cmp_ne_u32_e32 vcc_lo, 0x7f00000, v6
	v_cndmask_b32_e32 v5, 0x7e, v5, vcc_lo
; %bb.214:
	s_and_not1_saveexec_b32 s44, s44
; %bb.215:
	v_add_f32_e64 v5, 0x46800000, |v4|
; %bb.216:
	s_or_b32 exec_lo, exec_lo, s44
                                        ; implicit-def: $vgpr6
.LBB85_217:
	s_and_not1_saveexec_b32 s42, s42
; %bb.218:
	v_mov_b32_e32 v5, 0x7f
	v_cmp_lt_u32_e32 vcc_lo, 0x7f800000, v6
	s_delay_alu instid0(VALU_DEP_2)
	v_cndmask_b32_e32 v5, 0x7e, v5, vcc_lo
; %bb.219:
	s_or_b32 exec_lo, exec_lo, s42
	v_lshrrev_b32_e32 v4, 24, v4
	s_delay_alu instid0(VALU_DEP_1)
	v_and_or_b32 v4, 0x80, v4, v5
	global_store_b8 v[2:3], v4, off
.LBB85_220:
	s_mov_b32 s42, 0
.LBB85_221:
	s_delay_alu instid0(SALU_CYCLE_1)
	s_and_not1_b32 vcc_lo, exec_lo, s42
	s_cbranch_vccnz .LBB85_231
; %bb.222:
	s_wait_xcnt 0x0
	v_cvt_f32_f16_e32 v4, v1
	s_mov_b32 s42, exec_lo
                                        ; implicit-def: $vgpr5
	s_delay_alu instid0(VALU_DEP_1) | instskip(NEXT) | instid1(VALU_DEP_1)
	v_and_b32_e32 v6, 0x7fffffff, v4
	v_cmpx_gt_u32_e32 0x47800000, v6
	s_xor_b32 s42, exec_lo, s42
	s_cbranch_execz .LBB85_228
; %bb.223:
	s_mov_b32 s44, exec_lo
                                        ; implicit-def: $vgpr5
	v_cmpx_lt_u32_e32 0x387fffff, v6
	s_xor_b32 s44, exec_lo, s44
; %bb.224:
	v_bfe_u32 v5, v4, 21, 1
	s_delay_alu instid0(VALU_DEP_1) | instskip(NEXT) | instid1(VALU_DEP_1)
	v_add3_u32 v5, v4, v5, 0x80fffff
	v_lshrrev_b32_e32 v5, 21, v5
; %bb.225:
	s_and_not1_saveexec_b32 s44, s44
; %bb.226:
	v_add_f32_e64 v5, 0x43000000, |v4|
; %bb.227:
	s_or_b32 exec_lo, exec_lo, s44
                                        ; implicit-def: $vgpr6
.LBB85_228:
	s_and_not1_saveexec_b32 s42, s42
; %bb.229:
	v_mov_b32_e32 v5, 0x7f
	v_cmp_lt_u32_e32 vcc_lo, 0x7f800000, v6
	s_delay_alu instid0(VALU_DEP_2)
	v_cndmask_b32_e32 v5, 0x7c, v5, vcc_lo
; %bb.230:
	s_or_b32 exec_lo, exec_lo, s42
	v_lshrrev_b32_e32 v4, 24, v4
	s_delay_alu instid0(VALU_DEP_1)
	v_and_or_b32 v4, 0x80, v4, v5
	global_store_b8 v[2:3], v4, off
.LBB85_231:
	s_mov_b32 s44, 0
	s_mov_b32 s42, -1
.LBB85_232:
	s_and_not1_b32 vcc_lo, exec_lo, s44
	s_cbranch_vccnz .LBB85_240
; %bb.233:
	s_cmp_gt_i32 s41, 14
	s_mov_b32 s44, -1
	s_cbranch_scc0 .LBB85_237
; %bb.234:
	s_cmp_eq_u32 s41, 15
	s_mov_b32 s0, -1
	s_cbranch_scc0 .LBB85_236
; %bb.235:
	s_wait_xcnt 0x0
	v_cvt_f32_f16_e32 v4, v1
	v_cmp_o_f16_e32 vcc_lo, v1, v1
	s_mov_b32 s42, -1
	s_mov_b32 s0, 0
	s_delay_alu instid0(VALU_DEP_2) | instskip(NEXT) | instid1(VALU_DEP_1)
	v_bfe_u32 v5, v4, 16, 1
	v_add3_u32 v4, v4, v5, 0x7fff
	s_delay_alu instid0(VALU_DEP_1) | instskip(NEXT) | instid1(VALU_DEP_1)
	v_lshrrev_b32_e32 v4, 16, v4
	v_cndmask_b32_e32 v4, 0x7fc0, v4, vcc_lo
	global_store_b16 v[2:3], v4, off
.LBB85_236:
	s_mov_b32 s44, 0
.LBB85_237:
	s_delay_alu instid0(SALU_CYCLE_1)
	s_and_b32 vcc_lo, exec_lo, s44
	s_cbranch_vccz .LBB85_240
; %bb.238:
	s_cmp_eq_u32 s41, 11
	s_mov_b32 s0, -1
	s_cbranch_scc0 .LBB85_240
; %bb.239:
	s_wait_xcnt 0x0
	v_and_b32_e32 v4, 0x7fff, v1
	s_mov_b32 s0, 0
	s_mov_b32 s42, -1
	s_delay_alu instid0(VALU_DEP_1)
	v_cmp_ne_u16_e32 vcc_lo, 0, v4
	v_cndmask_b32_e64 v4, 0, 1, vcc_lo
	global_store_b8 v[2:3], v4, off
.LBB85_240:
	s_mov_b32 s41, 0
.LBB85_241:
	s_delay_alu instid0(SALU_CYCLE_1)
	s_and_b32 vcc_lo, exec_lo, s41
	s_cbranch_vccz .LBB85_280
; %bb.242:
	s_and_b32 s40, 0xffff, s40
	s_mov_b32 s41, -1
	s_cmp_lt_i32 s40, 5
	s_cbranch_scc1 .LBB85_263
; %bb.243:
	s_cmp_lt_i32 s40, 8
	s_cbranch_scc1 .LBB85_253
; %bb.244:
	;; [unrolled: 3-line block ×3, first 2 shown]
	s_cmp_gt_i32 s40, 9
	s_cbranch_scc0 .LBB85_247
; %bb.246:
	s_wait_xcnt 0x0
	v_cvt_f32_f16_e32 v4, v1
	v_mov_b32_e32 v6, 0
	s_mov_b32 s41, 0
	s_delay_alu instid0(VALU_DEP_2) | instskip(NEXT) | instid1(VALU_DEP_2)
	v_cvt_f64_f32_e32 v[4:5], v4
	v_mov_b32_e32 v7, v6
	global_store_b128 v[2:3], v[4:7], off
.LBB85_247:
	s_and_not1_b32 vcc_lo, exec_lo, s41
	s_cbranch_vccnz .LBB85_249
; %bb.248:
	s_wait_xcnt 0x0
	v_cvt_f32_f16_e32 v4, v1
	v_mov_b32_e32 v5, 0
	global_store_b64 v[2:3], v[4:5], off
.LBB85_249:
	s_mov_b32 s41, 0
.LBB85_250:
	s_delay_alu instid0(SALU_CYCLE_1)
	s_and_not1_b32 vcc_lo, exec_lo, s41
	s_cbranch_vccnz .LBB85_252
; %bb.251:
	s_wait_xcnt 0x0
	v_and_b32_e32 v4, 0xffff, v1
	global_store_b32 v[2:3], v4, off
.LBB85_252:
	s_mov_b32 s41, 0
.LBB85_253:
	s_delay_alu instid0(SALU_CYCLE_1)
	s_and_not1_b32 vcc_lo, exec_lo, s41
	s_cbranch_vccnz .LBB85_262
; %bb.254:
	s_cmp_lt_i32 s40, 6
	s_mov_b32 s41, -1
	s_cbranch_scc1 .LBB85_260
; %bb.255:
	s_cmp_gt_i32 s40, 6
	s_cbranch_scc0 .LBB85_257
; %bb.256:
	s_wait_xcnt 0x0
	v_cvt_f32_f16_e32 v4, v1
	s_mov_b32 s41, 0
	s_delay_alu instid0(VALU_DEP_1)
	v_cvt_f64_f32_e32 v[4:5], v4
	global_store_b64 v[2:3], v[4:5], off
.LBB85_257:
	s_and_not1_b32 vcc_lo, exec_lo, s41
	s_cbranch_vccnz .LBB85_259
; %bb.258:
	s_wait_xcnt 0x0
	v_cvt_f32_f16_e32 v4, v1
	global_store_b32 v[2:3], v4, off
.LBB85_259:
	s_mov_b32 s41, 0
.LBB85_260:
	s_delay_alu instid0(SALU_CYCLE_1)
	s_and_not1_b32 vcc_lo, exec_lo, s41
	s_cbranch_vccnz .LBB85_262
; %bb.261:
	global_store_b16 v[2:3], v1, off
.LBB85_262:
	s_mov_b32 s41, 0
.LBB85_263:
	s_delay_alu instid0(SALU_CYCLE_1)
	s_and_not1_b32 vcc_lo, exec_lo, s41
	s_cbranch_vccnz .LBB85_279
; %bb.264:
	s_cmp_lt_i32 s40, 2
	s_mov_b32 s41, -1
	s_cbranch_scc1 .LBB85_274
; %bb.265:
	s_cmp_lt_i32 s40, 3
	s_cbranch_scc1 .LBB85_271
; %bb.266:
	s_cmp_gt_i32 s40, 3
	s_cbranch_scc0 .LBB85_268
; %bb.267:
	s_wait_xcnt 0x0
	v_cvt_f32_f16_e32 v4, v1
	s_mov_b32 s41, 0
	s_delay_alu instid0(VALU_DEP_1) | instskip(NEXT) | instid1(VALU_DEP_1)
	v_cvt_i32_f32_e32 v4, v4
	v_ashrrev_i32_e32 v5, 31, v4
	global_store_b64 v[2:3], v[4:5], off
.LBB85_268:
	s_and_not1_b32 vcc_lo, exec_lo, s41
	s_cbranch_vccnz .LBB85_270
; %bb.269:
	s_wait_xcnt 0x0
	v_cvt_f32_f16_e32 v4, v1
	s_delay_alu instid0(VALU_DEP_1)
	v_cvt_i32_f32_e32 v4, v4
	global_store_b32 v[2:3], v4, off
.LBB85_270:
	s_mov_b32 s41, 0
.LBB85_271:
	s_delay_alu instid0(SALU_CYCLE_1)
	s_and_not1_b32 vcc_lo, exec_lo, s41
	s_cbranch_vccnz .LBB85_273
; %bb.272:
	s_wait_xcnt 0x0
	v_cvt_i16_f16_e32 v4, v1
	global_store_b16 v[2:3], v4, off
.LBB85_273:
	s_mov_b32 s41, 0
.LBB85_274:
	s_delay_alu instid0(SALU_CYCLE_1)
	s_and_not1_b32 vcc_lo, exec_lo, s41
	s_cbranch_vccnz .LBB85_279
; %bb.275:
	s_cmp_gt_i32 s40, 0
	s_mov_b32 s40, -1
	s_cbranch_scc0 .LBB85_277
; %bb.276:
	s_wait_xcnt 0x0
	v_cvt_i16_f16_e32 v4, v1
	s_mov_b32 s40, 0
	global_store_b8 v[2:3], v4, off
.LBB85_277:
	s_and_not1_b32 vcc_lo, exec_lo, s40
	s_cbranch_vccnz .LBB85_279
; %bb.278:
	s_wait_xcnt 0x0
	v_cvt_f32_f16_e32 v1, v1
	s_delay_alu instid0(VALU_DEP_1)
	v_cvt_i32_f32_e32 v1, v1
	global_store_b8 v[2:3], v1, off
.LBB85_279:
	s_mov_b32 s42, -1
.LBB85_280:
	s_delay_alu instid0(SALU_CYCLE_1)
	s_and_not1_b32 vcc_lo, exec_lo, s42
	s_cbranch_vccnz .LBB85_393
; %bb.281:
	v_add_nc_u32_e32 v0, 0x80, v0
	s_mov_b32 s44, -1
	s_branch .LBB85_394
.LBB85_282:
	s_mov_b32 s27, -1
                                        ; implicit-def: $vgpr3
.LBB85_283:
	s_mov_b32 s42, 0
.LBB85_284:
	s_delay_alu instid0(SALU_CYCLE_1)
	s_and_b32 vcc_lo, exec_lo, s42
	s_cbranch_vccz .LBB85_288
; %bb.285:
	s_cmp_eq_u32 s40, 29
	s_cbranch_scc0 .LBB85_287
; %bb.286:
	global_load_b64 v[6:7], v[4:5], off
	s_mov_b32 s41, -1
	s_mov_b32 s27, 0
	s_mov_b32 s42, 0
	s_wait_loadcnt 0x0
	v_clz_i32_u32_e32 v3, v7
	s_delay_alu instid0(VALU_DEP_1) | instskip(NEXT) | instid1(VALU_DEP_1)
	v_min_u32_e32 v3, 32, v3
	v_lshlrev_b64_e32 v[6:7], v3, v[6:7]
	v_sub_nc_u32_e32 v3, 32, v3
	s_delay_alu instid0(VALU_DEP_2) | instskip(NEXT) | instid1(VALU_DEP_1)
	v_min_u32_e32 v6, 1, v6
	v_or_b32_e32 v6, v7, v6
	s_delay_alu instid0(VALU_DEP_1) | instskip(NEXT) | instid1(VALU_DEP_1)
	v_cvt_f32_u32_e32 v6, v6
	v_ldexp_f32 v3, v6, v3
	s_delay_alu instid0(VALU_DEP_1)
	v_cvt_f16_f32_e32 v3, v3
	s_branch .LBB85_289
.LBB85_287:
	s_mov_b32 s27, -1
                                        ; implicit-def: $vgpr3
.LBB85_288:
	s_mov_b32 s42, 0
.LBB85_289:
	s_delay_alu instid0(SALU_CYCLE_1)
	s_and_b32 vcc_lo, exec_lo, s42
	s_cbranch_vccz .LBB85_307
; %bb.290:
	s_cmp_lt_i32 s40, 27
	s_cbranch_scc1 .LBB85_293
; %bb.291:
	s_cmp_gt_i32 s40, 27
	s_cbranch_scc0 .LBB85_294
; %bb.292:
	global_load_b32 v3, v[4:5], off
	s_mov_b32 s41, 0
	s_wait_loadcnt 0x0
	v_cvt_f32_u32_e32 v3, v3
	s_delay_alu instid0(VALU_DEP_1)
	v_cvt_f16_f32_e32 v3, v3
	s_branch .LBB85_295
.LBB85_293:
	s_mov_b32 s41, -1
                                        ; implicit-def: $vgpr3
	s_branch .LBB85_298
.LBB85_294:
	s_mov_b32 s41, -1
                                        ; implicit-def: $vgpr3
.LBB85_295:
	s_delay_alu instid0(SALU_CYCLE_1)
	s_and_not1_b32 vcc_lo, exec_lo, s41
	s_cbranch_vccnz .LBB85_297
; %bb.296:
	global_load_u16 v3, v[4:5], off
	s_wait_loadcnt 0x0
	v_cvt_f16_u16_e32 v3, v3
.LBB85_297:
	s_mov_b32 s41, 0
.LBB85_298:
	s_delay_alu instid0(SALU_CYCLE_1)
	s_and_not1_b32 vcc_lo, exec_lo, s41
	s_cbranch_vccnz .LBB85_306
; %bb.299:
	global_load_u8 v6, v[4:5], off
	s_mov_b32 s41, 0
	s_mov_b32 s42, exec_lo
	s_wait_loadcnt 0x0
	v_cmpx_lt_i16_e32 0x7f, v6
	s_xor_b32 s42, exec_lo, s42
	s_cbranch_execz .LBB85_320
; %bb.300:
	s_mov_b32 s41, -1
	s_mov_b32 s44, exec_lo
	v_cmpx_eq_u16_e32 0x80, v6
; %bb.301:
	s_xor_b32 s41, exec_lo, -1
; %bb.302:
	s_or_b32 exec_lo, exec_lo, s44
	s_delay_alu instid0(SALU_CYCLE_1)
	s_and_b32 s41, s41, exec_lo
	s_or_saveexec_b32 s42, s42
	v_mov_b32_e32 v3, 0x7e00
	s_xor_b32 exec_lo, exec_lo, s42
	s_cbranch_execnz .LBB85_321
.LBB85_303:
	s_or_b32 exec_lo, exec_lo, s42
	s_and_saveexec_b32 s42, s41
	s_cbranch_execz .LBB85_305
.LBB85_304:
	v_and_b32_e32 v3, 0xffff, v6
	s_delay_alu instid0(VALU_DEP_1) | instskip(SKIP_1) | instid1(VALU_DEP_2)
	v_and_b32_e32 v7, 7, v3
	v_bfe_u32 v10, v3, 3, 4
	v_clz_i32_u32_e32 v8, v7
	s_delay_alu instid0(VALU_DEP_2) | instskip(NEXT) | instid1(VALU_DEP_2)
	v_cmp_eq_u32_e32 vcc_lo, 0, v10
	v_min_u32_e32 v8, 32, v8
	s_delay_alu instid0(VALU_DEP_1) | instskip(NEXT) | instid1(VALU_DEP_1)
	v_subrev_nc_u32_e32 v9, 28, v8
	v_dual_lshlrev_b32 v3, v9, v3 :: v_dual_sub_nc_u32 v8, 29, v8
	s_delay_alu instid0(VALU_DEP_1) | instskip(NEXT) | instid1(VALU_DEP_1)
	v_dual_lshlrev_b32 v6, 24, v6 :: v_dual_bitop2_b32 v3, 7, v3 bitop3:0x40
	v_dual_cndmask_b32 v8, v10, v8 :: v_dual_cndmask_b32 v3, v7, v3
	s_delay_alu instid0(VALU_DEP_2) | instskip(NEXT) | instid1(VALU_DEP_2)
	v_and_b32_e32 v6, 0x80000000, v6
	v_lshl_add_u32 v7, v8, 23, 0x3b800000
	s_delay_alu instid0(VALU_DEP_3) | instskip(NEXT) | instid1(VALU_DEP_1)
	v_lshlrev_b32_e32 v3, 20, v3
	v_or3_b32 v3, v6, v7, v3
	s_delay_alu instid0(VALU_DEP_1)
	v_cvt_f16_f32_e32 v3, v3
.LBB85_305:
	s_or_b32 exec_lo, exec_lo, s42
.LBB85_306:
	s_mov_b32 s41, -1
.LBB85_307:
	s_mov_b32 s42, 0
.LBB85_308:
	s_delay_alu instid0(SALU_CYCLE_1)
	s_and_b32 vcc_lo, exec_lo, s42
	s_cbranch_vccz .LBB85_343
; %bb.309:
	s_cmp_gt_i32 s40, 22
	s_cbranch_scc0 .LBB85_319
; %bb.310:
	s_cmp_lt_i32 s40, 24
	s_cbranch_scc1 .LBB85_322
; %bb.311:
	s_cmp_gt_i32 s40, 24
	s_cbranch_scc0 .LBB85_323
; %bb.312:
	global_load_u8 v6, v[4:5], off
	s_mov_b32 s41, 0
	s_mov_b32 s42, exec_lo
	s_wait_loadcnt 0x0
	v_cmpx_lt_i16_e32 0x7f, v6
	s_xor_b32 s42, exec_lo, s42
	s_cbranch_execz .LBB85_335
; %bb.313:
	s_mov_b32 s41, -1
	s_mov_b32 s44, exec_lo
	v_cmpx_eq_u16_e32 0x80, v6
; %bb.314:
	s_xor_b32 s41, exec_lo, -1
; %bb.315:
	s_or_b32 exec_lo, exec_lo, s44
	s_delay_alu instid0(SALU_CYCLE_1)
	s_and_b32 s41, s41, exec_lo
	s_or_saveexec_b32 s42, s42
	v_mov_b32_e32 v3, 0x7e00
	s_xor_b32 exec_lo, exec_lo, s42
	s_cbranch_execnz .LBB85_336
.LBB85_316:
	s_or_b32 exec_lo, exec_lo, s42
	s_and_saveexec_b32 s42, s41
	s_cbranch_execz .LBB85_318
.LBB85_317:
	v_and_b32_e32 v3, 0xffff, v6
	s_delay_alu instid0(VALU_DEP_1) | instskip(SKIP_1) | instid1(VALU_DEP_2)
	v_and_b32_e32 v7, 3, v3
	v_bfe_u32 v10, v3, 2, 5
	v_clz_i32_u32_e32 v8, v7
	s_delay_alu instid0(VALU_DEP_2) | instskip(NEXT) | instid1(VALU_DEP_2)
	v_cmp_eq_u32_e32 vcc_lo, 0, v10
	v_min_u32_e32 v8, 32, v8
	s_delay_alu instid0(VALU_DEP_1) | instskip(NEXT) | instid1(VALU_DEP_1)
	v_subrev_nc_u32_e32 v9, 29, v8
	v_dual_lshlrev_b32 v3, v9, v3 :: v_dual_sub_nc_u32 v8, 30, v8
	s_delay_alu instid0(VALU_DEP_1) | instskip(NEXT) | instid1(VALU_DEP_1)
	v_dual_lshlrev_b32 v6, 24, v6 :: v_dual_bitop2_b32 v3, 3, v3 bitop3:0x40
	v_dual_cndmask_b32 v8, v10, v8 :: v_dual_cndmask_b32 v3, v7, v3
	s_delay_alu instid0(VALU_DEP_2) | instskip(NEXT) | instid1(VALU_DEP_2)
	v_and_b32_e32 v6, 0x80000000, v6
	v_lshl_add_u32 v7, v8, 23, 0x37800000
	s_delay_alu instid0(VALU_DEP_3) | instskip(NEXT) | instid1(VALU_DEP_1)
	v_lshlrev_b32_e32 v3, 21, v3
	v_or3_b32 v3, v6, v7, v3
	s_delay_alu instid0(VALU_DEP_1)
	v_cvt_f16_f32_e32 v3, v3
.LBB85_318:
	s_or_b32 exec_lo, exec_lo, s42
	s_mov_b32 s41, 0
	s_branch .LBB85_324
.LBB85_319:
	s_mov_b32 s42, -1
                                        ; implicit-def: $vgpr3
	s_branch .LBB85_330
.LBB85_320:
	s_or_saveexec_b32 s42, s42
	v_mov_b32_e32 v3, 0x7e00
	s_xor_b32 exec_lo, exec_lo, s42
	s_cbranch_execz .LBB85_303
.LBB85_321:
	v_cmp_ne_u16_e32 vcc_lo, 0, v6
	v_mov_b32_e32 v3, v6
	s_and_not1_b32 s41, s41, exec_lo
	s_and_b32 s44, vcc_lo, exec_lo
	s_delay_alu instid0(SALU_CYCLE_1)
	s_or_b32 s41, s41, s44
	s_or_b32 exec_lo, exec_lo, s42
	s_and_saveexec_b32 s42, s41
	s_cbranch_execnz .LBB85_304
	s_branch .LBB85_305
.LBB85_322:
	s_mov_b32 s41, -1
                                        ; implicit-def: $vgpr3
	s_branch .LBB85_327
.LBB85_323:
	s_mov_b32 s41, -1
                                        ; implicit-def: $vgpr3
.LBB85_324:
	s_delay_alu instid0(SALU_CYCLE_1)
	s_and_b32 vcc_lo, exec_lo, s41
	s_cbranch_vccz .LBB85_326
; %bb.325:
	global_load_u8 v3, v[4:5], off
	s_wait_loadcnt 0x0
	v_lshlrev_b32_e32 v3, 24, v3
	s_delay_alu instid0(VALU_DEP_1) | instskip(NEXT) | instid1(VALU_DEP_1)
	v_and_b32_e32 v6, 0x7f000000, v3
	v_clz_i32_u32_e32 v7, v6
	v_cmp_ne_u32_e32 vcc_lo, 0, v6
	v_add_nc_u32_e32 v9, 0x1000000, v6
	s_delay_alu instid0(VALU_DEP_3) | instskip(NEXT) | instid1(VALU_DEP_1)
	v_min_u32_e32 v7, 32, v7
	v_sub_nc_u32_e64 v7, v7, 4 clamp
	s_delay_alu instid0(VALU_DEP_1) | instskip(NEXT) | instid1(VALU_DEP_1)
	v_dual_lshlrev_b32 v8, v7, v6 :: v_dual_lshlrev_b32 v7, 23, v7
	v_lshrrev_b32_e32 v8, 4, v8
	s_delay_alu instid0(VALU_DEP_1) | instskip(NEXT) | instid1(VALU_DEP_1)
	v_dual_sub_nc_u32 v7, v8, v7 :: v_dual_ashrrev_i32 v8, 8, v9
	v_add_nc_u32_e32 v7, 0x3c000000, v7
	s_delay_alu instid0(VALU_DEP_1) | instskip(NEXT) | instid1(VALU_DEP_1)
	v_and_or_b32 v7, 0x7f800000, v8, v7
	v_cndmask_b32_e32 v6, 0, v7, vcc_lo
	s_delay_alu instid0(VALU_DEP_1) | instskip(NEXT) | instid1(VALU_DEP_1)
	v_and_or_b32 v3, 0x80000000, v3, v6
	v_cvt_f16_f32_e32 v3, v3
.LBB85_326:
	s_mov_b32 s41, 0
.LBB85_327:
	s_delay_alu instid0(SALU_CYCLE_1)
	s_and_not1_b32 vcc_lo, exec_lo, s41
	s_cbranch_vccnz .LBB85_329
; %bb.328:
	global_load_u8 v3, v[4:5], off
	s_wait_loadcnt 0x0
	v_lshlrev_b32_e32 v6, 25, v3
	v_lshlrev_b16 v3, 8, v3
	s_delay_alu instid0(VALU_DEP_1) | instskip(SKIP_1) | instid1(VALU_DEP_2)
	v_and_or_b32 v8, 0x7f00, v3, 0.5
	v_bfe_i32 v3, v3, 0, 16
	v_dual_add_f32 v8, -0.5, v8 :: v_dual_lshrrev_b32 v7, 4, v6
	v_cmp_gt_u32_e32 vcc_lo, 0x8000000, v6
	s_delay_alu instid0(VALU_DEP_2) | instskip(NEXT) | instid1(VALU_DEP_1)
	v_or_b32_e32 v7, 0x70000000, v7
	v_mul_f32_e32 v7, 0x7800000, v7
	s_delay_alu instid0(VALU_DEP_1) | instskip(NEXT) | instid1(VALU_DEP_1)
	v_cndmask_b32_e32 v6, v7, v8, vcc_lo
	v_and_or_b32 v3, 0x80000000, v3, v6
	s_delay_alu instid0(VALU_DEP_1)
	v_cvt_f16_f32_e32 v3, v3
.LBB85_329:
	s_mov_b32 s42, 0
	s_mov_b32 s41, -1
.LBB85_330:
	s_and_not1_b32 vcc_lo, exec_lo, s42
	s_cbranch_vccnz .LBB85_343
; %bb.331:
	s_cmp_gt_i32 s40, 14
	s_cbranch_scc0 .LBB85_334
; %bb.332:
	s_cmp_eq_u32 s40, 15
	s_cbranch_scc0 .LBB85_337
; %bb.333:
	global_load_u16 v3, v[4:5], off
	s_mov_b32 s41, -1
	s_mov_b32 s27, 0
	s_wait_loadcnt 0x0
	v_lshlrev_b32_e32 v3, 16, v3
	s_delay_alu instid0(VALU_DEP_1)
	v_cvt_f16_f32_e32 v3, v3
	s_branch .LBB85_338
.LBB85_334:
	s_mov_b32 s42, -1
                                        ; implicit-def: $vgpr3
	s_branch .LBB85_339
.LBB85_335:
	s_or_saveexec_b32 s42, s42
	v_mov_b32_e32 v3, 0x7e00
	s_xor_b32 exec_lo, exec_lo, s42
	s_cbranch_execz .LBB85_316
.LBB85_336:
	v_cmp_ne_u16_e32 vcc_lo, 0, v6
	v_mov_b32_e32 v3, v6
	s_and_not1_b32 s41, s41, exec_lo
	s_and_b32 s44, vcc_lo, exec_lo
	s_delay_alu instid0(SALU_CYCLE_1)
	s_or_b32 s41, s41, s44
	s_or_b32 exec_lo, exec_lo, s42
	s_and_saveexec_b32 s42, s41
	s_cbranch_execnz .LBB85_317
	s_branch .LBB85_318
.LBB85_337:
	s_mov_b32 s27, -1
                                        ; implicit-def: $vgpr3
.LBB85_338:
	s_mov_b32 s42, 0
.LBB85_339:
	s_delay_alu instid0(SALU_CYCLE_1)
	s_and_b32 vcc_lo, exec_lo, s42
	s_cbranch_vccz .LBB85_343
; %bb.340:
	s_cmp_eq_u32 s40, 11
	s_cbranch_scc0 .LBB85_342
; %bb.341:
	global_load_u8 v3, v[4:5], off
	s_mov_b32 s27, 0
	s_mov_b32 s41, -1
	s_wait_loadcnt 0x0
	v_cmp_ne_u16_e32 vcc_lo, 0, v3
	v_cndmask_b32_e64 v3, 0, 0x3c00, vcc_lo
	s_branch .LBB85_343
.LBB85_342:
	s_mov_b32 s27, -1
                                        ; implicit-def: $vgpr3
.LBB85_343:
	s_branch .LBB85_31
.LBB85_344:
	s_and_b32 s0, 0xffff, s0
	s_delay_alu instid0(SALU_CYCLE_1)
	s_cmp_lt_i32 s0, 5
	s_cbranch_scc1 .LBB85_349
; %bb.345:
	s_cmp_lt_i32 s0, 8
	s_cbranch_scc1 .LBB85_350
; %bb.346:
	;; [unrolled: 3-line block ×3, first 2 shown]
	s_cmp_gt_i32 s0, 9
	s_cbranch_scc0 .LBB85_352
; %bb.348:
	global_load_b64 v[6:7], v[4:5], off
	s_mov_b32 s40, 0
	s_wait_loadcnt 0x0
	v_and_or_b32 v3, 0x1ff, v7, v6
	v_lshrrev_b32_e32 v6, 8, v7
	v_bfe_u32 v8, v7, 20, 11
	s_delay_alu instid0(VALU_DEP_3) | instskip(NEXT) | instid1(VALU_DEP_2)
	v_cmp_ne_u32_e32 vcc_lo, 0, v3
	v_sub_nc_u32_e32 v9, 0x3f1, v8
	v_add_nc_u32_e32 v8, 0xfffffc10, v8
	v_cndmask_b32_e64 v3, 0, 1, vcc_lo
	s_delay_alu instid0(VALU_DEP_1) | instskip(NEXT) | instid1(VALU_DEP_4)
	v_and_or_b32 v3, 0xffe, v6, v3
	v_med3_i32 v6, v9, 0, 13
	s_delay_alu instid0(VALU_DEP_2) | instskip(NEXT) | instid1(VALU_DEP_1)
	v_or_b32_e32 v9, 0x1000, v3
	v_lshrrev_b32_e32 v10, v6, v9
	s_delay_alu instid0(VALU_DEP_1) | instskip(NEXT) | instid1(VALU_DEP_1)
	v_lshlrev_b32_e32 v6, v6, v10
	v_cmp_ne_u32_e32 vcc_lo, v6, v9
	v_lshl_or_b32 v9, v8, 12, v3
	v_cndmask_b32_e64 v6, 0, 1, vcc_lo
	v_cmp_gt_i32_e32 vcc_lo, 1, v8
	s_delay_alu instid0(VALU_DEP_2) | instskip(NEXT) | instid1(VALU_DEP_1)
	v_or_b32_e32 v6, v10, v6
	v_cndmask_b32_e32 v6, v9, v6, vcc_lo
	s_delay_alu instid0(VALU_DEP_1) | instskip(NEXT) | instid1(VALU_DEP_1)
	v_dual_lshrrev_b32 v6, 2, v6 :: v_dual_bitop2_b32 v9, 7, v6 bitop3:0x40
	v_cmp_lt_i32_e32 vcc_lo, 5, v9
	v_cndmask_b32_e64 v10, 0, 1, vcc_lo
	v_cmp_eq_u32_e32 vcc_lo, 3, v9
	v_cndmask_b32_e64 v9, 0, 1, vcc_lo
	v_cmp_ne_u32_e32 vcc_lo, 0, v3
	s_delay_alu instid0(VALU_DEP_2) | instskip(SKIP_1) | instid1(VALU_DEP_1)
	v_or_b32_e32 v9, v9, v10
	v_mov_b32_e32 v10, 0x7e00
	v_dual_cndmask_b32 v3, 0x7c00, v10 :: v_dual_add_nc_u32 v6, v6, v9
	v_cmp_gt_i32_e32 vcc_lo, 31, v8
	s_delay_alu instid0(VALU_DEP_2) | instskip(SKIP_1) | instid1(VALU_DEP_2)
	v_cndmask_b32_e32 v6, 0x7c00, v6, vcc_lo
	v_cmp_eq_u32_e32 vcc_lo, 0x40f, v8
	v_cndmask_b32_e32 v3, v6, v3, vcc_lo
	v_lshrrev_b32_e32 v6, 16, v7
	s_delay_alu instid0(VALU_DEP_1)
	v_and_or_b32 v3, 0x8000, v6, v3
	s_branch .LBB85_353
.LBB85_349:
	s_mov_b32 s40, -1
                                        ; implicit-def: $vgpr3
	s_branch .LBB85_371
.LBB85_350:
	s_mov_b32 s40, -1
                                        ; implicit-def: $vgpr3
	s_branch .LBB85_359
.LBB85_351:
	s_mov_b32 s40, -1
                                        ; implicit-def: $vgpr3
	s_branch .LBB85_356
.LBB85_352:
	s_mov_b32 s40, -1
                                        ; implicit-def: $vgpr3
.LBB85_353:
	s_delay_alu instid0(SALU_CYCLE_1)
	s_and_not1_b32 vcc_lo, exec_lo, s40
	s_cbranch_vccnz .LBB85_355
; %bb.354:
	global_load_b32 v3, v[4:5], off
	s_wait_loadcnt 0x0
	v_cvt_f16_f32_e32 v3, v3
.LBB85_355:
	s_mov_b32 s40, 0
.LBB85_356:
	s_delay_alu instid0(SALU_CYCLE_1)
	s_and_not1_b32 vcc_lo, exec_lo, s40
	s_cbranch_vccnz .LBB85_358
; %bb.357:
	global_load_b32 v3, v[4:5], off
.LBB85_358:
	s_mov_b32 s40, 0
.LBB85_359:
	s_delay_alu instid0(SALU_CYCLE_1)
	s_and_not1_b32 vcc_lo, exec_lo, s40
	s_cbranch_vccnz .LBB85_370
; %bb.360:
	s_cmp_lt_i32 s0, 6
	s_cbranch_scc1 .LBB85_363
; %bb.361:
	s_cmp_gt_i32 s0, 6
	s_cbranch_scc0 .LBB85_364
; %bb.362:
	global_load_b64 v[6:7], v[4:5], off
	s_mov_b32 s40, 0
	s_wait_loadcnt 0x0
	v_and_or_b32 v3, 0x1ff, v7, v6
	v_lshrrev_b32_e32 v6, 8, v7
	v_bfe_u32 v8, v7, 20, 11
	s_delay_alu instid0(VALU_DEP_3) | instskip(NEXT) | instid1(VALU_DEP_2)
	v_cmp_ne_u32_e32 vcc_lo, 0, v3
	v_sub_nc_u32_e32 v9, 0x3f1, v8
	v_add_nc_u32_e32 v8, 0xfffffc10, v8
	v_cndmask_b32_e64 v3, 0, 1, vcc_lo
	s_delay_alu instid0(VALU_DEP_1) | instskip(NEXT) | instid1(VALU_DEP_4)
	v_and_or_b32 v3, 0xffe, v6, v3
	v_med3_i32 v6, v9, 0, 13
	s_delay_alu instid0(VALU_DEP_2) | instskip(NEXT) | instid1(VALU_DEP_1)
	v_or_b32_e32 v9, 0x1000, v3
	v_lshrrev_b32_e32 v10, v6, v9
	s_delay_alu instid0(VALU_DEP_1) | instskip(NEXT) | instid1(VALU_DEP_1)
	v_lshlrev_b32_e32 v6, v6, v10
	v_cmp_ne_u32_e32 vcc_lo, v6, v9
	v_lshl_or_b32 v9, v8, 12, v3
	v_cndmask_b32_e64 v6, 0, 1, vcc_lo
	v_cmp_gt_i32_e32 vcc_lo, 1, v8
	s_delay_alu instid0(VALU_DEP_2) | instskip(NEXT) | instid1(VALU_DEP_1)
	v_or_b32_e32 v6, v10, v6
	v_cndmask_b32_e32 v6, v9, v6, vcc_lo
	s_delay_alu instid0(VALU_DEP_1) | instskip(NEXT) | instid1(VALU_DEP_1)
	v_dual_lshrrev_b32 v6, 2, v6 :: v_dual_bitop2_b32 v9, 7, v6 bitop3:0x40
	v_cmp_lt_i32_e32 vcc_lo, 5, v9
	v_cndmask_b32_e64 v10, 0, 1, vcc_lo
	v_cmp_eq_u32_e32 vcc_lo, 3, v9
	v_cndmask_b32_e64 v9, 0, 1, vcc_lo
	v_cmp_ne_u32_e32 vcc_lo, 0, v3
	s_delay_alu instid0(VALU_DEP_2) | instskip(SKIP_1) | instid1(VALU_DEP_1)
	v_or_b32_e32 v9, v9, v10
	v_mov_b32_e32 v10, 0x7e00
	v_dual_cndmask_b32 v3, 0x7c00, v10 :: v_dual_add_nc_u32 v6, v6, v9
	v_cmp_gt_i32_e32 vcc_lo, 31, v8
	s_delay_alu instid0(VALU_DEP_2) | instskip(SKIP_1) | instid1(VALU_DEP_2)
	v_cndmask_b32_e32 v6, 0x7c00, v6, vcc_lo
	v_cmp_eq_u32_e32 vcc_lo, 0x40f, v8
	v_cndmask_b32_e32 v3, v6, v3, vcc_lo
	v_lshrrev_b32_e32 v6, 16, v7
	s_delay_alu instid0(VALU_DEP_1)
	v_and_or_b32 v3, 0x8000, v6, v3
	s_branch .LBB85_365
.LBB85_363:
	s_mov_b32 s40, -1
                                        ; implicit-def: $vgpr3
	s_branch .LBB85_368
.LBB85_364:
	s_mov_b32 s40, -1
                                        ; implicit-def: $vgpr3
.LBB85_365:
	s_delay_alu instid0(SALU_CYCLE_1)
	s_and_not1_b32 vcc_lo, exec_lo, s40
	s_cbranch_vccnz .LBB85_367
; %bb.366:
	s_wait_loadcnt 0x0
	global_load_b32 v3, v[4:5], off
	s_wait_loadcnt 0x0
	v_cvt_f16_f32_e32 v3, v3
.LBB85_367:
	s_mov_b32 s40, 0
.LBB85_368:
	s_delay_alu instid0(SALU_CYCLE_1)
	s_and_not1_b32 vcc_lo, exec_lo, s40
	s_cbranch_vccnz .LBB85_370
; %bb.369:
	s_wait_loadcnt 0x0
	global_load_u16 v3, v[4:5], off
.LBB85_370:
	s_mov_b32 s40, 0
.LBB85_371:
	s_delay_alu instid0(SALU_CYCLE_1)
	s_and_not1_b32 vcc_lo, exec_lo, s40
	s_cbranch_vccnz .LBB85_391
; %bb.372:
	s_cmp_lt_i32 s0, 2
	s_cbranch_scc1 .LBB85_376
; %bb.373:
	s_cmp_lt_i32 s0, 3
	s_cbranch_scc1 .LBB85_377
; %bb.374:
	s_cmp_gt_i32 s0, 3
	s_cbranch_scc0 .LBB85_378
; %bb.375:
	global_load_b64 v[6:7], v[4:5], off
	s_mov_b32 s40, 0
	s_wait_loadcnt 0x0
	v_xor_b32_e32 v3, v6, v7
	v_cls_i32_e32 v8, v7
	s_delay_alu instid0(VALU_DEP_2) | instskip(NEXT) | instid1(VALU_DEP_1)
	v_ashrrev_i32_e32 v3, 31, v3
	v_add_nc_u32_e32 v3, 32, v3
	s_delay_alu instid0(VALU_DEP_1) | instskip(NEXT) | instid1(VALU_DEP_1)
	v_add_min_u32_e64 v3, v8, -1, v3
	v_lshlrev_b64_e32 v[6:7], v3, v[6:7]
	v_sub_nc_u32_e32 v3, 32, v3
	s_delay_alu instid0(VALU_DEP_2) | instskip(NEXT) | instid1(VALU_DEP_1)
	v_min_u32_e32 v6, 1, v6
	v_or_b32_e32 v6, v7, v6
	s_delay_alu instid0(VALU_DEP_1) | instskip(NEXT) | instid1(VALU_DEP_1)
	v_cvt_f32_i32_e32 v6, v6
	v_ldexp_f32 v3, v6, v3
	s_delay_alu instid0(VALU_DEP_1)
	v_cvt_f16_f32_e32 v3, v3
	s_branch .LBB85_379
.LBB85_376:
	s_mov_b32 s40, -1
                                        ; implicit-def: $vgpr3
	s_branch .LBB85_385
.LBB85_377:
	s_mov_b32 s40, -1
                                        ; implicit-def: $vgpr3
	s_branch .LBB85_382
.LBB85_378:
	s_mov_b32 s40, -1
                                        ; implicit-def: $vgpr3
.LBB85_379:
	s_delay_alu instid0(SALU_CYCLE_1)
	s_and_not1_b32 vcc_lo, exec_lo, s40
	s_cbranch_vccnz .LBB85_381
; %bb.380:
	s_wait_loadcnt 0x0
	global_load_b32 v3, v[4:5], off
	s_wait_loadcnt 0x0
	v_cvt_f32_i32_e32 v3, v3
	s_delay_alu instid0(VALU_DEP_1)
	v_cvt_f16_f32_e32 v3, v3
.LBB85_381:
	s_mov_b32 s40, 0
.LBB85_382:
	s_delay_alu instid0(SALU_CYCLE_1)
	s_and_not1_b32 vcc_lo, exec_lo, s40
	s_cbranch_vccnz .LBB85_384
; %bb.383:
	s_wait_loadcnt 0x0
	global_load_u16 v3, v[4:5], off
	s_wait_loadcnt 0x0
	v_cvt_f16_i16_e32 v3, v3
.LBB85_384:
	s_mov_b32 s40, 0
.LBB85_385:
	s_delay_alu instid0(SALU_CYCLE_1)
	s_and_not1_b32 vcc_lo, exec_lo, s40
	s_cbranch_vccnz .LBB85_391
; %bb.386:
	s_cmp_gt_i32 s0, 0
	s_mov_b32 s0, 0
	s_cbranch_scc0 .LBB85_388
; %bb.387:
	s_wait_loadcnt 0x0
	global_load_i8 v3, v[4:5], off
	s_wait_loadcnt 0x0
	v_cvt_f16_i16_e32 v3, v3
	s_branch .LBB85_389
.LBB85_388:
	s_mov_b32 s0, -1
                                        ; implicit-def: $vgpr3
.LBB85_389:
	s_delay_alu instid0(SALU_CYCLE_1)
	s_and_not1_b32 vcc_lo, exec_lo, s0
	s_cbranch_vccnz .LBB85_391
; %bb.390:
	s_wait_loadcnt 0x0
	global_load_u8 v3, v[4:5], off
	s_wait_loadcnt 0x0
	v_cvt_f16_u16_e32 v3, v3
.LBB85_391:
	s_branch .LBB85_32
.LBB85_392:
	s_mov_b32 s0, 0
.LBB85_393:
	s_mov_b32 s44, 0
                                        ; implicit-def: $vgpr0
.LBB85_394:
	s_and_b32 s40, s0, exec_lo
	s_and_b32 s41, s27, exec_lo
	;; [unrolled: 1-line block ×3, first 2 shown]
	s_or_not1_b32 s27, s44, exec_lo
.LBB85_395:
	s_wait_xcnt 0x0
	s_or_b32 exec_lo, exec_lo, s43
	s_mov_b32 s45, 0
	s_mov_b32 s26, 0
                                        ; implicit-def: $sgpr0
                                        ; implicit-def: $vgpr6_vgpr7
                                        ; implicit-def: $vgpr4
                                        ; implicit-def: $vgpr2
                                        ; implicit-def: $vgpr8
	s_and_saveexec_b32 s43, s27
	s_cbranch_execz .LBB85_403
; %bb.396:
	s_mov_b32 s49, -1
	s_mov_b32 s44, s42
	s_mov_b32 s46, s41
	;; [unrolled: 1-line block ×3, first 2 shown]
	s_mov_b32 s47, exec_lo
	v_cmpx_gt_i32_e64 s38, v0
	s_cbranch_execz .LBB85_801
; %bb.397:
	s_and_not1_b32 vcc_lo, exec_lo, s31
	s_cbranch_vccnz .LBB85_406
; %bb.398:
	s_and_not1_b32 vcc_lo, exec_lo, s39
	s_cbranch_vccnz .LBB85_407
; %bb.399:
	s_wait_loadcnt 0x0
	v_dual_mov_b32 v2, 0 :: v_dual_mov_b32 v1, v0
	v_dual_mov_b32 v6, 0 :: v_dual_mov_b32 v4, 0
	s_add_co_i32 s0, s37, 1
	s_mov_b64 s[26:27], 0xffffffffffffffe8
	s_and_b32 s0, s0, 30
	s_add_nc_u64 s[26:27], s[2:3], s[26:27]
.LBB85_400:                             ; =>This Inner Loop Header: Depth=1
	s_clause 0x1
	s_load_b128 s[48:51], s[26:27], 0x1c
	s_load_b64 s[44:45], s[26:27], 0x2c
	s_add_co_i32 s0, s0, -2
	s_delay_alu instid0(SALU_CYCLE_1) | instskip(SKIP_2) | instid1(VALU_DEP_1)
	s_cmp_eq_u32 s0, 0
	s_wait_kmcnt 0x0
	v_mul_hi_u32 v3, s49, v1
	v_add_nc_u32_e32 v3, v1, v3
	s_delay_alu instid0(VALU_DEP_1) | instskip(NEXT) | instid1(VALU_DEP_1)
	v_lshrrev_b32_e32 v3, s50, v3
	v_mul_hi_u32 v5, s44, v3
	v_mul_lo_u32 v7, v3, s48
	s_clause 0x1
	s_load_b128 s[52:55], s[26:27], 0xdc
	s_load_b64 s[48:49], s[26:27], 0xec
	s_wait_xcnt 0x0
	s_add_nc_u64 s[26:27], s[26:27], 24
	s_delay_alu instid0(VALU_DEP_1) | instskip(NEXT) | instid1(VALU_DEP_1)
	v_dual_add_nc_u32 v5, v3, v5 :: v_dual_sub_nc_u32 v7, v1, v7
	v_lshrrev_b32_e32 v1, s45, v5
	s_wait_kmcnt 0x0
	s_delay_alu instid0(VALU_DEP_2) | instskip(NEXT) | instid1(VALU_DEP_2)
	v_mad_u32 v2, v7, s52, v2
	v_mul_lo_u32 v5, v1, s51
	v_mad_u32 v4, v7, s54, v4
	v_mad_u32 v6, v7, s53, v6
	s_delay_alu instid0(VALU_DEP_3) | instskip(NEXT) | instid1(VALU_DEP_1)
	v_sub_nc_u32_e32 v3, v3, v5
	v_mad_u32 v2, v3, s55, v2
	s_delay_alu instid0(VALU_DEP_4) | instskip(NEXT) | instid1(VALU_DEP_4)
	v_mad_u32 v4, v3, s49, v4
	v_mad_u32 v6, v3, s48, v6
	s_cbranch_scc0 .LBB85_400
; %bb.401:
	s_bitcmp1_b32 s37, 0
	s_cselect_b32 s0, -1, 0
	s_delay_alu instid0(SALU_CYCLE_1)
	s_and_b32 vcc_lo, exec_lo, s0
	s_cbranch_vccnz .LBB85_408
; %bb.402:
	s_clause 0x1
	s_load_b96 s[44:46], s[26:27], 0x1c
	s_load_b96 s[48:50], s[26:27], 0xdc
	s_wait_kmcnt 0x0
	v_mul_hi_u32 v3, s45, v1
	s_delay_alu instid0(VALU_DEP_1) | instskip(NEXT) | instid1(VALU_DEP_1)
	v_add_nc_u32_e32 v3, v1, v3
	v_lshrrev_b32_e32 v3, s46, v3
	s_delay_alu instid0(VALU_DEP_1) | instskip(NEXT) | instid1(VALU_DEP_1)
	v_mul_lo_u32 v3, v3, s44
	v_sub_nc_u32_e32 v1, v1, v3
	s_delay_alu instid0(VALU_DEP_1)
	v_mad_u32 v2, v1, s48, v2
	v_mad_u32 v6, v1, s49, v6
	;; [unrolled: 1-line block ×3, first 2 shown]
	s_branch .LBB85_408
.LBB85_403:
	s_or_b32 exec_lo, exec_lo, s43
	s_mov_b32 s1, 0
	s_and_saveexec_b32 s6, s42
	s_cbranch_execnz .LBB85_1303
.LBB85_404:
	s_or_b32 exec_lo, exec_lo, s6
	s_and_saveexec_b32 s6, s21
	s_delay_alu instid0(SALU_CYCLE_1)
	s_xor_b32 s6, exec_lo, s6
	s_cbranch_execz .LBB85_1304
.LBB85_405:
	global_load_u8 v0, v[6:7], off
	s_or_b32 s26, s26, exec_lo
	s_wait_loadcnt 0x0
	v_cmp_ne_u16_e32 vcc_lo, 0, v0
	v_cndmask_b32_e64 v8, 0, 0x3c00, vcc_lo
	s_wait_xcnt 0x0
	s_or_b32 exec_lo, exec_lo, s6
	s_and_saveexec_b32 s6, s45
	s_cbranch_execz .LBB85_1350
	s_branch .LBB85_1305
.LBB85_406:
                                        ; implicit-def: $vgpr4
                                        ; implicit-def: $vgpr6
                                        ; implicit-def: $vgpr2
	s_branch .LBB85_409
.LBB85_407:
	v_dual_mov_b32 v4, 0 :: v_dual_mov_b32 v6, 0
	v_mov_b32_e32 v2, 0
.LBB85_408:
	s_cbranch_execnz .LBB85_411
.LBB85_409:
	s_wait_loadcnt 0x0
	v_mov_b32_e32 v1, 0
	s_and_not1_b32 vcc_lo, exec_lo, s36
	s_delay_alu instid0(VALU_DEP_1) | instskip(NEXT) | instid1(VALU_DEP_1)
	v_mul_u64_e32 v[2:3], s[20:21], v[0:1]
	v_add_nc_u32_e32 v2, v0, v3
	s_delay_alu instid0(VALU_DEP_1) | instskip(NEXT) | instid1(VALU_DEP_1)
	v_lshrrev_b32_e32 v8, s14, v2
	v_mul_lo_u32 v2, v8, s12
	s_delay_alu instid0(VALU_DEP_1) | instskip(NEXT) | instid1(VALU_DEP_1)
	v_sub_nc_u32_e32 v3, v0, v2
	v_mul_lo_u32 v2, v3, s16
	v_mul_lo_u32 v4, v3, s18
	;; [unrolled: 1-line block ×3, first 2 shown]
	s_cbranch_vccnz .LBB85_411
; %bb.410:
	v_mov_b32_e32 v9, v1
	s_delay_alu instid0(VALU_DEP_1) | instskip(NEXT) | instid1(VALU_DEP_1)
	v_mul_u64_e32 v[10:11], s[24:25], v[8:9]
	v_add_nc_u32_e32 v1, v8, v11
	s_delay_alu instid0(VALU_DEP_1) | instskip(NEXT) | instid1(VALU_DEP_1)
	v_lshrrev_b32_e32 v1, s1, v1
	v_mul_lo_u32 v1, v1, s15
	s_delay_alu instid0(VALU_DEP_1) | instskip(NEXT) | instid1(VALU_DEP_1)
	v_sub_nc_u32_e32 v1, v8, v1
	v_mad_u32 v2, v1, s19, v2
	v_mad_u32 v6, v1, s22, v6
	v_mad_u32 v4, v1, s23, v4
.LBB85_411:
	v_mov_b32_e32 v7, 0
	s_and_b32 s0, s35, 0xff
	s_delay_alu instid0(SALU_CYCLE_1) | instskip(NEXT) | instid1(VALU_DEP_1)
	s_cmp_lt_i32 s0, 11
	v_add_nc_u64_e32 v[6:7], s[6:7], v[6:7]
	s_cbranch_scc1 .LBB85_418
; %bb.412:
	s_and_b32 s27, 0xffff, s0
	s_delay_alu instid0(SALU_CYCLE_1)
	s_cmp_gt_i32 s27, 25
	s_cbranch_scc0 .LBB85_427
; %bb.413:
	s_cmp_gt_i32 s27, 28
	s_cbranch_scc0 .LBB85_429
; %bb.414:
	;; [unrolled: 3-line block ×4, first 2 shown]
	s_cmp_eq_u32 s27, 46
	s_mov_b32 s45, 0
	s_cbranch_scc0 .LBB85_437
; %bb.417:
	s_wait_loadcnt 0x0
	global_load_b32 v1, v[6:7], off
	s_mov_b32 s44, -1
	s_mov_b32 s26, 0
	s_wait_loadcnt 0x0
	v_lshlrev_b32_e32 v1, 16, v1
	s_delay_alu instid0(VALU_DEP_1)
	v_cvt_f16_f32_e32 v1, v1
	s_branch .LBB85_439
.LBB85_418:
	s_mov_b32 s44, 0
	s_mov_b32 s26, s42
                                        ; implicit-def: $vgpr1
	s_cbranch_execnz .LBB85_505
.LBB85_419:
	s_and_not1_b32 vcc_lo, exec_lo, s44
	s_cbranch_vccnz .LBB85_553
.LBB85_420:
	v_mov_b32_e32 v5, 0
	s_and_b32 s0, s13, 0xff
	s_delay_alu instid0(SALU_CYCLE_1) | instskip(NEXT) | instid1(VALU_DEP_1)
	s_cmp_lt_i32 s0, 11
	v_add_nc_u64_e32 v[4:5], s[8:9], v[4:5]
	s_cbranch_scc1 .LBB85_428
; %bb.421:
	s_and_b32 s44, 0xffff, s0
	s_delay_alu instid0(SALU_CYCLE_1)
	s_cmp_gt_i32 s44, 25
	s_cbranch_scc0 .LBB85_430
; %bb.422:
	s_cmp_gt_i32 s44, 28
	s_cbranch_scc0 .LBB85_432
; %bb.423:
	;; [unrolled: 3-line block ×4, first 2 shown]
	s_cmp_eq_u32 s44, 46
	s_mov_b32 s46, 0
	s_cbranch_scc0 .LBB85_556
; %bb.426:
	s_wait_loadcnt 0x0
	global_load_b32 v3, v[4:5], off
	s_mov_b32 s45, -1
	s_mov_b32 s27, 0
	s_wait_loadcnt 0x0
	v_lshlrev_b32_e32 v3, 16, v3
	s_delay_alu instid0(VALU_DEP_1)
	v_cvt_f16_f32_e32 v3, v3
	s_branch .LBB85_558
.LBB85_427:
	s_mov_b32 s45, -1
	s_mov_b32 s44, 0
	s_mov_b32 s26, s42
                                        ; implicit-def: $vgpr1
	s_branch .LBB85_469
.LBB85_428:
	s_mov_b32 s44, -1
	s_mov_b32 s45, 0
	s_mov_b32 s27, s41
                                        ; implicit-def: $vgpr3
	s_branch .LBB85_623
.LBB85_429:
	s_mov_b32 s45, -1
	s_mov_b32 s44, 0
	s_mov_b32 s26, s42
                                        ; implicit-def: $vgpr1
	s_branch .LBB85_450
.LBB85_430:
	s_mov_b32 s46, -1
	s_mov_b32 s45, 0
	s_mov_b32 s27, s41
                                        ; implicit-def: $vgpr3
	s_branch .LBB85_587
.LBB85_431:
	s_mov_b32 s45, -1
	s_mov_b32 s44, 0
	s_mov_b32 s26, s42
                                        ; implicit-def: $vgpr1
	s_branch .LBB85_445
.LBB85_432:
	s_mov_b32 s46, -1
	s_mov_b32 s45, 0
	s_mov_b32 s27, s41
                                        ; implicit-def: $vgpr3
	s_branch .LBB85_568
.LBB85_433:
	s_mov_b32 s45, -1
	s_mov_b32 s44, 0
	s_mov_b32 s26, s42
	s_branch .LBB85_438
.LBB85_434:
	s_mov_b32 s46, -1
	s_mov_b32 s45, 0
	s_mov_b32 s27, s41
                                        ; implicit-def: $vgpr3
	s_branch .LBB85_563
.LBB85_435:
	s_and_not1_saveexec_b32 s45, s45
	s_cbranch_execz .LBB85_193
.LBB85_436:
	v_add_f32_e64 v5, 0x46000000, |v4|
	s_and_not1_b32 s44, s44, exec_lo
	s_delay_alu instid0(VALU_DEP_1) | instskip(NEXT) | instid1(VALU_DEP_1)
	v_and_b32_e32 v5, 0xff, v5
	v_cmp_ne_u32_e32 vcc_lo, 0, v5
	s_and_b32 s46, vcc_lo, exec_lo
	s_delay_alu instid0(SALU_CYCLE_1)
	s_or_b32 s44, s44, s46
	s_or_b32 exec_lo, exec_lo, s45
	v_mov_b32_e32 v6, 0
	s_and_saveexec_b32 s45, s44
	s_cbranch_execnz .LBB85_194
	s_branch .LBB85_195
.LBB85_437:
	s_mov_b32 s26, -1
	s_mov_b32 s44, 0
.LBB85_438:
                                        ; implicit-def: $vgpr1
.LBB85_439:
	s_and_b32 vcc_lo, exec_lo, s45
	s_cbranch_vccz .LBB85_444
; %bb.440:
	s_cmp_eq_u32 s27, 44
	s_cbranch_scc0 .LBB85_443
; %bb.441:
	s_wait_loadcnt 0x0
	global_load_u8 v1, v[6:7], off
	s_mov_b32 s26, 0
	s_mov_b32 s44, -1
	s_wait_loadcnt 0x0
	v_lshlrev_b32_e32 v3, 23, v1
	v_cmp_ne_u32_e32 vcc_lo, 0xff, v1
	s_delay_alu instid0(VALU_DEP_2) | instskip(NEXT) | instid1(VALU_DEP_1)
	v_cvt_f16_f32_e32 v3, v3
	v_cndmask_b32_e32 v3, 0x7e00, v3, vcc_lo
	v_cmp_ne_u32_e32 vcc_lo, 0, v1
	s_delay_alu instid0(VALU_DEP_2)
	v_cndmask_b32_e32 v1, 0, v3, vcc_lo
	s_branch .LBB85_444
.LBB85_442:
	s_mov_b32 s46, -1
	s_mov_b32 s45, 0
	s_mov_b32 s27, s41
	s_branch .LBB85_557
.LBB85_443:
	s_mov_b32 s26, -1
                                        ; implicit-def: $vgpr1
.LBB85_444:
	s_mov_b32 s45, 0
.LBB85_445:
	s_delay_alu instid0(SALU_CYCLE_1)
	s_and_b32 vcc_lo, exec_lo, s45
	s_cbranch_vccz .LBB85_449
; %bb.446:
	s_cmp_eq_u32 s27, 29
	s_cbranch_scc0 .LBB85_448
; %bb.447:
	global_load_b64 v[8:9], v[6:7], off
	s_mov_b32 s44, -1
	s_mov_b32 s26, 0
	s_mov_b32 s45, 0
	s_wait_loadcnt 0x0
	v_clz_i32_u32_e32 v1, v9
	s_delay_alu instid0(VALU_DEP_1) | instskip(NEXT) | instid1(VALU_DEP_1)
	v_min_u32_e32 v1, 32, v1
	v_lshlrev_b64_e32 v[8:9], v1, v[8:9]
	v_sub_nc_u32_e32 v1, 32, v1
	s_delay_alu instid0(VALU_DEP_2) | instskip(NEXT) | instid1(VALU_DEP_1)
	v_min_u32_e32 v3, 1, v8
	v_or_b32_e32 v3, v9, v3
	s_delay_alu instid0(VALU_DEP_1) | instskip(NEXT) | instid1(VALU_DEP_1)
	v_cvt_f32_u32_e32 v3, v3
	v_ldexp_f32 v1, v3, v1
	s_delay_alu instid0(VALU_DEP_1)
	v_cvt_f16_f32_e32 v1, v1
	s_branch .LBB85_450
.LBB85_448:
	s_mov_b32 s26, -1
                                        ; implicit-def: $vgpr1
.LBB85_449:
	s_mov_b32 s45, 0
.LBB85_450:
	s_delay_alu instid0(SALU_CYCLE_1)
	s_and_b32 vcc_lo, exec_lo, s45
	s_cbranch_vccz .LBB85_468
; %bb.451:
	s_cmp_lt_i32 s27, 27
	s_cbranch_scc1 .LBB85_454
; %bb.452:
	s_cmp_gt_i32 s27, 27
	s_cbranch_scc0 .LBB85_455
; %bb.453:
	s_wait_loadcnt 0x0
	global_load_b32 v1, v[6:7], off
	s_mov_b32 s44, 0
	s_wait_loadcnt 0x0
	v_cvt_f32_u32_e32 v1, v1
	s_delay_alu instid0(VALU_DEP_1)
	v_cvt_f16_f32_e32 v1, v1
	s_branch .LBB85_456
.LBB85_454:
	s_mov_b32 s44, -1
                                        ; implicit-def: $vgpr1
	s_branch .LBB85_459
.LBB85_455:
	s_mov_b32 s44, -1
                                        ; implicit-def: $vgpr1
.LBB85_456:
	s_delay_alu instid0(SALU_CYCLE_1)
	s_and_not1_b32 vcc_lo, exec_lo, s44
	s_cbranch_vccnz .LBB85_458
; %bb.457:
	s_wait_loadcnt 0x0
	global_load_u16 v1, v[6:7], off
	s_wait_loadcnt 0x0
	v_cvt_f16_u16_e32 v1, v1
.LBB85_458:
	s_mov_b32 s44, 0
.LBB85_459:
	s_delay_alu instid0(SALU_CYCLE_1)
	s_and_not1_b32 vcc_lo, exec_lo, s44
	s_cbranch_vccnz .LBB85_467
; %bb.460:
	s_wait_loadcnt 0x0
	global_load_u8 v3, v[6:7], off
	s_mov_b32 s44, 0
	s_mov_b32 s45, exec_lo
	s_wait_loadcnt 0x0
	v_cmpx_lt_i16_e32 0x7f, v3
	s_xor_b32 s45, exec_lo, s45
	s_cbranch_execz .LBB85_481
; %bb.461:
	s_mov_b32 s44, -1
	s_mov_b32 s46, exec_lo
	v_cmpx_eq_u16_e32 0x80, v3
; %bb.462:
	s_xor_b32 s44, exec_lo, -1
; %bb.463:
	s_or_b32 exec_lo, exec_lo, s46
	s_delay_alu instid0(SALU_CYCLE_1)
	s_and_b32 s44, s44, exec_lo
	s_or_saveexec_b32 s45, s45
	v_mov_b32_e32 v1, 0x7e00
	s_xor_b32 exec_lo, exec_lo, s45
	s_cbranch_execnz .LBB85_482
.LBB85_464:
	s_or_b32 exec_lo, exec_lo, s45
	s_and_saveexec_b32 s45, s44
	s_cbranch_execz .LBB85_466
.LBB85_465:
	v_and_b32_e32 v1, 0xffff, v3
	s_delay_alu instid0(VALU_DEP_1) | instskip(SKIP_1) | instid1(VALU_DEP_2)
	v_and_b32_e32 v5, 7, v1
	v_bfe_u32 v10, v1, 3, 4
	v_clz_i32_u32_e32 v8, v5
	s_delay_alu instid0(VALU_DEP_2) | instskip(NEXT) | instid1(VALU_DEP_2)
	v_cmp_eq_u32_e32 vcc_lo, 0, v10
	v_min_u32_e32 v8, 32, v8
	s_delay_alu instid0(VALU_DEP_1) | instskip(NEXT) | instid1(VALU_DEP_1)
	v_subrev_nc_u32_e32 v9, 28, v8
	v_dual_lshlrev_b32 v1, v9, v1 :: v_dual_sub_nc_u32 v8, 29, v8
	s_delay_alu instid0(VALU_DEP_1) | instskip(NEXT) | instid1(VALU_DEP_1)
	v_dual_lshlrev_b32 v3, 24, v3 :: v_dual_bitop2_b32 v1, 7, v1 bitop3:0x40
	v_dual_cndmask_b32 v8, v10, v8 :: v_dual_cndmask_b32 v1, v5, v1
	s_delay_alu instid0(VALU_DEP_2) | instskip(NEXT) | instid1(VALU_DEP_2)
	v_and_b32_e32 v3, 0x80000000, v3
	v_lshl_add_u32 v5, v8, 23, 0x3b800000
	s_delay_alu instid0(VALU_DEP_3) | instskip(NEXT) | instid1(VALU_DEP_1)
	v_lshlrev_b32_e32 v1, 20, v1
	v_or3_b32 v1, v3, v5, v1
	s_delay_alu instid0(VALU_DEP_1)
	v_cvt_f16_f32_e32 v1, v1
.LBB85_466:
	s_or_b32 exec_lo, exec_lo, s45
.LBB85_467:
	s_mov_b32 s44, -1
.LBB85_468:
	s_mov_b32 s45, 0
.LBB85_469:
	s_delay_alu instid0(SALU_CYCLE_1)
	s_and_b32 vcc_lo, exec_lo, s45
	s_cbranch_vccz .LBB85_504
; %bb.470:
	s_cmp_gt_i32 s27, 22
	s_cbranch_scc0 .LBB85_480
; %bb.471:
	s_cmp_lt_i32 s27, 24
	s_cbranch_scc1 .LBB85_483
; %bb.472:
	s_cmp_gt_i32 s27, 24
	s_cbranch_scc0 .LBB85_484
; %bb.473:
	s_wait_loadcnt 0x0
	global_load_u8 v3, v[6:7], off
	s_mov_b32 s44, 0
	s_mov_b32 s45, exec_lo
	s_wait_loadcnt 0x0
	v_cmpx_lt_i16_e32 0x7f, v3
	s_xor_b32 s45, exec_lo, s45
	s_cbranch_execz .LBB85_496
; %bb.474:
	s_mov_b32 s44, -1
	s_mov_b32 s46, exec_lo
	v_cmpx_eq_u16_e32 0x80, v3
; %bb.475:
	s_xor_b32 s44, exec_lo, -1
; %bb.476:
	s_or_b32 exec_lo, exec_lo, s46
	s_delay_alu instid0(SALU_CYCLE_1)
	s_and_b32 s44, s44, exec_lo
	s_or_saveexec_b32 s45, s45
	v_mov_b32_e32 v1, 0x7e00
	s_xor_b32 exec_lo, exec_lo, s45
	s_cbranch_execnz .LBB85_497
.LBB85_477:
	s_or_b32 exec_lo, exec_lo, s45
	s_and_saveexec_b32 s45, s44
	s_cbranch_execz .LBB85_479
.LBB85_478:
	v_and_b32_e32 v1, 0xffff, v3
	s_delay_alu instid0(VALU_DEP_1) | instskip(SKIP_1) | instid1(VALU_DEP_2)
	v_and_b32_e32 v5, 3, v1
	v_bfe_u32 v10, v1, 2, 5
	v_clz_i32_u32_e32 v8, v5
	s_delay_alu instid0(VALU_DEP_2) | instskip(NEXT) | instid1(VALU_DEP_2)
	v_cmp_eq_u32_e32 vcc_lo, 0, v10
	v_min_u32_e32 v8, 32, v8
	s_delay_alu instid0(VALU_DEP_1) | instskip(NEXT) | instid1(VALU_DEP_1)
	v_subrev_nc_u32_e32 v9, 29, v8
	v_dual_lshlrev_b32 v1, v9, v1 :: v_dual_sub_nc_u32 v8, 30, v8
	s_delay_alu instid0(VALU_DEP_1) | instskip(NEXT) | instid1(VALU_DEP_1)
	v_dual_lshlrev_b32 v3, 24, v3 :: v_dual_bitop2_b32 v1, 3, v1 bitop3:0x40
	v_dual_cndmask_b32 v8, v10, v8 :: v_dual_cndmask_b32 v1, v5, v1
	s_delay_alu instid0(VALU_DEP_2) | instskip(NEXT) | instid1(VALU_DEP_2)
	v_and_b32_e32 v3, 0x80000000, v3
	v_lshl_add_u32 v5, v8, 23, 0x37800000
	s_delay_alu instid0(VALU_DEP_3) | instskip(NEXT) | instid1(VALU_DEP_1)
	v_lshlrev_b32_e32 v1, 21, v1
	v_or3_b32 v1, v3, v5, v1
	s_delay_alu instid0(VALU_DEP_1)
	v_cvt_f16_f32_e32 v1, v1
.LBB85_479:
	s_or_b32 exec_lo, exec_lo, s45
	s_mov_b32 s44, 0
	s_branch .LBB85_485
.LBB85_480:
	s_mov_b32 s45, -1
                                        ; implicit-def: $vgpr1
	s_branch .LBB85_491
.LBB85_481:
	s_or_saveexec_b32 s45, s45
	v_mov_b32_e32 v1, 0x7e00
	s_xor_b32 exec_lo, exec_lo, s45
	s_cbranch_execz .LBB85_464
.LBB85_482:
	v_cmp_ne_u16_e32 vcc_lo, 0, v3
	v_mov_b32_e32 v1, v3
	s_and_not1_b32 s44, s44, exec_lo
	s_and_b32 s46, vcc_lo, exec_lo
	s_delay_alu instid0(SALU_CYCLE_1)
	s_or_b32 s44, s44, s46
	s_or_b32 exec_lo, exec_lo, s45
	s_and_saveexec_b32 s45, s44
	s_cbranch_execnz .LBB85_465
	s_branch .LBB85_466
.LBB85_483:
	s_mov_b32 s44, -1
                                        ; implicit-def: $vgpr1
	s_branch .LBB85_488
.LBB85_484:
	s_mov_b32 s44, -1
                                        ; implicit-def: $vgpr1
.LBB85_485:
	s_delay_alu instid0(SALU_CYCLE_1)
	s_and_b32 vcc_lo, exec_lo, s44
	s_cbranch_vccz .LBB85_487
; %bb.486:
	s_wait_loadcnt 0x0
	global_load_u8 v1, v[6:7], off
	s_wait_loadcnt 0x0
	v_lshlrev_b32_e32 v1, 24, v1
	s_delay_alu instid0(VALU_DEP_1) | instskip(NEXT) | instid1(VALU_DEP_1)
	v_and_b32_e32 v3, 0x7f000000, v1
	v_clz_i32_u32_e32 v5, v3
	v_add_nc_u32_e32 v9, 0x1000000, v3
	v_cmp_ne_u32_e32 vcc_lo, 0, v3
	s_delay_alu instid0(VALU_DEP_3) | instskip(NEXT) | instid1(VALU_DEP_1)
	v_min_u32_e32 v5, 32, v5
	v_sub_nc_u32_e64 v5, v5, 4 clamp
	s_delay_alu instid0(VALU_DEP_1) | instskip(NEXT) | instid1(VALU_DEP_1)
	v_dual_lshlrev_b32 v8, v5, v3 :: v_dual_lshlrev_b32 v5, 23, v5
	v_lshrrev_b32_e32 v8, 4, v8
	s_delay_alu instid0(VALU_DEP_1) | instskip(SKIP_1) | instid1(VALU_DEP_2)
	v_sub_nc_u32_e32 v5, v8, v5
	v_ashrrev_i32_e32 v8, 8, v9
	v_add_nc_u32_e32 v5, 0x3c000000, v5
	s_delay_alu instid0(VALU_DEP_1) | instskip(NEXT) | instid1(VALU_DEP_1)
	v_and_or_b32 v5, 0x7f800000, v8, v5
	v_cndmask_b32_e32 v3, 0, v5, vcc_lo
	s_delay_alu instid0(VALU_DEP_1) | instskip(NEXT) | instid1(VALU_DEP_1)
	v_and_or_b32 v1, 0x80000000, v1, v3
	v_cvt_f16_f32_e32 v1, v1
.LBB85_487:
	s_mov_b32 s44, 0
.LBB85_488:
	s_delay_alu instid0(SALU_CYCLE_1)
	s_and_not1_b32 vcc_lo, exec_lo, s44
	s_cbranch_vccnz .LBB85_490
; %bb.489:
	s_wait_loadcnt 0x0
	global_load_u8 v1, v[6:7], off
	s_wait_loadcnt 0x0
	v_lshlrev_b32_e32 v3, 25, v1
	v_lshlrev_b16 v1, 8, v1
	s_delay_alu instid0(VALU_DEP_1) | instskip(SKIP_1) | instid1(VALU_DEP_2)
	v_and_or_b32 v8, 0x7f00, v1, 0.5
	v_bfe_i32 v1, v1, 0, 16
	v_dual_add_f32 v8, -0.5, v8 :: v_dual_lshrrev_b32 v5, 4, v3
	v_cmp_gt_u32_e32 vcc_lo, 0x8000000, v3
	s_delay_alu instid0(VALU_DEP_2) | instskip(NEXT) | instid1(VALU_DEP_1)
	v_or_b32_e32 v5, 0x70000000, v5
	v_mul_f32_e32 v5, 0x7800000, v5
	s_delay_alu instid0(VALU_DEP_1) | instskip(NEXT) | instid1(VALU_DEP_1)
	v_cndmask_b32_e32 v3, v5, v8, vcc_lo
	v_and_or_b32 v1, 0x80000000, v1, v3
	s_delay_alu instid0(VALU_DEP_1)
	v_cvt_f16_f32_e32 v1, v1
.LBB85_490:
	s_mov_b32 s45, 0
	s_mov_b32 s44, -1
.LBB85_491:
	s_and_not1_b32 vcc_lo, exec_lo, s45
	s_cbranch_vccnz .LBB85_504
; %bb.492:
	s_cmp_gt_i32 s27, 14
	s_cbranch_scc0 .LBB85_495
; %bb.493:
	s_cmp_eq_u32 s27, 15
	s_cbranch_scc0 .LBB85_498
; %bb.494:
	s_wait_loadcnt 0x0
	global_load_u16 v1, v[6:7], off
	s_mov_b32 s44, -1
	s_mov_b32 s26, 0
	s_wait_loadcnt 0x0
	v_lshlrev_b32_e32 v1, 16, v1
	s_delay_alu instid0(VALU_DEP_1)
	v_cvt_f16_f32_e32 v1, v1
	s_branch .LBB85_499
.LBB85_495:
	s_mov_b32 s45, -1
                                        ; implicit-def: $vgpr1
	s_branch .LBB85_500
.LBB85_496:
	s_or_saveexec_b32 s45, s45
	v_mov_b32_e32 v1, 0x7e00
	s_xor_b32 exec_lo, exec_lo, s45
	s_cbranch_execz .LBB85_477
.LBB85_497:
	v_cmp_ne_u16_e32 vcc_lo, 0, v3
	v_mov_b32_e32 v1, v3
	s_and_not1_b32 s44, s44, exec_lo
	s_and_b32 s46, vcc_lo, exec_lo
	s_delay_alu instid0(SALU_CYCLE_1)
	s_or_b32 s44, s44, s46
	s_or_b32 exec_lo, exec_lo, s45
	s_and_saveexec_b32 s45, s44
	s_cbranch_execnz .LBB85_478
	s_branch .LBB85_479
.LBB85_498:
	s_mov_b32 s26, -1
                                        ; implicit-def: $vgpr1
.LBB85_499:
	s_mov_b32 s45, 0
.LBB85_500:
	s_delay_alu instid0(SALU_CYCLE_1)
	s_and_b32 vcc_lo, exec_lo, s45
	s_cbranch_vccz .LBB85_504
; %bb.501:
	s_cmp_eq_u32 s27, 11
	s_cbranch_scc0 .LBB85_503
; %bb.502:
	s_wait_loadcnt 0x0
	global_load_u8 v1, v[6:7], off
	s_mov_b32 s26, 0
	s_mov_b32 s44, -1
	s_wait_loadcnt 0x0
	v_cmp_ne_u16_e32 vcc_lo, 0, v1
	v_cndmask_b32_e64 v1, 0, 0x3c00, vcc_lo
	s_branch .LBB85_504
.LBB85_503:
	s_mov_b32 s26, -1
                                        ; implicit-def: $vgpr1
.LBB85_504:
	s_branch .LBB85_419
.LBB85_505:
	s_and_b32 s0, 0xffff, s0
	s_delay_alu instid0(SALU_CYCLE_1)
	s_cmp_lt_i32 s0, 5
	s_cbranch_scc1 .LBB85_510
; %bb.506:
	s_cmp_lt_i32 s0, 8
	s_cbranch_scc1 .LBB85_511
; %bb.507:
	;; [unrolled: 3-line block ×3, first 2 shown]
	s_cmp_gt_i32 s0, 9
	s_cbranch_scc0 .LBB85_513
; %bb.509:
	global_load_b64 v[8:9], v[6:7], off
	s_mov_b32 s27, 0
	s_wait_loadcnt 0x0
	v_and_or_b32 v1, 0x1ff, v9, v8
	v_lshrrev_b32_e32 v3, 8, v9
	v_bfe_u32 v5, v9, 20, 11
	s_delay_alu instid0(VALU_DEP_3) | instskip(NEXT) | instid1(VALU_DEP_2)
	v_cmp_ne_u32_e32 vcc_lo, 0, v1
	v_sub_nc_u32_e32 v8, 0x3f1, v5
	v_add_nc_u32_e32 v5, 0xfffffc10, v5
	v_cndmask_b32_e64 v1, 0, 1, vcc_lo
	s_delay_alu instid0(VALU_DEP_1) | instskip(NEXT) | instid1(VALU_DEP_4)
	v_and_or_b32 v1, 0xffe, v3, v1
	v_med3_i32 v3, v8, 0, 13
	s_delay_alu instid0(VALU_DEP_2) | instskip(NEXT) | instid1(VALU_DEP_1)
	v_or_b32_e32 v8, 0x1000, v1
	v_lshrrev_b32_e32 v10, v3, v8
	s_delay_alu instid0(VALU_DEP_1) | instskip(NEXT) | instid1(VALU_DEP_1)
	v_lshlrev_b32_e32 v3, v3, v10
	v_cmp_ne_u32_e32 vcc_lo, v3, v8
	v_lshl_or_b32 v8, v5, 12, v1
	v_cndmask_b32_e64 v3, 0, 1, vcc_lo
	v_cmp_gt_i32_e32 vcc_lo, 1, v5
	s_delay_alu instid0(VALU_DEP_2) | instskip(NEXT) | instid1(VALU_DEP_1)
	v_or_b32_e32 v3, v10, v3
	v_cndmask_b32_e32 v3, v8, v3, vcc_lo
	s_delay_alu instid0(VALU_DEP_1) | instskip(NEXT) | instid1(VALU_DEP_1)
	v_dual_lshrrev_b32 v3, 2, v3 :: v_dual_bitop2_b32 v8, 7, v3 bitop3:0x40
	v_cmp_lt_i32_e32 vcc_lo, 5, v8
	v_cndmask_b32_e64 v10, 0, 1, vcc_lo
	v_cmp_eq_u32_e32 vcc_lo, 3, v8
	v_cndmask_b32_e64 v8, 0, 1, vcc_lo
	v_cmp_ne_u32_e32 vcc_lo, 0, v1
	s_delay_alu instid0(VALU_DEP_2) | instskip(NEXT) | instid1(VALU_DEP_1)
	v_or_b32_e32 v8, v8, v10
	v_dual_mov_b32 v10, 0x7e00 :: v_dual_add_nc_u32 v3, v3, v8
	s_delay_alu instid0(VALU_DEP_1) | instskip(SKIP_1) | instid1(VALU_DEP_3)
	v_cndmask_b32_e32 v1, 0x7c00, v10, vcc_lo
	v_cmp_gt_i32_e32 vcc_lo, 31, v5
	v_cndmask_b32_e32 v3, 0x7c00, v3, vcc_lo
	v_cmp_eq_u32_e32 vcc_lo, 0x40f, v5
	s_delay_alu instid0(VALU_DEP_2) | instskip(SKIP_1) | instid1(VALU_DEP_1)
	v_cndmask_b32_e32 v1, v3, v1, vcc_lo
	v_lshrrev_b32_e32 v3, 16, v9
	v_and_or_b32 v1, 0x8000, v3, v1
	s_branch .LBB85_514
.LBB85_510:
	s_mov_b32 s27, -1
                                        ; implicit-def: $vgpr1
	s_branch .LBB85_532
.LBB85_511:
	s_mov_b32 s27, -1
                                        ; implicit-def: $vgpr1
	s_branch .LBB85_520
.LBB85_512:
	s_mov_b32 s27, -1
                                        ; implicit-def: $vgpr1
	s_branch .LBB85_517
.LBB85_513:
	s_mov_b32 s27, -1
                                        ; implicit-def: $vgpr1
.LBB85_514:
	s_delay_alu instid0(SALU_CYCLE_1)
	s_and_not1_b32 vcc_lo, exec_lo, s27
	s_cbranch_vccnz .LBB85_516
; %bb.515:
	s_wait_loadcnt 0x0
	global_load_b32 v1, v[6:7], off
	s_wait_loadcnt 0x0
	v_cvt_f16_f32_e32 v1, v1
.LBB85_516:
	s_mov_b32 s27, 0
.LBB85_517:
	s_delay_alu instid0(SALU_CYCLE_1)
	s_and_not1_b32 vcc_lo, exec_lo, s27
	s_cbranch_vccnz .LBB85_519
; %bb.518:
	s_wait_loadcnt 0x0
	global_load_b32 v1, v[6:7], off
.LBB85_519:
	s_mov_b32 s27, 0
.LBB85_520:
	s_delay_alu instid0(SALU_CYCLE_1)
	s_and_not1_b32 vcc_lo, exec_lo, s27
	s_cbranch_vccnz .LBB85_531
; %bb.521:
	s_cmp_lt_i32 s0, 6
	s_cbranch_scc1 .LBB85_524
; %bb.522:
	s_cmp_gt_i32 s0, 6
	s_cbranch_scc0 .LBB85_525
; %bb.523:
	global_load_b64 v[8:9], v[6:7], off
	s_mov_b32 s27, 0
	s_wait_loadcnt 0x0
	v_and_or_b32 v1, 0x1ff, v9, v8
	v_lshrrev_b32_e32 v3, 8, v9
	v_bfe_u32 v5, v9, 20, 11
	s_delay_alu instid0(VALU_DEP_3) | instskip(NEXT) | instid1(VALU_DEP_2)
	v_cmp_ne_u32_e32 vcc_lo, 0, v1
	v_sub_nc_u32_e32 v8, 0x3f1, v5
	v_add_nc_u32_e32 v5, 0xfffffc10, v5
	v_cndmask_b32_e64 v1, 0, 1, vcc_lo
	s_delay_alu instid0(VALU_DEP_1) | instskip(NEXT) | instid1(VALU_DEP_4)
	v_and_or_b32 v1, 0xffe, v3, v1
	v_med3_i32 v3, v8, 0, 13
	s_delay_alu instid0(VALU_DEP_2) | instskip(NEXT) | instid1(VALU_DEP_1)
	v_or_b32_e32 v8, 0x1000, v1
	v_lshrrev_b32_e32 v10, v3, v8
	s_delay_alu instid0(VALU_DEP_1) | instskip(NEXT) | instid1(VALU_DEP_1)
	v_lshlrev_b32_e32 v3, v3, v10
	v_cmp_ne_u32_e32 vcc_lo, v3, v8
	v_lshl_or_b32 v8, v5, 12, v1
	v_cndmask_b32_e64 v3, 0, 1, vcc_lo
	v_cmp_gt_i32_e32 vcc_lo, 1, v5
	s_delay_alu instid0(VALU_DEP_2) | instskip(NEXT) | instid1(VALU_DEP_1)
	v_or_b32_e32 v3, v10, v3
	v_cndmask_b32_e32 v3, v8, v3, vcc_lo
	s_delay_alu instid0(VALU_DEP_1) | instskip(NEXT) | instid1(VALU_DEP_1)
	v_dual_lshrrev_b32 v3, 2, v3 :: v_dual_bitop2_b32 v8, 7, v3 bitop3:0x40
	v_cmp_lt_i32_e32 vcc_lo, 5, v8
	v_cndmask_b32_e64 v10, 0, 1, vcc_lo
	v_cmp_eq_u32_e32 vcc_lo, 3, v8
	v_cndmask_b32_e64 v8, 0, 1, vcc_lo
	v_cmp_ne_u32_e32 vcc_lo, 0, v1
	s_delay_alu instid0(VALU_DEP_2) | instskip(NEXT) | instid1(VALU_DEP_1)
	v_or_b32_e32 v8, v8, v10
	v_dual_mov_b32 v10, 0x7e00 :: v_dual_add_nc_u32 v3, v3, v8
	s_delay_alu instid0(VALU_DEP_1) | instskip(SKIP_1) | instid1(VALU_DEP_3)
	v_cndmask_b32_e32 v1, 0x7c00, v10, vcc_lo
	v_cmp_gt_i32_e32 vcc_lo, 31, v5
	v_cndmask_b32_e32 v3, 0x7c00, v3, vcc_lo
	v_cmp_eq_u32_e32 vcc_lo, 0x40f, v5
	s_delay_alu instid0(VALU_DEP_2) | instskip(SKIP_1) | instid1(VALU_DEP_1)
	v_cndmask_b32_e32 v1, v3, v1, vcc_lo
	v_lshrrev_b32_e32 v3, 16, v9
	v_and_or_b32 v1, 0x8000, v3, v1
	s_branch .LBB85_526
.LBB85_524:
	s_mov_b32 s27, -1
                                        ; implicit-def: $vgpr1
	s_branch .LBB85_529
.LBB85_525:
	s_mov_b32 s27, -1
                                        ; implicit-def: $vgpr1
.LBB85_526:
	s_delay_alu instid0(SALU_CYCLE_1)
	s_and_not1_b32 vcc_lo, exec_lo, s27
	s_cbranch_vccnz .LBB85_528
; %bb.527:
	s_wait_loadcnt 0x0
	global_load_b32 v1, v[6:7], off
	s_wait_loadcnt 0x0
	v_cvt_f16_f32_e32 v1, v1
.LBB85_528:
	s_mov_b32 s27, 0
.LBB85_529:
	s_delay_alu instid0(SALU_CYCLE_1)
	s_and_not1_b32 vcc_lo, exec_lo, s27
	s_cbranch_vccnz .LBB85_531
; %bb.530:
	s_wait_loadcnt 0x0
	global_load_u16 v1, v[6:7], off
.LBB85_531:
	s_mov_b32 s27, 0
.LBB85_532:
	s_delay_alu instid0(SALU_CYCLE_1)
	s_and_not1_b32 vcc_lo, exec_lo, s27
	s_cbranch_vccnz .LBB85_552
; %bb.533:
	s_cmp_lt_i32 s0, 2
	s_cbranch_scc1 .LBB85_537
; %bb.534:
	s_cmp_lt_i32 s0, 3
	s_cbranch_scc1 .LBB85_538
; %bb.535:
	s_cmp_gt_i32 s0, 3
	s_cbranch_scc0 .LBB85_539
; %bb.536:
	global_load_b64 v[8:9], v[6:7], off
	s_mov_b32 s27, 0
	s_wait_loadcnt 0x0
	v_xor_b32_e32 v1, v8, v9
	v_cls_i32_e32 v3, v9
	s_delay_alu instid0(VALU_DEP_2) | instskip(NEXT) | instid1(VALU_DEP_1)
	v_ashrrev_i32_e32 v1, 31, v1
	v_add_nc_u32_e32 v1, 32, v1
	s_delay_alu instid0(VALU_DEP_1) | instskip(NEXT) | instid1(VALU_DEP_1)
	v_add_min_u32_e64 v1, v3, -1, v1
	v_lshlrev_b64_e32 v[8:9], v1, v[8:9]
	v_sub_nc_u32_e32 v1, 32, v1
	s_delay_alu instid0(VALU_DEP_2) | instskip(NEXT) | instid1(VALU_DEP_1)
	v_min_u32_e32 v3, 1, v8
	v_or_b32_e32 v3, v9, v3
	s_delay_alu instid0(VALU_DEP_1) | instskip(NEXT) | instid1(VALU_DEP_1)
	v_cvt_f32_i32_e32 v3, v3
	v_ldexp_f32 v1, v3, v1
	s_delay_alu instid0(VALU_DEP_1)
	v_cvt_f16_f32_e32 v1, v1
	s_branch .LBB85_540
.LBB85_537:
	s_mov_b32 s27, -1
                                        ; implicit-def: $vgpr1
	s_branch .LBB85_546
.LBB85_538:
	s_mov_b32 s27, -1
                                        ; implicit-def: $vgpr1
	s_branch .LBB85_543
.LBB85_539:
	s_mov_b32 s27, -1
                                        ; implicit-def: $vgpr1
.LBB85_540:
	s_delay_alu instid0(SALU_CYCLE_1)
	s_and_not1_b32 vcc_lo, exec_lo, s27
	s_cbranch_vccnz .LBB85_542
; %bb.541:
	s_wait_loadcnt 0x0
	global_load_b32 v1, v[6:7], off
	s_wait_loadcnt 0x0
	v_cvt_f32_i32_e32 v1, v1
	s_delay_alu instid0(VALU_DEP_1)
	v_cvt_f16_f32_e32 v1, v1
.LBB85_542:
	s_mov_b32 s27, 0
.LBB85_543:
	s_delay_alu instid0(SALU_CYCLE_1)
	s_and_not1_b32 vcc_lo, exec_lo, s27
	s_cbranch_vccnz .LBB85_545
; %bb.544:
	s_wait_loadcnt 0x0
	global_load_u16 v1, v[6:7], off
	s_wait_loadcnt 0x0
	v_cvt_f16_i16_e32 v1, v1
.LBB85_545:
	s_mov_b32 s27, 0
.LBB85_546:
	s_delay_alu instid0(SALU_CYCLE_1)
	s_and_not1_b32 vcc_lo, exec_lo, s27
	s_cbranch_vccnz .LBB85_552
; %bb.547:
	s_cmp_gt_i32 s0, 0
	s_mov_b32 s0, 0
	s_cbranch_scc0 .LBB85_549
; %bb.548:
	s_wait_loadcnt 0x0
	global_load_i8 v1, v[6:7], off
	s_wait_loadcnt 0x0
	v_cvt_f16_i16_e32 v1, v1
	s_branch .LBB85_550
.LBB85_549:
	s_mov_b32 s0, -1
                                        ; implicit-def: $vgpr1
.LBB85_550:
	s_delay_alu instid0(SALU_CYCLE_1)
	s_and_not1_b32 vcc_lo, exec_lo, s0
	s_cbranch_vccnz .LBB85_552
; %bb.551:
	s_wait_loadcnt 0x0
	global_load_u8 v1, v[6:7], off
	s_wait_loadcnt 0x0
	v_cvt_f16_u16_e32 v1, v1
.LBB85_552:
	s_branch .LBB85_420
.LBB85_553:
	s_mov_b32 s48, 0
	s_mov_b32 s0, s40
	;; [unrolled: 1-line block ×3, first 2 shown]
	s_branch .LBB85_799
.LBB85_554:
	s_and_not1_saveexec_b32 s45, s45
	s_cbranch_execz .LBB85_206
.LBB85_555:
	v_add_f32_e64 v5, 0x42800000, |v4|
	s_and_not1_b32 s44, s44, exec_lo
	s_delay_alu instid0(VALU_DEP_1) | instskip(NEXT) | instid1(VALU_DEP_1)
	v_and_b32_e32 v5, 0xff, v5
	v_cmp_ne_u32_e32 vcc_lo, 0, v5
	s_and_b32 s46, vcc_lo, exec_lo
	s_delay_alu instid0(SALU_CYCLE_1)
	s_or_b32 s44, s44, s46
	s_or_b32 exec_lo, exec_lo, s45
	v_mov_b32_e32 v6, 0
	s_and_saveexec_b32 s45, s44
	s_cbranch_execnz .LBB85_207
	s_branch .LBB85_208
.LBB85_556:
	s_mov_b32 s27, -1
	s_mov_b32 s45, 0
.LBB85_557:
                                        ; implicit-def: $vgpr3
.LBB85_558:
	s_and_b32 vcc_lo, exec_lo, s46
	s_cbranch_vccz .LBB85_562
; %bb.559:
	s_cmp_eq_u32 s44, 44
	s_cbranch_scc0 .LBB85_561
; %bb.560:
	s_wait_loadcnt 0x0
	global_load_u8 v3, v[4:5], off
	s_mov_b32 s27, 0
	s_mov_b32 s45, -1
	s_wait_loadcnt 0x0
	s_wait_xcnt 0x1
	v_lshlrev_b32_e32 v6, 23, v3
	v_cmp_ne_u32_e32 vcc_lo, 0xff, v3
	s_delay_alu instid0(VALU_DEP_2) | instskip(NEXT) | instid1(VALU_DEP_1)
	v_cvt_f16_f32_e32 v6, v6
	v_cndmask_b32_e32 v6, 0x7e00, v6, vcc_lo
	v_cmp_ne_u32_e32 vcc_lo, 0, v3
	s_delay_alu instid0(VALU_DEP_2)
	v_cndmask_b32_e32 v3, 0, v6, vcc_lo
	s_branch .LBB85_562
.LBB85_561:
	s_mov_b32 s27, -1
                                        ; implicit-def: $vgpr3
.LBB85_562:
	s_mov_b32 s46, 0
.LBB85_563:
	s_delay_alu instid0(SALU_CYCLE_1)
	s_and_b32 vcc_lo, exec_lo, s46
	s_cbranch_vccz .LBB85_567
; %bb.564:
	s_cmp_eq_u32 s44, 29
	s_cbranch_scc0 .LBB85_566
; %bb.565:
	global_load_b64 v[6:7], v[4:5], off
	s_mov_b32 s45, -1
	s_mov_b32 s27, 0
	s_mov_b32 s46, 0
	s_wait_loadcnt 0x0
	v_clz_i32_u32_e32 v3, v7
	s_delay_alu instid0(VALU_DEP_1) | instskip(NEXT) | instid1(VALU_DEP_1)
	v_min_u32_e32 v3, 32, v3
	v_lshlrev_b64_e32 v[6:7], v3, v[6:7]
	v_sub_nc_u32_e32 v3, 32, v3
	s_delay_alu instid0(VALU_DEP_2) | instskip(NEXT) | instid1(VALU_DEP_1)
	v_min_u32_e32 v6, 1, v6
	v_or_b32_e32 v6, v7, v6
	s_delay_alu instid0(VALU_DEP_1) | instskip(NEXT) | instid1(VALU_DEP_1)
	v_cvt_f32_u32_e32 v6, v6
	v_ldexp_f32 v3, v6, v3
	s_delay_alu instid0(VALU_DEP_1)
	v_cvt_f16_f32_e32 v3, v3
	s_branch .LBB85_568
.LBB85_566:
	s_mov_b32 s27, -1
                                        ; implicit-def: $vgpr3
.LBB85_567:
	s_mov_b32 s46, 0
.LBB85_568:
	s_delay_alu instid0(SALU_CYCLE_1)
	s_and_b32 vcc_lo, exec_lo, s46
	s_cbranch_vccz .LBB85_586
; %bb.569:
	s_cmp_lt_i32 s44, 27
	s_cbranch_scc1 .LBB85_572
; %bb.570:
	s_cmp_gt_i32 s44, 27
	s_cbranch_scc0 .LBB85_573
; %bb.571:
	s_wait_loadcnt 0x0
	global_load_b32 v3, v[4:5], off
	s_mov_b32 s45, 0
	s_wait_loadcnt 0x0
	v_cvt_f32_u32_e32 v3, v3
	s_delay_alu instid0(VALU_DEP_1)
	v_cvt_f16_f32_e32 v3, v3
	s_branch .LBB85_574
.LBB85_572:
	s_mov_b32 s45, -1
                                        ; implicit-def: $vgpr3
	s_branch .LBB85_577
.LBB85_573:
	s_mov_b32 s45, -1
                                        ; implicit-def: $vgpr3
.LBB85_574:
	s_delay_alu instid0(SALU_CYCLE_1)
	s_and_not1_b32 vcc_lo, exec_lo, s45
	s_cbranch_vccnz .LBB85_576
; %bb.575:
	s_wait_loadcnt 0x0
	global_load_u16 v3, v[4:5], off
	s_wait_loadcnt 0x0
	v_cvt_f16_u16_e32 v3, v3
.LBB85_576:
	s_mov_b32 s45, 0
.LBB85_577:
	s_delay_alu instid0(SALU_CYCLE_1)
	s_and_not1_b32 vcc_lo, exec_lo, s45
	s_cbranch_vccnz .LBB85_585
; %bb.578:
	global_load_u8 v6, v[4:5], off
	s_mov_b32 s45, 0
	s_mov_b32 s46, exec_lo
	s_wait_loadcnt 0x0
	v_cmpx_lt_i16_e32 0x7f, v6
	s_xor_b32 s46, exec_lo, s46
	s_cbranch_execz .LBB85_599
; %bb.579:
	s_mov_b32 s45, -1
	s_mov_b32 s48, exec_lo
	v_cmpx_eq_u16_e32 0x80, v6
; %bb.580:
	s_xor_b32 s45, exec_lo, -1
; %bb.581:
	s_or_b32 exec_lo, exec_lo, s48
	s_delay_alu instid0(SALU_CYCLE_1)
	s_and_b32 s45, s45, exec_lo
	s_or_saveexec_b32 s46, s46
	v_mov_b32_e32 v3, 0x7e00
	s_xor_b32 exec_lo, exec_lo, s46
	s_cbranch_execnz .LBB85_600
.LBB85_582:
	s_or_b32 exec_lo, exec_lo, s46
	s_and_saveexec_b32 s46, s45
	s_cbranch_execz .LBB85_584
.LBB85_583:
	v_and_b32_e32 v3, 0xffff, v6
	s_delay_alu instid0(VALU_DEP_1) | instskip(SKIP_1) | instid1(VALU_DEP_2)
	v_and_b32_e32 v7, 7, v3
	v_bfe_u32 v10, v3, 3, 4
	v_clz_i32_u32_e32 v8, v7
	s_delay_alu instid0(VALU_DEP_2) | instskip(NEXT) | instid1(VALU_DEP_2)
	v_cmp_eq_u32_e32 vcc_lo, 0, v10
	v_min_u32_e32 v8, 32, v8
	s_delay_alu instid0(VALU_DEP_1) | instskip(NEXT) | instid1(VALU_DEP_1)
	v_subrev_nc_u32_e32 v9, 28, v8
	v_dual_lshlrev_b32 v3, v9, v3 :: v_dual_sub_nc_u32 v8, 29, v8
	s_delay_alu instid0(VALU_DEP_1) | instskip(NEXT) | instid1(VALU_DEP_1)
	v_dual_lshlrev_b32 v6, 24, v6 :: v_dual_bitop2_b32 v3, 7, v3 bitop3:0x40
	v_dual_cndmask_b32 v8, v10, v8 :: v_dual_cndmask_b32 v3, v7, v3
	s_delay_alu instid0(VALU_DEP_2) | instskip(NEXT) | instid1(VALU_DEP_2)
	v_and_b32_e32 v6, 0x80000000, v6
	v_lshl_add_u32 v7, v8, 23, 0x3b800000
	s_delay_alu instid0(VALU_DEP_3) | instskip(NEXT) | instid1(VALU_DEP_1)
	v_lshlrev_b32_e32 v3, 20, v3
	v_or3_b32 v3, v6, v7, v3
	s_delay_alu instid0(VALU_DEP_1)
	v_cvt_f16_f32_e32 v3, v3
.LBB85_584:
	s_or_b32 exec_lo, exec_lo, s46
.LBB85_585:
	s_mov_b32 s45, -1
.LBB85_586:
	s_mov_b32 s46, 0
.LBB85_587:
	s_delay_alu instid0(SALU_CYCLE_1)
	s_and_b32 vcc_lo, exec_lo, s46
	s_cbranch_vccz .LBB85_622
; %bb.588:
	s_cmp_gt_i32 s44, 22
	s_cbranch_scc0 .LBB85_598
; %bb.589:
	s_cmp_lt_i32 s44, 24
	s_cbranch_scc1 .LBB85_601
; %bb.590:
	s_cmp_gt_i32 s44, 24
	s_cbranch_scc0 .LBB85_602
; %bb.591:
	global_load_u8 v6, v[4:5], off
	s_mov_b32 s45, 0
	s_mov_b32 s46, exec_lo
	s_wait_loadcnt 0x0
	v_cmpx_lt_i16_e32 0x7f, v6
	s_xor_b32 s46, exec_lo, s46
	s_cbranch_execz .LBB85_614
; %bb.592:
	s_mov_b32 s45, -1
	s_mov_b32 s48, exec_lo
	v_cmpx_eq_u16_e32 0x80, v6
; %bb.593:
	s_xor_b32 s45, exec_lo, -1
; %bb.594:
	s_or_b32 exec_lo, exec_lo, s48
	s_delay_alu instid0(SALU_CYCLE_1)
	s_and_b32 s45, s45, exec_lo
	s_or_saveexec_b32 s46, s46
	v_mov_b32_e32 v3, 0x7e00
	s_xor_b32 exec_lo, exec_lo, s46
	s_cbranch_execnz .LBB85_615
.LBB85_595:
	s_or_b32 exec_lo, exec_lo, s46
	s_and_saveexec_b32 s46, s45
	s_cbranch_execz .LBB85_597
.LBB85_596:
	v_and_b32_e32 v3, 0xffff, v6
	s_delay_alu instid0(VALU_DEP_1) | instskip(SKIP_1) | instid1(VALU_DEP_2)
	v_and_b32_e32 v7, 3, v3
	v_bfe_u32 v10, v3, 2, 5
	v_clz_i32_u32_e32 v8, v7
	s_delay_alu instid0(VALU_DEP_2) | instskip(NEXT) | instid1(VALU_DEP_2)
	v_cmp_eq_u32_e32 vcc_lo, 0, v10
	v_min_u32_e32 v8, 32, v8
	s_delay_alu instid0(VALU_DEP_1) | instskip(NEXT) | instid1(VALU_DEP_1)
	v_subrev_nc_u32_e32 v9, 29, v8
	v_dual_lshlrev_b32 v3, v9, v3 :: v_dual_sub_nc_u32 v8, 30, v8
	s_delay_alu instid0(VALU_DEP_1) | instskip(NEXT) | instid1(VALU_DEP_1)
	v_dual_lshlrev_b32 v6, 24, v6 :: v_dual_bitop2_b32 v3, 3, v3 bitop3:0x40
	v_dual_cndmask_b32 v8, v10, v8 :: v_dual_cndmask_b32 v3, v7, v3
	s_delay_alu instid0(VALU_DEP_2) | instskip(NEXT) | instid1(VALU_DEP_2)
	v_and_b32_e32 v6, 0x80000000, v6
	v_lshl_add_u32 v7, v8, 23, 0x37800000
	s_delay_alu instid0(VALU_DEP_3) | instskip(NEXT) | instid1(VALU_DEP_1)
	v_lshlrev_b32_e32 v3, 21, v3
	v_or3_b32 v3, v6, v7, v3
	s_delay_alu instid0(VALU_DEP_1)
	v_cvt_f16_f32_e32 v3, v3
.LBB85_597:
	s_or_b32 exec_lo, exec_lo, s46
	s_mov_b32 s45, 0
	s_branch .LBB85_603
.LBB85_598:
	s_mov_b32 s46, -1
                                        ; implicit-def: $vgpr3
	s_branch .LBB85_609
.LBB85_599:
	s_or_saveexec_b32 s46, s46
	v_mov_b32_e32 v3, 0x7e00
	s_xor_b32 exec_lo, exec_lo, s46
	s_cbranch_execz .LBB85_582
.LBB85_600:
	v_cmp_ne_u16_e32 vcc_lo, 0, v6
	v_mov_b32_e32 v3, v6
	s_and_not1_b32 s45, s45, exec_lo
	s_and_b32 s48, vcc_lo, exec_lo
	s_delay_alu instid0(SALU_CYCLE_1)
	s_or_b32 s45, s45, s48
	s_or_b32 exec_lo, exec_lo, s46
	s_and_saveexec_b32 s46, s45
	s_cbranch_execnz .LBB85_583
	s_branch .LBB85_584
.LBB85_601:
	s_mov_b32 s45, -1
                                        ; implicit-def: $vgpr3
	s_branch .LBB85_606
.LBB85_602:
	s_mov_b32 s45, -1
                                        ; implicit-def: $vgpr3
.LBB85_603:
	s_delay_alu instid0(SALU_CYCLE_1)
	s_and_b32 vcc_lo, exec_lo, s45
	s_cbranch_vccz .LBB85_605
; %bb.604:
	s_wait_loadcnt 0x0
	global_load_u8 v3, v[4:5], off
	s_wait_loadcnt 0x0
	v_lshlrev_b32_e32 v3, 24, v3
	s_wait_xcnt 0x1
	s_delay_alu instid0(VALU_DEP_1) | instskip(NEXT) | instid1(VALU_DEP_1)
	v_and_b32_e32 v6, 0x7f000000, v3
	v_clz_i32_u32_e32 v7, v6
	v_cmp_ne_u32_e32 vcc_lo, 0, v6
	v_add_nc_u32_e32 v9, 0x1000000, v6
	s_delay_alu instid0(VALU_DEP_3) | instskip(NEXT) | instid1(VALU_DEP_1)
	v_min_u32_e32 v7, 32, v7
	v_sub_nc_u32_e64 v7, v7, 4 clamp
	s_delay_alu instid0(VALU_DEP_1) | instskip(NEXT) | instid1(VALU_DEP_1)
	v_dual_lshlrev_b32 v8, v7, v6 :: v_dual_lshlrev_b32 v7, 23, v7
	v_lshrrev_b32_e32 v8, 4, v8
	s_delay_alu instid0(VALU_DEP_1) | instskip(NEXT) | instid1(VALU_DEP_1)
	v_dual_sub_nc_u32 v7, v8, v7 :: v_dual_ashrrev_i32 v8, 8, v9
	v_add_nc_u32_e32 v7, 0x3c000000, v7
	s_delay_alu instid0(VALU_DEP_1) | instskip(NEXT) | instid1(VALU_DEP_1)
	v_and_or_b32 v7, 0x7f800000, v8, v7
	v_cndmask_b32_e32 v6, 0, v7, vcc_lo
	s_delay_alu instid0(VALU_DEP_1) | instskip(NEXT) | instid1(VALU_DEP_1)
	v_and_or_b32 v3, 0x80000000, v3, v6
	v_cvt_f16_f32_e32 v3, v3
.LBB85_605:
	s_mov_b32 s45, 0
.LBB85_606:
	s_delay_alu instid0(SALU_CYCLE_1)
	s_and_not1_b32 vcc_lo, exec_lo, s45
	s_cbranch_vccnz .LBB85_608
; %bb.607:
	s_wait_loadcnt 0x0
	global_load_u8 v3, v[4:5], off
	s_wait_loadcnt 0x0
	s_wait_xcnt 0x1
	v_lshlrev_b32_e32 v6, 25, v3
	v_lshlrev_b16 v3, 8, v3
	s_delay_alu instid0(VALU_DEP_1) | instskip(SKIP_1) | instid1(VALU_DEP_2)
	v_and_or_b32 v8, 0x7f00, v3, 0.5
	v_bfe_i32 v3, v3, 0, 16
	v_dual_add_f32 v8, -0.5, v8 :: v_dual_lshrrev_b32 v7, 4, v6
	v_cmp_gt_u32_e32 vcc_lo, 0x8000000, v6
	s_delay_alu instid0(VALU_DEP_2) | instskip(NEXT) | instid1(VALU_DEP_1)
	v_or_b32_e32 v7, 0x70000000, v7
	v_mul_f32_e32 v7, 0x7800000, v7
	s_delay_alu instid0(VALU_DEP_1) | instskip(NEXT) | instid1(VALU_DEP_1)
	v_cndmask_b32_e32 v6, v7, v8, vcc_lo
	v_and_or_b32 v3, 0x80000000, v3, v6
	s_delay_alu instid0(VALU_DEP_1)
	v_cvt_f16_f32_e32 v3, v3
.LBB85_608:
	s_mov_b32 s46, 0
	s_mov_b32 s45, -1
.LBB85_609:
	s_and_not1_b32 vcc_lo, exec_lo, s46
	s_cbranch_vccnz .LBB85_622
; %bb.610:
	s_cmp_gt_i32 s44, 14
	s_cbranch_scc0 .LBB85_613
; %bb.611:
	s_cmp_eq_u32 s44, 15
	s_cbranch_scc0 .LBB85_616
; %bb.612:
	s_wait_loadcnt 0x0
	global_load_u16 v3, v[4:5], off
	s_mov_b32 s45, -1
	s_mov_b32 s27, 0
	s_wait_loadcnt 0x0
	v_lshlrev_b32_e32 v3, 16, v3
	s_delay_alu instid0(VALU_DEP_1)
	v_cvt_f16_f32_e32 v3, v3
	s_branch .LBB85_617
.LBB85_613:
	s_mov_b32 s46, -1
                                        ; implicit-def: $vgpr3
	s_branch .LBB85_618
.LBB85_614:
	s_or_saveexec_b32 s46, s46
	v_mov_b32_e32 v3, 0x7e00
	s_xor_b32 exec_lo, exec_lo, s46
	s_cbranch_execz .LBB85_595
.LBB85_615:
	v_cmp_ne_u16_e32 vcc_lo, 0, v6
	v_mov_b32_e32 v3, v6
	s_and_not1_b32 s45, s45, exec_lo
	s_and_b32 s48, vcc_lo, exec_lo
	s_delay_alu instid0(SALU_CYCLE_1)
	s_or_b32 s45, s45, s48
	s_or_b32 exec_lo, exec_lo, s46
	s_and_saveexec_b32 s46, s45
	s_cbranch_execnz .LBB85_596
	s_branch .LBB85_597
.LBB85_616:
	s_mov_b32 s27, -1
                                        ; implicit-def: $vgpr3
.LBB85_617:
	s_mov_b32 s46, 0
.LBB85_618:
	s_delay_alu instid0(SALU_CYCLE_1)
	s_and_b32 vcc_lo, exec_lo, s46
	s_cbranch_vccz .LBB85_622
; %bb.619:
	s_cmp_eq_u32 s44, 11
	s_cbranch_scc0 .LBB85_621
; %bb.620:
	s_wait_loadcnt 0x0
	global_load_u8 v3, v[4:5], off
	s_mov_b32 s27, 0
	s_mov_b32 s45, -1
	s_wait_loadcnt 0x0
	v_cmp_ne_u16_e32 vcc_lo, 0, v3
	v_cndmask_b32_e64 v3, 0, 0x3c00, vcc_lo
	s_branch .LBB85_622
.LBB85_621:
	s_mov_b32 s27, -1
                                        ; implicit-def: $vgpr3
.LBB85_622:
	s_mov_b32 s44, 0
.LBB85_623:
	s_delay_alu instid0(SALU_CYCLE_1)
	s_and_b32 vcc_lo, exec_lo, s44
	s_cbranch_vccz .LBB85_672
; %bb.624:
	s_and_b32 s0, 0xffff, s0
	s_delay_alu instid0(SALU_CYCLE_1)
	s_cmp_lt_i32 s0, 5
	s_cbranch_scc1 .LBB85_629
; %bb.625:
	s_cmp_lt_i32 s0, 8
	s_cbranch_scc1 .LBB85_630
; %bb.626:
	;; [unrolled: 3-line block ×3, first 2 shown]
	s_cmp_gt_i32 s0, 9
	s_cbranch_scc0 .LBB85_632
; %bb.628:
	global_load_b64 v[6:7], v[4:5], off
	s_mov_b32 s44, 0
	s_wait_loadcnt 0x0
	v_and_or_b32 v3, 0x1ff, v7, v6
	v_lshrrev_b32_e32 v6, 8, v7
	v_bfe_u32 v8, v7, 20, 11
	s_delay_alu instid0(VALU_DEP_3) | instskip(NEXT) | instid1(VALU_DEP_2)
	v_cmp_ne_u32_e32 vcc_lo, 0, v3
	v_sub_nc_u32_e32 v9, 0x3f1, v8
	v_add_nc_u32_e32 v8, 0xfffffc10, v8
	v_cndmask_b32_e64 v3, 0, 1, vcc_lo
	s_delay_alu instid0(VALU_DEP_1) | instskip(NEXT) | instid1(VALU_DEP_4)
	v_and_or_b32 v3, 0xffe, v6, v3
	v_med3_i32 v6, v9, 0, 13
	s_delay_alu instid0(VALU_DEP_2) | instskip(NEXT) | instid1(VALU_DEP_1)
	v_or_b32_e32 v9, 0x1000, v3
	v_lshrrev_b32_e32 v10, v6, v9
	s_delay_alu instid0(VALU_DEP_1) | instskip(NEXT) | instid1(VALU_DEP_1)
	v_lshlrev_b32_e32 v6, v6, v10
	v_cmp_ne_u32_e32 vcc_lo, v6, v9
	v_lshl_or_b32 v9, v8, 12, v3
	v_cndmask_b32_e64 v6, 0, 1, vcc_lo
	v_cmp_gt_i32_e32 vcc_lo, 1, v8
	s_delay_alu instid0(VALU_DEP_2) | instskip(NEXT) | instid1(VALU_DEP_1)
	v_or_b32_e32 v6, v10, v6
	v_cndmask_b32_e32 v6, v9, v6, vcc_lo
	s_delay_alu instid0(VALU_DEP_1) | instskip(NEXT) | instid1(VALU_DEP_1)
	v_dual_lshrrev_b32 v6, 2, v6 :: v_dual_bitop2_b32 v9, 7, v6 bitop3:0x40
	v_cmp_lt_i32_e32 vcc_lo, 5, v9
	v_cndmask_b32_e64 v10, 0, 1, vcc_lo
	v_cmp_eq_u32_e32 vcc_lo, 3, v9
	v_cndmask_b32_e64 v9, 0, 1, vcc_lo
	v_cmp_ne_u32_e32 vcc_lo, 0, v3
	s_delay_alu instid0(VALU_DEP_2) | instskip(SKIP_1) | instid1(VALU_DEP_1)
	v_or_b32_e32 v9, v9, v10
	v_mov_b32_e32 v10, 0x7e00
	v_dual_cndmask_b32 v3, 0x7c00, v10 :: v_dual_add_nc_u32 v6, v6, v9
	v_cmp_gt_i32_e32 vcc_lo, 31, v8
	s_delay_alu instid0(VALU_DEP_2) | instskip(SKIP_1) | instid1(VALU_DEP_2)
	v_cndmask_b32_e32 v6, 0x7c00, v6, vcc_lo
	v_cmp_eq_u32_e32 vcc_lo, 0x40f, v8
	v_cndmask_b32_e32 v3, v6, v3, vcc_lo
	v_lshrrev_b32_e32 v6, 16, v7
	s_delay_alu instid0(VALU_DEP_1)
	v_and_or_b32 v3, 0x8000, v6, v3
	s_branch .LBB85_633
.LBB85_629:
	s_mov_b32 s44, -1
                                        ; implicit-def: $vgpr3
	s_branch .LBB85_651
.LBB85_630:
	s_mov_b32 s44, -1
                                        ; implicit-def: $vgpr3
	s_branch .LBB85_639
.LBB85_631:
	s_mov_b32 s44, -1
                                        ; implicit-def: $vgpr3
	s_branch .LBB85_636
.LBB85_632:
	s_mov_b32 s44, -1
                                        ; implicit-def: $vgpr3
.LBB85_633:
	s_delay_alu instid0(SALU_CYCLE_1)
	s_and_not1_b32 vcc_lo, exec_lo, s44
	s_cbranch_vccnz .LBB85_635
; %bb.634:
	s_wait_loadcnt 0x0
	global_load_b32 v3, v[4:5], off
	s_wait_loadcnt 0x0
	v_cvt_f16_f32_e32 v3, v3
.LBB85_635:
	s_mov_b32 s44, 0
.LBB85_636:
	s_delay_alu instid0(SALU_CYCLE_1)
	s_and_not1_b32 vcc_lo, exec_lo, s44
	s_cbranch_vccnz .LBB85_638
; %bb.637:
	s_wait_loadcnt 0x0
	global_load_b32 v3, v[4:5], off
.LBB85_638:
	s_mov_b32 s44, 0
.LBB85_639:
	s_delay_alu instid0(SALU_CYCLE_1)
	s_and_not1_b32 vcc_lo, exec_lo, s44
	s_cbranch_vccnz .LBB85_650
; %bb.640:
	s_cmp_lt_i32 s0, 6
	s_cbranch_scc1 .LBB85_643
; %bb.641:
	s_cmp_gt_i32 s0, 6
	s_cbranch_scc0 .LBB85_644
; %bb.642:
	global_load_b64 v[6:7], v[4:5], off
	s_mov_b32 s44, 0
	s_wait_loadcnt 0x0
	v_and_or_b32 v3, 0x1ff, v7, v6
	v_lshrrev_b32_e32 v6, 8, v7
	v_bfe_u32 v8, v7, 20, 11
	s_delay_alu instid0(VALU_DEP_3) | instskip(NEXT) | instid1(VALU_DEP_2)
	v_cmp_ne_u32_e32 vcc_lo, 0, v3
	v_sub_nc_u32_e32 v9, 0x3f1, v8
	v_add_nc_u32_e32 v8, 0xfffffc10, v8
	v_cndmask_b32_e64 v3, 0, 1, vcc_lo
	s_delay_alu instid0(VALU_DEP_1) | instskip(NEXT) | instid1(VALU_DEP_4)
	v_and_or_b32 v3, 0xffe, v6, v3
	v_med3_i32 v6, v9, 0, 13
	s_delay_alu instid0(VALU_DEP_2) | instskip(NEXT) | instid1(VALU_DEP_1)
	v_or_b32_e32 v9, 0x1000, v3
	v_lshrrev_b32_e32 v10, v6, v9
	s_delay_alu instid0(VALU_DEP_1) | instskip(NEXT) | instid1(VALU_DEP_1)
	v_lshlrev_b32_e32 v6, v6, v10
	v_cmp_ne_u32_e32 vcc_lo, v6, v9
	v_lshl_or_b32 v9, v8, 12, v3
	v_cndmask_b32_e64 v6, 0, 1, vcc_lo
	v_cmp_gt_i32_e32 vcc_lo, 1, v8
	s_delay_alu instid0(VALU_DEP_2) | instskip(NEXT) | instid1(VALU_DEP_1)
	v_or_b32_e32 v6, v10, v6
	v_cndmask_b32_e32 v6, v9, v6, vcc_lo
	s_delay_alu instid0(VALU_DEP_1) | instskip(NEXT) | instid1(VALU_DEP_1)
	v_dual_lshrrev_b32 v6, 2, v6 :: v_dual_bitop2_b32 v9, 7, v6 bitop3:0x40
	v_cmp_lt_i32_e32 vcc_lo, 5, v9
	v_cndmask_b32_e64 v10, 0, 1, vcc_lo
	v_cmp_eq_u32_e32 vcc_lo, 3, v9
	v_cndmask_b32_e64 v9, 0, 1, vcc_lo
	v_cmp_ne_u32_e32 vcc_lo, 0, v3
	s_delay_alu instid0(VALU_DEP_2) | instskip(SKIP_1) | instid1(VALU_DEP_1)
	v_or_b32_e32 v9, v9, v10
	v_mov_b32_e32 v10, 0x7e00
	v_dual_cndmask_b32 v3, 0x7c00, v10 :: v_dual_add_nc_u32 v6, v6, v9
	v_cmp_gt_i32_e32 vcc_lo, 31, v8
	s_delay_alu instid0(VALU_DEP_2) | instskip(SKIP_1) | instid1(VALU_DEP_2)
	v_cndmask_b32_e32 v6, 0x7c00, v6, vcc_lo
	v_cmp_eq_u32_e32 vcc_lo, 0x40f, v8
	v_cndmask_b32_e32 v3, v6, v3, vcc_lo
	v_lshrrev_b32_e32 v6, 16, v7
	s_delay_alu instid0(VALU_DEP_1)
	v_and_or_b32 v3, 0x8000, v6, v3
	s_branch .LBB85_645
.LBB85_643:
	s_mov_b32 s44, -1
                                        ; implicit-def: $vgpr3
	s_branch .LBB85_648
.LBB85_644:
	s_mov_b32 s44, -1
                                        ; implicit-def: $vgpr3
.LBB85_645:
	s_delay_alu instid0(SALU_CYCLE_1)
	s_and_not1_b32 vcc_lo, exec_lo, s44
	s_cbranch_vccnz .LBB85_647
; %bb.646:
	s_wait_loadcnt 0x0
	global_load_b32 v3, v[4:5], off
	s_wait_loadcnt 0x0
	v_cvt_f16_f32_e32 v3, v3
.LBB85_647:
	s_mov_b32 s44, 0
.LBB85_648:
	s_delay_alu instid0(SALU_CYCLE_1)
	s_and_not1_b32 vcc_lo, exec_lo, s44
	s_cbranch_vccnz .LBB85_650
; %bb.649:
	s_wait_loadcnt 0x0
	global_load_u16 v3, v[4:5], off
.LBB85_650:
	s_mov_b32 s44, 0
.LBB85_651:
	s_delay_alu instid0(SALU_CYCLE_1)
	s_and_not1_b32 vcc_lo, exec_lo, s44
	s_cbranch_vccnz .LBB85_671
; %bb.652:
	s_cmp_lt_i32 s0, 2
	s_cbranch_scc1 .LBB85_656
; %bb.653:
	s_cmp_lt_i32 s0, 3
	s_cbranch_scc1 .LBB85_657
; %bb.654:
	s_cmp_gt_i32 s0, 3
	s_cbranch_scc0 .LBB85_658
; %bb.655:
	global_load_b64 v[6:7], v[4:5], off
	s_mov_b32 s44, 0
	s_wait_loadcnt 0x0
	v_xor_b32_e32 v3, v6, v7
	v_cls_i32_e32 v8, v7
	s_delay_alu instid0(VALU_DEP_2) | instskip(NEXT) | instid1(VALU_DEP_1)
	v_ashrrev_i32_e32 v3, 31, v3
	v_add_nc_u32_e32 v3, 32, v3
	s_delay_alu instid0(VALU_DEP_1) | instskip(NEXT) | instid1(VALU_DEP_1)
	v_add_min_u32_e64 v3, v8, -1, v3
	v_lshlrev_b64_e32 v[6:7], v3, v[6:7]
	v_sub_nc_u32_e32 v3, 32, v3
	s_delay_alu instid0(VALU_DEP_2) | instskip(NEXT) | instid1(VALU_DEP_1)
	v_min_u32_e32 v6, 1, v6
	v_or_b32_e32 v6, v7, v6
	s_delay_alu instid0(VALU_DEP_1) | instskip(NEXT) | instid1(VALU_DEP_1)
	v_cvt_f32_i32_e32 v6, v6
	v_ldexp_f32 v3, v6, v3
	s_delay_alu instid0(VALU_DEP_1)
	v_cvt_f16_f32_e32 v3, v3
	s_branch .LBB85_659
.LBB85_656:
	s_mov_b32 s44, -1
                                        ; implicit-def: $vgpr3
	s_branch .LBB85_665
.LBB85_657:
	s_mov_b32 s44, -1
                                        ; implicit-def: $vgpr3
	s_branch .LBB85_662
.LBB85_658:
	s_mov_b32 s44, -1
                                        ; implicit-def: $vgpr3
.LBB85_659:
	s_delay_alu instid0(SALU_CYCLE_1)
	s_and_not1_b32 vcc_lo, exec_lo, s44
	s_cbranch_vccnz .LBB85_661
; %bb.660:
	s_wait_loadcnt 0x0
	global_load_b32 v3, v[4:5], off
	s_wait_loadcnt 0x0
	v_cvt_f32_i32_e32 v3, v3
	s_delay_alu instid0(VALU_DEP_1)
	v_cvt_f16_f32_e32 v3, v3
.LBB85_661:
	s_mov_b32 s44, 0
.LBB85_662:
	s_delay_alu instid0(SALU_CYCLE_1)
	s_and_not1_b32 vcc_lo, exec_lo, s44
	s_cbranch_vccnz .LBB85_664
; %bb.663:
	s_wait_loadcnt 0x0
	global_load_u16 v3, v[4:5], off
	s_wait_loadcnt 0x0
	v_cvt_f16_i16_e32 v3, v3
.LBB85_664:
	s_mov_b32 s44, 0
.LBB85_665:
	s_delay_alu instid0(SALU_CYCLE_1)
	s_and_not1_b32 vcc_lo, exec_lo, s44
	s_cbranch_vccnz .LBB85_671
; %bb.666:
	s_cmp_gt_i32 s0, 0
	s_mov_b32 s0, 0
	s_cbranch_scc0 .LBB85_668
; %bb.667:
	s_wait_loadcnt 0x0
	global_load_i8 v3, v[4:5], off
	s_wait_loadcnt 0x0
	v_cvt_f16_i16_e32 v3, v3
	s_branch .LBB85_669
.LBB85_668:
	s_mov_b32 s0, -1
                                        ; implicit-def: $vgpr3
.LBB85_669:
	s_delay_alu instid0(SALU_CYCLE_1)
	s_and_not1_b32 vcc_lo, exec_lo, s0
	s_cbranch_vccnz .LBB85_671
; %bb.670:
	s_wait_loadcnt 0x0
	global_load_u8 v3, v[4:5], off
	s_wait_loadcnt 0x0
	v_cvt_f16_u16_e32 v3, v3
.LBB85_671:
	s_mov_b32 s45, -1
.LBB85_672:
	s_delay_alu instid0(SALU_CYCLE_1)
	s_and_not1_b32 vcc_lo, exec_lo, s45
	s_cbranch_vccnz .LBB85_682
; %bb.673:
	s_wait_loadcnt 0x0
	v_cvt_f32_f16_e32 v3, v3
	s_mov_b32 s0, exec_lo
	s_delay_alu instid0(VALU_DEP_1) | instskip(SKIP_1) | instid1(VALU_DEP_1)
	v_mul_f32_e32 v3, s10, v3
	s_wait_xcnt 0x0
	v_cmpx_nlt_f32_e32 s11, v3
	s_cbranch_execz .LBB85_675
; %bb.674:
	v_cvt_f32_f16_e32 v1, v1
	v_mul_f32_e32 v4, 0x3fb8aa3b, v3
	v_cmp_ngt_f32_e32 vcc_lo, 0xc2ce8ed0, v3
	s_delay_alu instid0(VALU_DEP_2) | instskip(SKIP_1) | instid1(VALU_DEP_2)
	v_rndne_f32_e32 v5, v4
	v_fma_f32 v6, 0x3fb8aa3b, v3, -v4
	v_sub_f32_e32 v4, v4, v5
	s_delay_alu instid0(VALU_DEP_2) | instskip(SKIP_1) | instid1(VALU_DEP_2)
	v_fmamk_f32 v6, v3, 0x32a5705f, v6
	v_cvt_i32_f32_e32 v5, v5
	v_add_f32_e32 v4, v4, v6
	s_delay_alu instid0(VALU_DEP_1) | instskip(SKIP_1) | instid1(TRANS32_DEP_1)
	v_exp_f32_e32 v4, v4
	v_nop
	v_ldexp_f32 v4, v4, v5
	s_delay_alu instid0(VALU_DEP_1) | instskip(SKIP_1) | instid1(VALU_DEP_2)
	v_cndmask_b32_e32 v4, 0, v4, vcc_lo
	v_cmp_nlt_f32_e32 vcc_lo, 0x42b17218, v3
	v_cndmask_b32_e32 v3, 0x7f800000, v4, vcc_lo
	s_delay_alu instid0(VALU_DEP_1) | instskip(NEXT) | instid1(VALU_DEP_1)
	v_dual_mul_f32 v1, v3, v1 :: v_dual_add_f32 v3, 1.0, v3
	v_div_scale_f32 v4, null, v3, v3, v1
	s_delay_alu instid0(VALU_DEP_1) | instskip(SKIP_1) | instid1(TRANS32_DEP_1)
	v_rcp_f32_e32 v5, v4
	v_nop
	v_fma_f32 v6, -v4, v5, 1.0
	s_delay_alu instid0(VALU_DEP_1) | instskip(SKIP_1) | instid1(VALU_DEP_1)
	v_fmac_f32_e32 v5, v6, v5
	v_div_scale_f32 v6, vcc_lo, v1, v3, v1
	v_mul_f32_e32 v7, v6, v5
	s_delay_alu instid0(VALU_DEP_1) | instskip(NEXT) | instid1(VALU_DEP_1)
	v_fma_f32 v8, -v4, v7, v6
	v_fmac_f32_e32 v7, v8, v5
	s_delay_alu instid0(VALU_DEP_1) | instskip(NEXT) | instid1(VALU_DEP_1)
	v_fma_f32 v4, -v4, v7, v6
	v_div_fmas_f32 v4, v4, v5, v7
	s_delay_alu instid0(VALU_DEP_1) | instskip(NEXT) | instid1(VALU_DEP_1)
	v_div_fixup_f32 v1, v4, v3, v1
	v_cvt_f16_f32_e32 v1, v1
.LBB85_675:
	s_or_b32 exec_lo, exec_lo, s0
	v_mov_b32_e32 v3, 0
	s_and_b32 s44, s34, 0xff
	s_delay_alu instid0(SALU_CYCLE_1) | instskip(NEXT) | instid1(VALU_DEP_1)
	s_cmp_lt_i32 s44, 11
	v_add_nc_u64_e32 v[2:3], s[4:5], v[2:3]
	s_cbranch_scc1 .LBB85_683
; %bb.676:
	s_and_b32 s45, 0xffff, s44
	s_delay_alu instid0(SALU_CYCLE_1)
	s_cmp_gt_i32 s45, 25
	s_cbranch_scc0 .LBB85_684
; %bb.677:
	s_cmp_gt_i32 s45, 28
	s_cbranch_scc0 .LBB85_685
; %bb.678:
	;; [unrolled: 3-line block ×4, first 2 shown]
	s_mov_b32 s48, 0
	s_mov_b32 s0, -1
	s_cmp_eq_u32 s45, 46
	s_mov_b32 s46, 0
	s_cbranch_scc0 .LBB85_688
; %bb.681:
	v_cvt_f32_f16_e32 v4, v1
	v_cmp_o_f16_e32 vcc_lo, v1, v1
	s_mov_b32 s46, -1
	s_mov_b32 s0, 0
	s_delay_alu instid0(VALU_DEP_2) | instskip(NEXT) | instid1(VALU_DEP_1)
	v_bfe_u32 v5, v4, 16, 1
	v_add3_u32 v4, v4, v5, 0x7fff
	s_delay_alu instid0(VALU_DEP_1) | instskip(NEXT) | instid1(VALU_DEP_1)
	v_lshrrev_b32_e32 v4, 16, v4
	v_cndmask_b32_e32 v4, 0x7fc0, v4, vcc_lo
	global_store_b32 v[2:3], v4, off
	s_branch .LBB85_688
.LBB85_682:
	s_mov_b32 s48, 0
	s_mov_b32 s0, s40
	s_branch .LBB85_799
.LBB85_683:
	s_mov_b32 s45, -1
	s_mov_b32 s46, 0
	s_mov_b32 s0, s40
	s_branch .LBB85_757
.LBB85_684:
	s_mov_b32 s48, -1
	s_mov_b32 s46, 0
	s_mov_b32 s0, s40
	s_branch .LBB85_715
.LBB85_685:
	s_mov_b32 s48, -1
	s_mov_b32 s46, 0
	s_mov_b32 s0, s40
	s_branch .LBB85_698
.LBB85_686:
	s_mov_b32 s48, -1
	s_mov_b32 s46, 0
	s_mov_b32 s0, s40
	s_branch .LBB85_694
.LBB85_687:
	s_mov_b32 s48, -1
	s_mov_b32 s46, 0
	s_mov_b32 s0, s40
.LBB85_688:
	s_and_b32 vcc_lo, exec_lo, s48
	s_cbranch_vccz .LBB85_693
; %bb.689:
	s_cmp_eq_u32 s45, 44
	s_mov_b32 s0, -1
	s_cbranch_scc0 .LBB85_693
; %bb.690:
	s_wait_xcnt 0x0
	v_cvt_f32_f16_e32 v4, v1
	v_mov_b32_e32 v5, 0xff
	s_mov_b32 s46, exec_lo
	s_delay_alu instid0(VALU_DEP_2) | instskip(NEXT) | instid1(VALU_DEP_1)
	v_bfe_u32 v6, v4, 23, 8
	v_cmpx_ne_u32_e32 0xff, v6
	s_cbranch_execz .LBB85_692
; %bb.691:
	v_and_b32_e32 v5, 0x400000, v4
	v_and_or_b32 v6, 0x3fffff, v4, v6
	v_lshrrev_b32_e32 v4, 23, v4
	s_delay_alu instid0(VALU_DEP_3) | instskip(NEXT) | instid1(VALU_DEP_3)
	v_cmp_ne_u32_e32 vcc_lo, 0, v5
	v_cmp_ne_u32_e64 s0, 0, v6
	s_and_b32 s0, vcc_lo, s0
	s_delay_alu instid0(SALU_CYCLE_1) | instskip(NEXT) | instid1(VALU_DEP_1)
	v_cndmask_b32_e64 v5, 0, 1, s0
	v_add_nc_u32_e32 v5, v4, v5
.LBB85_692:
	s_or_b32 exec_lo, exec_lo, s46
	s_mov_b32 s46, -1
	s_mov_b32 s0, 0
	global_store_b8 v[2:3], v5, off
.LBB85_693:
	s_mov_b32 s48, 0
.LBB85_694:
	s_delay_alu instid0(SALU_CYCLE_1)
	s_and_b32 vcc_lo, exec_lo, s48
	s_cbranch_vccz .LBB85_697
; %bb.695:
	s_cmp_eq_u32 s45, 29
	s_mov_b32 s0, -1
	s_cbranch_scc0 .LBB85_697
; %bb.696:
	s_wait_xcnt 0x0
	v_cvt_f32_f16_e32 v4, v1
	v_mov_b32_e32 v5, 0
	s_mov_b32 s46, -1
	s_mov_b32 s0, 0
	s_mov_b32 s48, 0
	v_cvt_u32_f32_e32 v4, v4
	global_store_b64 v[2:3], v[4:5], off
	s_branch .LBB85_698
.LBB85_697:
	s_mov_b32 s48, 0
.LBB85_698:
	s_delay_alu instid0(SALU_CYCLE_1)
	s_and_b32 vcc_lo, exec_lo, s48
	s_cbranch_vccz .LBB85_714
; %bb.699:
	s_cmp_lt_i32 s45, 27
	s_mov_b32 s46, -1
	s_cbranch_scc1 .LBB85_705
; %bb.700:
	s_cmp_gt_i32 s45, 27
	s_cbranch_scc0 .LBB85_702
; %bb.701:
	s_wait_xcnt 0x0
	v_cvt_f32_f16_e32 v4, v1
	s_mov_b32 s46, 0
	s_delay_alu instid0(VALU_DEP_1)
	v_cvt_u32_f32_e32 v4, v4
	global_store_b32 v[2:3], v4, off
.LBB85_702:
	s_and_not1_b32 vcc_lo, exec_lo, s46
	s_cbranch_vccnz .LBB85_704
; %bb.703:
	s_wait_xcnt 0x0
	v_cvt_u16_f16_e32 v4, v1
	global_store_b16 v[2:3], v4, off
.LBB85_704:
	s_mov_b32 s46, 0
.LBB85_705:
	s_delay_alu instid0(SALU_CYCLE_1)
	s_and_not1_b32 vcc_lo, exec_lo, s46
	s_cbranch_vccnz .LBB85_713
; %bb.706:
	s_wait_xcnt 0x0
	v_cvt_f32_f16_e32 v4, v1
	v_mov_b32_e32 v6, 0x80
	s_mov_b32 s46, exec_lo
	s_delay_alu instid0(VALU_DEP_2) | instskip(NEXT) | instid1(VALU_DEP_1)
	v_and_b32_e32 v5, 0x7fffffff, v4
	v_cmpx_gt_u32_e32 0x43800000, v5
	s_cbranch_execz .LBB85_712
; %bb.707:
	v_cmp_lt_u32_e32 vcc_lo, 0x3bffffff, v5
	s_mov_b32 s48, 0
                                        ; implicit-def: $vgpr5
	s_and_saveexec_b32 s49, vcc_lo
	s_delay_alu instid0(SALU_CYCLE_1)
	s_xor_b32 s49, exec_lo, s49
	s_cbranch_execz .LBB85_827
; %bb.708:
	v_bfe_u32 v5, v4, 20, 1
	s_mov_b32 s48, exec_lo
	s_delay_alu instid0(VALU_DEP_1) | instskip(NEXT) | instid1(VALU_DEP_1)
	v_add3_u32 v5, v4, v5, 0x487ffff
	v_lshrrev_b32_e32 v5, 20, v5
	s_and_not1_saveexec_b32 s49, s49
	s_cbranch_execnz .LBB85_828
.LBB85_709:
	s_or_b32 exec_lo, exec_lo, s49
	v_mov_b32_e32 v6, 0
	s_and_saveexec_b32 s49, s48
.LBB85_710:
	v_lshrrev_b32_e32 v4, 24, v4
	s_delay_alu instid0(VALU_DEP_1)
	v_and_or_b32 v6, 0x80, v4, v5
.LBB85_711:
	s_or_b32 exec_lo, exec_lo, s49
.LBB85_712:
	s_delay_alu instid0(SALU_CYCLE_1)
	s_or_b32 exec_lo, exec_lo, s46
	global_store_b8 v[2:3], v6, off
.LBB85_713:
	s_mov_b32 s46, -1
.LBB85_714:
	s_mov_b32 s48, 0
.LBB85_715:
	s_delay_alu instid0(SALU_CYCLE_1)
	s_and_b32 vcc_lo, exec_lo, s48
	s_cbranch_vccz .LBB85_756
; %bb.716:
	s_cmp_gt_i32 s45, 22
	s_mov_b32 s48, -1
	s_cbranch_scc0 .LBB85_748
; %bb.717:
	s_cmp_lt_i32 s45, 24
	s_mov_b32 s46, -1
	s_cbranch_scc1 .LBB85_737
; %bb.718:
	s_cmp_gt_i32 s45, 24
	s_cbranch_scc0 .LBB85_726
; %bb.719:
	s_wait_xcnt 0x0
	v_cvt_f32_f16_e32 v4, v1
	v_mov_b32_e32 v6, 0x80
	s_mov_b32 s46, exec_lo
	s_delay_alu instid0(VALU_DEP_2) | instskip(NEXT) | instid1(VALU_DEP_1)
	v_and_b32_e32 v5, 0x7fffffff, v4
	v_cmpx_gt_u32_e32 0x47800000, v5
	s_cbranch_execz .LBB85_725
; %bb.720:
	v_cmp_lt_u32_e32 vcc_lo, 0x37ffffff, v5
	s_mov_b32 s48, 0
                                        ; implicit-def: $vgpr5
	s_and_saveexec_b32 s49, vcc_lo
	s_delay_alu instid0(SALU_CYCLE_1)
	s_xor_b32 s49, exec_lo, s49
	s_cbranch_execz .LBB85_959
; %bb.721:
	v_bfe_u32 v5, v4, 21, 1
	s_mov_b32 s48, exec_lo
	s_delay_alu instid0(VALU_DEP_1) | instskip(NEXT) | instid1(VALU_DEP_1)
	v_add3_u32 v5, v4, v5, 0x88fffff
	v_lshrrev_b32_e32 v5, 21, v5
	s_and_not1_saveexec_b32 s49, s49
	s_cbranch_execnz .LBB85_960
.LBB85_722:
	s_or_b32 exec_lo, exec_lo, s49
	v_mov_b32_e32 v6, 0
	s_and_saveexec_b32 s49, s48
.LBB85_723:
	v_lshrrev_b32_e32 v4, 24, v4
	s_delay_alu instid0(VALU_DEP_1)
	v_and_or_b32 v6, 0x80, v4, v5
.LBB85_724:
	s_or_b32 exec_lo, exec_lo, s49
.LBB85_725:
	s_delay_alu instid0(SALU_CYCLE_1)
	s_or_b32 exec_lo, exec_lo, s46
	s_mov_b32 s46, 0
	global_store_b8 v[2:3], v6, off
.LBB85_726:
	s_and_b32 vcc_lo, exec_lo, s46
	s_cbranch_vccz .LBB85_736
; %bb.727:
	s_wait_xcnt 0x0
	v_cvt_f32_f16_e32 v4, v1
	s_mov_b32 s46, exec_lo
                                        ; implicit-def: $vgpr5
	s_delay_alu instid0(VALU_DEP_1) | instskip(NEXT) | instid1(VALU_DEP_1)
	v_and_b32_e32 v6, 0x7fffffff, v4
	v_cmpx_gt_u32_e32 0x43f00000, v6
	s_xor_b32 s46, exec_lo, s46
	s_cbranch_execz .LBB85_733
; %bb.728:
	s_mov_b32 s48, exec_lo
                                        ; implicit-def: $vgpr5
	v_cmpx_lt_u32_e32 0x3c7fffff, v6
	s_xor_b32 s48, exec_lo, s48
; %bb.729:
	v_bfe_u32 v5, v4, 20, 1
	s_delay_alu instid0(VALU_DEP_1) | instskip(NEXT) | instid1(VALU_DEP_1)
	v_add3_u32 v5, v4, v5, 0x407ffff
	v_and_b32_e32 v6, 0xff00000, v5
	v_lshrrev_b32_e32 v5, 20, v5
	s_delay_alu instid0(VALU_DEP_2) | instskip(NEXT) | instid1(VALU_DEP_2)
	v_cmp_ne_u32_e32 vcc_lo, 0x7f00000, v6
	v_cndmask_b32_e32 v5, 0x7e, v5, vcc_lo
; %bb.730:
	s_and_not1_saveexec_b32 s48, s48
; %bb.731:
	v_add_f32_e64 v5, 0x46800000, |v4|
; %bb.732:
	s_or_b32 exec_lo, exec_lo, s48
                                        ; implicit-def: $vgpr6
.LBB85_733:
	s_and_not1_saveexec_b32 s46, s46
; %bb.734:
	v_mov_b32_e32 v5, 0x7f
	v_cmp_lt_u32_e32 vcc_lo, 0x7f800000, v6
	s_delay_alu instid0(VALU_DEP_2)
	v_cndmask_b32_e32 v5, 0x7e, v5, vcc_lo
; %bb.735:
	s_or_b32 exec_lo, exec_lo, s46
	v_lshrrev_b32_e32 v4, 24, v4
	s_delay_alu instid0(VALU_DEP_1)
	v_and_or_b32 v4, 0x80, v4, v5
	global_store_b8 v[2:3], v4, off
.LBB85_736:
	s_mov_b32 s46, 0
.LBB85_737:
	s_delay_alu instid0(SALU_CYCLE_1)
	s_and_not1_b32 vcc_lo, exec_lo, s46
	s_cbranch_vccnz .LBB85_747
; %bb.738:
	s_wait_xcnt 0x0
	v_cvt_f32_f16_e32 v4, v1
	s_mov_b32 s46, exec_lo
                                        ; implicit-def: $vgpr5
	s_delay_alu instid0(VALU_DEP_1) | instskip(NEXT) | instid1(VALU_DEP_1)
	v_and_b32_e32 v6, 0x7fffffff, v4
	v_cmpx_gt_u32_e32 0x47800000, v6
	s_xor_b32 s46, exec_lo, s46
	s_cbranch_execz .LBB85_744
; %bb.739:
	s_mov_b32 s48, exec_lo
                                        ; implicit-def: $vgpr5
	v_cmpx_lt_u32_e32 0x387fffff, v6
	s_xor_b32 s48, exec_lo, s48
; %bb.740:
	v_bfe_u32 v5, v4, 21, 1
	s_delay_alu instid0(VALU_DEP_1) | instskip(NEXT) | instid1(VALU_DEP_1)
	v_add3_u32 v5, v4, v5, 0x80fffff
	v_lshrrev_b32_e32 v5, 21, v5
; %bb.741:
	s_and_not1_saveexec_b32 s48, s48
; %bb.742:
	v_add_f32_e64 v5, 0x43000000, |v4|
; %bb.743:
	s_or_b32 exec_lo, exec_lo, s48
                                        ; implicit-def: $vgpr6
.LBB85_744:
	s_and_not1_saveexec_b32 s46, s46
; %bb.745:
	v_mov_b32_e32 v5, 0x7f
	v_cmp_lt_u32_e32 vcc_lo, 0x7f800000, v6
	s_delay_alu instid0(VALU_DEP_2)
	v_cndmask_b32_e32 v5, 0x7c, v5, vcc_lo
; %bb.746:
	s_or_b32 exec_lo, exec_lo, s46
	v_lshrrev_b32_e32 v4, 24, v4
	s_delay_alu instid0(VALU_DEP_1)
	v_and_or_b32 v4, 0x80, v4, v5
	global_store_b8 v[2:3], v4, off
.LBB85_747:
	s_mov_b32 s48, 0
	s_mov_b32 s46, -1
.LBB85_748:
	s_and_not1_b32 vcc_lo, exec_lo, s48
	s_cbranch_vccnz .LBB85_756
; %bb.749:
	s_cmp_gt_i32 s45, 14
	s_mov_b32 s48, -1
	s_cbranch_scc0 .LBB85_753
; %bb.750:
	s_cmp_eq_u32 s45, 15
	s_mov_b32 s0, -1
	s_cbranch_scc0 .LBB85_752
; %bb.751:
	s_wait_xcnt 0x0
	v_cvt_f32_f16_e32 v4, v1
	v_cmp_o_f16_e32 vcc_lo, v1, v1
	s_mov_b32 s46, -1
	s_mov_b32 s0, 0
	s_delay_alu instid0(VALU_DEP_2) | instskip(NEXT) | instid1(VALU_DEP_1)
	v_bfe_u32 v5, v4, 16, 1
	v_add3_u32 v4, v4, v5, 0x7fff
	s_delay_alu instid0(VALU_DEP_1) | instskip(NEXT) | instid1(VALU_DEP_1)
	v_lshrrev_b32_e32 v4, 16, v4
	v_cndmask_b32_e32 v4, 0x7fc0, v4, vcc_lo
	global_store_b16 v[2:3], v4, off
.LBB85_752:
	s_mov_b32 s48, 0
.LBB85_753:
	s_delay_alu instid0(SALU_CYCLE_1)
	s_and_b32 vcc_lo, exec_lo, s48
	s_cbranch_vccz .LBB85_756
; %bb.754:
	s_cmp_eq_u32 s45, 11
	s_mov_b32 s0, -1
	s_cbranch_scc0 .LBB85_756
; %bb.755:
	s_wait_xcnt 0x0
	v_and_b32_e32 v4, 0x7fff, v1
	s_mov_b32 s0, 0
	s_mov_b32 s46, -1
	s_delay_alu instid0(VALU_DEP_1)
	v_cmp_ne_u16_e32 vcc_lo, 0, v4
	v_cndmask_b32_e64 v4, 0, 1, vcc_lo
	global_store_b8 v[2:3], v4, off
.LBB85_756:
	s_mov_b32 s45, 0
.LBB85_757:
	s_delay_alu instid0(SALU_CYCLE_1)
	s_and_b32 vcc_lo, exec_lo, s45
	s_cbranch_vccz .LBB85_796
; %bb.758:
	s_and_b32 s44, 0xffff, s44
	s_mov_b32 s45, -1
	s_cmp_lt_i32 s44, 5
	s_cbranch_scc1 .LBB85_779
; %bb.759:
	s_cmp_lt_i32 s44, 8
	s_cbranch_scc1 .LBB85_769
; %bb.760:
	;; [unrolled: 3-line block ×3, first 2 shown]
	s_cmp_gt_i32 s44, 9
	s_cbranch_scc0 .LBB85_763
; %bb.762:
	s_wait_xcnt 0x0
	v_cvt_f32_f16_e32 v4, v1
	v_mov_b32_e32 v6, 0
	s_mov_b32 s45, 0
	s_delay_alu instid0(VALU_DEP_2) | instskip(NEXT) | instid1(VALU_DEP_2)
	v_cvt_f64_f32_e32 v[4:5], v4
	v_mov_b32_e32 v7, v6
	global_store_b128 v[2:3], v[4:7], off
.LBB85_763:
	s_and_not1_b32 vcc_lo, exec_lo, s45
	s_cbranch_vccnz .LBB85_765
; %bb.764:
	s_wait_xcnt 0x0
	v_cvt_f32_f16_e32 v4, v1
	v_mov_b32_e32 v5, 0
	global_store_b64 v[2:3], v[4:5], off
.LBB85_765:
	s_mov_b32 s45, 0
.LBB85_766:
	s_delay_alu instid0(SALU_CYCLE_1)
	s_and_not1_b32 vcc_lo, exec_lo, s45
	s_cbranch_vccnz .LBB85_768
; %bb.767:
	s_wait_xcnt 0x0
	v_and_b32_e32 v4, 0xffff, v1
	global_store_b32 v[2:3], v4, off
.LBB85_768:
	s_mov_b32 s45, 0
.LBB85_769:
	s_delay_alu instid0(SALU_CYCLE_1)
	s_and_not1_b32 vcc_lo, exec_lo, s45
	s_cbranch_vccnz .LBB85_778
; %bb.770:
	s_cmp_lt_i32 s44, 6
	s_mov_b32 s45, -1
	s_cbranch_scc1 .LBB85_776
; %bb.771:
	s_cmp_gt_i32 s44, 6
	s_cbranch_scc0 .LBB85_773
; %bb.772:
	s_wait_xcnt 0x0
	v_cvt_f32_f16_e32 v4, v1
	s_mov_b32 s45, 0
	s_delay_alu instid0(VALU_DEP_1)
	v_cvt_f64_f32_e32 v[4:5], v4
	global_store_b64 v[2:3], v[4:5], off
.LBB85_773:
	s_and_not1_b32 vcc_lo, exec_lo, s45
	s_cbranch_vccnz .LBB85_775
; %bb.774:
	s_wait_xcnt 0x0
	v_cvt_f32_f16_e32 v4, v1
	global_store_b32 v[2:3], v4, off
.LBB85_775:
	s_mov_b32 s45, 0
.LBB85_776:
	s_delay_alu instid0(SALU_CYCLE_1)
	s_and_not1_b32 vcc_lo, exec_lo, s45
	s_cbranch_vccnz .LBB85_778
; %bb.777:
	global_store_b16 v[2:3], v1, off
.LBB85_778:
	s_mov_b32 s45, 0
.LBB85_779:
	s_delay_alu instid0(SALU_CYCLE_1)
	s_and_not1_b32 vcc_lo, exec_lo, s45
	s_cbranch_vccnz .LBB85_795
; %bb.780:
	s_cmp_lt_i32 s44, 2
	s_mov_b32 s45, -1
	s_cbranch_scc1 .LBB85_790
; %bb.781:
	s_cmp_lt_i32 s44, 3
	s_cbranch_scc1 .LBB85_787
; %bb.782:
	s_cmp_gt_i32 s44, 3
	s_cbranch_scc0 .LBB85_784
; %bb.783:
	s_wait_xcnt 0x0
	v_cvt_f32_f16_e32 v4, v1
	s_mov_b32 s45, 0
	s_delay_alu instid0(VALU_DEP_1) | instskip(NEXT) | instid1(VALU_DEP_1)
	v_cvt_i32_f32_e32 v4, v4
	v_ashrrev_i32_e32 v5, 31, v4
	global_store_b64 v[2:3], v[4:5], off
.LBB85_784:
	s_and_not1_b32 vcc_lo, exec_lo, s45
	s_cbranch_vccnz .LBB85_786
; %bb.785:
	s_wait_xcnt 0x0
	v_cvt_f32_f16_e32 v4, v1
	s_delay_alu instid0(VALU_DEP_1)
	v_cvt_i32_f32_e32 v4, v4
	global_store_b32 v[2:3], v4, off
.LBB85_786:
	s_mov_b32 s45, 0
.LBB85_787:
	s_delay_alu instid0(SALU_CYCLE_1)
	s_and_not1_b32 vcc_lo, exec_lo, s45
	s_cbranch_vccnz .LBB85_789
; %bb.788:
	s_wait_xcnt 0x0
	v_cvt_i16_f16_e32 v4, v1
	global_store_b16 v[2:3], v4, off
.LBB85_789:
	s_mov_b32 s45, 0
.LBB85_790:
	s_delay_alu instid0(SALU_CYCLE_1)
	s_and_not1_b32 vcc_lo, exec_lo, s45
	s_cbranch_vccnz .LBB85_795
; %bb.791:
	s_cmp_gt_i32 s44, 0
	s_mov_b32 s44, -1
	s_cbranch_scc0 .LBB85_793
; %bb.792:
	s_wait_xcnt 0x0
	v_cvt_i16_f16_e32 v4, v1
	s_mov_b32 s44, 0
	global_store_b8 v[2:3], v4, off
.LBB85_793:
	s_and_not1_b32 vcc_lo, exec_lo, s44
	s_cbranch_vccnz .LBB85_795
; %bb.794:
	s_wait_xcnt 0x0
	v_cvt_f32_f16_e32 v1, v1
	s_delay_alu instid0(VALU_DEP_1)
	v_cvt_i32_f32_e32 v1, v1
	global_store_b8 v[2:3], v1, off
.LBB85_795:
	s_mov_b32 s46, -1
.LBB85_796:
	s_delay_alu instid0(SALU_CYCLE_1)
	s_and_not1_b32 vcc_lo, exec_lo, s46
	s_cbranch_vccnz .LBB85_798
; %bb.797:
	v_add_nc_u32_e32 v0, 0x80, v0
	s_mov_b32 s48, -1
	s_branch .LBB85_800
.LBB85_798:
	s_mov_b32 s48, 0
.LBB85_799:
                                        ; implicit-def: $vgpr0
.LBB85_800:
	s_and_not1_b32 s44, s40, exec_lo
	s_and_b32 s0, s0, exec_lo
	s_and_b32 s27, s27, exec_lo
	s_or_b32 s45, s44, s0
	s_and_not1_b32 s0, s41, exec_lo
	s_and_not1_b32 s44, s42, exec_lo
	s_and_b32 s26, s26, exec_lo
	s_or_b32 s46, s0, s27
	s_or_b32 s44, s44, s26
	s_or_not1_b32 s49, s48, exec_lo
.LBB85_801:
	s_wait_xcnt 0x0
	s_or_b32 exec_lo, exec_lo, s47
	s_mov_b32 s27, 0
	s_mov_b32 s48, 0
	s_mov_b32 s26, 0
                                        ; implicit-def: $sgpr0
                                        ; implicit-def: $vgpr6_vgpr7
                                        ; implicit-def: $vgpr4
                                        ; implicit-def: $vgpr2
                                        ; implicit-def: $vgpr8
	s_and_saveexec_b32 s47, s49
	s_cbranch_execz .LBB85_1302
; %bb.802:
	s_mov_b32 s53, -1
	s_mov_b32 s49, s44
	s_mov_b32 s51, s46
	;; [unrolled: 1-line block ×3, first 2 shown]
	s_mov_b32 s48, exec_lo
	v_cmpx_gt_i32_e64 s38, v0
	s_cbranch_execz .LBB85_1206
; %bb.803:
	s_and_not1_b32 vcc_lo, exec_lo, s31
	s_cbranch_vccnz .LBB85_809
; %bb.804:
	s_and_not1_b32 vcc_lo, exec_lo, s39
	s_cbranch_vccnz .LBB85_810
; %bb.805:
	s_wait_loadcnt 0x0
	v_dual_mov_b32 v2, 0 :: v_dual_mov_b32 v1, v0
	v_dual_mov_b32 v6, 0 :: v_dual_mov_b32 v4, 0
	s_add_co_i32 s0, s37, 1
	s_mov_b64 s[26:27], 0xffffffffffffffe8
	s_and_b32 s0, s0, 30
	s_add_nc_u64 s[26:27], s[2:3], s[26:27]
.LBB85_806:                             ; =>This Inner Loop Header: Depth=1
	s_clause 0x1
	s_load_b128 s[52:55], s[26:27], 0x1c
	s_load_b64 s[50:51], s[26:27], 0x2c
	s_add_co_i32 s0, s0, -2
	s_delay_alu instid0(SALU_CYCLE_1) | instskip(SKIP_2) | instid1(VALU_DEP_1)
	s_cmp_eq_u32 s0, 0
	s_wait_kmcnt 0x0
	v_mul_hi_u32 v3, s53, v1
	v_add_nc_u32_e32 v3, v1, v3
	s_delay_alu instid0(VALU_DEP_1) | instskip(NEXT) | instid1(VALU_DEP_1)
	v_lshrrev_b32_e32 v3, s54, v3
	v_mul_hi_u32 v5, s50, v3
	v_mul_lo_u32 v7, v3, s52
	s_clause 0x1
	s_load_b128 s[56:59], s[26:27], 0xdc
	s_load_b64 s[52:53], s[26:27], 0xec
	s_wait_xcnt 0x0
	s_add_nc_u64 s[26:27], s[26:27], 24
	s_delay_alu instid0(VALU_DEP_1) | instskip(NEXT) | instid1(VALU_DEP_1)
	v_dual_add_nc_u32 v5, v3, v5 :: v_dual_sub_nc_u32 v7, v1, v7
	v_lshrrev_b32_e32 v1, s51, v5
	s_wait_kmcnt 0x0
	s_delay_alu instid0(VALU_DEP_2) | instskip(NEXT) | instid1(VALU_DEP_2)
	v_mad_u32 v2, v7, s56, v2
	v_mul_lo_u32 v5, v1, s55
	v_mad_u32 v4, v7, s58, v4
	v_mad_u32 v6, v7, s57, v6
	s_delay_alu instid0(VALU_DEP_3) | instskip(NEXT) | instid1(VALU_DEP_1)
	v_sub_nc_u32_e32 v3, v3, v5
	v_mad_u32 v2, v3, s59, v2
	s_delay_alu instid0(VALU_DEP_4) | instskip(NEXT) | instid1(VALU_DEP_4)
	v_mad_u32 v4, v3, s53, v4
	v_mad_u32 v6, v3, s52, v6
	s_cbranch_scc0 .LBB85_806
; %bb.807:
	s_bitcmp1_b32 s37, 0
	s_cselect_b32 s0, -1, 0
	s_delay_alu instid0(SALU_CYCLE_1)
	s_and_b32 vcc_lo, exec_lo, s0
	s_cbranch_vccnz .LBB85_811
; %bb.808:
	s_clause 0x1
	s_load_b96 s[52:54], s[26:27], 0x1c
	s_load_b96 s[56:58], s[26:27], 0xdc
	s_wait_kmcnt 0x0
	v_mul_hi_u32 v3, s53, v1
	s_delay_alu instid0(VALU_DEP_1) | instskip(NEXT) | instid1(VALU_DEP_1)
	v_add_nc_u32_e32 v3, v1, v3
	v_lshrrev_b32_e32 v3, s54, v3
	s_delay_alu instid0(VALU_DEP_1) | instskip(NEXT) | instid1(VALU_DEP_1)
	v_mul_lo_u32 v3, v3, s52
	v_sub_nc_u32_e32 v1, v1, v3
	s_delay_alu instid0(VALU_DEP_1)
	v_mad_u32 v2, v1, s56, v2
	v_mad_u32 v6, v1, s57, v6
	;; [unrolled: 1-line block ×3, first 2 shown]
	s_branch .LBB85_811
.LBB85_809:
	s_mov_b32 s0, -1
                                        ; implicit-def: $vgpr4
                                        ; implicit-def: $vgpr6
                                        ; implicit-def: $vgpr2
	s_branch .LBB85_812
.LBB85_810:
	v_dual_mov_b32 v4, 0 :: v_dual_mov_b32 v6, 0
	v_mov_b32_e32 v2, 0
.LBB85_811:
	s_mov_b32 s0, 0
.LBB85_812:
	s_delay_alu instid0(SALU_CYCLE_1)
	s_and_not1_b32 vcc_lo, exec_lo, s0
	s_cbranch_vccnz .LBB85_815
; %bb.813:
	s_wait_loadcnt 0x0
	v_mov_b32_e32 v1, 0
	s_and_not1_b32 vcc_lo, exec_lo, s36
	s_delay_alu instid0(VALU_DEP_1) | instskip(NEXT) | instid1(VALU_DEP_1)
	v_mul_u64_e32 v[2:3], s[20:21], v[0:1]
	v_add_nc_u32_e32 v2, v0, v3
	s_delay_alu instid0(VALU_DEP_1) | instskip(NEXT) | instid1(VALU_DEP_1)
	v_lshrrev_b32_e32 v8, s14, v2
	v_mul_lo_u32 v2, v8, s12
	s_delay_alu instid0(VALU_DEP_1) | instskip(NEXT) | instid1(VALU_DEP_1)
	v_sub_nc_u32_e32 v3, v0, v2
	v_mul_lo_u32 v2, v3, s16
	v_mul_lo_u32 v4, v3, s18
	;; [unrolled: 1-line block ×3, first 2 shown]
	s_cbranch_vccnz .LBB85_815
; %bb.814:
	v_mov_b32_e32 v9, v1
	s_delay_alu instid0(VALU_DEP_1) | instskip(NEXT) | instid1(VALU_DEP_1)
	v_mul_u64_e32 v[10:11], s[24:25], v[8:9]
	v_add_nc_u32_e32 v1, v8, v11
	s_delay_alu instid0(VALU_DEP_1) | instskip(NEXT) | instid1(VALU_DEP_1)
	v_lshrrev_b32_e32 v1, s1, v1
	v_mul_lo_u32 v1, v1, s15
	s_delay_alu instid0(VALU_DEP_1) | instskip(NEXT) | instid1(VALU_DEP_1)
	v_sub_nc_u32_e32 v1, v8, v1
	v_mad_u32 v2, v1, s19, v2
	v_mad_u32 v6, v1, s22, v6
	;; [unrolled: 1-line block ×3, first 2 shown]
.LBB85_815:
	v_mov_b32_e32 v7, 0
	s_and_b32 s0, s35, 0xff
	s_delay_alu instid0(SALU_CYCLE_1) | instskip(NEXT) | instid1(VALU_DEP_1)
	s_cmp_lt_i32 s0, 11
	v_add_nc_u64_e32 v[6:7], s[6:7], v[6:7]
	s_cbranch_scc1 .LBB85_822
; %bb.816:
	s_and_b32 s27, 0xffff, s0
	s_delay_alu instid0(SALU_CYCLE_1)
	s_cmp_gt_i32 s27, 25
	s_cbranch_scc0 .LBB85_823
; %bb.817:
	s_cmp_gt_i32 s27, 28
	s_cbranch_scc0 .LBB85_824
; %bb.818:
	;; [unrolled: 3-line block ×4, first 2 shown]
	s_cmp_eq_u32 s27, 46
	s_mov_b32 s50, 0
	s_cbranch_scc0 .LBB85_829
; %bb.821:
	s_wait_loadcnt 0x0
	global_load_b32 v1, v[6:7], off
	s_mov_b32 s49, -1
	s_mov_b32 s26, 0
	s_wait_loadcnt 0x0
	v_lshlrev_b32_e32 v1, 16, v1
	s_delay_alu instid0(VALU_DEP_1)
	v_cvt_f16_f32_e32 v1, v1
	s_branch .LBB85_831
.LBB85_822:
	s_mov_b32 s27, -1
	s_mov_b32 s49, 0
	s_mov_b32 s26, s44
                                        ; implicit-def: $vgpr1
	s_branch .LBB85_896
.LBB85_823:
	s_mov_b32 s50, -1
	s_mov_b32 s49, 0
	s_mov_b32 s26, s44
                                        ; implicit-def: $vgpr1
	s_branch .LBB85_860
.LBB85_824:
	s_mov_b32 s50, -1
	s_mov_b32 s49, 0
	s_mov_b32 s26, s44
                                        ; implicit-def: $vgpr1
	s_branch .LBB85_841
.LBB85_825:
	s_mov_b32 s50, -1
	s_mov_b32 s49, 0
	s_mov_b32 s26, s44
                                        ; implicit-def: $vgpr1
	s_branch .LBB85_836
.LBB85_826:
	s_mov_b32 s50, -1
	s_mov_b32 s49, 0
	s_mov_b32 s26, s44
	s_branch .LBB85_830
.LBB85_827:
	s_and_not1_saveexec_b32 s49, s49
	s_cbranch_execz .LBB85_709
.LBB85_828:
	v_add_f32_e64 v5, 0x46000000, |v4|
	s_and_not1_b32 s48, s48, exec_lo
	s_delay_alu instid0(VALU_DEP_1) | instskip(NEXT) | instid1(VALU_DEP_1)
	v_and_b32_e32 v5, 0xff, v5
	v_cmp_ne_u32_e32 vcc_lo, 0, v5
	s_and_b32 s50, vcc_lo, exec_lo
	s_delay_alu instid0(SALU_CYCLE_1)
	s_or_b32 s48, s48, s50
	s_or_b32 exec_lo, exec_lo, s49
	v_mov_b32_e32 v6, 0
	s_and_saveexec_b32 s49, s48
	s_cbranch_execnz .LBB85_710
	s_branch .LBB85_711
.LBB85_829:
	s_mov_b32 s26, -1
	s_mov_b32 s49, 0
.LBB85_830:
                                        ; implicit-def: $vgpr1
.LBB85_831:
	s_and_b32 vcc_lo, exec_lo, s50
	s_cbranch_vccz .LBB85_835
; %bb.832:
	s_cmp_eq_u32 s27, 44
	s_cbranch_scc0 .LBB85_834
; %bb.833:
	s_wait_loadcnt 0x0
	global_load_u8 v1, v[6:7], off
	s_mov_b32 s26, 0
	s_mov_b32 s49, -1
	s_wait_loadcnt 0x0
	v_lshlrev_b32_e32 v3, 23, v1
	v_cmp_ne_u32_e32 vcc_lo, 0xff, v1
	s_delay_alu instid0(VALU_DEP_2) | instskip(NEXT) | instid1(VALU_DEP_1)
	v_cvt_f16_f32_e32 v3, v3
	v_cndmask_b32_e32 v3, 0x7e00, v3, vcc_lo
	v_cmp_ne_u32_e32 vcc_lo, 0, v1
	s_delay_alu instid0(VALU_DEP_2)
	v_cndmask_b32_e32 v1, 0, v3, vcc_lo
	s_branch .LBB85_835
.LBB85_834:
	s_mov_b32 s26, -1
                                        ; implicit-def: $vgpr1
.LBB85_835:
	s_mov_b32 s50, 0
.LBB85_836:
	s_delay_alu instid0(SALU_CYCLE_1)
	s_and_b32 vcc_lo, exec_lo, s50
	s_cbranch_vccz .LBB85_840
; %bb.837:
	s_cmp_eq_u32 s27, 29
	s_cbranch_scc0 .LBB85_839
; %bb.838:
	global_load_b64 v[8:9], v[6:7], off
	s_mov_b32 s49, -1
	s_mov_b32 s26, 0
	s_mov_b32 s50, 0
	s_wait_loadcnt 0x0
	v_clz_i32_u32_e32 v1, v9
	s_delay_alu instid0(VALU_DEP_1) | instskip(NEXT) | instid1(VALU_DEP_1)
	v_min_u32_e32 v1, 32, v1
	v_lshlrev_b64_e32 v[8:9], v1, v[8:9]
	v_sub_nc_u32_e32 v1, 32, v1
	s_delay_alu instid0(VALU_DEP_2) | instskip(NEXT) | instid1(VALU_DEP_1)
	v_min_u32_e32 v3, 1, v8
	v_or_b32_e32 v3, v9, v3
	s_delay_alu instid0(VALU_DEP_1) | instskip(NEXT) | instid1(VALU_DEP_1)
	v_cvt_f32_u32_e32 v3, v3
	v_ldexp_f32 v1, v3, v1
	s_delay_alu instid0(VALU_DEP_1)
	v_cvt_f16_f32_e32 v1, v1
	s_branch .LBB85_841
.LBB85_839:
	s_mov_b32 s26, -1
                                        ; implicit-def: $vgpr1
.LBB85_840:
	s_mov_b32 s50, 0
.LBB85_841:
	s_delay_alu instid0(SALU_CYCLE_1)
	s_and_b32 vcc_lo, exec_lo, s50
	s_cbranch_vccz .LBB85_859
; %bb.842:
	s_cmp_lt_i32 s27, 27
	s_cbranch_scc1 .LBB85_845
; %bb.843:
	s_cmp_gt_i32 s27, 27
	s_cbranch_scc0 .LBB85_846
; %bb.844:
	s_wait_loadcnt 0x0
	global_load_b32 v1, v[6:7], off
	s_mov_b32 s49, 0
	s_wait_loadcnt 0x0
	v_cvt_f32_u32_e32 v1, v1
	s_delay_alu instid0(VALU_DEP_1)
	v_cvt_f16_f32_e32 v1, v1
	s_branch .LBB85_847
.LBB85_845:
	s_mov_b32 s49, -1
                                        ; implicit-def: $vgpr1
	s_branch .LBB85_850
.LBB85_846:
	s_mov_b32 s49, -1
                                        ; implicit-def: $vgpr1
.LBB85_847:
	s_delay_alu instid0(SALU_CYCLE_1)
	s_and_not1_b32 vcc_lo, exec_lo, s49
	s_cbranch_vccnz .LBB85_849
; %bb.848:
	s_wait_loadcnt 0x0
	global_load_u16 v1, v[6:7], off
	s_wait_loadcnt 0x0
	v_cvt_f16_u16_e32 v1, v1
.LBB85_849:
	s_mov_b32 s49, 0
.LBB85_850:
	s_delay_alu instid0(SALU_CYCLE_1)
	s_and_not1_b32 vcc_lo, exec_lo, s49
	s_cbranch_vccnz .LBB85_858
; %bb.851:
	s_wait_loadcnt 0x0
	global_load_u8 v3, v[6:7], off
	s_mov_b32 s49, 0
	s_mov_b32 s50, exec_lo
	s_wait_loadcnt 0x0
	v_cmpx_lt_i16_e32 0x7f, v3
	s_xor_b32 s50, exec_lo, s50
	s_cbranch_execz .LBB85_872
; %bb.852:
	s_mov_b32 s49, -1
	s_mov_b32 s51, exec_lo
	v_cmpx_eq_u16_e32 0x80, v3
; %bb.853:
	s_xor_b32 s49, exec_lo, -1
; %bb.854:
	s_or_b32 exec_lo, exec_lo, s51
	s_delay_alu instid0(SALU_CYCLE_1)
	s_and_b32 s49, s49, exec_lo
	s_or_saveexec_b32 s50, s50
	v_mov_b32_e32 v1, 0x7e00
	s_xor_b32 exec_lo, exec_lo, s50
	s_cbranch_execnz .LBB85_873
.LBB85_855:
	s_or_b32 exec_lo, exec_lo, s50
	s_and_saveexec_b32 s50, s49
	s_cbranch_execz .LBB85_857
.LBB85_856:
	v_and_b32_e32 v1, 0xffff, v3
	s_delay_alu instid0(VALU_DEP_1) | instskip(SKIP_1) | instid1(VALU_DEP_2)
	v_and_b32_e32 v5, 7, v1
	v_bfe_u32 v10, v1, 3, 4
	v_clz_i32_u32_e32 v8, v5
	s_delay_alu instid0(VALU_DEP_2) | instskip(NEXT) | instid1(VALU_DEP_2)
	v_cmp_eq_u32_e32 vcc_lo, 0, v10
	v_min_u32_e32 v8, 32, v8
	s_delay_alu instid0(VALU_DEP_1) | instskip(NEXT) | instid1(VALU_DEP_1)
	v_subrev_nc_u32_e32 v9, 28, v8
	v_dual_lshlrev_b32 v1, v9, v1 :: v_dual_sub_nc_u32 v8, 29, v8
	s_delay_alu instid0(VALU_DEP_1) | instskip(NEXT) | instid1(VALU_DEP_1)
	v_dual_lshlrev_b32 v3, 24, v3 :: v_dual_bitop2_b32 v1, 7, v1 bitop3:0x40
	v_dual_cndmask_b32 v8, v10, v8 :: v_dual_cndmask_b32 v1, v5, v1
	s_delay_alu instid0(VALU_DEP_2) | instskip(NEXT) | instid1(VALU_DEP_2)
	v_and_b32_e32 v3, 0x80000000, v3
	v_lshl_add_u32 v5, v8, 23, 0x3b800000
	s_delay_alu instid0(VALU_DEP_3) | instskip(NEXT) | instid1(VALU_DEP_1)
	v_lshlrev_b32_e32 v1, 20, v1
	v_or3_b32 v1, v3, v5, v1
	s_delay_alu instid0(VALU_DEP_1)
	v_cvt_f16_f32_e32 v1, v1
.LBB85_857:
	s_or_b32 exec_lo, exec_lo, s50
.LBB85_858:
	s_mov_b32 s49, -1
.LBB85_859:
	s_mov_b32 s50, 0
.LBB85_860:
	s_delay_alu instid0(SALU_CYCLE_1)
	s_and_b32 vcc_lo, exec_lo, s50
	s_cbranch_vccz .LBB85_895
; %bb.861:
	s_cmp_gt_i32 s27, 22
	s_cbranch_scc0 .LBB85_871
; %bb.862:
	s_cmp_lt_i32 s27, 24
	s_cbranch_scc1 .LBB85_874
; %bb.863:
	s_cmp_gt_i32 s27, 24
	s_cbranch_scc0 .LBB85_875
; %bb.864:
	s_wait_loadcnt 0x0
	global_load_u8 v3, v[6:7], off
	s_mov_b32 s49, 0
	s_mov_b32 s50, exec_lo
	s_wait_loadcnt 0x0
	v_cmpx_lt_i16_e32 0x7f, v3
	s_xor_b32 s50, exec_lo, s50
	s_cbranch_execz .LBB85_887
; %bb.865:
	s_mov_b32 s49, -1
	s_mov_b32 s51, exec_lo
	v_cmpx_eq_u16_e32 0x80, v3
; %bb.866:
	s_xor_b32 s49, exec_lo, -1
; %bb.867:
	s_or_b32 exec_lo, exec_lo, s51
	s_delay_alu instid0(SALU_CYCLE_1)
	s_and_b32 s49, s49, exec_lo
	s_or_saveexec_b32 s50, s50
	v_mov_b32_e32 v1, 0x7e00
	s_xor_b32 exec_lo, exec_lo, s50
	s_cbranch_execnz .LBB85_888
.LBB85_868:
	s_or_b32 exec_lo, exec_lo, s50
	s_and_saveexec_b32 s50, s49
	s_cbranch_execz .LBB85_870
.LBB85_869:
	v_and_b32_e32 v1, 0xffff, v3
	s_delay_alu instid0(VALU_DEP_1) | instskip(SKIP_1) | instid1(VALU_DEP_2)
	v_and_b32_e32 v5, 3, v1
	v_bfe_u32 v10, v1, 2, 5
	v_clz_i32_u32_e32 v8, v5
	s_delay_alu instid0(VALU_DEP_2) | instskip(NEXT) | instid1(VALU_DEP_2)
	v_cmp_eq_u32_e32 vcc_lo, 0, v10
	v_min_u32_e32 v8, 32, v8
	s_delay_alu instid0(VALU_DEP_1) | instskip(NEXT) | instid1(VALU_DEP_1)
	v_subrev_nc_u32_e32 v9, 29, v8
	v_dual_lshlrev_b32 v1, v9, v1 :: v_dual_sub_nc_u32 v8, 30, v8
	s_delay_alu instid0(VALU_DEP_1) | instskip(NEXT) | instid1(VALU_DEP_1)
	v_dual_lshlrev_b32 v3, 24, v3 :: v_dual_bitop2_b32 v1, 3, v1 bitop3:0x40
	v_dual_cndmask_b32 v8, v10, v8 :: v_dual_cndmask_b32 v1, v5, v1
	s_delay_alu instid0(VALU_DEP_2) | instskip(NEXT) | instid1(VALU_DEP_2)
	v_and_b32_e32 v3, 0x80000000, v3
	v_lshl_add_u32 v5, v8, 23, 0x37800000
	s_delay_alu instid0(VALU_DEP_3) | instskip(NEXT) | instid1(VALU_DEP_1)
	v_lshlrev_b32_e32 v1, 21, v1
	v_or3_b32 v1, v3, v5, v1
	s_delay_alu instid0(VALU_DEP_1)
	v_cvt_f16_f32_e32 v1, v1
.LBB85_870:
	s_or_b32 exec_lo, exec_lo, s50
	s_mov_b32 s49, 0
	s_branch .LBB85_876
.LBB85_871:
	s_mov_b32 s50, -1
                                        ; implicit-def: $vgpr1
	s_branch .LBB85_882
.LBB85_872:
	s_or_saveexec_b32 s50, s50
	v_mov_b32_e32 v1, 0x7e00
	s_xor_b32 exec_lo, exec_lo, s50
	s_cbranch_execz .LBB85_855
.LBB85_873:
	v_cmp_ne_u16_e32 vcc_lo, 0, v3
	v_mov_b32_e32 v1, v3
	s_and_not1_b32 s49, s49, exec_lo
	s_and_b32 s51, vcc_lo, exec_lo
	s_delay_alu instid0(SALU_CYCLE_1)
	s_or_b32 s49, s49, s51
	s_or_b32 exec_lo, exec_lo, s50
	s_and_saveexec_b32 s50, s49
	s_cbranch_execnz .LBB85_856
	s_branch .LBB85_857
.LBB85_874:
	s_mov_b32 s49, -1
                                        ; implicit-def: $vgpr1
	s_branch .LBB85_879
.LBB85_875:
	s_mov_b32 s49, -1
                                        ; implicit-def: $vgpr1
.LBB85_876:
	s_delay_alu instid0(SALU_CYCLE_1)
	s_and_b32 vcc_lo, exec_lo, s49
	s_cbranch_vccz .LBB85_878
; %bb.877:
	s_wait_loadcnt 0x0
	global_load_u8 v1, v[6:7], off
	s_wait_loadcnt 0x0
	v_lshlrev_b32_e32 v1, 24, v1
	s_delay_alu instid0(VALU_DEP_1) | instskip(NEXT) | instid1(VALU_DEP_1)
	v_and_b32_e32 v3, 0x7f000000, v1
	v_clz_i32_u32_e32 v5, v3
	v_add_nc_u32_e32 v9, 0x1000000, v3
	v_cmp_ne_u32_e32 vcc_lo, 0, v3
	s_delay_alu instid0(VALU_DEP_3) | instskip(NEXT) | instid1(VALU_DEP_1)
	v_min_u32_e32 v5, 32, v5
	v_sub_nc_u32_e64 v5, v5, 4 clamp
	s_delay_alu instid0(VALU_DEP_1) | instskip(NEXT) | instid1(VALU_DEP_1)
	v_dual_lshlrev_b32 v8, v5, v3 :: v_dual_lshlrev_b32 v5, 23, v5
	v_lshrrev_b32_e32 v8, 4, v8
	s_delay_alu instid0(VALU_DEP_1) | instskip(SKIP_1) | instid1(VALU_DEP_2)
	v_sub_nc_u32_e32 v5, v8, v5
	v_ashrrev_i32_e32 v8, 8, v9
	v_add_nc_u32_e32 v5, 0x3c000000, v5
	s_delay_alu instid0(VALU_DEP_1) | instskip(NEXT) | instid1(VALU_DEP_1)
	v_and_or_b32 v5, 0x7f800000, v8, v5
	v_cndmask_b32_e32 v3, 0, v5, vcc_lo
	s_delay_alu instid0(VALU_DEP_1) | instskip(NEXT) | instid1(VALU_DEP_1)
	v_and_or_b32 v1, 0x80000000, v1, v3
	v_cvt_f16_f32_e32 v1, v1
.LBB85_878:
	s_mov_b32 s49, 0
.LBB85_879:
	s_delay_alu instid0(SALU_CYCLE_1)
	s_and_not1_b32 vcc_lo, exec_lo, s49
	s_cbranch_vccnz .LBB85_881
; %bb.880:
	s_wait_loadcnt 0x0
	global_load_u8 v1, v[6:7], off
	s_wait_loadcnt 0x0
	v_lshlrev_b32_e32 v3, 25, v1
	v_lshlrev_b16 v1, 8, v1
	s_delay_alu instid0(VALU_DEP_1) | instskip(SKIP_1) | instid1(VALU_DEP_2)
	v_and_or_b32 v8, 0x7f00, v1, 0.5
	v_bfe_i32 v1, v1, 0, 16
	v_dual_add_f32 v8, -0.5, v8 :: v_dual_lshrrev_b32 v5, 4, v3
	v_cmp_gt_u32_e32 vcc_lo, 0x8000000, v3
	s_delay_alu instid0(VALU_DEP_2) | instskip(NEXT) | instid1(VALU_DEP_1)
	v_or_b32_e32 v5, 0x70000000, v5
	v_mul_f32_e32 v5, 0x7800000, v5
	s_delay_alu instid0(VALU_DEP_1) | instskip(NEXT) | instid1(VALU_DEP_1)
	v_cndmask_b32_e32 v3, v5, v8, vcc_lo
	v_and_or_b32 v1, 0x80000000, v1, v3
	s_delay_alu instid0(VALU_DEP_1)
	v_cvt_f16_f32_e32 v1, v1
.LBB85_881:
	s_mov_b32 s50, 0
	s_mov_b32 s49, -1
.LBB85_882:
	s_and_not1_b32 vcc_lo, exec_lo, s50
	s_cbranch_vccnz .LBB85_895
; %bb.883:
	s_cmp_gt_i32 s27, 14
	s_cbranch_scc0 .LBB85_886
; %bb.884:
	s_cmp_eq_u32 s27, 15
	s_cbranch_scc0 .LBB85_889
; %bb.885:
	s_wait_loadcnt 0x0
	global_load_u16 v1, v[6:7], off
	s_mov_b32 s49, -1
	s_mov_b32 s26, 0
	s_wait_loadcnt 0x0
	v_lshlrev_b32_e32 v1, 16, v1
	s_delay_alu instid0(VALU_DEP_1)
	v_cvt_f16_f32_e32 v1, v1
	s_branch .LBB85_890
.LBB85_886:
	s_mov_b32 s50, -1
                                        ; implicit-def: $vgpr1
	s_branch .LBB85_891
.LBB85_887:
	s_or_saveexec_b32 s50, s50
	v_mov_b32_e32 v1, 0x7e00
	s_xor_b32 exec_lo, exec_lo, s50
	s_cbranch_execz .LBB85_868
.LBB85_888:
	v_cmp_ne_u16_e32 vcc_lo, 0, v3
	v_mov_b32_e32 v1, v3
	s_and_not1_b32 s49, s49, exec_lo
	s_and_b32 s51, vcc_lo, exec_lo
	s_delay_alu instid0(SALU_CYCLE_1)
	s_or_b32 s49, s49, s51
	s_or_b32 exec_lo, exec_lo, s50
	s_and_saveexec_b32 s50, s49
	s_cbranch_execnz .LBB85_869
	s_branch .LBB85_870
.LBB85_889:
	s_mov_b32 s26, -1
                                        ; implicit-def: $vgpr1
.LBB85_890:
	s_mov_b32 s50, 0
.LBB85_891:
	s_delay_alu instid0(SALU_CYCLE_1)
	s_and_b32 vcc_lo, exec_lo, s50
	s_cbranch_vccz .LBB85_895
; %bb.892:
	s_cmp_eq_u32 s27, 11
	s_cbranch_scc0 .LBB85_894
; %bb.893:
	s_wait_loadcnt 0x0
	global_load_u8 v1, v[6:7], off
	s_mov_b32 s26, 0
	s_mov_b32 s49, -1
	s_wait_loadcnt 0x0
	v_cmp_ne_u16_e32 vcc_lo, 0, v1
	v_cndmask_b32_e64 v1, 0, 0x3c00, vcc_lo
	s_branch .LBB85_895
.LBB85_894:
	s_mov_b32 s26, -1
                                        ; implicit-def: $vgpr1
.LBB85_895:
	s_mov_b32 s27, 0
.LBB85_896:
	s_delay_alu instid0(SALU_CYCLE_1)
	s_and_b32 vcc_lo, exec_lo, s27
	s_cbranch_vccz .LBB85_945
; %bb.897:
	s_and_b32 s0, 0xffff, s0
	s_delay_alu instid0(SALU_CYCLE_1)
	s_cmp_lt_i32 s0, 5
	s_cbranch_scc1 .LBB85_902
; %bb.898:
	s_cmp_lt_i32 s0, 8
	s_cbranch_scc1 .LBB85_903
; %bb.899:
	;; [unrolled: 3-line block ×3, first 2 shown]
	s_cmp_gt_i32 s0, 9
	s_cbranch_scc0 .LBB85_905
; %bb.901:
	global_load_b64 v[8:9], v[6:7], off
	s_mov_b32 s27, 0
	s_wait_loadcnt 0x0
	v_and_or_b32 v1, 0x1ff, v9, v8
	v_lshrrev_b32_e32 v3, 8, v9
	v_bfe_u32 v5, v9, 20, 11
	s_delay_alu instid0(VALU_DEP_3) | instskip(NEXT) | instid1(VALU_DEP_2)
	v_cmp_ne_u32_e32 vcc_lo, 0, v1
	v_sub_nc_u32_e32 v8, 0x3f1, v5
	v_add_nc_u32_e32 v5, 0xfffffc10, v5
	v_cndmask_b32_e64 v1, 0, 1, vcc_lo
	s_delay_alu instid0(VALU_DEP_1) | instskip(NEXT) | instid1(VALU_DEP_4)
	v_and_or_b32 v1, 0xffe, v3, v1
	v_med3_i32 v3, v8, 0, 13
	s_delay_alu instid0(VALU_DEP_2) | instskip(NEXT) | instid1(VALU_DEP_1)
	v_or_b32_e32 v8, 0x1000, v1
	v_lshrrev_b32_e32 v10, v3, v8
	s_delay_alu instid0(VALU_DEP_1) | instskip(NEXT) | instid1(VALU_DEP_1)
	v_lshlrev_b32_e32 v3, v3, v10
	v_cmp_ne_u32_e32 vcc_lo, v3, v8
	v_lshl_or_b32 v8, v5, 12, v1
	v_cndmask_b32_e64 v3, 0, 1, vcc_lo
	v_cmp_gt_i32_e32 vcc_lo, 1, v5
	s_delay_alu instid0(VALU_DEP_2) | instskip(NEXT) | instid1(VALU_DEP_1)
	v_or_b32_e32 v3, v10, v3
	v_cndmask_b32_e32 v3, v8, v3, vcc_lo
	s_delay_alu instid0(VALU_DEP_1) | instskip(NEXT) | instid1(VALU_DEP_1)
	v_dual_lshrrev_b32 v3, 2, v3 :: v_dual_bitop2_b32 v8, 7, v3 bitop3:0x40
	v_cmp_lt_i32_e32 vcc_lo, 5, v8
	v_cndmask_b32_e64 v10, 0, 1, vcc_lo
	v_cmp_eq_u32_e32 vcc_lo, 3, v8
	v_cndmask_b32_e64 v8, 0, 1, vcc_lo
	v_cmp_ne_u32_e32 vcc_lo, 0, v1
	s_delay_alu instid0(VALU_DEP_2) | instskip(NEXT) | instid1(VALU_DEP_1)
	v_or_b32_e32 v8, v8, v10
	v_dual_mov_b32 v10, 0x7e00 :: v_dual_add_nc_u32 v3, v3, v8
	s_delay_alu instid0(VALU_DEP_1) | instskip(SKIP_1) | instid1(VALU_DEP_3)
	v_cndmask_b32_e32 v1, 0x7c00, v10, vcc_lo
	v_cmp_gt_i32_e32 vcc_lo, 31, v5
	v_cndmask_b32_e32 v3, 0x7c00, v3, vcc_lo
	v_cmp_eq_u32_e32 vcc_lo, 0x40f, v5
	s_delay_alu instid0(VALU_DEP_2) | instskip(SKIP_1) | instid1(VALU_DEP_1)
	v_cndmask_b32_e32 v1, v3, v1, vcc_lo
	v_lshrrev_b32_e32 v3, 16, v9
	v_and_or_b32 v1, 0x8000, v3, v1
	s_branch .LBB85_906
.LBB85_902:
	s_mov_b32 s27, -1
                                        ; implicit-def: $vgpr1
	s_branch .LBB85_924
.LBB85_903:
	s_mov_b32 s27, -1
                                        ; implicit-def: $vgpr1
	s_branch .LBB85_912
.LBB85_904:
	s_mov_b32 s27, -1
                                        ; implicit-def: $vgpr1
	s_branch .LBB85_909
.LBB85_905:
	s_mov_b32 s27, -1
                                        ; implicit-def: $vgpr1
.LBB85_906:
	s_delay_alu instid0(SALU_CYCLE_1)
	s_and_not1_b32 vcc_lo, exec_lo, s27
	s_cbranch_vccnz .LBB85_908
; %bb.907:
	s_wait_loadcnt 0x0
	global_load_b32 v1, v[6:7], off
	s_wait_loadcnt 0x0
	v_cvt_f16_f32_e32 v1, v1
.LBB85_908:
	s_mov_b32 s27, 0
.LBB85_909:
	s_delay_alu instid0(SALU_CYCLE_1)
	s_and_not1_b32 vcc_lo, exec_lo, s27
	s_cbranch_vccnz .LBB85_911
; %bb.910:
	s_wait_loadcnt 0x0
	global_load_b32 v1, v[6:7], off
.LBB85_911:
	s_mov_b32 s27, 0
.LBB85_912:
	s_delay_alu instid0(SALU_CYCLE_1)
	s_and_not1_b32 vcc_lo, exec_lo, s27
	s_cbranch_vccnz .LBB85_923
; %bb.913:
	s_cmp_lt_i32 s0, 6
	s_cbranch_scc1 .LBB85_916
; %bb.914:
	s_cmp_gt_i32 s0, 6
	s_cbranch_scc0 .LBB85_917
; %bb.915:
	global_load_b64 v[8:9], v[6:7], off
	s_mov_b32 s27, 0
	s_wait_loadcnt 0x0
	v_and_or_b32 v1, 0x1ff, v9, v8
	v_lshrrev_b32_e32 v3, 8, v9
	v_bfe_u32 v5, v9, 20, 11
	s_delay_alu instid0(VALU_DEP_3) | instskip(NEXT) | instid1(VALU_DEP_2)
	v_cmp_ne_u32_e32 vcc_lo, 0, v1
	v_sub_nc_u32_e32 v8, 0x3f1, v5
	v_add_nc_u32_e32 v5, 0xfffffc10, v5
	v_cndmask_b32_e64 v1, 0, 1, vcc_lo
	s_delay_alu instid0(VALU_DEP_1) | instskip(NEXT) | instid1(VALU_DEP_4)
	v_and_or_b32 v1, 0xffe, v3, v1
	v_med3_i32 v3, v8, 0, 13
	s_delay_alu instid0(VALU_DEP_2) | instskip(NEXT) | instid1(VALU_DEP_1)
	v_or_b32_e32 v8, 0x1000, v1
	v_lshrrev_b32_e32 v10, v3, v8
	s_delay_alu instid0(VALU_DEP_1) | instskip(NEXT) | instid1(VALU_DEP_1)
	v_lshlrev_b32_e32 v3, v3, v10
	v_cmp_ne_u32_e32 vcc_lo, v3, v8
	v_lshl_or_b32 v8, v5, 12, v1
	v_cndmask_b32_e64 v3, 0, 1, vcc_lo
	v_cmp_gt_i32_e32 vcc_lo, 1, v5
	s_delay_alu instid0(VALU_DEP_2) | instskip(NEXT) | instid1(VALU_DEP_1)
	v_or_b32_e32 v3, v10, v3
	v_cndmask_b32_e32 v3, v8, v3, vcc_lo
	s_delay_alu instid0(VALU_DEP_1) | instskip(NEXT) | instid1(VALU_DEP_1)
	v_dual_lshrrev_b32 v3, 2, v3 :: v_dual_bitop2_b32 v8, 7, v3 bitop3:0x40
	v_cmp_lt_i32_e32 vcc_lo, 5, v8
	v_cndmask_b32_e64 v10, 0, 1, vcc_lo
	v_cmp_eq_u32_e32 vcc_lo, 3, v8
	v_cndmask_b32_e64 v8, 0, 1, vcc_lo
	v_cmp_ne_u32_e32 vcc_lo, 0, v1
	s_delay_alu instid0(VALU_DEP_2) | instskip(NEXT) | instid1(VALU_DEP_1)
	v_or_b32_e32 v8, v8, v10
	v_dual_mov_b32 v10, 0x7e00 :: v_dual_add_nc_u32 v3, v3, v8
	s_delay_alu instid0(VALU_DEP_1) | instskip(SKIP_1) | instid1(VALU_DEP_3)
	v_cndmask_b32_e32 v1, 0x7c00, v10, vcc_lo
	v_cmp_gt_i32_e32 vcc_lo, 31, v5
	v_cndmask_b32_e32 v3, 0x7c00, v3, vcc_lo
	v_cmp_eq_u32_e32 vcc_lo, 0x40f, v5
	s_delay_alu instid0(VALU_DEP_2) | instskip(SKIP_1) | instid1(VALU_DEP_1)
	v_cndmask_b32_e32 v1, v3, v1, vcc_lo
	v_lshrrev_b32_e32 v3, 16, v9
	v_and_or_b32 v1, 0x8000, v3, v1
	s_branch .LBB85_918
.LBB85_916:
	s_mov_b32 s27, -1
                                        ; implicit-def: $vgpr1
	s_branch .LBB85_921
.LBB85_917:
	s_mov_b32 s27, -1
                                        ; implicit-def: $vgpr1
.LBB85_918:
	s_delay_alu instid0(SALU_CYCLE_1)
	s_and_not1_b32 vcc_lo, exec_lo, s27
	s_cbranch_vccnz .LBB85_920
; %bb.919:
	s_wait_loadcnt 0x0
	global_load_b32 v1, v[6:7], off
	s_wait_loadcnt 0x0
	v_cvt_f16_f32_e32 v1, v1
.LBB85_920:
	s_mov_b32 s27, 0
.LBB85_921:
	s_delay_alu instid0(SALU_CYCLE_1)
	s_and_not1_b32 vcc_lo, exec_lo, s27
	s_cbranch_vccnz .LBB85_923
; %bb.922:
	s_wait_loadcnt 0x0
	global_load_u16 v1, v[6:7], off
.LBB85_923:
	s_mov_b32 s27, 0
.LBB85_924:
	s_delay_alu instid0(SALU_CYCLE_1)
	s_and_not1_b32 vcc_lo, exec_lo, s27
	s_cbranch_vccnz .LBB85_944
; %bb.925:
	s_cmp_lt_i32 s0, 2
	s_cbranch_scc1 .LBB85_929
; %bb.926:
	s_cmp_lt_i32 s0, 3
	s_cbranch_scc1 .LBB85_930
; %bb.927:
	s_cmp_gt_i32 s0, 3
	s_cbranch_scc0 .LBB85_931
; %bb.928:
	global_load_b64 v[8:9], v[6:7], off
	s_mov_b32 s27, 0
	s_wait_loadcnt 0x0
	v_xor_b32_e32 v1, v8, v9
	v_cls_i32_e32 v3, v9
	s_delay_alu instid0(VALU_DEP_2) | instskip(NEXT) | instid1(VALU_DEP_1)
	v_ashrrev_i32_e32 v1, 31, v1
	v_add_nc_u32_e32 v1, 32, v1
	s_delay_alu instid0(VALU_DEP_1) | instskip(NEXT) | instid1(VALU_DEP_1)
	v_add_min_u32_e64 v1, v3, -1, v1
	v_lshlrev_b64_e32 v[8:9], v1, v[8:9]
	v_sub_nc_u32_e32 v1, 32, v1
	s_delay_alu instid0(VALU_DEP_2) | instskip(NEXT) | instid1(VALU_DEP_1)
	v_min_u32_e32 v3, 1, v8
	v_or_b32_e32 v3, v9, v3
	s_delay_alu instid0(VALU_DEP_1) | instskip(NEXT) | instid1(VALU_DEP_1)
	v_cvt_f32_i32_e32 v3, v3
	v_ldexp_f32 v1, v3, v1
	s_delay_alu instid0(VALU_DEP_1)
	v_cvt_f16_f32_e32 v1, v1
	s_branch .LBB85_932
.LBB85_929:
	s_mov_b32 s27, -1
                                        ; implicit-def: $vgpr1
	s_branch .LBB85_938
.LBB85_930:
	s_mov_b32 s27, -1
                                        ; implicit-def: $vgpr1
	s_branch .LBB85_935
.LBB85_931:
	s_mov_b32 s27, -1
                                        ; implicit-def: $vgpr1
.LBB85_932:
	s_delay_alu instid0(SALU_CYCLE_1)
	s_and_not1_b32 vcc_lo, exec_lo, s27
	s_cbranch_vccnz .LBB85_934
; %bb.933:
	s_wait_loadcnt 0x0
	global_load_b32 v1, v[6:7], off
	s_wait_loadcnt 0x0
	v_cvt_f32_i32_e32 v1, v1
	s_delay_alu instid0(VALU_DEP_1)
	v_cvt_f16_f32_e32 v1, v1
.LBB85_934:
	s_mov_b32 s27, 0
.LBB85_935:
	s_delay_alu instid0(SALU_CYCLE_1)
	s_and_not1_b32 vcc_lo, exec_lo, s27
	s_cbranch_vccnz .LBB85_937
; %bb.936:
	s_wait_loadcnt 0x0
	global_load_u16 v1, v[6:7], off
	s_wait_loadcnt 0x0
	v_cvt_f16_i16_e32 v1, v1
.LBB85_937:
	s_mov_b32 s27, 0
.LBB85_938:
	s_delay_alu instid0(SALU_CYCLE_1)
	s_and_not1_b32 vcc_lo, exec_lo, s27
	s_cbranch_vccnz .LBB85_944
; %bb.939:
	s_cmp_gt_i32 s0, 0
	s_mov_b32 s0, 0
	s_cbranch_scc0 .LBB85_941
; %bb.940:
	s_wait_loadcnt 0x0
	global_load_i8 v1, v[6:7], off
	s_wait_loadcnt 0x0
	v_cvt_f16_i16_e32 v1, v1
	s_branch .LBB85_942
.LBB85_941:
	s_mov_b32 s0, -1
                                        ; implicit-def: $vgpr1
.LBB85_942:
	s_delay_alu instid0(SALU_CYCLE_1)
	s_and_not1_b32 vcc_lo, exec_lo, s0
	s_cbranch_vccnz .LBB85_944
; %bb.943:
	s_wait_loadcnt 0x0
	global_load_u8 v1, v[6:7], off
	s_wait_loadcnt 0x0
	v_cvt_f16_u16_e32 v1, v1
.LBB85_944:
	s_mov_b32 s49, -1
.LBB85_945:
	s_delay_alu instid0(SALU_CYCLE_1)
	s_and_not1_b32 vcc_lo, exec_lo, s49
	s_cbranch_vccnz .LBB85_953
; %bb.946:
	v_mov_b32_e32 v5, 0
	s_and_b32 s0, s13, 0xff
	s_delay_alu instid0(SALU_CYCLE_1) | instskip(NEXT) | instid1(VALU_DEP_1)
	s_cmp_lt_i32 s0, 11
	v_add_nc_u64_e32 v[4:5], s[8:9], v[4:5]
	s_cbranch_scc1 .LBB85_954
; %bb.947:
	s_and_b32 s49, 0xffff, s0
	s_delay_alu instid0(SALU_CYCLE_1)
	s_cmp_gt_i32 s49, 25
	s_cbranch_scc0 .LBB85_955
; %bb.948:
	s_cmp_gt_i32 s49, 28
	s_cbranch_scc0 .LBB85_956
; %bb.949:
	;; [unrolled: 3-line block ×4, first 2 shown]
	s_cmp_eq_u32 s49, 46
	s_mov_b32 s51, 0
	s_cbranch_scc0 .LBB85_961
; %bb.952:
	s_wait_loadcnt 0x0
	global_load_b32 v3, v[4:5], off
	s_mov_b32 s50, -1
	s_mov_b32 s27, 0
	s_wait_loadcnt 0x0
	v_lshlrev_b32_e32 v3, 16, v3
	s_delay_alu instid0(VALU_DEP_1)
	v_cvt_f16_f32_e32 v3, v3
	s_branch .LBB85_963
.LBB85_953:
	s_mov_b32 s52, 0
	s_mov_b32 s0, s45
	;; [unrolled: 1-line block ×3, first 2 shown]
	s_branch .LBB85_1204
.LBB85_954:
	s_mov_b32 s49, -1
	s_mov_b32 s50, 0
	s_mov_b32 s27, s46
                                        ; implicit-def: $vgpr3
	s_branch .LBB85_1028
.LBB85_955:
	s_mov_b32 s51, -1
	s_mov_b32 s50, 0
	s_mov_b32 s27, s46
                                        ; implicit-def: $vgpr3
	s_branch .LBB85_992
.LBB85_956:
	s_mov_b32 s51, -1
	s_mov_b32 s50, 0
	s_mov_b32 s27, s46
                                        ; implicit-def: $vgpr3
	s_branch .LBB85_973
.LBB85_957:
	s_mov_b32 s51, -1
	s_mov_b32 s50, 0
	s_mov_b32 s27, s46
                                        ; implicit-def: $vgpr3
	s_branch .LBB85_968
.LBB85_958:
	s_mov_b32 s51, -1
	s_mov_b32 s50, 0
	s_mov_b32 s27, s46
	s_branch .LBB85_962
.LBB85_959:
	s_and_not1_saveexec_b32 s49, s49
	s_cbranch_execz .LBB85_722
.LBB85_960:
	v_add_f32_e64 v5, 0x42800000, |v4|
	s_and_not1_b32 s48, s48, exec_lo
	s_delay_alu instid0(VALU_DEP_1) | instskip(NEXT) | instid1(VALU_DEP_1)
	v_and_b32_e32 v5, 0xff, v5
	v_cmp_ne_u32_e32 vcc_lo, 0, v5
	s_and_b32 s50, vcc_lo, exec_lo
	s_delay_alu instid0(SALU_CYCLE_1)
	s_or_b32 s48, s48, s50
	s_or_b32 exec_lo, exec_lo, s49
	v_mov_b32_e32 v6, 0
	s_and_saveexec_b32 s49, s48
	s_cbranch_execnz .LBB85_723
	s_branch .LBB85_724
.LBB85_961:
	s_mov_b32 s27, -1
	s_mov_b32 s50, 0
.LBB85_962:
                                        ; implicit-def: $vgpr3
.LBB85_963:
	s_and_b32 vcc_lo, exec_lo, s51
	s_cbranch_vccz .LBB85_967
; %bb.964:
	s_cmp_eq_u32 s49, 44
	s_cbranch_scc0 .LBB85_966
; %bb.965:
	s_wait_loadcnt 0x0
	global_load_u8 v3, v[4:5], off
	s_mov_b32 s27, 0
	s_mov_b32 s50, -1
	s_wait_loadcnt 0x0
	s_wait_xcnt 0x1
	v_lshlrev_b32_e32 v6, 23, v3
	v_cmp_ne_u32_e32 vcc_lo, 0xff, v3
	s_delay_alu instid0(VALU_DEP_2) | instskip(NEXT) | instid1(VALU_DEP_1)
	v_cvt_f16_f32_e32 v6, v6
	v_cndmask_b32_e32 v6, 0x7e00, v6, vcc_lo
	v_cmp_ne_u32_e32 vcc_lo, 0, v3
	s_delay_alu instid0(VALU_DEP_2)
	v_cndmask_b32_e32 v3, 0, v6, vcc_lo
	s_branch .LBB85_967
.LBB85_966:
	s_mov_b32 s27, -1
                                        ; implicit-def: $vgpr3
.LBB85_967:
	s_mov_b32 s51, 0
.LBB85_968:
	s_delay_alu instid0(SALU_CYCLE_1)
	s_and_b32 vcc_lo, exec_lo, s51
	s_cbranch_vccz .LBB85_972
; %bb.969:
	s_cmp_eq_u32 s49, 29
	s_cbranch_scc0 .LBB85_971
; %bb.970:
	global_load_b64 v[6:7], v[4:5], off
	s_mov_b32 s50, -1
	s_mov_b32 s27, 0
	s_mov_b32 s51, 0
	s_wait_loadcnt 0x0
	v_clz_i32_u32_e32 v3, v7
	s_delay_alu instid0(VALU_DEP_1) | instskip(NEXT) | instid1(VALU_DEP_1)
	v_min_u32_e32 v3, 32, v3
	v_lshlrev_b64_e32 v[6:7], v3, v[6:7]
	v_sub_nc_u32_e32 v3, 32, v3
	s_delay_alu instid0(VALU_DEP_2) | instskip(NEXT) | instid1(VALU_DEP_1)
	v_min_u32_e32 v6, 1, v6
	v_or_b32_e32 v6, v7, v6
	s_delay_alu instid0(VALU_DEP_1) | instskip(NEXT) | instid1(VALU_DEP_1)
	v_cvt_f32_u32_e32 v6, v6
	v_ldexp_f32 v3, v6, v3
	s_delay_alu instid0(VALU_DEP_1)
	v_cvt_f16_f32_e32 v3, v3
	s_branch .LBB85_973
.LBB85_971:
	s_mov_b32 s27, -1
                                        ; implicit-def: $vgpr3
.LBB85_972:
	s_mov_b32 s51, 0
.LBB85_973:
	s_delay_alu instid0(SALU_CYCLE_1)
	s_and_b32 vcc_lo, exec_lo, s51
	s_cbranch_vccz .LBB85_991
; %bb.974:
	s_cmp_lt_i32 s49, 27
	s_cbranch_scc1 .LBB85_977
; %bb.975:
	s_cmp_gt_i32 s49, 27
	s_cbranch_scc0 .LBB85_978
; %bb.976:
	s_wait_loadcnt 0x0
	global_load_b32 v3, v[4:5], off
	s_mov_b32 s50, 0
	s_wait_loadcnt 0x0
	v_cvt_f32_u32_e32 v3, v3
	s_delay_alu instid0(VALU_DEP_1)
	v_cvt_f16_f32_e32 v3, v3
	s_branch .LBB85_979
.LBB85_977:
	s_mov_b32 s50, -1
                                        ; implicit-def: $vgpr3
	s_branch .LBB85_982
.LBB85_978:
	s_mov_b32 s50, -1
                                        ; implicit-def: $vgpr3
.LBB85_979:
	s_delay_alu instid0(SALU_CYCLE_1)
	s_and_not1_b32 vcc_lo, exec_lo, s50
	s_cbranch_vccnz .LBB85_981
; %bb.980:
	s_wait_loadcnt 0x0
	global_load_u16 v3, v[4:5], off
	s_wait_loadcnt 0x0
	v_cvt_f16_u16_e32 v3, v3
.LBB85_981:
	s_mov_b32 s50, 0
.LBB85_982:
	s_delay_alu instid0(SALU_CYCLE_1)
	s_and_not1_b32 vcc_lo, exec_lo, s50
	s_cbranch_vccnz .LBB85_990
; %bb.983:
	global_load_u8 v6, v[4:5], off
	s_mov_b32 s50, 0
	s_mov_b32 s51, exec_lo
	s_wait_loadcnt 0x0
	v_cmpx_lt_i16_e32 0x7f, v6
	s_xor_b32 s51, exec_lo, s51
	s_cbranch_execz .LBB85_1004
; %bb.984:
	s_mov_b32 s50, -1
	s_mov_b32 s52, exec_lo
	v_cmpx_eq_u16_e32 0x80, v6
; %bb.985:
	s_xor_b32 s50, exec_lo, -1
; %bb.986:
	s_or_b32 exec_lo, exec_lo, s52
	s_delay_alu instid0(SALU_CYCLE_1)
	s_and_b32 s50, s50, exec_lo
	s_or_saveexec_b32 s51, s51
	v_mov_b32_e32 v3, 0x7e00
	s_xor_b32 exec_lo, exec_lo, s51
	s_cbranch_execnz .LBB85_1005
.LBB85_987:
	s_or_b32 exec_lo, exec_lo, s51
	s_and_saveexec_b32 s51, s50
	s_cbranch_execz .LBB85_989
.LBB85_988:
	v_and_b32_e32 v3, 0xffff, v6
	s_delay_alu instid0(VALU_DEP_1) | instskip(SKIP_1) | instid1(VALU_DEP_2)
	v_and_b32_e32 v7, 7, v3
	v_bfe_u32 v10, v3, 3, 4
	v_clz_i32_u32_e32 v8, v7
	s_delay_alu instid0(VALU_DEP_2) | instskip(NEXT) | instid1(VALU_DEP_2)
	v_cmp_eq_u32_e32 vcc_lo, 0, v10
	v_min_u32_e32 v8, 32, v8
	s_delay_alu instid0(VALU_DEP_1) | instskip(NEXT) | instid1(VALU_DEP_1)
	v_subrev_nc_u32_e32 v9, 28, v8
	v_dual_lshlrev_b32 v3, v9, v3 :: v_dual_sub_nc_u32 v8, 29, v8
	s_delay_alu instid0(VALU_DEP_1) | instskip(NEXT) | instid1(VALU_DEP_1)
	v_dual_lshlrev_b32 v6, 24, v6 :: v_dual_bitop2_b32 v3, 7, v3 bitop3:0x40
	v_dual_cndmask_b32 v8, v10, v8 :: v_dual_cndmask_b32 v3, v7, v3
	s_delay_alu instid0(VALU_DEP_2) | instskip(NEXT) | instid1(VALU_DEP_2)
	v_and_b32_e32 v6, 0x80000000, v6
	v_lshl_add_u32 v7, v8, 23, 0x3b800000
	s_delay_alu instid0(VALU_DEP_3) | instskip(NEXT) | instid1(VALU_DEP_1)
	v_lshlrev_b32_e32 v3, 20, v3
	v_or3_b32 v3, v6, v7, v3
	s_delay_alu instid0(VALU_DEP_1)
	v_cvt_f16_f32_e32 v3, v3
.LBB85_989:
	s_or_b32 exec_lo, exec_lo, s51
.LBB85_990:
	s_mov_b32 s50, -1
.LBB85_991:
	s_mov_b32 s51, 0
.LBB85_992:
	s_delay_alu instid0(SALU_CYCLE_1)
	s_and_b32 vcc_lo, exec_lo, s51
	s_cbranch_vccz .LBB85_1027
; %bb.993:
	s_cmp_gt_i32 s49, 22
	s_cbranch_scc0 .LBB85_1003
; %bb.994:
	s_cmp_lt_i32 s49, 24
	s_cbranch_scc1 .LBB85_1006
; %bb.995:
	s_cmp_gt_i32 s49, 24
	s_cbranch_scc0 .LBB85_1007
; %bb.996:
	global_load_u8 v6, v[4:5], off
	s_mov_b32 s50, 0
	s_mov_b32 s51, exec_lo
	s_wait_loadcnt 0x0
	v_cmpx_lt_i16_e32 0x7f, v6
	s_xor_b32 s51, exec_lo, s51
	s_cbranch_execz .LBB85_1019
; %bb.997:
	s_mov_b32 s50, -1
	s_mov_b32 s52, exec_lo
	v_cmpx_eq_u16_e32 0x80, v6
; %bb.998:
	s_xor_b32 s50, exec_lo, -1
; %bb.999:
	s_or_b32 exec_lo, exec_lo, s52
	s_delay_alu instid0(SALU_CYCLE_1)
	s_and_b32 s50, s50, exec_lo
	s_or_saveexec_b32 s51, s51
	v_mov_b32_e32 v3, 0x7e00
	s_xor_b32 exec_lo, exec_lo, s51
	s_cbranch_execnz .LBB85_1020
.LBB85_1000:
	s_or_b32 exec_lo, exec_lo, s51
	s_and_saveexec_b32 s51, s50
	s_cbranch_execz .LBB85_1002
.LBB85_1001:
	v_and_b32_e32 v3, 0xffff, v6
	s_delay_alu instid0(VALU_DEP_1) | instskip(SKIP_1) | instid1(VALU_DEP_2)
	v_and_b32_e32 v7, 3, v3
	v_bfe_u32 v10, v3, 2, 5
	v_clz_i32_u32_e32 v8, v7
	s_delay_alu instid0(VALU_DEP_2) | instskip(NEXT) | instid1(VALU_DEP_2)
	v_cmp_eq_u32_e32 vcc_lo, 0, v10
	v_min_u32_e32 v8, 32, v8
	s_delay_alu instid0(VALU_DEP_1) | instskip(NEXT) | instid1(VALU_DEP_1)
	v_subrev_nc_u32_e32 v9, 29, v8
	v_dual_lshlrev_b32 v3, v9, v3 :: v_dual_sub_nc_u32 v8, 30, v8
	s_delay_alu instid0(VALU_DEP_1) | instskip(NEXT) | instid1(VALU_DEP_1)
	v_dual_lshlrev_b32 v6, 24, v6 :: v_dual_bitop2_b32 v3, 3, v3 bitop3:0x40
	v_dual_cndmask_b32 v8, v10, v8 :: v_dual_cndmask_b32 v3, v7, v3
	s_delay_alu instid0(VALU_DEP_2) | instskip(NEXT) | instid1(VALU_DEP_2)
	v_and_b32_e32 v6, 0x80000000, v6
	v_lshl_add_u32 v7, v8, 23, 0x37800000
	s_delay_alu instid0(VALU_DEP_3) | instskip(NEXT) | instid1(VALU_DEP_1)
	v_lshlrev_b32_e32 v3, 21, v3
	v_or3_b32 v3, v6, v7, v3
	s_delay_alu instid0(VALU_DEP_1)
	v_cvt_f16_f32_e32 v3, v3
.LBB85_1002:
	s_or_b32 exec_lo, exec_lo, s51
	s_mov_b32 s50, 0
	s_branch .LBB85_1008
.LBB85_1003:
	s_mov_b32 s51, -1
                                        ; implicit-def: $vgpr3
	s_branch .LBB85_1014
.LBB85_1004:
	s_or_saveexec_b32 s51, s51
	v_mov_b32_e32 v3, 0x7e00
	s_xor_b32 exec_lo, exec_lo, s51
	s_cbranch_execz .LBB85_987
.LBB85_1005:
	v_cmp_ne_u16_e32 vcc_lo, 0, v6
	v_mov_b32_e32 v3, v6
	s_and_not1_b32 s50, s50, exec_lo
	s_and_b32 s52, vcc_lo, exec_lo
	s_delay_alu instid0(SALU_CYCLE_1)
	s_or_b32 s50, s50, s52
	s_or_b32 exec_lo, exec_lo, s51
	s_and_saveexec_b32 s51, s50
	s_cbranch_execnz .LBB85_988
	s_branch .LBB85_989
.LBB85_1006:
	s_mov_b32 s50, -1
                                        ; implicit-def: $vgpr3
	s_branch .LBB85_1011
.LBB85_1007:
	s_mov_b32 s50, -1
                                        ; implicit-def: $vgpr3
.LBB85_1008:
	s_delay_alu instid0(SALU_CYCLE_1)
	s_and_b32 vcc_lo, exec_lo, s50
	s_cbranch_vccz .LBB85_1010
; %bb.1009:
	s_wait_loadcnt 0x0
	global_load_u8 v3, v[4:5], off
	s_wait_loadcnt 0x0
	v_lshlrev_b32_e32 v3, 24, v3
	s_wait_xcnt 0x1
	s_delay_alu instid0(VALU_DEP_1) | instskip(NEXT) | instid1(VALU_DEP_1)
	v_and_b32_e32 v6, 0x7f000000, v3
	v_clz_i32_u32_e32 v7, v6
	v_cmp_ne_u32_e32 vcc_lo, 0, v6
	v_add_nc_u32_e32 v9, 0x1000000, v6
	s_delay_alu instid0(VALU_DEP_3) | instskip(NEXT) | instid1(VALU_DEP_1)
	v_min_u32_e32 v7, 32, v7
	v_sub_nc_u32_e64 v7, v7, 4 clamp
	s_delay_alu instid0(VALU_DEP_1) | instskip(NEXT) | instid1(VALU_DEP_1)
	v_dual_lshlrev_b32 v8, v7, v6 :: v_dual_lshlrev_b32 v7, 23, v7
	v_lshrrev_b32_e32 v8, 4, v8
	s_delay_alu instid0(VALU_DEP_1) | instskip(NEXT) | instid1(VALU_DEP_1)
	v_dual_sub_nc_u32 v7, v8, v7 :: v_dual_ashrrev_i32 v8, 8, v9
	v_add_nc_u32_e32 v7, 0x3c000000, v7
	s_delay_alu instid0(VALU_DEP_1) | instskip(NEXT) | instid1(VALU_DEP_1)
	v_and_or_b32 v7, 0x7f800000, v8, v7
	v_cndmask_b32_e32 v6, 0, v7, vcc_lo
	s_delay_alu instid0(VALU_DEP_1) | instskip(NEXT) | instid1(VALU_DEP_1)
	v_and_or_b32 v3, 0x80000000, v3, v6
	v_cvt_f16_f32_e32 v3, v3
.LBB85_1010:
	s_mov_b32 s50, 0
.LBB85_1011:
	s_delay_alu instid0(SALU_CYCLE_1)
	s_and_not1_b32 vcc_lo, exec_lo, s50
	s_cbranch_vccnz .LBB85_1013
; %bb.1012:
	s_wait_loadcnt 0x0
	global_load_u8 v3, v[4:5], off
	s_wait_loadcnt 0x0
	s_wait_xcnt 0x1
	v_lshlrev_b32_e32 v6, 25, v3
	v_lshlrev_b16 v3, 8, v3
	s_delay_alu instid0(VALU_DEP_1) | instskip(SKIP_1) | instid1(VALU_DEP_2)
	v_and_or_b32 v8, 0x7f00, v3, 0.5
	v_bfe_i32 v3, v3, 0, 16
	v_dual_add_f32 v8, -0.5, v8 :: v_dual_lshrrev_b32 v7, 4, v6
	v_cmp_gt_u32_e32 vcc_lo, 0x8000000, v6
	s_delay_alu instid0(VALU_DEP_2) | instskip(NEXT) | instid1(VALU_DEP_1)
	v_or_b32_e32 v7, 0x70000000, v7
	v_mul_f32_e32 v7, 0x7800000, v7
	s_delay_alu instid0(VALU_DEP_1) | instskip(NEXT) | instid1(VALU_DEP_1)
	v_cndmask_b32_e32 v6, v7, v8, vcc_lo
	v_and_or_b32 v3, 0x80000000, v3, v6
	s_delay_alu instid0(VALU_DEP_1)
	v_cvt_f16_f32_e32 v3, v3
.LBB85_1013:
	s_mov_b32 s51, 0
	s_mov_b32 s50, -1
.LBB85_1014:
	s_and_not1_b32 vcc_lo, exec_lo, s51
	s_cbranch_vccnz .LBB85_1027
; %bb.1015:
	s_cmp_gt_i32 s49, 14
	s_cbranch_scc0 .LBB85_1018
; %bb.1016:
	s_cmp_eq_u32 s49, 15
	s_cbranch_scc0 .LBB85_1021
; %bb.1017:
	s_wait_loadcnt 0x0
	global_load_u16 v3, v[4:5], off
	s_mov_b32 s50, -1
	s_mov_b32 s27, 0
	s_wait_loadcnt 0x0
	v_lshlrev_b32_e32 v3, 16, v3
	s_delay_alu instid0(VALU_DEP_1)
	v_cvt_f16_f32_e32 v3, v3
	s_branch .LBB85_1022
.LBB85_1018:
	s_mov_b32 s51, -1
                                        ; implicit-def: $vgpr3
	s_branch .LBB85_1023
.LBB85_1019:
	s_or_saveexec_b32 s51, s51
	v_mov_b32_e32 v3, 0x7e00
	s_xor_b32 exec_lo, exec_lo, s51
	s_cbranch_execz .LBB85_1000
.LBB85_1020:
	v_cmp_ne_u16_e32 vcc_lo, 0, v6
	v_mov_b32_e32 v3, v6
	s_and_not1_b32 s50, s50, exec_lo
	s_and_b32 s52, vcc_lo, exec_lo
	s_delay_alu instid0(SALU_CYCLE_1)
	s_or_b32 s50, s50, s52
	s_or_b32 exec_lo, exec_lo, s51
	s_and_saveexec_b32 s51, s50
	s_cbranch_execnz .LBB85_1001
	s_branch .LBB85_1002
.LBB85_1021:
	s_mov_b32 s27, -1
                                        ; implicit-def: $vgpr3
.LBB85_1022:
	s_mov_b32 s51, 0
.LBB85_1023:
	s_delay_alu instid0(SALU_CYCLE_1)
	s_and_b32 vcc_lo, exec_lo, s51
	s_cbranch_vccz .LBB85_1027
; %bb.1024:
	s_cmp_eq_u32 s49, 11
	s_cbranch_scc0 .LBB85_1026
; %bb.1025:
	s_wait_loadcnt 0x0
	global_load_u8 v3, v[4:5], off
	s_mov_b32 s27, 0
	s_mov_b32 s50, -1
	s_wait_loadcnt 0x0
	v_cmp_ne_u16_e32 vcc_lo, 0, v3
	v_cndmask_b32_e64 v3, 0, 0x3c00, vcc_lo
	s_branch .LBB85_1027
.LBB85_1026:
	s_mov_b32 s27, -1
                                        ; implicit-def: $vgpr3
.LBB85_1027:
	s_mov_b32 s49, 0
.LBB85_1028:
	s_delay_alu instid0(SALU_CYCLE_1)
	s_and_b32 vcc_lo, exec_lo, s49
	s_cbranch_vccz .LBB85_1077
; %bb.1029:
	s_and_b32 s0, 0xffff, s0
	s_delay_alu instid0(SALU_CYCLE_1)
	s_cmp_lt_i32 s0, 5
	s_cbranch_scc1 .LBB85_1034
; %bb.1030:
	s_cmp_lt_i32 s0, 8
	s_cbranch_scc1 .LBB85_1035
; %bb.1031:
	;; [unrolled: 3-line block ×3, first 2 shown]
	s_cmp_gt_i32 s0, 9
	s_cbranch_scc0 .LBB85_1037
; %bb.1033:
	global_load_b64 v[6:7], v[4:5], off
	s_mov_b32 s49, 0
	s_wait_loadcnt 0x0
	v_and_or_b32 v3, 0x1ff, v7, v6
	v_lshrrev_b32_e32 v6, 8, v7
	v_bfe_u32 v8, v7, 20, 11
	s_delay_alu instid0(VALU_DEP_3) | instskip(NEXT) | instid1(VALU_DEP_2)
	v_cmp_ne_u32_e32 vcc_lo, 0, v3
	v_sub_nc_u32_e32 v9, 0x3f1, v8
	v_add_nc_u32_e32 v8, 0xfffffc10, v8
	v_cndmask_b32_e64 v3, 0, 1, vcc_lo
	s_delay_alu instid0(VALU_DEP_1) | instskip(NEXT) | instid1(VALU_DEP_4)
	v_and_or_b32 v3, 0xffe, v6, v3
	v_med3_i32 v6, v9, 0, 13
	s_delay_alu instid0(VALU_DEP_2) | instskip(NEXT) | instid1(VALU_DEP_1)
	v_or_b32_e32 v9, 0x1000, v3
	v_lshrrev_b32_e32 v10, v6, v9
	s_delay_alu instid0(VALU_DEP_1) | instskip(NEXT) | instid1(VALU_DEP_1)
	v_lshlrev_b32_e32 v6, v6, v10
	v_cmp_ne_u32_e32 vcc_lo, v6, v9
	v_lshl_or_b32 v9, v8, 12, v3
	v_cndmask_b32_e64 v6, 0, 1, vcc_lo
	v_cmp_gt_i32_e32 vcc_lo, 1, v8
	s_delay_alu instid0(VALU_DEP_2) | instskip(NEXT) | instid1(VALU_DEP_1)
	v_or_b32_e32 v6, v10, v6
	v_cndmask_b32_e32 v6, v9, v6, vcc_lo
	s_delay_alu instid0(VALU_DEP_1) | instskip(NEXT) | instid1(VALU_DEP_1)
	v_dual_lshrrev_b32 v6, 2, v6 :: v_dual_bitop2_b32 v9, 7, v6 bitop3:0x40
	v_cmp_lt_i32_e32 vcc_lo, 5, v9
	v_cndmask_b32_e64 v10, 0, 1, vcc_lo
	v_cmp_eq_u32_e32 vcc_lo, 3, v9
	v_cndmask_b32_e64 v9, 0, 1, vcc_lo
	v_cmp_ne_u32_e32 vcc_lo, 0, v3
	s_delay_alu instid0(VALU_DEP_2) | instskip(SKIP_1) | instid1(VALU_DEP_1)
	v_or_b32_e32 v9, v9, v10
	v_mov_b32_e32 v10, 0x7e00
	v_dual_cndmask_b32 v3, 0x7c00, v10 :: v_dual_add_nc_u32 v6, v6, v9
	v_cmp_gt_i32_e32 vcc_lo, 31, v8
	s_delay_alu instid0(VALU_DEP_2) | instskip(SKIP_1) | instid1(VALU_DEP_2)
	v_cndmask_b32_e32 v6, 0x7c00, v6, vcc_lo
	v_cmp_eq_u32_e32 vcc_lo, 0x40f, v8
	v_cndmask_b32_e32 v3, v6, v3, vcc_lo
	v_lshrrev_b32_e32 v6, 16, v7
	s_delay_alu instid0(VALU_DEP_1)
	v_and_or_b32 v3, 0x8000, v6, v3
	s_branch .LBB85_1038
.LBB85_1034:
	s_mov_b32 s49, -1
                                        ; implicit-def: $vgpr3
	s_branch .LBB85_1056
.LBB85_1035:
	s_mov_b32 s49, -1
                                        ; implicit-def: $vgpr3
	s_branch .LBB85_1044
.LBB85_1036:
	s_mov_b32 s49, -1
                                        ; implicit-def: $vgpr3
	s_branch .LBB85_1041
.LBB85_1037:
	s_mov_b32 s49, -1
                                        ; implicit-def: $vgpr3
.LBB85_1038:
	s_delay_alu instid0(SALU_CYCLE_1)
	s_and_not1_b32 vcc_lo, exec_lo, s49
	s_cbranch_vccnz .LBB85_1040
; %bb.1039:
	s_wait_loadcnt 0x0
	global_load_b32 v3, v[4:5], off
	s_wait_loadcnt 0x0
	v_cvt_f16_f32_e32 v3, v3
.LBB85_1040:
	s_mov_b32 s49, 0
.LBB85_1041:
	s_delay_alu instid0(SALU_CYCLE_1)
	s_and_not1_b32 vcc_lo, exec_lo, s49
	s_cbranch_vccnz .LBB85_1043
; %bb.1042:
	s_wait_loadcnt 0x0
	global_load_b32 v3, v[4:5], off
.LBB85_1043:
	s_mov_b32 s49, 0
.LBB85_1044:
	s_delay_alu instid0(SALU_CYCLE_1)
	s_and_not1_b32 vcc_lo, exec_lo, s49
	s_cbranch_vccnz .LBB85_1055
; %bb.1045:
	s_cmp_lt_i32 s0, 6
	s_cbranch_scc1 .LBB85_1048
; %bb.1046:
	s_cmp_gt_i32 s0, 6
	s_cbranch_scc0 .LBB85_1049
; %bb.1047:
	global_load_b64 v[6:7], v[4:5], off
	s_mov_b32 s49, 0
	s_wait_loadcnt 0x0
	v_and_or_b32 v3, 0x1ff, v7, v6
	v_lshrrev_b32_e32 v6, 8, v7
	v_bfe_u32 v8, v7, 20, 11
	s_delay_alu instid0(VALU_DEP_3) | instskip(NEXT) | instid1(VALU_DEP_2)
	v_cmp_ne_u32_e32 vcc_lo, 0, v3
	v_sub_nc_u32_e32 v9, 0x3f1, v8
	v_add_nc_u32_e32 v8, 0xfffffc10, v8
	v_cndmask_b32_e64 v3, 0, 1, vcc_lo
	s_delay_alu instid0(VALU_DEP_1) | instskip(NEXT) | instid1(VALU_DEP_4)
	v_and_or_b32 v3, 0xffe, v6, v3
	v_med3_i32 v6, v9, 0, 13
	s_delay_alu instid0(VALU_DEP_2) | instskip(NEXT) | instid1(VALU_DEP_1)
	v_or_b32_e32 v9, 0x1000, v3
	v_lshrrev_b32_e32 v10, v6, v9
	s_delay_alu instid0(VALU_DEP_1) | instskip(NEXT) | instid1(VALU_DEP_1)
	v_lshlrev_b32_e32 v6, v6, v10
	v_cmp_ne_u32_e32 vcc_lo, v6, v9
	v_lshl_or_b32 v9, v8, 12, v3
	v_cndmask_b32_e64 v6, 0, 1, vcc_lo
	v_cmp_gt_i32_e32 vcc_lo, 1, v8
	s_delay_alu instid0(VALU_DEP_2) | instskip(NEXT) | instid1(VALU_DEP_1)
	v_or_b32_e32 v6, v10, v6
	v_cndmask_b32_e32 v6, v9, v6, vcc_lo
	s_delay_alu instid0(VALU_DEP_1) | instskip(NEXT) | instid1(VALU_DEP_1)
	v_dual_lshrrev_b32 v6, 2, v6 :: v_dual_bitop2_b32 v9, 7, v6 bitop3:0x40
	v_cmp_lt_i32_e32 vcc_lo, 5, v9
	v_cndmask_b32_e64 v10, 0, 1, vcc_lo
	v_cmp_eq_u32_e32 vcc_lo, 3, v9
	v_cndmask_b32_e64 v9, 0, 1, vcc_lo
	v_cmp_ne_u32_e32 vcc_lo, 0, v3
	s_delay_alu instid0(VALU_DEP_2) | instskip(SKIP_1) | instid1(VALU_DEP_1)
	v_or_b32_e32 v9, v9, v10
	v_mov_b32_e32 v10, 0x7e00
	v_dual_cndmask_b32 v3, 0x7c00, v10 :: v_dual_add_nc_u32 v6, v6, v9
	v_cmp_gt_i32_e32 vcc_lo, 31, v8
	s_delay_alu instid0(VALU_DEP_2) | instskip(SKIP_1) | instid1(VALU_DEP_2)
	v_cndmask_b32_e32 v6, 0x7c00, v6, vcc_lo
	v_cmp_eq_u32_e32 vcc_lo, 0x40f, v8
	v_cndmask_b32_e32 v3, v6, v3, vcc_lo
	v_lshrrev_b32_e32 v6, 16, v7
	s_delay_alu instid0(VALU_DEP_1)
	v_and_or_b32 v3, 0x8000, v6, v3
	s_branch .LBB85_1050
.LBB85_1048:
	s_mov_b32 s49, -1
                                        ; implicit-def: $vgpr3
	s_branch .LBB85_1053
.LBB85_1049:
	s_mov_b32 s49, -1
                                        ; implicit-def: $vgpr3
.LBB85_1050:
	s_delay_alu instid0(SALU_CYCLE_1)
	s_and_not1_b32 vcc_lo, exec_lo, s49
	s_cbranch_vccnz .LBB85_1052
; %bb.1051:
	s_wait_loadcnt 0x0
	global_load_b32 v3, v[4:5], off
	s_wait_loadcnt 0x0
	v_cvt_f16_f32_e32 v3, v3
.LBB85_1052:
	s_mov_b32 s49, 0
.LBB85_1053:
	s_delay_alu instid0(SALU_CYCLE_1)
	s_and_not1_b32 vcc_lo, exec_lo, s49
	s_cbranch_vccnz .LBB85_1055
; %bb.1054:
	s_wait_loadcnt 0x0
	global_load_u16 v3, v[4:5], off
.LBB85_1055:
	s_mov_b32 s49, 0
.LBB85_1056:
	s_delay_alu instid0(SALU_CYCLE_1)
	s_and_not1_b32 vcc_lo, exec_lo, s49
	s_cbranch_vccnz .LBB85_1076
; %bb.1057:
	s_cmp_lt_i32 s0, 2
	s_cbranch_scc1 .LBB85_1061
; %bb.1058:
	s_cmp_lt_i32 s0, 3
	s_cbranch_scc1 .LBB85_1062
; %bb.1059:
	s_cmp_gt_i32 s0, 3
	s_cbranch_scc0 .LBB85_1063
; %bb.1060:
	global_load_b64 v[6:7], v[4:5], off
	s_mov_b32 s49, 0
	s_wait_loadcnt 0x0
	v_xor_b32_e32 v3, v6, v7
	v_cls_i32_e32 v8, v7
	s_delay_alu instid0(VALU_DEP_2) | instskip(NEXT) | instid1(VALU_DEP_1)
	v_ashrrev_i32_e32 v3, 31, v3
	v_add_nc_u32_e32 v3, 32, v3
	s_delay_alu instid0(VALU_DEP_1) | instskip(NEXT) | instid1(VALU_DEP_1)
	v_add_min_u32_e64 v3, v8, -1, v3
	v_lshlrev_b64_e32 v[6:7], v3, v[6:7]
	v_sub_nc_u32_e32 v3, 32, v3
	s_delay_alu instid0(VALU_DEP_2) | instskip(NEXT) | instid1(VALU_DEP_1)
	v_min_u32_e32 v6, 1, v6
	v_or_b32_e32 v6, v7, v6
	s_delay_alu instid0(VALU_DEP_1) | instskip(NEXT) | instid1(VALU_DEP_1)
	v_cvt_f32_i32_e32 v6, v6
	v_ldexp_f32 v3, v6, v3
	s_delay_alu instid0(VALU_DEP_1)
	v_cvt_f16_f32_e32 v3, v3
	s_branch .LBB85_1064
.LBB85_1061:
	s_mov_b32 s49, -1
                                        ; implicit-def: $vgpr3
	s_branch .LBB85_1070
.LBB85_1062:
	s_mov_b32 s49, -1
                                        ; implicit-def: $vgpr3
	s_branch .LBB85_1067
.LBB85_1063:
	s_mov_b32 s49, -1
                                        ; implicit-def: $vgpr3
.LBB85_1064:
	s_delay_alu instid0(SALU_CYCLE_1)
	s_and_not1_b32 vcc_lo, exec_lo, s49
	s_cbranch_vccnz .LBB85_1066
; %bb.1065:
	s_wait_loadcnt 0x0
	global_load_b32 v3, v[4:5], off
	s_wait_loadcnt 0x0
	v_cvt_f32_i32_e32 v3, v3
	s_delay_alu instid0(VALU_DEP_1)
	v_cvt_f16_f32_e32 v3, v3
.LBB85_1066:
	s_mov_b32 s49, 0
.LBB85_1067:
	s_delay_alu instid0(SALU_CYCLE_1)
	s_and_not1_b32 vcc_lo, exec_lo, s49
	s_cbranch_vccnz .LBB85_1069
; %bb.1068:
	s_wait_loadcnt 0x0
	global_load_u16 v3, v[4:5], off
	s_wait_loadcnt 0x0
	v_cvt_f16_i16_e32 v3, v3
.LBB85_1069:
	s_mov_b32 s49, 0
.LBB85_1070:
	s_delay_alu instid0(SALU_CYCLE_1)
	s_and_not1_b32 vcc_lo, exec_lo, s49
	s_cbranch_vccnz .LBB85_1076
; %bb.1071:
	s_cmp_gt_i32 s0, 0
	s_mov_b32 s0, 0
	s_cbranch_scc0 .LBB85_1073
; %bb.1072:
	s_wait_loadcnt 0x0
	global_load_i8 v3, v[4:5], off
	s_wait_loadcnt 0x0
	v_cvt_f16_i16_e32 v3, v3
	s_branch .LBB85_1074
.LBB85_1073:
	s_mov_b32 s0, -1
                                        ; implicit-def: $vgpr3
.LBB85_1074:
	s_delay_alu instid0(SALU_CYCLE_1)
	s_and_not1_b32 vcc_lo, exec_lo, s0
	s_cbranch_vccnz .LBB85_1076
; %bb.1075:
	s_wait_loadcnt 0x0
	global_load_u8 v3, v[4:5], off
	s_wait_loadcnt 0x0
	v_cvt_f16_u16_e32 v3, v3
.LBB85_1076:
	s_mov_b32 s50, -1
.LBB85_1077:
	s_delay_alu instid0(SALU_CYCLE_1)
	s_and_not1_b32 vcc_lo, exec_lo, s50
	s_cbranch_vccnz .LBB85_1087
; %bb.1078:
	s_wait_loadcnt 0x0
	v_cvt_f32_f16_e32 v3, v3
	s_mov_b32 s0, exec_lo
	s_delay_alu instid0(VALU_DEP_1) | instskip(SKIP_1) | instid1(VALU_DEP_1)
	v_mul_f32_e32 v3, s10, v3
	s_wait_xcnt 0x0
	v_cmpx_nlt_f32_e32 s11, v3
	s_cbranch_execz .LBB85_1080
; %bb.1079:
	v_cvt_f32_f16_e32 v1, v1
	v_mul_f32_e32 v4, 0x3fb8aa3b, v3
	v_cmp_ngt_f32_e32 vcc_lo, 0xc2ce8ed0, v3
	s_delay_alu instid0(VALU_DEP_2) | instskip(SKIP_1) | instid1(VALU_DEP_2)
	v_rndne_f32_e32 v5, v4
	v_fma_f32 v6, 0x3fb8aa3b, v3, -v4
	v_sub_f32_e32 v4, v4, v5
	s_delay_alu instid0(VALU_DEP_2) | instskip(SKIP_1) | instid1(VALU_DEP_2)
	v_fmamk_f32 v6, v3, 0x32a5705f, v6
	v_cvt_i32_f32_e32 v5, v5
	v_add_f32_e32 v4, v4, v6
	s_delay_alu instid0(VALU_DEP_1) | instskip(SKIP_1) | instid1(TRANS32_DEP_1)
	v_exp_f32_e32 v4, v4
	v_nop
	v_ldexp_f32 v4, v4, v5
	s_delay_alu instid0(VALU_DEP_1) | instskip(SKIP_1) | instid1(VALU_DEP_2)
	v_cndmask_b32_e32 v4, 0, v4, vcc_lo
	v_cmp_nlt_f32_e32 vcc_lo, 0x42b17218, v3
	v_cndmask_b32_e32 v3, 0x7f800000, v4, vcc_lo
	s_delay_alu instid0(VALU_DEP_1) | instskip(NEXT) | instid1(VALU_DEP_1)
	v_dual_mul_f32 v1, v3, v1 :: v_dual_add_f32 v3, 1.0, v3
	v_div_scale_f32 v4, null, v3, v3, v1
	s_delay_alu instid0(VALU_DEP_1) | instskip(SKIP_1) | instid1(TRANS32_DEP_1)
	v_rcp_f32_e32 v5, v4
	v_nop
	v_fma_f32 v6, -v4, v5, 1.0
	s_delay_alu instid0(VALU_DEP_1) | instskip(SKIP_1) | instid1(VALU_DEP_1)
	v_fmac_f32_e32 v5, v6, v5
	v_div_scale_f32 v6, vcc_lo, v1, v3, v1
	v_mul_f32_e32 v7, v6, v5
	s_delay_alu instid0(VALU_DEP_1) | instskip(NEXT) | instid1(VALU_DEP_1)
	v_fma_f32 v8, -v4, v7, v6
	v_fmac_f32_e32 v7, v8, v5
	s_delay_alu instid0(VALU_DEP_1) | instskip(NEXT) | instid1(VALU_DEP_1)
	v_fma_f32 v4, -v4, v7, v6
	v_div_fmas_f32 v4, v4, v5, v7
	s_delay_alu instid0(VALU_DEP_1) | instskip(NEXT) | instid1(VALU_DEP_1)
	v_div_fixup_f32 v1, v4, v3, v1
	v_cvt_f16_f32_e32 v1, v1
.LBB85_1080:
	s_or_b32 exec_lo, exec_lo, s0
	v_mov_b32_e32 v3, 0
	s_and_b32 s49, s34, 0xff
	s_delay_alu instid0(SALU_CYCLE_1) | instskip(NEXT) | instid1(VALU_DEP_1)
	s_cmp_lt_i32 s49, 11
	v_add_nc_u64_e32 v[2:3], s[4:5], v[2:3]
	s_cbranch_scc1 .LBB85_1088
; %bb.1081:
	s_and_b32 s50, 0xffff, s49
	s_delay_alu instid0(SALU_CYCLE_1)
	s_cmp_gt_i32 s50, 25
	s_cbranch_scc0 .LBB85_1089
; %bb.1082:
	s_cmp_gt_i32 s50, 28
	s_cbranch_scc0 .LBB85_1090
; %bb.1083:
	;; [unrolled: 3-line block ×4, first 2 shown]
	s_mov_b32 s52, 0
	s_mov_b32 s0, -1
	s_cmp_eq_u32 s50, 46
	s_mov_b32 s51, 0
	s_cbranch_scc0 .LBB85_1093
; %bb.1086:
	v_cvt_f32_f16_e32 v4, v1
	v_cmp_o_f16_e32 vcc_lo, v1, v1
	s_mov_b32 s51, -1
	s_mov_b32 s0, 0
	s_delay_alu instid0(VALU_DEP_2) | instskip(NEXT) | instid1(VALU_DEP_1)
	v_bfe_u32 v5, v4, 16, 1
	v_add3_u32 v4, v4, v5, 0x7fff
	s_delay_alu instid0(VALU_DEP_1) | instskip(NEXT) | instid1(VALU_DEP_1)
	v_lshrrev_b32_e32 v4, 16, v4
	v_cndmask_b32_e32 v4, 0x7fc0, v4, vcc_lo
	global_store_b32 v[2:3], v4, off
	s_branch .LBB85_1093
.LBB85_1087:
	s_mov_b32 s52, 0
	s_mov_b32 s0, s45
	s_branch .LBB85_1204
.LBB85_1088:
	s_mov_b32 s50, -1
	s_mov_b32 s51, 0
	s_mov_b32 s0, s45
	s_branch .LBB85_1162
.LBB85_1089:
	s_mov_b32 s52, -1
	s_mov_b32 s51, 0
	s_mov_b32 s0, s45
	s_branch .LBB85_1120
.LBB85_1090:
	s_mov_b32 s52, -1
	s_mov_b32 s51, 0
	s_mov_b32 s0, s45
	s_branch .LBB85_1103
.LBB85_1091:
	s_mov_b32 s52, -1
	s_mov_b32 s51, 0
	s_mov_b32 s0, s45
	s_branch .LBB85_1099
.LBB85_1092:
	s_mov_b32 s52, -1
	s_mov_b32 s51, 0
	s_mov_b32 s0, s45
.LBB85_1093:
	s_and_b32 vcc_lo, exec_lo, s52
	s_cbranch_vccz .LBB85_1098
; %bb.1094:
	s_cmp_eq_u32 s50, 44
	s_mov_b32 s0, -1
	s_cbranch_scc0 .LBB85_1098
; %bb.1095:
	s_wait_xcnt 0x0
	v_cvt_f32_f16_e32 v4, v1
	v_mov_b32_e32 v5, 0xff
	s_mov_b32 s51, exec_lo
	s_delay_alu instid0(VALU_DEP_2) | instskip(NEXT) | instid1(VALU_DEP_1)
	v_bfe_u32 v6, v4, 23, 8
	v_cmpx_ne_u32_e32 0xff, v6
	s_cbranch_execz .LBB85_1097
; %bb.1096:
	v_and_b32_e32 v5, 0x400000, v4
	v_and_or_b32 v6, 0x3fffff, v4, v6
	v_lshrrev_b32_e32 v4, 23, v4
	s_delay_alu instid0(VALU_DEP_3) | instskip(NEXT) | instid1(VALU_DEP_3)
	v_cmp_ne_u32_e32 vcc_lo, 0, v5
	v_cmp_ne_u32_e64 s0, 0, v6
	s_and_b32 s0, vcc_lo, s0
	s_delay_alu instid0(SALU_CYCLE_1) | instskip(NEXT) | instid1(VALU_DEP_1)
	v_cndmask_b32_e64 v5, 0, 1, s0
	v_add_nc_u32_e32 v5, v4, v5
.LBB85_1097:
	s_or_b32 exec_lo, exec_lo, s51
	s_mov_b32 s51, -1
	s_mov_b32 s0, 0
	global_store_b8 v[2:3], v5, off
.LBB85_1098:
	s_mov_b32 s52, 0
.LBB85_1099:
	s_delay_alu instid0(SALU_CYCLE_1)
	s_and_b32 vcc_lo, exec_lo, s52
	s_cbranch_vccz .LBB85_1102
; %bb.1100:
	s_cmp_eq_u32 s50, 29
	s_mov_b32 s0, -1
	s_cbranch_scc0 .LBB85_1102
; %bb.1101:
	s_wait_xcnt 0x0
	v_cvt_f32_f16_e32 v4, v1
	v_mov_b32_e32 v5, 0
	s_mov_b32 s51, -1
	s_mov_b32 s0, 0
	s_mov_b32 s52, 0
	v_cvt_u32_f32_e32 v4, v4
	global_store_b64 v[2:3], v[4:5], off
	s_branch .LBB85_1103
.LBB85_1102:
	s_mov_b32 s52, 0
.LBB85_1103:
	s_delay_alu instid0(SALU_CYCLE_1)
	s_and_b32 vcc_lo, exec_lo, s52
	s_cbranch_vccz .LBB85_1119
; %bb.1104:
	s_cmp_lt_i32 s50, 27
	s_mov_b32 s51, -1
	s_cbranch_scc1 .LBB85_1110
; %bb.1105:
	s_cmp_gt_i32 s50, 27
	s_cbranch_scc0 .LBB85_1107
; %bb.1106:
	s_wait_xcnt 0x0
	v_cvt_f32_f16_e32 v4, v1
	s_mov_b32 s51, 0
	s_delay_alu instid0(VALU_DEP_1)
	v_cvt_u32_f32_e32 v4, v4
	global_store_b32 v[2:3], v4, off
.LBB85_1107:
	s_and_not1_b32 vcc_lo, exec_lo, s51
	s_cbranch_vccnz .LBB85_1109
; %bb.1108:
	s_wait_xcnt 0x0
	v_cvt_u16_f16_e32 v4, v1
	global_store_b16 v[2:3], v4, off
.LBB85_1109:
	s_mov_b32 s51, 0
.LBB85_1110:
	s_delay_alu instid0(SALU_CYCLE_1)
	s_and_not1_b32 vcc_lo, exec_lo, s51
	s_cbranch_vccnz .LBB85_1118
; %bb.1111:
	s_wait_xcnt 0x0
	v_cvt_f32_f16_e32 v4, v1
	v_mov_b32_e32 v6, 0x80
	s_mov_b32 s51, exec_lo
	s_delay_alu instid0(VALU_DEP_2) | instskip(NEXT) | instid1(VALU_DEP_1)
	v_and_b32_e32 v5, 0x7fffffff, v4
	v_cmpx_gt_u32_e32 0x43800000, v5
	s_cbranch_execz .LBB85_1117
; %bb.1112:
	v_cmp_lt_u32_e32 vcc_lo, 0x3bffffff, v5
	s_mov_b32 s52, 0
                                        ; implicit-def: $vgpr5
	s_and_saveexec_b32 s53, vcc_lo
	s_delay_alu instid0(SALU_CYCLE_1)
	s_xor_b32 s53, exec_lo, s53
	s_cbranch_execz .LBB85_1232
; %bb.1113:
	v_bfe_u32 v5, v4, 20, 1
	s_mov_b32 s52, exec_lo
	s_delay_alu instid0(VALU_DEP_1) | instskip(NEXT) | instid1(VALU_DEP_1)
	v_add3_u32 v5, v4, v5, 0x487ffff
	v_lshrrev_b32_e32 v5, 20, v5
	s_and_not1_saveexec_b32 s53, s53
	s_cbranch_execnz .LBB85_1233
.LBB85_1114:
	s_or_b32 exec_lo, exec_lo, s53
	v_mov_b32_e32 v6, 0
	s_and_saveexec_b32 s53, s52
.LBB85_1115:
	v_lshrrev_b32_e32 v4, 24, v4
	s_delay_alu instid0(VALU_DEP_1)
	v_and_or_b32 v6, 0x80, v4, v5
.LBB85_1116:
	s_or_b32 exec_lo, exec_lo, s53
.LBB85_1117:
	s_delay_alu instid0(SALU_CYCLE_1)
	s_or_b32 exec_lo, exec_lo, s51
	global_store_b8 v[2:3], v6, off
.LBB85_1118:
	s_mov_b32 s51, -1
.LBB85_1119:
	s_mov_b32 s52, 0
.LBB85_1120:
	s_delay_alu instid0(SALU_CYCLE_1)
	s_and_b32 vcc_lo, exec_lo, s52
	s_cbranch_vccz .LBB85_1161
; %bb.1121:
	s_cmp_gt_i32 s50, 22
	s_mov_b32 s52, -1
	s_cbranch_scc0 .LBB85_1153
; %bb.1122:
	s_cmp_lt_i32 s50, 24
	s_mov_b32 s51, -1
	s_cbranch_scc1 .LBB85_1142
; %bb.1123:
	s_cmp_gt_i32 s50, 24
	s_cbranch_scc0 .LBB85_1131
; %bb.1124:
	s_wait_xcnt 0x0
	v_cvt_f32_f16_e32 v4, v1
	v_mov_b32_e32 v6, 0x80
	s_mov_b32 s51, exec_lo
	s_delay_alu instid0(VALU_DEP_2) | instskip(NEXT) | instid1(VALU_DEP_1)
	v_and_b32_e32 v5, 0x7fffffff, v4
	v_cmpx_gt_u32_e32 0x47800000, v5
	s_cbranch_execz .LBB85_1130
; %bb.1125:
	v_cmp_lt_u32_e32 vcc_lo, 0x37ffffff, v5
	s_mov_b32 s52, 0
                                        ; implicit-def: $vgpr5
	s_and_saveexec_b32 s53, vcc_lo
	s_delay_alu instid0(SALU_CYCLE_1)
	s_xor_b32 s53, exec_lo, s53
	s_cbranch_execz .LBB85_2310
; %bb.1126:
	v_bfe_u32 v5, v4, 21, 1
	s_mov_b32 s52, exec_lo
	s_delay_alu instid0(VALU_DEP_1) | instskip(NEXT) | instid1(VALU_DEP_1)
	v_add3_u32 v5, v4, v5, 0x88fffff
	v_lshrrev_b32_e32 v5, 21, v5
	s_and_not1_saveexec_b32 s53, s53
	s_cbranch_execnz .LBB85_2311
.LBB85_1127:
	s_or_b32 exec_lo, exec_lo, s53
	v_mov_b32_e32 v6, 0
	s_and_saveexec_b32 s53, s52
.LBB85_1128:
	v_lshrrev_b32_e32 v4, 24, v4
	s_delay_alu instid0(VALU_DEP_1)
	v_and_or_b32 v6, 0x80, v4, v5
.LBB85_1129:
	s_or_b32 exec_lo, exec_lo, s53
.LBB85_1130:
	s_delay_alu instid0(SALU_CYCLE_1)
	s_or_b32 exec_lo, exec_lo, s51
	s_mov_b32 s51, 0
	global_store_b8 v[2:3], v6, off
.LBB85_1131:
	s_and_b32 vcc_lo, exec_lo, s51
	s_cbranch_vccz .LBB85_1141
; %bb.1132:
	s_wait_xcnt 0x0
	v_cvt_f32_f16_e32 v4, v1
	s_mov_b32 s51, exec_lo
                                        ; implicit-def: $vgpr5
	s_delay_alu instid0(VALU_DEP_1) | instskip(NEXT) | instid1(VALU_DEP_1)
	v_and_b32_e32 v6, 0x7fffffff, v4
	v_cmpx_gt_u32_e32 0x43f00000, v6
	s_xor_b32 s51, exec_lo, s51
	s_cbranch_execz .LBB85_1138
; %bb.1133:
	s_mov_b32 s52, exec_lo
                                        ; implicit-def: $vgpr5
	v_cmpx_lt_u32_e32 0x3c7fffff, v6
	s_xor_b32 s52, exec_lo, s52
; %bb.1134:
	v_bfe_u32 v5, v4, 20, 1
	s_delay_alu instid0(VALU_DEP_1) | instskip(NEXT) | instid1(VALU_DEP_1)
	v_add3_u32 v5, v4, v5, 0x407ffff
	v_and_b32_e32 v6, 0xff00000, v5
	v_lshrrev_b32_e32 v5, 20, v5
	s_delay_alu instid0(VALU_DEP_2) | instskip(NEXT) | instid1(VALU_DEP_2)
	v_cmp_ne_u32_e32 vcc_lo, 0x7f00000, v6
	v_cndmask_b32_e32 v5, 0x7e, v5, vcc_lo
; %bb.1135:
	s_and_not1_saveexec_b32 s52, s52
; %bb.1136:
	v_add_f32_e64 v5, 0x46800000, |v4|
; %bb.1137:
	s_or_b32 exec_lo, exec_lo, s52
                                        ; implicit-def: $vgpr6
.LBB85_1138:
	s_and_not1_saveexec_b32 s51, s51
; %bb.1139:
	v_mov_b32_e32 v5, 0x7f
	v_cmp_lt_u32_e32 vcc_lo, 0x7f800000, v6
	s_delay_alu instid0(VALU_DEP_2)
	v_cndmask_b32_e32 v5, 0x7e, v5, vcc_lo
; %bb.1140:
	s_or_b32 exec_lo, exec_lo, s51
	v_lshrrev_b32_e32 v4, 24, v4
	s_delay_alu instid0(VALU_DEP_1)
	v_and_or_b32 v4, 0x80, v4, v5
	global_store_b8 v[2:3], v4, off
.LBB85_1141:
	s_mov_b32 s51, 0
.LBB85_1142:
	s_delay_alu instid0(SALU_CYCLE_1)
	s_and_not1_b32 vcc_lo, exec_lo, s51
	s_cbranch_vccnz .LBB85_1152
; %bb.1143:
	s_wait_xcnt 0x0
	v_cvt_f32_f16_e32 v4, v1
	s_mov_b32 s51, exec_lo
                                        ; implicit-def: $vgpr5
	s_delay_alu instid0(VALU_DEP_1) | instskip(NEXT) | instid1(VALU_DEP_1)
	v_and_b32_e32 v6, 0x7fffffff, v4
	v_cmpx_gt_u32_e32 0x47800000, v6
	s_xor_b32 s51, exec_lo, s51
	s_cbranch_execz .LBB85_1149
; %bb.1144:
	s_mov_b32 s52, exec_lo
                                        ; implicit-def: $vgpr5
	v_cmpx_lt_u32_e32 0x387fffff, v6
	s_xor_b32 s52, exec_lo, s52
; %bb.1145:
	v_bfe_u32 v5, v4, 21, 1
	s_delay_alu instid0(VALU_DEP_1) | instskip(NEXT) | instid1(VALU_DEP_1)
	v_add3_u32 v5, v4, v5, 0x80fffff
	v_lshrrev_b32_e32 v5, 21, v5
; %bb.1146:
	s_and_not1_saveexec_b32 s52, s52
; %bb.1147:
	v_add_f32_e64 v5, 0x43000000, |v4|
; %bb.1148:
	s_or_b32 exec_lo, exec_lo, s52
                                        ; implicit-def: $vgpr6
.LBB85_1149:
	s_and_not1_saveexec_b32 s51, s51
; %bb.1150:
	v_mov_b32_e32 v5, 0x7f
	v_cmp_lt_u32_e32 vcc_lo, 0x7f800000, v6
	s_delay_alu instid0(VALU_DEP_2)
	v_cndmask_b32_e32 v5, 0x7c, v5, vcc_lo
; %bb.1151:
	s_or_b32 exec_lo, exec_lo, s51
	v_lshrrev_b32_e32 v4, 24, v4
	s_delay_alu instid0(VALU_DEP_1)
	v_and_or_b32 v4, 0x80, v4, v5
	global_store_b8 v[2:3], v4, off
.LBB85_1152:
	s_mov_b32 s52, 0
	s_mov_b32 s51, -1
.LBB85_1153:
	s_and_not1_b32 vcc_lo, exec_lo, s52
	s_cbranch_vccnz .LBB85_1161
; %bb.1154:
	s_cmp_gt_i32 s50, 14
	s_mov_b32 s52, -1
	s_cbranch_scc0 .LBB85_1158
; %bb.1155:
	s_cmp_eq_u32 s50, 15
	s_mov_b32 s0, -1
	s_cbranch_scc0 .LBB85_1157
; %bb.1156:
	s_wait_xcnt 0x0
	v_cvt_f32_f16_e32 v4, v1
	v_cmp_o_f16_e32 vcc_lo, v1, v1
	s_mov_b32 s51, -1
	s_mov_b32 s0, 0
	s_delay_alu instid0(VALU_DEP_2) | instskip(NEXT) | instid1(VALU_DEP_1)
	v_bfe_u32 v5, v4, 16, 1
	v_add3_u32 v4, v4, v5, 0x7fff
	s_delay_alu instid0(VALU_DEP_1) | instskip(NEXT) | instid1(VALU_DEP_1)
	v_lshrrev_b32_e32 v4, 16, v4
	v_cndmask_b32_e32 v4, 0x7fc0, v4, vcc_lo
	global_store_b16 v[2:3], v4, off
.LBB85_1157:
	s_mov_b32 s52, 0
.LBB85_1158:
	s_delay_alu instid0(SALU_CYCLE_1)
	s_and_b32 vcc_lo, exec_lo, s52
	s_cbranch_vccz .LBB85_1161
; %bb.1159:
	s_cmp_eq_u32 s50, 11
	s_mov_b32 s0, -1
	s_cbranch_scc0 .LBB85_1161
; %bb.1160:
	s_wait_xcnt 0x0
	v_and_b32_e32 v4, 0x7fff, v1
	s_mov_b32 s0, 0
	s_mov_b32 s51, -1
	s_delay_alu instid0(VALU_DEP_1)
	v_cmp_ne_u16_e32 vcc_lo, 0, v4
	v_cndmask_b32_e64 v4, 0, 1, vcc_lo
	global_store_b8 v[2:3], v4, off
.LBB85_1161:
	s_mov_b32 s50, 0
.LBB85_1162:
	s_delay_alu instid0(SALU_CYCLE_1)
	s_and_b32 vcc_lo, exec_lo, s50
	s_cbranch_vccz .LBB85_1201
; %bb.1163:
	s_and_b32 s49, 0xffff, s49
	s_mov_b32 s50, -1
	s_cmp_lt_i32 s49, 5
	s_cbranch_scc1 .LBB85_1184
; %bb.1164:
	s_cmp_lt_i32 s49, 8
	s_cbranch_scc1 .LBB85_1174
; %bb.1165:
	;; [unrolled: 3-line block ×3, first 2 shown]
	s_cmp_gt_i32 s49, 9
	s_cbranch_scc0 .LBB85_1168
; %bb.1167:
	s_wait_xcnt 0x0
	v_cvt_f32_f16_e32 v4, v1
	v_mov_b32_e32 v6, 0
	s_mov_b32 s50, 0
	s_delay_alu instid0(VALU_DEP_2) | instskip(NEXT) | instid1(VALU_DEP_2)
	v_cvt_f64_f32_e32 v[4:5], v4
	v_mov_b32_e32 v7, v6
	global_store_b128 v[2:3], v[4:7], off
.LBB85_1168:
	s_and_not1_b32 vcc_lo, exec_lo, s50
	s_cbranch_vccnz .LBB85_1170
; %bb.1169:
	s_wait_xcnt 0x0
	v_cvt_f32_f16_e32 v4, v1
	v_mov_b32_e32 v5, 0
	global_store_b64 v[2:3], v[4:5], off
.LBB85_1170:
	s_mov_b32 s50, 0
.LBB85_1171:
	s_delay_alu instid0(SALU_CYCLE_1)
	s_and_not1_b32 vcc_lo, exec_lo, s50
	s_cbranch_vccnz .LBB85_1173
; %bb.1172:
	s_wait_xcnt 0x0
	v_and_b32_e32 v4, 0xffff, v1
	global_store_b32 v[2:3], v4, off
.LBB85_1173:
	s_mov_b32 s50, 0
.LBB85_1174:
	s_delay_alu instid0(SALU_CYCLE_1)
	s_and_not1_b32 vcc_lo, exec_lo, s50
	s_cbranch_vccnz .LBB85_1183
; %bb.1175:
	s_cmp_lt_i32 s49, 6
	s_mov_b32 s50, -1
	s_cbranch_scc1 .LBB85_1181
; %bb.1176:
	s_cmp_gt_i32 s49, 6
	s_cbranch_scc0 .LBB85_1178
; %bb.1177:
	s_wait_xcnt 0x0
	v_cvt_f32_f16_e32 v4, v1
	s_mov_b32 s50, 0
	s_delay_alu instid0(VALU_DEP_1)
	v_cvt_f64_f32_e32 v[4:5], v4
	global_store_b64 v[2:3], v[4:5], off
.LBB85_1178:
	s_and_not1_b32 vcc_lo, exec_lo, s50
	s_cbranch_vccnz .LBB85_1180
; %bb.1179:
	s_wait_xcnt 0x0
	v_cvt_f32_f16_e32 v4, v1
	global_store_b32 v[2:3], v4, off
.LBB85_1180:
	s_mov_b32 s50, 0
.LBB85_1181:
	s_delay_alu instid0(SALU_CYCLE_1)
	s_and_not1_b32 vcc_lo, exec_lo, s50
	s_cbranch_vccnz .LBB85_1183
; %bb.1182:
	global_store_b16 v[2:3], v1, off
.LBB85_1183:
	s_mov_b32 s50, 0
.LBB85_1184:
	s_delay_alu instid0(SALU_CYCLE_1)
	s_and_not1_b32 vcc_lo, exec_lo, s50
	s_cbranch_vccnz .LBB85_1200
; %bb.1185:
	s_cmp_lt_i32 s49, 2
	s_mov_b32 s50, -1
	s_cbranch_scc1 .LBB85_1195
; %bb.1186:
	s_cmp_lt_i32 s49, 3
	s_cbranch_scc1 .LBB85_1192
; %bb.1187:
	s_cmp_gt_i32 s49, 3
	s_cbranch_scc0 .LBB85_1189
; %bb.1188:
	s_wait_xcnt 0x0
	v_cvt_f32_f16_e32 v4, v1
	s_mov_b32 s50, 0
	s_delay_alu instid0(VALU_DEP_1) | instskip(NEXT) | instid1(VALU_DEP_1)
	v_cvt_i32_f32_e32 v4, v4
	v_ashrrev_i32_e32 v5, 31, v4
	global_store_b64 v[2:3], v[4:5], off
.LBB85_1189:
	s_and_not1_b32 vcc_lo, exec_lo, s50
	s_cbranch_vccnz .LBB85_1191
; %bb.1190:
	s_wait_xcnt 0x0
	v_cvt_f32_f16_e32 v4, v1
	s_delay_alu instid0(VALU_DEP_1)
	v_cvt_i32_f32_e32 v4, v4
	global_store_b32 v[2:3], v4, off
.LBB85_1191:
	s_mov_b32 s50, 0
.LBB85_1192:
	s_delay_alu instid0(SALU_CYCLE_1)
	s_and_not1_b32 vcc_lo, exec_lo, s50
	s_cbranch_vccnz .LBB85_1194
; %bb.1193:
	s_wait_xcnt 0x0
	v_cvt_i16_f16_e32 v4, v1
	global_store_b16 v[2:3], v4, off
.LBB85_1194:
	s_mov_b32 s50, 0
.LBB85_1195:
	s_delay_alu instid0(SALU_CYCLE_1)
	s_and_not1_b32 vcc_lo, exec_lo, s50
	s_cbranch_vccnz .LBB85_1200
; %bb.1196:
	s_cmp_gt_i32 s49, 0
	s_mov_b32 s49, -1
	s_cbranch_scc0 .LBB85_1198
; %bb.1197:
	s_wait_xcnt 0x0
	v_cvt_i16_f16_e32 v4, v1
	s_mov_b32 s49, 0
	global_store_b8 v[2:3], v4, off
.LBB85_1198:
	s_and_not1_b32 vcc_lo, exec_lo, s49
	s_cbranch_vccnz .LBB85_1200
; %bb.1199:
	s_wait_xcnt 0x0
	v_cvt_f32_f16_e32 v1, v1
	s_delay_alu instid0(VALU_DEP_1)
	v_cvt_i32_f32_e32 v1, v1
	global_store_b8 v[2:3], v1, off
.LBB85_1200:
	s_mov_b32 s51, -1
.LBB85_1201:
	s_delay_alu instid0(SALU_CYCLE_1)
	s_and_not1_b32 vcc_lo, exec_lo, s51
	s_cbranch_vccnz .LBB85_1203
; %bb.1202:
	v_add_nc_u32_e32 v0, 0x80, v0
	s_mov_b32 s52, -1
	s_branch .LBB85_1205
.LBB85_1203:
	s_mov_b32 s52, 0
.LBB85_1204:
                                        ; implicit-def: $vgpr0
.LBB85_1205:
	s_and_not1_b32 s49, s45, exec_lo
	s_and_b32 s0, s0, exec_lo
	s_and_b32 s27, s27, exec_lo
	s_or_b32 s50, s49, s0
	s_and_not1_b32 s0, s46, exec_lo
	s_and_not1_b32 s49, s44, exec_lo
	s_and_b32 s26, s26, exec_lo
	s_or_b32 s51, s0, s27
	s_or_b32 s49, s49, s26
	s_or_not1_b32 s53, s52, exec_lo
.LBB85_1206:
	s_wait_xcnt 0x0
	s_or_b32 exec_lo, exec_lo, s48
	s_mov_b32 s27, 0
	s_mov_b32 s52, 0
	;; [unrolled: 1-line block ×3, first 2 shown]
                                        ; implicit-def: $sgpr0
                                        ; implicit-def: $vgpr6_vgpr7
                                        ; implicit-def: $vgpr4
                                        ; implicit-def: $vgpr2
                                        ; implicit-def: $vgpr8
	s_and_saveexec_b32 s48, s53
	s_cbranch_execz .LBB85_1301
; %bb.1207:
	v_cmp_gt_i32_e32 vcc_lo, s38, v0
	s_mov_b32 s53, s49
                                        ; implicit-def: $sgpr0
                                        ; implicit-def: $vgpr6_vgpr7
                                        ; implicit-def: $vgpr4
                                        ; implicit-def: $vgpr2
                                        ; implicit-def: $vgpr8
	s_and_saveexec_b32 s38, vcc_lo
	s_cbranch_execz .LBB85_1300
; %bb.1208:
	s_and_not1_b32 vcc_lo, exec_lo, s31
	s_cbranch_vccnz .LBB85_1214
; %bb.1209:
	s_and_not1_b32 vcc_lo, exec_lo, s39
	s_cbranch_vccnz .LBB85_1215
; %bb.1210:
	s_wait_loadcnt 0x0
	v_dual_mov_b32 v2, 0 :: v_dual_mov_b32 v1, v0
	v_dual_mov_b32 v6, 0 :: v_dual_mov_b32 v4, 0
	s_add_co_i32 s0, s37, 1
	s_mov_b64 s[26:27], 0xffffffffffffffe8
	s_and_b32 s0, s0, 30
	s_add_nc_u64 s[26:27], s[2:3], s[26:27]
.LBB85_1211:                            ; =>This Inner Loop Header: Depth=1
	s_clause 0x1
	s_load_b128 s[52:55], s[26:27], 0x1c
	s_load_b64 s[60:61], s[26:27], 0x2c
	s_add_co_i32 s0, s0, -2
	s_delay_alu instid0(SALU_CYCLE_1) | instskip(SKIP_2) | instid1(VALU_DEP_1)
	s_cmp_eq_u32 s0, 0
	s_wait_kmcnt 0x0
	v_mul_hi_u32 v3, s53, v1
	v_add_nc_u32_e32 v3, v1, v3
	s_delay_alu instid0(VALU_DEP_1) | instskip(NEXT) | instid1(VALU_DEP_1)
	v_lshrrev_b32_e32 v3, s54, v3
	v_mul_hi_u32 v5, s60, v3
	v_mul_lo_u32 v7, v3, s52
	s_clause 0x1
	s_load_b128 s[56:59], s[26:27], 0xdc
	s_load_b64 s[52:53], s[26:27], 0xec
	s_wait_xcnt 0x0
	s_add_nc_u64 s[26:27], s[26:27], 24
	s_delay_alu instid0(VALU_DEP_1) | instskip(NEXT) | instid1(VALU_DEP_1)
	v_dual_add_nc_u32 v5, v3, v5 :: v_dual_sub_nc_u32 v7, v1, v7
	v_lshrrev_b32_e32 v1, s61, v5
	s_wait_kmcnt 0x0
	s_delay_alu instid0(VALU_DEP_2) | instskip(NEXT) | instid1(VALU_DEP_2)
	v_mad_u32 v2, v7, s56, v2
	v_mul_lo_u32 v5, v1, s55
	v_mad_u32 v4, v7, s58, v4
	v_mad_u32 v6, v7, s57, v6
	s_delay_alu instid0(VALU_DEP_3) | instskip(NEXT) | instid1(VALU_DEP_1)
	v_sub_nc_u32_e32 v3, v3, v5
	v_mad_u32 v2, v3, s59, v2
	s_delay_alu instid0(VALU_DEP_4) | instskip(NEXT) | instid1(VALU_DEP_4)
	v_mad_u32 v4, v3, s53, v4
	v_mad_u32 v6, v3, s52, v6
	s_cbranch_scc0 .LBB85_1211
; %bb.1212:
	s_bitcmp1_b32 s37, 0
	s_cselect_b32 s0, -1, 0
	s_delay_alu instid0(SALU_CYCLE_1)
	s_and_b32 vcc_lo, exec_lo, s0
	s_cbranch_vccnz .LBB85_1216
; %bb.1213:
	s_clause 0x1
	s_load_b96 s[52:54], s[26:27], 0x1c
	s_load_b96 s[56:58], s[26:27], 0xdc
	s_wait_kmcnt 0x0
	v_mul_hi_u32 v3, s53, v1
	s_delay_alu instid0(VALU_DEP_1) | instskip(NEXT) | instid1(VALU_DEP_1)
	v_add_nc_u32_e32 v3, v1, v3
	v_lshrrev_b32_e32 v3, s54, v3
	s_delay_alu instid0(VALU_DEP_1) | instskip(NEXT) | instid1(VALU_DEP_1)
	v_mul_lo_u32 v3, v3, s52
	v_sub_nc_u32_e32 v1, v1, v3
	s_delay_alu instid0(VALU_DEP_1)
	v_mad_u32 v2, v1, s56, v2
	v_mad_u32 v6, v1, s57, v6
	;; [unrolled: 1-line block ×3, first 2 shown]
	s_branch .LBB85_1216
.LBB85_1214:
	s_mov_b32 s0, -1
                                        ; implicit-def: $vgpr4
                                        ; implicit-def: $vgpr6
                                        ; implicit-def: $vgpr2
	s_branch .LBB85_1217
.LBB85_1215:
	v_dual_mov_b32 v4, 0 :: v_dual_mov_b32 v6, 0
	v_mov_b32_e32 v2, 0
.LBB85_1216:
	s_mov_b32 s0, 0
.LBB85_1217:
	s_delay_alu instid0(SALU_CYCLE_1)
	s_and_not1_b32 vcc_lo, exec_lo, s0
	s_cbranch_vccnz .LBB85_1220
; %bb.1218:
	s_wait_loadcnt 0x0
	v_mov_b32_e32 v1, 0
	s_and_not1_b32 vcc_lo, exec_lo, s36
	s_delay_alu instid0(VALU_DEP_1) | instskip(NEXT) | instid1(VALU_DEP_1)
	v_mul_u64_e32 v[2:3], s[20:21], v[0:1]
	v_add_nc_u32_e32 v2, v0, v3
	s_delay_alu instid0(VALU_DEP_1) | instskip(NEXT) | instid1(VALU_DEP_1)
	v_lshrrev_b32_e32 v8, s14, v2
	v_mul_lo_u32 v2, v8, s12
	s_delay_alu instid0(VALU_DEP_1) | instskip(NEXT) | instid1(VALU_DEP_1)
	v_sub_nc_u32_e32 v0, v0, v2
	v_mul_lo_u32 v2, v0, s16
	v_mul_lo_u32 v4, v0, s18
	;; [unrolled: 1-line block ×3, first 2 shown]
	s_cbranch_vccnz .LBB85_1220
; %bb.1219:
	v_mov_b32_e32 v9, v1
	s_delay_alu instid0(VALU_DEP_1) | instskip(NEXT) | instid1(VALU_DEP_1)
	v_mul_u64_e32 v[0:1], s[24:25], v[8:9]
	v_add_nc_u32_e32 v0, v8, v1
	s_delay_alu instid0(VALU_DEP_1) | instskip(NEXT) | instid1(VALU_DEP_1)
	v_lshrrev_b32_e32 v0, s1, v0
	v_mul_lo_u32 v0, v0, s15
	s_delay_alu instid0(VALU_DEP_1) | instskip(NEXT) | instid1(VALU_DEP_1)
	v_sub_nc_u32_e32 v0, v8, v0
	v_mad_u32 v2, v0, s19, v2
	v_mad_u32 v6, v0, s22, v6
	;; [unrolled: 1-line block ×3, first 2 shown]
.LBB85_1220:
	v_mov_b32_e32 v7, 0
	s_and_b32 s0, s35, 0xff
	s_delay_alu instid0(SALU_CYCLE_1) | instskip(NEXT) | instid1(VALU_DEP_1)
	s_cmp_lt_i32 s0, 11
	v_add_nc_u64_e32 v[6:7], s[6:7], v[6:7]
	s_cbranch_scc1 .LBB85_1227
; %bb.1221:
	s_and_b32 s1, 0xffff, s0
	s_mov_b32 s7, 0
	s_cmp_gt_i32 s1, 25
	s_cbranch_scc0 .LBB85_1228
; %bb.1222:
	s_cmp_gt_i32 s1, 28
	s_cbranch_scc0 .LBB85_1229
; %bb.1223:
	;; [unrolled: 3-line block ×4, first 2 shown]
	s_cmp_eq_u32 s1, 46
	s_mov_b32 s14, 0
	s_cbranch_scc0 .LBB85_1234
; %bb.1226:
	global_load_b32 v0, v[6:7], off
	s_mov_b32 s6, 0
	s_mov_b32 s12, -1
	s_wait_loadcnt 0x0
	v_lshlrev_b32_e32 v0, 16, v0
	s_delay_alu instid0(VALU_DEP_1)
	v_cvt_f16_f32_e32 v8, v0
	s_branch .LBB85_1236
.LBB85_1227:
	s_mov_b32 s1, -1
	s_mov_b32 s12, 0
	s_mov_b32 s7, 0
	;; [unrolled: 1-line block ×3, first 2 shown]
                                        ; implicit-def: $vgpr8
	s_branch .LBB85_1299
.LBB85_1228:
	s_mov_b32 s14, -1
	s_mov_b32 s12, 0
	s_mov_b32 s6, s49
                                        ; implicit-def: $vgpr8
	s_branch .LBB85_1265
.LBB85_1229:
	s_mov_b32 s14, -1
	s_mov_b32 s12, 0
	s_mov_b32 s6, s49
                                        ; implicit-def: $vgpr8
	s_branch .LBB85_1246
.LBB85_1230:
	s_mov_b32 s14, -1
	s_mov_b32 s12, 0
	s_mov_b32 s6, s49
                                        ; implicit-def: $vgpr8
	s_branch .LBB85_1241
.LBB85_1231:
	s_mov_b32 s14, -1
	s_mov_b32 s12, 0
	s_mov_b32 s6, s49
	s_branch .LBB85_1235
.LBB85_1232:
	s_and_not1_saveexec_b32 s53, s53
	s_cbranch_execz .LBB85_1114
.LBB85_1233:
	v_add_f32_e64 v5, 0x46000000, |v4|
	s_and_not1_b32 s52, s52, exec_lo
	s_delay_alu instid0(VALU_DEP_1) | instskip(NEXT) | instid1(VALU_DEP_1)
	v_and_b32_e32 v5, 0xff, v5
	v_cmp_ne_u32_e32 vcc_lo, 0, v5
	s_and_b32 s54, vcc_lo, exec_lo
	s_delay_alu instid0(SALU_CYCLE_1)
	s_or_b32 s52, s52, s54
	s_or_b32 exec_lo, exec_lo, s53
	v_mov_b32_e32 v6, 0
	s_and_saveexec_b32 s53, s52
	s_cbranch_execnz .LBB85_1115
	s_branch .LBB85_1116
.LBB85_1234:
	s_mov_b32 s6, -1
	s_mov_b32 s12, 0
.LBB85_1235:
                                        ; implicit-def: $vgpr8
.LBB85_1236:
	s_and_b32 vcc_lo, exec_lo, s14
	s_cbranch_vccz .LBB85_1240
; %bb.1237:
	s_cmp_eq_u32 s1, 44
	s_cbranch_scc0 .LBB85_1239
; %bb.1238:
	global_load_u8 v0, v[6:7], off
	s_mov_b32 s6, 0
	s_mov_b32 s12, -1
	s_wait_loadcnt 0x0
	v_lshlrev_b32_e32 v1, 23, v0
	v_cmp_ne_u32_e32 vcc_lo, 0xff, v0
	s_delay_alu instid0(VALU_DEP_2) | instskip(NEXT) | instid1(VALU_DEP_1)
	v_cvt_f16_f32_e32 v1, v1
	v_cndmask_b32_e32 v1, 0x7e00, v1, vcc_lo
	v_cmp_ne_u32_e32 vcc_lo, 0, v0
	s_delay_alu instid0(VALU_DEP_2)
	v_cndmask_b32_e32 v8, 0, v1, vcc_lo
	s_branch .LBB85_1240
.LBB85_1239:
	s_mov_b32 s6, -1
                                        ; implicit-def: $vgpr8
.LBB85_1240:
	s_mov_b32 s14, 0
.LBB85_1241:
	s_delay_alu instid0(SALU_CYCLE_1)
	s_and_b32 vcc_lo, exec_lo, s14
	s_cbranch_vccz .LBB85_1245
; %bb.1242:
	s_cmp_eq_u32 s1, 29
	s_cbranch_scc0 .LBB85_1244
; %bb.1243:
	s_wait_loadcnt 0x0
	global_load_b64 v[0:1], v[6:7], off
	s_mov_b32 s6, 0
	s_mov_b32 s12, -1
	s_mov_b32 s14, 0
	s_wait_loadcnt 0x0
	v_clz_i32_u32_e32 v3, v1
	s_delay_alu instid0(VALU_DEP_1) | instskip(NEXT) | instid1(VALU_DEP_1)
	v_min_u32_e32 v3, 32, v3
	v_lshlrev_b64_e32 v[0:1], v3, v[0:1]
	s_delay_alu instid0(VALU_DEP_1) | instskip(NEXT) | instid1(VALU_DEP_1)
	v_min_u32_e32 v0, 1, v0
	v_dual_sub_nc_u32 v1, 32, v3 :: v_dual_bitop2_b32 v0, v1, v0 bitop3:0x54
	s_delay_alu instid0(VALU_DEP_1) | instskip(NEXT) | instid1(VALU_DEP_1)
	v_cvt_f32_u32_e32 v0, v0
	v_ldexp_f32 v0, v0, v1
	s_delay_alu instid0(VALU_DEP_1)
	v_cvt_f16_f32_e32 v8, v0
	s_branch .LBB85_1246
.LBB85_1244:
	s_mov_b32 s6, -1
                                        ; implicit-def: $vgpr8
.LBB85_1245:
	s_mov_b32 s14, 0
.LBB85_1246:
	s_delay_alu instid0(SALU_CYCLE_1)
	s_and_b32 vcc_lo, exec_lo, s14
	s_cbranch_vccz .LBB85_1264
; %bb.1247:
	s_cmp_lt_i32 s1, 27
	s_cbranch_scc1 .LBB85_1250
; %bb.1248:
	s_cmp_gt_i32 s1, 27
	s_cbranch_scc0 .LBB85_1251
; %bb.1249:
	global_load_b32 v0, v[6:7], off
	s_mov_b32 s12, 0
	s_wait_loadcnt 0x0
	v_cvt_f32_u32_e32 v0, v0
	s_delay_alu instid0(VALU_DEP_1)
	v_cvt_f16_f32_e32 v8, v0
	s_branch .LBB85_1252
.LBB85_1250:
	s_mov_b32 s12, -1
                                        ; implicit-def: $vgpr8
	s_branch .LBB85_1255
.LBB85_1251:
	s_mov_b32 s12, -1
                                        ; implicit-def: $vgpr8
.LBB85_1252:
	s_delay_alu instid0(SALU_CYCLE_1)
	s_and_not1_b32 vcc_lo, exec_lo, s12
	s_cbranch_vccnz .LBB85_1254
; %bb.1253:
	global_load_u16 v0, v[6:7], off
	s_wait_loadcnt 0x0
	v_cvt_f16_u16_e32 v8, v0
.LBB85_1254:
	s_mov_b32 s12, 0
.LBB85_1255:
	s_delay_alu instid0(SALU_CYCLE_1)
	s_and_not1_b32 vcc_lo, exec_lo, s12
	s_cbranch_vccnz .LBB85_1263
; %bb.1256:
	global_load_u8 v0, v[6:7], off
	s_mov_b32 s12, 0
	s_mov_b32 s14, exec_lo
	s_wait_loadcnt 0x0
	v_cmpx_lt_i16_e32 0x7f, v0
	s_xor_b32 s14, exec_lo, s14
	s_cbranch_execz .LBB85_1277
; %bb.1257:
	s_mov_b32 s12, -1
	s_mov_b32 s15, exec_lo
	v_cmpx_eq_u16_e32 0x80, v0
; %bb.1258:
	s_xor_b32 s12, exec_lo, -1
; %bb.1259:
	s_or_b32 exec_lo, exec_lo, s15
	s_delay_alu instid0(SALU_CYCLE_1)
	s_and_b32 s12, s12, exec_lo
	s_or_saveexec_b32 s14, s14
	v_mov_b32_e32 v8, 0x7e00
	s_xor_b32 exec_lo, exec_lo, s14
	s_cbranch_execnz .LBB85_1278
.LBB85_1260:
	s_or_b32 exec_lo, exec_lo, s14
	s_and_saveexec_b32 s14, s12
	s_cbranch_execz .LBB85_1262
.LBB85_1261:
	v_and_b32_e32 v1, 0xffff, v0
	s_delay_alu instid0(VALU_DEP_1) | instskip(SKIP_1) | instid1(VALU_DEP_2)
	v_dual_lshlrev_b32 v0, 24, v0 :: v_dual_bitop2_b32 v3, 7, v1 bitop3:0x40
	v_bfe_u32 v9, v1, 3, 4
	v_and_b32_e32 v0, 0x80000000, v0
	s_delay_alu instid0(VALU_DEP_3) | instskip(NEXT) | instid1(VALU_DEP_3)
	v_clz_i32_u32_e32 v5, v3
	v_cmp_eq_u32_e32 vcc_lo, 0, v9
	s_delay_alu instid0(VALU_DEP_2) | instskip(NEXT) | instid1(VALU_DEP_1)
	v_min_u32_e32 v5, 32, v5
	v_subrev_nc_u32_e32 v8, 28, v5
	v_sub_nc_u32_e32 v5, 29, v5
	s_delay_alu instid0(VALU_DEP_2) | instskip(NEXT) | instid1(VALU_DEP_2)
	v_lshlrev_b32_e32 v1, v8, v1
	v_cndmask_b32_e32 v5, v9, v5, vcc_lo
	s_delay_alu instid0(VALU_DEP_2) | instskip(NEXT) | instid1(VALU_DEP_1)
	v_and_b32_e32 v1, 7, v1
	v_cndmask_b32_e32 v1, v3, v1, vcc_lo
	s_delay_alu instid0(VALU_DEP_3) | instskip(NEXT) | instid1(VALU_DEP_2)
	v_lshl_add_u32 v3, v5, 23, 0x3b800000
	v_lshlrev_b32_e32 v1, 20, v1
	s_delay_alu instid0(VALU_DEP_1) | instskip(NEXT) | instid1(VALU_DEP_1)
	v_or3_b32 v0, v0, v3, v1
	v_cvt_f16_f32_e32 v8, v0
.LBB85_1262:
	s_or_b32 exec_lo, exec_lo, s14
.LBB85_1263:
	s_mov_b32 s12, -1
.LBB85_1264:
	s_mov_b32 s14, 0
.LBB85_1265:
	s_delay_alu instid0(SALU_CYCLE_1)
	s_and_b32 vcc_lo, exec_lo, s14
	s_cbranch_vccz .LBB85_1298
; %bb.1266:
	s_cmp_gt_i32 s1, 22
	s_cbranch_scc0 .LBB85_1276
; %bb.1267:
	s_cmp_lt_i32 s1, 24
	s_cbranch_scc1 .LBB85_1279
; %bb.1268:
	s_cmp_gt_i32 s1, 24
	s_cbranch_scc0 .LBB85_1280
; %bb.1269:
	global_load_u8 v0, v[6:7], off
	s_mov_b32 s12, exec_lo
	s_wait_loadcnt 0x0
	v_cmpx_lt_i16_e32 0x7f, v0
	s_xor_b32 s12, exec_lo, s12
	s_cbranch_execz .LBB85_1292
; %bb.1270:
	s_mov_b32 s7, -1
	s_mov_b32 s14, exec_lo
	v_cmpx_eq_u16_e32 0x80, v0
; %bb.1271:
	s_xor_b32 s7, exec_lo, -1
; %bb.1272:
	s_or_b32 exec_lo, exec_lo, s14
	s_delay_alu instid0(SALU_CYCLE_1)
	s_and_b32 s7, s7, exec_lo
	s_or_saveexec_b32 s12, s12
	v_mov_b32_e32 v8, 0x7e00
	s_xor_b32 exec_lo, exec_lo, s12
	s_cbranch_execnz .LBB85_1293
.LBB85_1273:
	s_or_b32 exec_lo, exec_lo, s12
	s_and_saveexec_b32 s12, s7
	s_cbranch_execz .LBB85_1275
.LBB85_1274:
	v_and_b32_e32 v1, 0xffff, v0
	s_delay_alu instid0(VALU_DEP_1) | instskip(SKIP_1) | instid1(VALU_DEP_2)
	v_dual_lshlrev_b32 v0, 24, v0 :: v_dual_bitop2_b32 v3, 3, v1 bitop3:0x40
	v_bfe_u32 v9, v1, 2, 5
	v_and_b32_e32 v0, 0x80000000, v0
	s_delay_alu instid0(VALU_DEP_3) | instskip(NEXT) | instid1(VALU_DEP_3)
	v_clz_i32_u32_e32 v5, v3
	v_cmp_eq_u32_e32 vcc_lo, 0, v9
	s_delay_alu instid0(VALU_DEP_2) | instskip(NEXT) | instid1(VALU_DEP_1)
	v_min_u32_e32 v5, 32, v5
	v_subrev_nc_u32_e32 v8, 29, v5
	v_sub_nc_u32_e32 v5, 30, v5
	s_delay_alu instid0(VALU_DEP_2) | instskip(NEXT) | instid1(VALU_DEP_2)
	v_lshlrev_b32_e32 v1, v8, v1
	v_cndmask_b32_e32 v5, v9, v5, vcc_lo
	s_delay_alu instid0(VALU_DEP_2) | instskip(NEXT) | instid1(VALU_DEP_1)
	v_and_b32_e32 v1, 3, v1
	v_cndmask_b32_e32 v1, v3, v1, vcc_lo
	s_delay_alu instid0(VALU_DEP_3) | instskip(NEXT) | instid1(VALU_DEP_2)
	v_lshl_add_u32 v3, v5, 23, 0x37800000
	v_lshlrev_b32_e32 v1, 21, v1
	s_delay_alu instid0(VALU_DEP_1) | instskip(NEXT) | instid1(VALU_DEP_1)
	v_or3_b32 v0, v0, v3, v1
	v_cvt_f16_f32_e32 v8, v0
.LBB85_1275:
	s_or_b32 exec_lo, exec_lo, s12
	s_mov_b32 s7, 0
	s_branch .LBB85_1281
.LBB85_1276:
	s_mov_b32 s7, -1
                                        ; implicit-def: $vgpr8
	s_branch .LBB85_1287
.LBB85_1277:
	s_or_saveexec_b32 s14, s14
	v_mov_b32_e32 v8, 0x7e00
	s_xor_b32 exec_lo, exec_lo, s14
	s_cbranch_execz .LBB85_1260
.LBB85_1278:
	v_cmp_ne_u16_e32 vcc_lo, 0, v0
	v_mov_b32_e32 v8, v0
	s_and_not1_b32 s12, s12, exec_lo
	s_and_b32 s15, vcc_lo, exec_lo
	s_delay_alu instid0(SALU_CYCLE_1)
	s_or_b32 s12, s12, s15
	s_or_b32 exec_lo, exec_lo, s14
	s_and_saveexec_b32 s14, s12
	s_cbranch_execnz .LBB85_1261
	s_branch .LBB85_1262
.LBB85_1279:
	s_mov_b32 s7, -1
                                        ; implicit-def: $vgpr8
	s_branch .LBB85_1284
.LBB85_1280:
	s_mov_b32 s7, -1
                                        ; implicit-def: $vgpr8
.LBB85_1281:
	s_delay_alu instid0(SALU_CYCLE_1)
	s_and_b32 vcc_lo, exec_lo, s7
	s_cbranch_vccz .LBB85_1283
; %bb.1282:
	global_load_u8 v0, v[6:7], off
	s_wait_loadcnt 0x0
	v_lshlrev_b32_e32 v0, 24, v0
	s_delay_alu instid0(VALU_DEP_1) | instskip(NEXT) | instid1(VALU_DEP_1)
	v_and_b32_e32 v1, 0x7f000000, v0
	v_clz_i32_u32_e32 v3, v1
	v_cmp_ne_u32_e32 vcc_lo, 0, v1
	v_add_nc_u32_e32 v8, 0x1000000, v1
	s_delay_alu instid0(VALU_DEP_3) | instskip(NEXT) | instid1(VALU_DEP_1)
	v_min_u32_e32 v3, 32, v3
	v_sub_nc_u32_e64 v3, v3, 4 clamp
	s_delay_alu instid0(VALU_DEP_1) | instskip(NEXT) | instid1(VALU_DEP_1)
	v_dual_lshlrev_b32 v5, v3, v1 :: v_dual_lshlrev_b32 v3, 23, v3
	v_lshrrev_b32_e32 v5, 4, v5
	s_delay_alu instid0(VALU_DEP_1) | instskip(NEXT) | instid1(VALU_DEP_1)
	v_dual_sub_nc_u32 v3, v5, v3 :: v_dual_ashrrev_i32 v5, 8, v8
	v_add_nc_u32_e32 v3, 0x3c000000, v3
	s_delay_alu instid0(VALU_DEP_1) | instskip(NEXT) | instid1(VALU_DEP_1)
	v_and_or_b32 v3, 0x7f800000, v5, v3
	v_cndmask_b32_e32 v1, 0, v3, vcc_lo
	s_delay_alu instid0(VALU_DEP_1) | instskip(NEXT) | instid1(VALU_DEP_1)
	v_and_or_b32 v0, 0x80000000, v0, v1
	v_cvt_f16_f32_e32 v8, v0
.LBB85_1283:
	s_mov_b32 s7, 0
.LBB85_1284:
	s_delay_alu instid0(SALU_CYCLE_1)
	s_and_not1_b32 vcc_lo, exec_lo, s7
	s_cbranch_vccnz .LBB85_1286
; %bb.1285:
	global_load_u8 v0, v[6:7], off
	s_wait_loadcnt 0x0
	v_lshlrev_b32_e32 v1, 25, v0
	v_lshlrev_b16 v0, 8, v0
	s_delay_alu instid0(VALU_DEP_1) | instskip(SKIP_1) | instid1(VALU_DEP_2)
	v_and_or_b32 v5, 0x7f00, v0, 0.5
	v_bfe_i32 v0, v0, 0, 16
	v_add_f32_e32 v5, -0.5, v5
	v_lshrrev_b32_e32 v3, 4, v1
	v_cmp_gt_u32_e32 vcc_lo, 0x8000000, v1
	s_delay_alu instid0(VALU_DEP_2) | instskip(NEXT) | instid1(VALU_DEP_1)
	v_or_b32_e32 v3, 0x70000000, v3
	v_mul_f32_e32 v3, 0x7800000, v3
	s_delay_alu instid0(VALU_DEP_1) | instskip(NEXT) | instid1(VALU_DEP_1)
	v_cndmask_b32_e32 v1, v3, v5, vcc_lo
	v_and_or_b32 v0, 0x80000000, v0, v1
	s_delay_alu instid0(VALU_DEP_1)
	v_cvt_f16_f32_e32 v8, v0
.LBB85_1286:
	s_mov_b32 s7, 0
	s_mov_b32 s12, -1
.LBB85_1287:
	s_and_not1_b32 vcc_lo, exec_lo, s7
	s_mov_b32 s7, 0
	s_cbranch_vccnz .LBB85_1298
; %bb.1288:
	s_cmp_gt_i32 s1, 14
	s_cbranch_scc0 .LBB85_1291
; %bb.1289:
	s_cmp_eq_u32 s1, 15
	s_cbranch_scc0 .LBB85_1294
; %bb.1290:
	global_load_u16 v0, v[6:7], off
	s_mov_b32 s6, 0
	s_mov_b32 s12, -1
	s_wait_loadcnt 0x0
	v_lshlrev_b32_e32 v0, 16, v0
	s_delay_alu instid0(VALU_DEP_1)
	v_cvt_f16_f32_e32 v8, v0
	s_branch .LBB85_1296
.LBB85_1291:
	s_mov_b32 s7, -1
	s_branch .LBB85_1295
.LBB85_1292:
	s_or_saveexec_b32 s12, s12
	v_mov_b32_e32 v8, 0x7e00
	s_xor_b32 exec_lo, exec_lo, s12
	s_cbranch_execz .LBB85_1273
.LBB85_1293:
	v_cmp_ne_u16_e32 vcc_lo, 0, v0
	v_mov_b32_e32 v8, v0
	s_and_not1_b32 s7, s7, exec_lo
	s_and_b32 s14, vcc_lo, exec_lo
	s_delay_alu instid0(SALU_CYCLE_1)
	s_or_b32 s7, s7, s14
	s_or_b32 exec_lo, exec_lo, s12
	s_and_saveexec_b32 s12, s7
	s_cbranch_execnz .LBB85_1274
	s_branch .LBB85_1275
.LBB85_1294:
	s_mov_b32 s6, -1
.LBB85_1295:
                                        ; implicit-def: $vgpr8
.LBB85_1296:
	s_and_b32 vcc_lo, exec_lo, s7
	s_mov_b32 s7, 0
	s_cbranch_vccz .LBB85_1298
; %bb.1297:
	s_cmp_lg_u32 s1, 11
	s_mov_b32 s7, -1
	s_cselect_b32 s1, -1, 0
	s_and_not1_b32 s6, s6, exec_lo
	s_and_b32 s1, s1, exec_lo
	s_delay_alu instid0(SALU_CYCLE_1)
	s_or_b32 s6, s6, s1
.LBB85_1298:
	s_mov_b32 s1, 0
.LBB85_1299:
	s_delay_alu instid0(SALU_CYCLE_1)
	s_and_b32 s52, s1, exec_lo
	s_and_not1_b32 s1, s49, exec_lo
	s_and_b32 s6, s6, exec_lo
	s_and_b32 s26, s12, exec_lo
	;; [unrolled: 1-line block ×3, first 2 shown]
	s_or_b32 s53, s1, s6
.LBB85_1300:
	s_wait_xcnt 0x0
	s_or_b32 exec_lo, exec_lo, s38
	s_delay_alu instid0(SALU_CYCLE_1)
	s_and_not1_b32 s1, s49, exec_lo
	s_and_b32 s6, s53, exec_lo
	s_and_b32 s26, s26, exec_lo
	;; [unrolled: 1-line block ×4, first 2 shown]
	s_or_b32 s49, s1, s6
.LBB85_1301:
	s_or_b32 exec_lo, exec_lo, s48
	s_delay_alu instid0(SALU_CYCLE_1)
	s_and_not1_b32 s1, s45, exec_lo
	s_and_b32 s6, s50, exec_lo
	s_and_not1_b32 s7, s46, exec_lo
	s_and_b32 s12, s51, exec_lo
	s_or_b32 s45, s1, s6
	s_and_not1_b32 s1, s44, exec_lo
	s_and_b32 s6, s49, exec_lo
	s_or_b32 s46, s7, s12
	s_and_b32 s26, s26, exec_lo
	s_and_b32 s48, s52, exec_lo
	s_and_b32 s27, s27, exec_lo
	s_or_b32 s44, s1, s6
.LBB85_1302:
	s_or_b32 exec_lo, exec_lo, s47
	s_delay_alu instid0(SALU_CYCLE_1)
	s_and_not1_b32 s1, s40, exec_lo
	s_and_b32 s6, s45, exec_lo
	s_and_not1_b32 s7, s41, exec_lo
	s_and_b32 s12, s46, exec_lo
	s_or_b32 s40, s1, s6
	s_and_not1_b32 s1, s42, exec_lo
	s_and_b32 s6, s44, exec_lo
	s_or_b32 s41, s7, s12
	s_and_b32 s26, s26, exec_lo
	s_and_b32 s45, s48, exec_lo
	;; [unrolled: 1-line block ×3, first 2 shown]
	s_or_b32 s42, s1, s6
	s_or_b32 exec_lo, exec_lo, s43
	s_mov_b32 s1, 0
	s_and_saveexec_b32 s6, s42
	s_cbranch_execz .LBB85_404
.LBB85_1303:
	s_mov_b32 s1, exec_lo
	s_and_not1_b32 s21, s21, exec_lo
	s_trap 2
	s_or_b32 exec_lo, exec_lo, s6
	s_and_saveexec_b32 s6, s21
	s_delay_alu instid0(SALU_CYCLE_1)
	s_xor_b32 s6, exec_lo, s6
	s_cbranch_execnz .LBB85_405
.LBB85_1304:
	s_or_b32 exec_lo, exec_lo, s6
	s_and_saveexec_b32 s6, s45
	s_cbranch_execz .LBB85_1350
.LBB85_1305:
	s_sext_i32_i16 s7, s0
	s_delay_alu instid0(SALU_CYCLE_1)
	s_cmp_lt_i32 s7, 5
	s_cbranch_scc1 .LBB85_1310
; %bb.1306:
	s_cmp_lt_i32 s7, 8
	s_cbranch_scc1 .LBB85_1311
; %bb.1307:
	;; [unrolled: 3-line block ×3, first 2 shown]
	s_cmp_gt_i32 s7, 9
	s_cbranch_scc0 .LBB85_1313
; %bb.1309:
	s_wait_loadcnt 0x0
	global_load_b64 v[0:1], v[6:7], off
	s_mov_b32 s7, 0
	s_wait_loadcnt 0x0
	v_and_or_b32 v0, 0x1ff, v1, v0
	v_lshrrev_b32_e32 v3, 8, v1
	v_bfe_u32 v5, v1, 20, 11
	v_lshrrev_b32_e32 v1, 16, v1
	s_delay_alu instid0(VALU_DEP_4) | instskip(NEXT) | instid1(VALU_DEP_3)
	v_cmp_ne_u32_e32 vcc_lo, 0, v0
	v_sub_nc_u32_e32 v8, 0x3f1, v5
	v_add_nc_u32_e32 v5, 0xfffffc10, v5
	v_cndmask_b32_e64 v0, 0, 1, vcc_lo
	s_delay_alu instid0(VALU_DEP_1) | instskip(NEXT) | instid1(VALU_DEP_4)
	v_and_or_b32 v0, 0xffe, v3, v0
	v_med3_i32 v3, v8, 0, 13
	s_delay_alu instid0(VALU_DEP_2) | instskip(NEXT) | instid1(VALU_DEP_1)
	v_or_b32_e32 v8, 0x1000, v0
	v_lshrrev_b32_e32 v9, v3, v8
	s_delay_alu instid0(VALU_DEP_1) | instskip(NEXT) | instid1(VALU_DEP_1)
	v_lshlrev_b32_e32 v3, v3, v9
	v_cmp_ne_u32_e32 vcc_lo, v3, v8
	v_lshl_or_b32 v8, v5, 12, v0
	v_cndmask_b32_e64 v3, 0, 1, vcc_lo
	v_cmp_gt_i32_e32 vcc_lo, 1, v5
	s_delay_alu instid0(VALU_DEP_2) | instskip(NEXT) | instid1(VALU_DEP_1)
	v_or_b32_e32 v3, v9, v3
	v_cndmask_b32_e32 v3, v8, v3, vcc_lo
	s_delay_alu instid0(VALU_DEP_1) | instskip(NEXT) | instid1(VALU_DEP_1)
	v_dual_lshrrev_b32 v3, 2, v3 :: v_dual_bitop2_b32 v8, 7, v3 bitop3:0x40
	v_cmp_lt_i32_e32 vcc_lo, 5, v8
	v_cndmask_b32_e64 v9, 0, 1, vcc_lo
	v_cmp_eq_u32_e32 vcc_lo, 3, v8
	v_cndmask_b32_e64 v8, 0, 1, vcc_lo
	v_cmp_ne_u32_e32 vcc_lo, 0, v0
	s_delay_alu instid0(VALU_DEP_2) | instskip(SKIP_1) | instid1(VALU_DEP_1)
	v_or_b32_e32 v8, v8, v9
	v_mov_b32_e32 v9, 0x7e00
	v_dual_cndmask_b32 v0, 0x7c00, v9 :: v_dual_add_nc_u32 v3, v3, v8
	v_cmp_gt_i32_e32 vcc_lo, 31, v5
	s_delay_alu instid0(VALU_DEP_2) | instskip(SKIP_1) | instid1(VALU_DEP_2)
	v_cndmask_b32_e32 v3, 0x7c00, v3, vcc_lo
	v_cmp_eq_u32_e32 vcc_lo, 0x40f, v5
	v_cndmask_b32_e32 v0, v3, v0, vcc_lo
	s_delay_alu instid0(VALU_DEP_1)
	v_and_or_b32 v8, 0x8000, v1, v0
	s_branch .LBB85_1314
.LBB85_1310:
                                        ; implicit-def: $vgpr8
	s_branch .LBB85_1331
.LBB85_1311:
                                        ; implicit-def: $vgpr8
	s_branch .LBB85_1320
.LBB85_1312:
	s_mov_b32 s7, -1
                                        ; implicit-def: $vgpr8
	s_branch .LBB85_1317
.LBB85_1313:
	s_mov_b32 s7, -1
                                        ; implicit-def: $vgpr8
.LBB85_1314:
	s_delay_alu instid0(SALU_CYCLE_1)
	s_and_not1_b32 vcc_lo, exec_lo, s7
	s_cbranch_vccnz .LBB85_1316
; %bb.1315:
	global_load_b32 v0, v[6:7], off
	s_wait_loadcnt 0x0
	v_cvt_f16_f32_e32 v8, v0
.LBB85_1316:
	s_mov_b32 s7, 0
.LBB85_1317:
	s_delay_alu instid0(SALU_CYCLE_1)
	s_and_not1_b32 vcc_lo, exec_lo, s7
	s_cbranch_vccnz .LBB85_1319
; %bb.1318:
	global_load_b32 v8, v[6:7], off
.LBB85_1319:
	s_cbranch_execnz .LBB85_1330
.LBB85_1320:
	s_sext_i32_i16 s7, s0
	s_delay_alu instid0(SALU_CYCLE_1)
	s_cmp_lt_i32 s7, 6
	s_cbranch_scc1 .LBB85_1323
; %bb.1321:
	s_cmp_gt_i32 s7, 6
	s_cbranch_scc0 .LBB85_1324
; %bb.1322:
	s_wait_loadcnt 0x0
	global_load_b64 v[0:1], v[6:7], off
	s_mov_b32 s7, 0
	s_wait_loadcnt 0x0
	v_and_or_b32 v0, 0x1ff, v1, v0
	v_lshrrev_b32_e32 v3, 8, v1
	v_bfe_u32 v5, v1, 20, 11
	v_lshrrev_b32_e32 v1, 16, v1
	s_delay_alu instid0(VALU_DEP_4) | instskip(NEXT) | instid1(VALU_DEP_3)
	v_cmp_ne_u32_e32 vcc_lo, 0, v0
	v_sub_nc_u32_e32 v8, 0x3f1, v5
	v_add_nc_u32_e32 v5, 0xfffffc10, v5
	v_cndmask_b32_e64 v0, 0, 1, vcc_lo
	s_delay_alu instid0(VALU_DEP_1) | instskip(NEXT) | instid1(VALU_DEP_4)
	v_and_or_b32 v0, 0xffe, v3, v0
	v_med3_i32 v3, v8, 0, 13
	s_delay_alu instid0(VALU_DEP_2) | instskip(NEXT) | instid1(VALU_DEP_1)
	v_or_b32_e32 v8, 0x1000, v0
	v_lshrrev_b32_e32 v9, v3, v8
	s_delay_alu instid0(VALU_DEP_1) | instskip(NEXT) | instid1(VALU_DEP_1)
	v_lshlrev_b32_e32 v3, v3, v9
	v_cmp_ne_u32_e32 vcc_lo, v3, v8
	v_lshl_or_b32 v8, v5, 12, v0
	v_cndmask_b32_e64 v3, 0, 1, vcc_lo
	v_cmp_gt_i32_e32 vcc_lo, 1, v5
	s_delay_alu instid0(VALU_DEP_2) | instskip(NEXT) | instid1(VALU_DEP_1)
	v_or_b32_e32 v3, v9, v3
	v_cndmask_b32_e32 v3, v8, v3, vcc_lo
	s_delay_alu instid0(VALU_DEP_1) | instskip(NEXT) | instid1(VALU_DEP_1)
	v_dual_lshrrev_b32 v3, 2, v3 :: v_dual_bitop2_b32 v8, 7, v3 bitop3:0x40
	v_cmp_lt_i32_e32 vcc_lo, 5, v8
	v_cndmask_b32_e64 v9, 0, 1, vcc_lo
	v_cmp_eq_u32_e32 vcc_lo, 3, v8
	v_cndmask_b32_e64 v8, 0, 1, vcc_lo
	v_cmp_ne_u32_e32 vcc_lo, 0, v0
	s_delay_alu instid0(VALU_DEP_2) | instskip(SKIP_1) | instid1(VALU_DEP_1)
	v_or_b32_e32 v8, v8, v9
	v_mov_b32_e32 v9, 0x7e00
	v_dual_cndmask_b32 v0, 0x7c00, v9 :: v_dual_add_nc_u32 v3, v3, v8
	v_cmp_gt_i32_e32 vcc_lo, 31, v5
	s_delay_alu instid0(VALU_DEP_2) | instskip(SKIP_1) | instid1(VALU_DEP_2)
	v_cndmask_b32_e32 v3, 0x7c00, v3, vcc_lo
	v_cmp_eq_u32_e32 vcc_lo, 0x40f, v5
	v_cndmask_b32_e32 v0, v3, v0, vcc_lo
	s_delay_alu instid0(VALU_DEP_1)
	v_and_or_b32 v8, 0x8000, v1, v0
	s_branch .LBB85_1325
.LBB85_1323:
	s_mov_b32 s7, -1
                                        ; implicit-def: $vgpr8
	s_branch .LBB85_1328
.LBB85_1324:
	s_mov_b32 s7, -1
                                        ; implicit-def: $vgpr8
.LBB85_1325:
	s_delay_alu instid0(SALU_CYCLE_1)
	s_and_not1_b32 vcc_lo, exec_lo, s7
	s_cbranch_vccnz .LBB85_1327
; %bb.1326:
	global_load_b32 v0, v[6:7], off
	s_wait_loadcnt 0x0
	v_cvt_f16_f32_e32 v8, v0
.LBB85_1327:
	s_mov_b32 s7, 0
.LBB85_1328:
	s_delay_alu instid0(SALU_CYCLE_1)
	s_and_not1_b32 vcc_lo, exec_lo, s7
	s_cbranch_vccnz .LBB85_1330
; %bb.1329:
	s_wait_loadcnt 0x0
	global_load_u16 v8, v[6:7], off
.LBB85_1330:
	s_cbranch_execnz .LBB85_1349
.LBB85_1331:
	s_sext_i32_i16 s7, s0
	s_delay_alu instid0(SALU_CYCLE_1)
	s_cmp_lt_i32 s7, 2
	s_cbranch_scc1 .LBB85_1335
; %bb.1332:
	s_cmp_lt_i32 s7, 3
	s_cbranch_scc1 .LBB85_1336
; %bb.1333:
	s_cmp_gt_i32 s7, 3
	s_cbranch_scc0 .LBB85_1337
; %bb.1334:
	s_wait_loadcnt 0x0
	global_load_b64 v[0:1], v[6:7], off
	s_mov_b32 s7, 0
	s_wait_loadcnt 0x0
	v_xor_b32_e32 v3, v0, v1
	v_cls_i32_e32 v5, v1
	s_delay_alu instid0(VALU_DEP_2) | instskip(NEXT) | instid1(VALU_DEP_1)
	v_ashrrev_i32_e32 v3, 31, v3
	v_add_nc_u32_e32 v3, 32, v3
	s_delay_alu instid0(VALU_DEP_1) | instskip(NEXT) | instid1(VALU_DEP_1)
	v_add_min_u32_e64 v3, v5, -1, v3
	v_lshlrev_b64_e32 v[0:1], v3, v[0:1]
	s_delay_alu instid0(VALU_DEP_1) | instskip(NEXT) | instid1(VALU_DEP_1)
	v_min_u32_e32 v0, 1, v0
	v_dual_sub_nc_u32 v1, 32, v3 :: v_dual_bitop2_b32 v0, v1, v0 bitop3:0x54
	s_delay_alu instid0(VALU_DEP_1) | instskip(NEXT) | instid1(VALU_DEP_1)
	v_cvt_f32_i32_e32 v0, v0
	v_ldexp_f32 v0, v0, v1
	s_delay_alu instid0(VALU_DEP_1)
	v_cvt_f16_f32_e32 v8, v0
	s_branch .LBB85_1338
.LBB85_1335:
                                        ; implicit-def: $vgpr8
	s_branch .LBB85_1344
.LBB85_1336:
	s_mov_b32 s7, -1
                                        ; implicit-def: $vgpr8
	s_branch .LBB85_1341
.LBB85_1337:
	s_mov_b32 s7, -1
                                        ; implicit-def: $vgpr8
.LBB85_1338:
	s_delay_alu instid0(SALU_CYCLE_1)
	s_and_not1_b32 vcc_lo, exec_lo, s7
	s_cbranch_vccnz .LBB85_1340
; %bb.1339:
	global_load_b32 v0, v[6:7], off
	s_wait_loadcnt 0x0
	v_cvt_f32_i32_e32 v0, v0
	s_delay_alu instid0(VALU_DEP_1)
	v_cvt_f16_f32_e32 v8, v0
.LBB85_1340:
	s_mov_b32 s7, 0
.LBB85_1341:
	s_delay_alu instid0(SALU_CYCLE_1)
	s_and_not1_b32 vcc_lo, exec_lo, s7
	s_cbranch_vccnz .LBB85_1343
; %bb.1342:
	global_load_u16 v0, v[6:7], off
	s_wait_loadcnt 0x0
	v_cvt_f16_i16_e32 v8, v0
.LBB85_1343:
	s_cbranch_execnz .LBB85_1349
.LBB85_1344:
	s_sext_i32_i16 s0, s0
	s_delay_alu instid0(SALU_CYCLE_1)
	s_cmp_gt_i32 s0, 0
	s_mov_b32 s0, 0
	s_cbranch_scc0 .LBB85_1346
; %bb.1345:
	global_load_i8 v0, v[6:7], off
	s_wait_loadcnt 0x0
	v_cvt_f16_i16_e32 v8, v0
	s_branch .LBB85_1347
.LBB85_1346:
	s_mov_b32 s0, -1
                                        ; implicit-def: $vgpr8
.LBB85_1347:
	s_delay_alu instid0(SALU_CYCLE_1)
	s_and_not1_b32 vcc_lo, exec_lo, s0
	s_cbranch_vccnz .LBB85_1349
; %bb.1348:
	global_load_u8 v0, v[6:7], off
	s_wait_loadcnt 0x0
	v_cvt_f16_u16_e32 v8, v0
.LBB85_1349:
	s_or_b32 s26, s26, exec_lo
.LBB85_1350:
	s_wait_xcnt 0x0
	s_or_b32 exec_lo, exec_lo, s6
	s_mov_b32 s14, 0
	s_mov_b32 s7, 0
	;; [unrolled: 1-line block ×3, first 2 shown]
                                        ; implicit-def: $sgpr0
                                        ; implicit-def: $vgpr0_vgpr1
                                        ; implicit-def: $vgpr3
	s_and_saveexec_b32 s6, s26
	s_cbranch_execz .LBB85_1358
; %bb.1351:
	v_mov_b32_e32 v5, 0
	s_and_b32 s0, s13, 0xff
	s_delay_alu instid0(SALU_CYCLE_1) | instskip(SKIP_1) | instid1(VALU_DEP_1)
	s_cmp_lt_i32 s0, 11
	s_wait_loadcnt 0x0
	v_add_nc_u64_e32 v[0:1], s[8:9], v[4:5]
	s_cbranch_scc1 .LBB85_1361
; %bb.1352:
	s_and_b32 s7, 0xffff, s0
	s_mov_b32 s9, 0
	s_cmp_gt_i32 s7, 25
	s_cbranch_scc0 .LBB85_1362
; %bb.1353:
	s_cmp_gt_i32 s7, 28
	s_cbranch_scc0 .LBB85_1363
; %bb.1354:
	;; [unrolled: 3-line block ×4, first 2 shown]
	s_cmp_eq_u32 s7, 46
	s_mov_b32 s13, 0
	s_cbranch_scc0 .LBB85_1366
; %bb.1357:
	global_load_b32 v3, v[0:1], off
	s_mov_b32 s8, 0
	s_mov_b32 s12, -1
	s_wait_loadcnt 0x0
	v_lshlrev_b32_e32 v3, 16, v3
	s_delay_alu instid0(VALU_DEP_1)
	v_cvt_f16_f32_e32 v3, v3
	s_branch .LBB85_1368
.LBB85_1358:
	s_or_b32 exec_lo, exec_lo, s6
	s_and_saveexec_b32 s6, s41
	s_cbranch_execnz .LBB85_1431
.LBB85_1359:
	s_or_b32 exec_lo, exec_lo, s6
	s_and_saveexec_b32 s6, s14
	s_delay_alu instid0(SALU_CYCLE_1)
	s_xor_b32 s6, exec_lo, s6
	s_cbranch_execz .LBB85_1432
.LBB85_1360:
	s_wait_loadcnt 0x0
	global_load_u8 v3, v[0:1], off
	s_or_b32 s12, s12, exec_lo
	s_wait_loadcnt 0x0
	v_cmp_ne_u16_e32 vcc_lo, 0, v3
	v_cndmask_b32_e64 v3, 0, 0x3c00, vcc_lo
	s_wait_xcnt 0x0
	s_or_b32 exec_lo, exec_lo, s6
	s_and_saveexec_b32 s6, s7
	s_cbranch_execz .LBB85_1478
	s_branch .LBB85_1433
.LBB85_1361:
	s_mov_b32 s7, -1
	s_mov_b32 s9, 0
	s_mov_b32 s8, s41
                                        ; implicit-def: $vgpr3
	s_branch .LBB85_1430
.LBB85_1362:
	s_mov_b32 s8, s41
                                        ; implicit-def: $vgpr3
	s_cbranch_execnz .LBB85_1397
	s_branch .LBB85_1429
.LBB85_1363:
	s_mov_b32 s13, -1
	s_mov_b32 s8, s41
                                        ; implicit-def: $vgpr3
	s_branch .LBB85_1378
.LBB85_1364:
	s_mov_b32 s13, -1
	s_mov_b32 s8, s41
                                        ; implicit-def: $vgpr3
	s_branch .LBB85_1373
.LBB85_1365:
	s_mov_b32 s13, -1
	s_mov_b32 s8, s41
	s_branch .LBB85_1367
.LBB85_1366:
	s_mov_b32 s8, -1
.LBB85_1367:
                                        ; implicit-def: $vgpr3
.LBB85_1368:
	s_and_b32 vcc_lo, exec_lo, s13
	s_cbranch_vccz .LBB85_1372
; %bb.1369:
	s_cmp_eq_u32 s7, 44
	s_cbranch_scc0 .LBB85_1371
; %bb.1370:
	global_load_u8 v3, v[0:1], off
	s_mov_b32 s8, 0
	s_mov_b32 s12, -1
	s_wait_loadcnt 0x0
	v_lshlrev_b32_e32 v4, 23, v3
	v_cmp_ne_u32_e32 vcc_lo, 0xff, v3
	s_delay_alu instid0(VALU_DEP_2) | instskip(NEXT) | instid1(VALU_DEP_1)
	v_cvt_f16_f32_e32 v4, v4
	v_cndmask_b32_e32 v4, 0x7e00, v4, vcc_lo
	v_cmp_ne_u32_e32 vcc_lo, 0, v3
	s_delay_alu instid0(VALU_DEP_2)
	v_cndmask_b32_e32 v3, 0, v4, vcc_lo
	s_branch .LBB85_1372
.LBB85_1371:
	s_mov_b32 s8, -1
                                        ; implicit-def: $vgpr3
.LBB85_1372:
	s_mov_b32 s13, 0
.LBB85_1373:
	s_delay_alu instid0(SALU_CYCLE_1)
	s_and_b32 vcc_lo, exec_lo, s13
	s_cbranch_vccz .LBB85_1377
; %bb.1374:
	s_cmp_eq_u32 s7, 29
	s_cbranch_scc0 .LBB85_1376
; %bb.1375:
	global_load_b64 v[4:5], v[0:1], off
	s_mov_b32 s8, 0
	s_mov_b32 s12, -1
	s_mov_b32 s13, 0
	s_wait_loadcnt 0x0
	v_clz_i32_u32_e32 v3, v5
	s_delay_alu instid0(VALU_DEP_1) | instskip(NEXT) | instid1(VALU_DEP_1)
	v_min_u32_e32 v3, 32, v3
	v_lshlrev_b64_e32 v[4:5], v3, v[4:5]
	v_sub_nc_u32_e32 v3, 32, v3
	s_delay_alu instid0(VALU_DEP_2) | instskip(NEXT) | instid1(VALU_DEP_1)
	v_min_u32_e32 v4, 1, v4
	v_or_b32_e32 v4, v5, v4
	s_delay_alu instid0(VALU_DEP_1) | instskip(NEXT) | instid1(VALU_DEP_1)
	v_cvt_f32_u32_e32 v4, v4
	v_ldexp_f32 v3, v4, v3
	s_delay_alu instid0(VALU_DEP_1)
	v_cvt_f16_f32_e32 v3, v3
	s_branch .LBB85_1378
.LBB85_1376:
	s_mov_b32 s8, -1
                                        ; implicit-def: $vgpr3
.LBB85_1377:
	s_mov_b32 s13, 0
.LBB85_1378:
	s_delay_alu instid0(SALU_CYCLE_1)
	s_and_b32 vcc_lo, exec_lo, s13
	s_cbranch_vccz .LBB85_1396
; %bb.1379:
	s_cmp_lt_i32 s7, 27
	s_cbranch_scc1 .LBB85_1382
; %bb.1380:
	s_cmp_gt_i32 s7, 27
	s_cbranch_scc0 .LBB85_1383
; %bb.1381:
	global_load_b32 v3, v[0:1], off
	s_mov_b32 s12, 0
	s_wait_loadcnt 0x0
	v_cvt_f32_u32_e32 v3, v3
	s_delay_alu instid0(VALU_DEP_1)
	v_cvt_f16_f32_e32 v3, v3
	s_branch .LBB85_1384
.LBB85_1382:
	s_mov_b32 s12, -1
                                        ; implicit-def: $vgpr3
	s_branch .LBB85_1387
.LBB85_1383:
	s_mov_b32 s12, -1
                                        ; implicit-def: $vgpr3
.LBB85_1384:
	s_delay_alu instid0(SALU_CYCLE_1)
	s_and_not1_b32 vcc_lo, exec_lo, s12
	s_cbranch_vccnz .LBB85_1386
; %bb.1385:
	global_load_u16 v3, v[0:1], off
	s_wait_loadcnt 0x0
	v_cvt_f16_u16_e32 v3, v3
.LBB85_1386:
	s_mov_b32 s12, 0
.LBB85_1387:
	s_delay_alu instid0(SALU_CYCLE_1)
	s_and_not1_b32 vcc_lo, exec_lo, s12
	s_cbranch_vccnz .LBB85_1395
; %bb.1388:
	global_load_u8 v4, v[0:1], off
	s_mov_b32 s12, 0
	s_mov_b32 s13, exec_lo
	s_wait_loadcnt 0x0
	v_cmpx_lt_i16_e32 0x7f, v4
	s_xor_b32 s13, exec_lo, s13
	s_cbranch_execz .LBB85_1408
; %bb.1389:
	s_mov_b32 s12, -1
	s_mov_b32 s14, exec_lo
	v_cmpx_eq_u16_e32 0x80, v4
; %bb.1390:
	s_xor_b32 s12, exec_lo, -1
; %bb.1391:
	s_or_b32 exec_lo, exec_lo, s14
	s_delay_alu instid0(SALU_CYCLE_1)
	s_and_b32 s12, s12, exec_lo
	s_or_saveexec_b32 s13, s13
	v_mov_b32_e32 v3, 0x7e00
	s_xor_b32 exec_lo, exec_lo, s13
	s_cbranch_execnz .LBB85_1409
.LBB85_1392:
	s_or_b32 exec_lo, exec_lo, s13
	s_and_saveexec_b32 s13, s12
	s_cbranch_execz .LBB85_1394
.LBB85_1393:
	v_and_b32_e32 v3, 0xffff, v4
	s_delay_alu instid0(VALU_DEP_1) | instskip(SKIP_1) | instid1(VALU_DEP_2)
	v_and_b32_e32 v5, 7, v3
	v_bfe_u32 v9, v3, 3, 4
	v_clz_i32_u32_e32 v6, v5
	s_delay_alu instid0(VALU_DEP_2) | instskip(NEXT) | instid1(VALU_DEP_2)
	v_cmp_eq_u32_e32 vcc_lo, 0, v9
	v_min_u32_e32 v6, 32, v6
	s_delay_alu instid0(VALU_DEP_1) | instskip(NEXT) | instid1(VALU_DEP_1)
	v_subrev_nc_u32_e32 v7, 28, v6
	v_dual_lshlrev_b32 v3, v7, v3 :: v_dual_sub_nc_u32 v6, 29, v6
	s_delay_alu instid0(VALU_DEP_1) | instskip(NEXT) | instid1(VALU_DEP_2)
	v_dual_lshlrev_b32 v4, 24, v4 :: v_dual_bitop2_b32 v3, 7, v3 bitop3:0x40
	v_cndmask_b32_e32 v6, v9, v6, vcc_lo
	s_delay_alu instid0(VALU_DEP_2) | instskip(NEXT) | instid1(VALU_DEP_3)
	v_cndmask_b32_e32 v3, v5, v3, vcc_lo
	v_and_b32_e32 v4, 0x80000000, v4
	s_delay_alu instid0(VALU_DEP_3) | instskip(NEXT) | instid1(VALU_DEP_3)
	v_lshl_add_u32 v5, v6, 23, 0x3b800000
	v_lshlrev_b32_e32 v3, 20, v3
	s_delay_alu instid0(VALU_DEP_1) | instskip(NEXT) | instid1(VALU_DEP_1)
	v_or3_b32 v3, v4, v5, v3
	v_cvt_f16_f32_e32 v3, v3
.LBB85_1394:
	s_or_b32 exec_lo, exec_lo, s13
.LBB85_1395:
	s_mov_b32 s12, -1
.LBB85_1396:
	s_branch .LBB85_1429
.LBB85_1397:
	s_cmp_gt_i32 s7, 22
	s_cbranch_scc0 .LBB85_1407
; %bb.1398:
	s_cmp_lt_i32 s7, 24
	s_cbranch_scc1 .LBB85_1410
; %bb.1399:
	s_cmp_gt_i32 s7, 24
	s_cbranch_scc0 .LBB85_1411
; %bb.1400:
	global_load_u8 v4, v[0:1], off
	s_mov_b32 s12, exec_lo
	s_wait_loadcnt 0x0
	v_cmpx_lt_i16_e32 0x7f, v4
	s_xor_b32 s12, exec_lo, s12
	s_cbranch_execz .LBB85_1423
; %bb.1401:
	s_mov_b32 s9, -1
	s_mov_b32 s13, exec_lo
	v_cmpx_eq_u16_e32 0x80, v4
; %bb.1402:
	s_xor_b32 s9, exec_lo, -1
; %bb.1403:
	s_or_b32 exec_lo, exec_lo, s13
	s_delay_alu instid0(SALU_CYCLE_1)
	s_and_b32 s9, s9, exec_lo
	s_or_saveexec_b32 s12, s12
	v_mov_b32_e32 v3, 0x7e00
	s_xor_b32 exec_lo, exec_lo, s12
	s_cbranch_execnz .LBB85_1424
.LBB85_1404:
	s_or_b32 exec_lo, exec_lo, s12
	s_and_saveexec_b32 s12, s9
	s_cbranch_execz .LBB85_1406
.LBB85_1405:
	v_and_b32_e32 v3, 0xffff, v4
	s_delay_alu instid0(VALU_DEP_1) | instskip(SKIP_1) | instid1(VALU_DEP_2)
	v_and_b32_e32 v5, 3, v3
	v_bfe_u32 v9, v3, 2, 5
	v_clz_i32_u32_e32 v6, v5
	s_delay_alu instid0(VALU_DEP_2) | instskip(NEXT) | instid1(VALU_DEP_2)
	v_cmp_eq_u32_e32 vcc_lo, 0, v9
	v_min_u32_e32 v6, 32, v6
	s_delay_alu instid0(VALU_DEP_1) | instskip(NEXT) | instid1(VALU_DEP_1)
	v_subrev_nc_u32_e32 v7, 29, v6
	v_dual_lshlrev_b32 v3, v7, v3 :: v_dual_sub_nc_u32 v6, 30, v6
	s_delay_alu instid0(VALU_DEP_1) | instskip(NEXT) | instid1(VALU_DEP_2)
	v_dual_lshlrev_b32 v4, 24, v4 :: v_dual_bitop2_b32 v3, 3, v3 bitop3:0x40
	v_cndmask_b32_e32 v6, v9, v6, vcc_lo
	s_delay_alu instid0(VALU_DEP_2) | instskip(NEXT) | instid1(VALU_DEP_3)
	v_cndmask_b32_e32 v3, v5, v3, vcc_lo
	v_and_b32_e32 v4, 0x80000000, v4
	s_delay_alu instid0(VALU_DEP_3) | instskip(NEXT) | instid1(VALU_DEP_3)
	v_lshl_add_u32 v5, v6, 23, 0x37800000
	v_lshlrev_b32_e32 v3, 21, v3
	s_delay_alu instid0(VALU_DEP_1) | instskip(NEXT) | instid1(VALU_DEP_1)
	v_or3_b32 v3, v4, v5, v3
	v_cvt_f16_f32_e32 v3, v3
.LBB85_1406:
	s_or_b32 exec_lo, exec_lo, s12
	s_mov_b32 s9, 0
	s_branch .LBB85_1412
.LBB85_1407:
	s_mov_b32 s9, -1
                                        ; implicit-def: $vgpr3
	s_branch .LBB85_1418
.LBB85_1408:
	s_or_saveexec_b32 s13, s13
	v_mov_b32_e32 v3, 0x7e00
	s_xor_b32 exec_lo, exec_lo, s13
	s_cbranch_execz .LBB85_1392
.LBB85_1409:
	v_cmp_ne_u16_e32 vcc_lo, 0, v4
	v_mov_b32_e32 v3, v4
	s_and_not1_b32 s12, s12, exec_lo
	s_and_b32 s14, vcc_lo, exec_lo
	s_delay_alu instid0(SALU_CYCLE_1)
	s_or_b32 s12, s12, s14
	s_or_b32 exec_lo, exec_lo, s13
	s_and_saveexec_b32 s13, s12
	s_cbranch_execnz .LBB85_1393
	s_branch .LBB85_1394
.LBB85_1410:
	s_mov_b32 s9, -1
                                        ; implicit-def: $vgpr3
	s_branch .LBB85_1415
.LBB85_1411:
	s_mov_b32 s9, -1
                                        ; implicit-def: $vgpr3
.LBB85_1412:
	s_delay_alu instid0(SALU_CYCLE_1)
	s_and_b32 vcc_lo, exec_lo, s9
	s_cbranch_vccz .LBB85_1414
; %bb.1413:
	global_load_u8 v3, v[0:1], off
	s_wait_loadcnt 0x0
	v_lshlrev_b32_e32 v3, 24, v3
	s_delay_alu instid0(VALU_DEP_1) | instskip(NEXT) | instid1(VALU_DEP_1)
	v_and_b32_e32 v4, 0x7f000000, v3
	v_clz_i32_u32_e32 v5, v4
	v_cmp_ne_u32_e32 vcc_lo, 0, v4
	v_add_nc_u32_e32 v7, 0x1000000, v4
	s_delay_alu instid0(VALU_DEP_3) | instskip(NEXT) | instid1(VALU_DEP_1)
	v_min_u32_e32 v5, 32, v5
	v_sub_nc_u32_e64 v5, v5, 4 clamp
	s_delay_alu instid0(VALU_DEP_1) | instskip(NEXT) | instid1(VALU_DEP_1)
	v_dual_lshlrev_b32 v6, v5, v4 :: v_dual_lshlrev_b32 v5, 23, v5
	v_lshrrev_b32_e32 v6, 4, v6
	s_delay_alu instid0(VALU_DEP_1) | instskip(NEXT) | instid1(VALU_DEP_1)
	v_dual_sub_nc_u32 v5, v6, v5 :: v_dual_ashrrev_i32 v6, 8, v7
	v_add_nc_u32_e32 v5, 0x3c000000, v5
	s_delay_alu instid0(VALU_DEP_1) | instskip(NEXT) | instid1(VALU_DEP_1)
	v_and_or_b32 v5, 0x7f800000, v6, v5
	v_cndmask_b32_e32 v4, 0, v5, vcc_lo
	s_delay_alu instid0(VALU_DEP_1) | instskip(NEXT) | instid1(VALU_DEP_1)
	v_and_or_b32 v3, 0x80000000, v3, v4
	v_cvt_f16_f32_e32 v3, v3
.LBB85_1414:
	s_mov_b32 s9, 0
.LBB85_1415:
	s_delay_alu instid0(SALU_CYCLE_1)
	s_and_not1_b32 vcc_lo, exec_lo, s9
	s_cbranch_vccnz .LBB85_1417
; %bb.1416:
	global_load_u8 v3, v[0:1], off
	s_wait_loadcnt 0x0
	v_lshlrev_b32_e32 v4, 25, v3
	v_lshlrev_b16 v3, 8, v3
	s_delay_alu instid0(VALU_DEP_1) | instskip(SKIP_1) | instid1(VALU_DEP_2)
	v_and_or_b32 v6, 0x7f00, v3, 0.5
	v_bfe_i32 v3, v3, 0, 16
	v_dual_add_f32 v6, -0.5, v6 :: v_dual_lshrrev_b32 v5, 4, v4
	v_cmp_gt_u32_e32 vcc_lo, 0x8000000, v4
	s_delay_alu instid0(VALU_DEP_2) | instskip(NEXT) | instid1(VALU_DEP_1)
	v_or_b32_e32 v5, 0x70000000, v5
	v_mul_f32_e32 v5, 0x7800000, v5
	s_delay_alu instid0(VALU_DEP_1) | instskip(NEXT) | instid1(VALU_DEP_1)
	v_cndmask_b32_e32 v4, v5, v6, vcc_lo
	v_and_or_b32 v3, 0x80000000, v3, v4
	s_delay_alu instid0(VALU_DEP_1)
	v_cvt_f16_f32_e32 v3, v3
.LBB85_1417:
	s_mov_b32 s9, 0
	s_mov_b32 s12, -1
.LBB85_1418:
	s_and_not1_b32 vcc_lo, exec_lo, s9
	s_mov_b32 s9, 0
	s_cbranch_vccnz .LBB85_1429
; %bb.1419:
	s_cmp_gt_i32 s7, 14
	s_cbranch_scc0 .LBB85_1422
; %bb.1420:
	s_cmp_eq_u32 s7, 15
	s_cbranch_scc0 .LBB85_1425
; %bb.1421:
	global_load_u16 v3, v[0:1], off
	s_mov_b32 s8, 0
	s_mov_b32 s12, -1
	s_wait_loadcnt 0x0
	v_lshlrev_b32_e32 v3, 16, v3
	s_delay_alu instid0(VALU_DEP_1)
	v_cvt_f16_f32_e32 v3, v3
	s_branch .LBB85_1427
.LBB85_1422:
	s_mov_b32 s9, -1
	s_branch .LBB85_1426
.LBB85_1423:
	s_or_saveexec_b32 s12, s12
	v_mov_b32_e32 v3, 0x7e00
	s_xor_b32 exec_lo, exec_lo, s12
	s_cbranch_execz .LBB85_1404
.LBB85_1424:
	v_cmp_ne_u16_e32 vcc_lo, 0, v4
	v_mov_b32_e32 v3, v4
	s_and_not1_b32 s9, s9, exec_lo
	s_and_b32 s13, vcc_lo, exec_lo
	s_delay_alu instid0(SALU_CYCLE_1)
	s_or_b32 s9, s9, s13
	s_or_b32 exec_lo, exec_lo, s12
	s_and_saveexec_b32 s12, s9
	s_cbranch_execnz .LBB85_1405
	s_branch .LBB85_1406
.LBB85_1425:
	s_mov_b32 s8, -1
.LBB85_1426:
                                        ; implicit-def: $vgpr3
.LBB85_1427:
	s_and_b32 vcc_lo, exec_lo, s9
	s_mov_b32 s9, 0
	s_cbranch_vccz .LBB85_1429
; %bb.1428:
	s_cmp_lg_u32 s7, 11
	s_mov_b32 s9, -1
	s_cselect_b32 s7, -1, 0
	s_and_not1_b32 s8, s8, exec_lo
	s_and_b32 s7, s7, exec_lo
	s_delay_alu instid0(SALU_CYCLE_1)
	s_or_b32 s8, s8, s7
.LBB85_1429:
	s_mov_b32 s7, 0
.LBB85_1430:
	s_and_not1_b32 s13, s41, exec_lo
	s_and_b32 s8, s8, exec_lo
	s_and_b32 s12, s12, exec_lo
	;; [unrolled: 1-line block ×4, first 2 shown]
	s_or_b32 s41, s13, s8
	s_wait_xcnt 0x0
	s_or_b32 exec_lo, exec_lo, s6
	s_and_saveexec_b32 s6, s41
	s_cbranch_execz .LBB85_1359
.LBB85_1431:
	s_or_b32 s1, s1, exec_lo
	s_and_not1_b32 s14, s14, exec_lo
	s_trap 2
	s_or_b32 exec_lo, exec_lo, s6
	s_and_saveexec_b32 s6, s14
	s_delay_alu instid0(SALU_CYCLE_1)
	s_xor_b32 s6, exec_lo, s6
	s_cbranch_execnz .LBB85_1360
.LBB85_1432:
	s_or_b32 exec_lo, exec_lo, s6
	s_and_saveexec_b32 s6, s7
	s_cbranch_execz .LBB85_1478
.LBB85_1433:
	s_sext_i32_i16 s7, s0
	s_delay_alu instid0(SALU_CYCLE_1)
	s_cmp_lt_i32 s7, 5
	s_cbranch_scc1 .LBB85_1438
; %bb.1434:
	s_cmp_lt_i32 s7, 8
	s_cbranch_scc1 .LBB85_1439
; %bb.1435:
	;; [unrolled: 3-line block ×3, first 2 shown]
	s_cmp_gt_i32 s7, 9
	s_cbranch_scc0 .LBB85_1441
; %bb.1437:
	s_wait_loadcnt 0x0
	global_load_b64 v[4:5], v[0:1], off
	s_mov_b32 s7, 0
	s_wait_loadcnt 0x0
	v_and_or_b32 v3, 0x1ff, v5, v4
	v_lshrrev_b32_e32 v4, 8, v5
	v_bfe_u32 v6, v5, 20, 11
	s_delay_alu instid0(VALU_DEP_3) | instskip(NEXT) | instid1(VALU_DEP_2)
	v_cmp_ne_u32_e32 vcc_lo, 0, v3
	v_sub_nc_u32_e32 v7, 0x3f1, v6
	v_add_nc_u32_e32 v6, 0xfffffc10, v6
	v_cndmask_b32_e64 v3, 0, 1, vcc_lo
	s_delay_alu instid0(VALU_DEP_1) | instskip(NEXT) | instid1(VALU_DEP_4)
	v_and_or_b32 v3, 0xffe, v4, v3
	v_med3_i32 v4, v7, 0, 13
	s_delay_alu instid0(VALU_DEP_2) | instskip(NEXT) | instid1(VALU_DEP_1)
	v_or_b32_e32 v7, 0x1000, v3
	v_lshrrev_b32_e32 v9, v4, v7
	s_delay_alu instid0(VALU_DEP_1) | instskip(NEXT) | instid1(VALU_DEP_1)
	v_lshlrev_b32_e32 v4, v4, v9
	v_cmp_ne_u32_e32 vcc_lo, v4, v7
	v_lshl_or_b32 v7, v6, 12, v3
	v_cndmask_b32_e64 v4, 0, 1, vcc_lo
	v_cmp_gt_i32_e32 vcc_lo, 1, v6
	s_delay_alu instid0(VALU_DEP_2) | instskip(NEXT) | instid1(VALU_DEP_1)
	v_or_b32_e32 v4, v9, v4
	v_cndmask_b32_e32 v4, v7, v4, vcc_lo
	s_delay_alu instid0(VALU_DEP_1) | instskip(NEXT) | instid1(VALU_DEP_1)
	v_dual_lshrrev_b32 v4, 2, v4 :: v_dual_bitop2_b32 v7, 7, v4 bitop3:0x40
	v_cmp_lt_i32_e32 vcc_lo, 5, v7
	v_cndmask_b32_e64 v9, 0, 1, vcc_lo
	v_cmp_eq_u32_e32 vcc_lo, 3, v7
	v_cndmask_b32_e64 v7, 0, 1, vcc_lo
	v_cmp_ne_u32_e32 vcc_lo, 0, v3
	s_delay_alu instid0(VALU_DEP_2) | instskip(NEXT) | instid1(VALU_DEP_1)
	v_or_b32_e32 v7, v7, v9
	v_dual_mov_b32 v9, 0x7e00 :: v_dual_add_nc_u32 v4, v4, v7
	s_delay_alu instid0(VALU_DEP_1) | instskip(SKIP_1) | instid1(VALU_DEP_3)
	v_cndmask_b32_e32 v3, 0x7c00, v9, vcc_lo
	v_cmp_gt_i32_e32 vcc_lo, 31, v6
	v_cndmask_b32_e32 v4, 0x7c00, v4, vcc_lo
	v_cmp_eq_u32_e32 vcc_lo, 0x40f, v6
	s_delay_alu instid0(VALU_DEP_2) | instskip(NEXT) | instid1(VALU_DEP_1)
	v_dual_cndmask_b32 v3, v4, v3 :: v_dual_lshrrev_b32 v4, 16, v5
	v_and_or_b32 v3, 0x8000, v4, v3
	s_branch .LBB85_1442
.LBB85_1438:
                                        ; implicit-def: $vgpr3
	s_branch .LBB85_1459
.LBB85_1439:
                                        ; implicit-def: $vgpr3
	s_branch .LBB85_1448
.LBB85_1440:
	s_mov_b32 s7, -1
                                        ; implicit-def: $vgpr3
	s_branch .LBB85_1445
.LBB85_1441:
	s_mov_b32 s7, -1
                                        ; implicit-def: $vgpr3
.LBB85_1442:
	s_delay_alu instid0(SALU_CYCLE_1)
	s_and_not1_b32 vcc_lo, exec_lo, s7
	s_cbranch_vccnz .LBB85_1444
; %bb.1443:
	s_wait_loadcnt 0x0
	global_load_b32 v3, v[0:1], off
	s_wait_loadcnt 0x0
	v_cvt_f16_f32_e32 v3, v3
.LBB85_1444:
	s_mov_b32 s7, 0
.LBB85_1445:
	s_delay_alu instid0(SALU_CYCLE_1)
	s_and_not1_b32 vcc_lo, exec_lo, s7
	s_cbranch_vccnz .LBB85_1447
; %bb.1446:
	s_wait_loadcnt 0x0
	global_load_b32 v3, v[0:1], off
.LBB85_1447:
	s_cbranch_execnz .LBB85_1458
.LBB85_1448:
	s_sext_i32_i16 s7, s0
	s_delay_alu instid0(SALU_CYCLE_1)
	s_cmp_lt_i32 s7, 6
	s_cbranch_scc1 .LBB85_1451
; %bb.1449:
	s_cmp_gt_i32 s7, 6
	s_cbranch_scc0 .LBB85_1452
; %bb.1450:
	s_wait_loadcnt 0x0
	global_load_b64 v[4:5], v[0:1], off
	s_mov_b32 s7, 0
	s_wait_loadcnt 0x0
	v_and_or_b32 v3, 0x1ff, v5, v4
	v_lshrrev_b32_e32 v4, 8, v5
	v_bfe_u32 v6, v5, 20, 11
	s_delay_alu instid0(VALU_DEP_3) | instskip(NEXT) | instid1(VALU_DEP_2)
	v_cmp_ne_u32_e32 vcc_lo, 0, v3
	v_sub_nc_u32_e32 v7, 0x3f1, v6
	v_add_nc_u32_e32 v6, 0xfffffc10, v6
	v_cndmask_b32_e64 v3, 0, 1, vcc_lo
	s_delay_alu instid0(VALU_DEP_1) | instskip(NEXT) | instid1(VALU_DEP_4)
	v_and_or_b32 v3, 0xffe, v4, v3
	v_med3_i32 v4, v7, 0, 13
	s_delay_alu instid0(VALU_DEP_2) | instskip(NEXT) | instid1(VALU_DEP_1)
	v_or_b32_e32 v7, 0x1000, v3
	v_lshrrev_b32_e32 v9, v4, v7
	s_delay_alu instid0(VALU_DEP_1) | instskip(NEXT) | instid1(VALU_DEP_1)
	v_lshlrev_b32_e32 v4, v4, v9
	v_cmp_ne_u32_e32 vcc_lo, v4, v7
	v_lshl_or_b32 v7, v6, 12, v3
	v_cndmask_b32_e64 v4, 0, 1, vcc_lo
	v_cmp_gt_i32_e32 vcc_lo, 1, v6
	s_delay_alu instid0(VALU_DEP_2) | instskip(NEXT) | instid1(VALU_DEP_1)
	v_or_b32_e32 v4, v9, v4
	v_cndmask_b32_e32 v4, v7, v4, vcc_lo
	s_delay_alu instid0(VALU_DEP_1) | instskip(NEXT) | instid1(VALU_DEP_1)
	v_dual_lshrrev_b32 v4, 2, v4 :: v_dual_bitop2_b32 v7, 7, v4 bitop3:0x40
	v_cmp_lt_i32_e32 vcc_lo, 5, v7
	v_cndmask_b32_e64 v9, 0, 1, vcc_lo
	v_cmp_eq_u32_e32 vcc_lo, 3, v7
	v_cndmask_b32_e64 v7, 0, 1, vcc_lo
	v_cmp_ne_u32_e32 vcc_lo, 0, v3
	s_delay_alu instid0(VALU_DEP_2) | instskip(NEXT) | instid1(VALU_DEP_1)
	v_or_b32_e32 v7, v7, v9
	v_dual_mov_b32 v9, 0x7e00 :: v_dual_add_nc_u32 v4, v4, v7
	s_delay_alu instid0(VALU_DEP_1) | instskip(SKIP_1) | instid1(VALU_DEP_3)
	v_cndmask_b32_e32 v3, 0x7c00, v9, vcc_lo
	v_cmp_gt_i32_e32 vcc_lo, 31, v6
	v_cndmask_b32_e32 v4, 0x7c00, v4, vcc_lo
	v_cmp_eq_u32_e32 vcc_lo, 0x40f, v6
	s_delay_alu instid0(VALU_DEP_2) | instskip(NEXT) | instid1(VALU_DEP_1)
	v_dual_cndmask_b32 v3, v4, v3 :: v_dual_lshrrev_b32 v4, 16, v5
	v_and_or_b32 v3, 0x8000, v4, v3
	s_branch .LBB85_1453
.LBB85_1451:
	s_mov_b32 s7, -1
                                        ; implicit-def: $vgpr3
	s_branch .LBB85_1456
.LBB85_1452:
	s_mov_b32 s7, -1
                                        ; implicit-def: $vgpr3
.LBB85_1453:
	s_delay_alu instid0(SALU_CYCLE_1)
	s_and_not1_b32 vcc_lo, exec_lo, s7
	s_cbranch_vccnz .LBB85_1455
; %bb.1454:
	s_wait_loadcnt 0x0
	global_load_b32 v3, v[0:1], off
	s_wait_loadcnt 0x0
	v_cvt_f16_f32_e32 v3, v3
.LBB85_1455:
	s_mov_b32 s7, 0
.LBB85_1456:
	s_delay_alu instid0(SALU_CYCLE_1)
	s_and_not1_b32 vcc_lo, exec_lo, s7
	s_cbranch_vccnz .LBB85_1458
; %bb.1457:
	s_wait_loadcnt 0x0
	global_load_u16 v3, v[0:1], off
.LBB85_1458:
	s_cbranch_execnz .LBB85_1477
.LBB85_1459:
	s_sext_i32_i16 s7, s0
	s_delay_alu instid0(SALU_CYCLE_1)
	s_cmp_lt_i32 s7, 2
	s_cbranch_scc1 .LBB85_1463
; %bb.1460:
	s_cmp_lt_i32 s7, 3
	s_cbranch_scc1 .LBB85_1464
; %bb.1461:
	s_cmp_gt_i32 s7, 3
	s_cbranch_scc0 .LBB85_1465
; %bb.1462:
	s_wait_loadcnt 0x0
	global_load_b64 v[4:5], v[0:1], off
	s_mov_b32 s7, 0
	s_wait_loadcnt 0x0
	v_xor_b32_e32 v3, v4, v5
	v_cls_i32_e32 v6, v5
	s_delay_alu instid0(VALU_DEP_2) | instskip(NEXT) | instid1(VALU_DEP_1)
	v_ashrrev_i32_e32 v3, 31, v3
	v_add_nc_u32_e32 v3, 32, v3
	s_delay_alu instid0(VALU_DEP_1) | instskip(NEXT) | instid1(VALU_DEP_1)
	v_add_min_u32_e64 v3, v6, -1, v3
	v_lshlrev_b64_e32 v[4:5], v3, v[4:5]
	v_sub_nc_u32_e32 v3, 32, v3
	s_delay_alu instid0(VALU_DEP_2) | instskip(NEXT) | instid1(VALU_DEP_1)
	v_min_u32_e32 v4, 1, v4
	v_or_b32_e32 v4, v5, v4
	s_delay_alu instid0(VALU_DEP_1) | instskip(NEXT) | instid1(VALU_DEP_1)
	v_cvt_f32_i32_e32 v4, v4
	v_ldexp_f32 v3, v4, v3
	s_delay_alu instid0(VALU_DEP_1)
	v_cvt_f16_f32_e32 v3, v3
	s_branch .LBB85_1466
.LBB85_1463:
                                        ; implicit-def: $vgpr3
	s_branch .LBB85_1472
.LBB85_1464:
	s_mov_b32 s7, -1
                                        ; implicit-def: $vgpr3
	s_branch .LBB85_1469
.LBB85_1465:
	s_mov_b32 s7, -1
                                        ; implicit-def: $vgpr3
.LBB85_1466:
	s_delay_alu instid0(SALU_CYCLE_1)
	s_and_not1_b32 vcc_lo, exec_lo, s7
	s_cbranch_vccnz .LBB85_1468
; %bb.1467:
	s_wait_loadcnt 0x0
	global_load_b32 v3, v[0:1], off
	s_wait_loadcnt 0x0
	v_cvt_f32_i32_e32 v3, v3
	s_delay_alu instid0(VALU_DEP_1)
	v_cvt_f16_f32_e32 v3, v3
.LBB85_1468:
	s_mov_b32 s7, 0
.LBB85_1469:
	s_delay_alu instid0(SALU_CYCLE_1)
	s_and_not1_b32 vcc_lo, exec_lo, s7
	s_cbranch_vccnz .LBB85_1471
; %bb.1470:
	s_wait_loadcnt 0x0
	global_load_u16 v3, v[0:1], off
	s_wait_loadcnt 0x0
	v_cvt_f16_i16_e32 v3, v3
.LBB85_1471:
	s_cbranch_execnz .LBB85_1477
.LBB85_1472:
	s_sext_i32_i16 s0, s0
	s_delay_alu instid0(SALU_CYCLE_1)
	s_cmp_gt_i32 s0, 0
	s_mov_b32 s0, 0
	s_cbranch_scc0 .LBB85_1474
; %bb.1473:
	s_wait_loadcnt 0x0
	global_load_i8 v3, v[0:1], off
	s_wait_loadcnt 0x0
	v_cvt_f16_i16_e32 v3, v3
	s_branch .LBB85_1475
.LBB85_1474:
	s_mov_b32 s0, -1
                                        ; implicit-def: $vgpr3
.LBB85_1475:
	s_delay_alu instid0(SALU_CYCLE_1)
	s_and_not1_b32 vcc_lo, exec_lo, s0
	s_cbranch_vccnz .LBB85_1477
; %bb.1476:
	s_wait_loadcnt 0x0
	global_load_u8 v0, v[0:1], off
	s_wait_loadcnt 0x0
	v_cvt_f16_u16_e32 v3, v0
.LBB85_1477:
	s_or_b32 s12, s12, exec_lo
.LBB85_1478:
	s_wait_xcnt 0x0
	s_or_b32 exec_lo, exec_lo, s6
	s_mov_b32 s0, 0
	s_mov_b32 s8, 0
                                        ; implicit-def: $sgpr6
                                        ; implicit-def: $vgpr0_vgpr1
	s_and_saveexec_b32 s7, s12
	s_cbranch_execz .LBB85_1488
; %bb.1479:
	s_wait_loadcnt 0x0
	v_cvt_f32_f16_e32 v0, v3
	s_mov_b32 s0, exec_lo
	s_delay_alu instid0(VALU_DEP_1) | instskip(NEXT) | instid1(VALU_DEP_1)
	v_mul_f32_e32 v0, s10, v0
	v_cmpx_nlt_f32_e32 s11, v0
	s_cbranch_execz .LBB85_1481
; %bb.1480:
	v_mul_f32_e32 v1, 0x3fb8aa3b, v0
	v_cmp_ngt_f32_e32 vcc_lo, 0xc2ce8ed0, v0
	s_delay_alu instid0(VALU_DEP_2) | instskip(SKIP_1) | instid1(VALU_DEP_1)
	v_rndne_f32_e32 v3, v1
	v_fma_f32 v4, 0x3fb8aa3b, v0, -v1
	v_dual_sub_f32 v1, v1, v3 :: v_dual_fmamk_f32 v4, v0, 0x32a5705f, v4
	v_cvt_i32_f32_e32 v3, v3
	s_delay_alu instid0(VALU_DEP_2) | instskip(NEXT) | instid1(VALU_DEP_1)
	v_add_f32_e32 v1, v1, v4
	v_exp_f32_e32 v1, v1
	v_nop
	s_delay_alu instid0(TRANS32_DEP_1) | instskip(SKIP_1) | instid1(VALU_DEP_2)
	v_ldexp_f32 v1, v1, v3
	v_cvt_f32_f16_e32 v3, v8
	v_cndmask_b32_e32 v1, 0, v1, vcc_lo
	v_cmp_nlt_f32_e32 vcc_lo, 0x42b17218, v0
	s_delay_alu instid0(VALU_DEP_2) | instskip(NEXT) | instid1(VALU_DEP_1)
	v_cndmask_b32_e32 v0, 0x7f800000, v1, vcc_lo
	v_dual_mul_f32 v1, v0, v3 :: v_dual_add_f32 v0, 1.0, v0
	s_delay_alu instid0(VALU_DEP_1) | instskip(NEXT) | instid1(VALU_DEP_1)
	v_div_scale_f32 v3, null, v0, v0, v1
	v_rcp_f32_e32 v4, v3
	v_nop
	s_delay_alu instid0(TRANS32_DEP_1) | instskip(NEXT) | instid1(VALU_DEP_1)
	v_fma_f32 v5, -v3, v4, 1.0
	v_fmac_f32_e32 v4, v5, v4
	v_div_scale_f32 v5, vcc_lo, v1, v0, v1
	s_delay_alu instid0(VALU_DEP_1) | instskip(NEXT) | instid1(VALU_DEP_1)
	v_mul_f32_e32 v6, v5, v4
	v_fma_f32 v7, -v3, v6, v5
	s_delay_alu instid0(VALU_DEP_1) | instskip(NEXT) | instid1(VALU_DEP_1)
	v_fmac_f32_e32 v6, v7, v4
	v_fma_f32 v3, -v3, v6, v5
	s_delay_alu instid0(VALU_DEP_1) | instskip(NEXT) | instid1(VALU_DEP_1)
	v_div_fmas_f32 v3, v3, v4, v6
	v_div_fixup_f32 v0, v3, v0, v1
	s_delay_alu instid0(VALU_DEP_1)
	v_cvt_f16_f32_e32 v8, v0
.LBB85_1481:
	s_or_b32 exec_lo, exec_lo, s0
	v_mov_b32_e32 v3, 0
	s_and_b32 s6, s34, 0xff
	s_delay_alu instid0(SALU_CYCLE_1) | instskip(NEXT) | instid1(VALU_DEP_1)
	s_cmp_lt_i32 s6, 11
	v_add_nc_u64_e32 v[0:1], s[4:5], v[2:3]
	s_cbranch_scc1 .LBB85_1491
; %bb.1482:
	s_and_b32 s4, 0xffff, s6
	s_mov_b32 s5, -1
	s_cmp_gt_i32 s4, 25
	s_mov_b32 s0, s40
	s_cbranch_scc0 .LBB85_1519
; %bb.1483:
	s_cmp_gt_i32 s4, 28
	s_mov_b32 s0, s40
	s_cbranch_scc0 .LBB85_1503
; %bb.1484:
	;; [unrolled: 4-line block ×4, first 2 shown]
	s_cmp_eq_u32 s4, 46
	s_mov_b32 s0, -1
	s_cbranch_scc0 .LBB85_1492
; %bb.1487:
	v_cvt_f32_f16_e32 v2, v8
	v_cmp_o_f16_e32 vcc_lo, v8, v8
	s_mov_b32 s0, 0
	s_mov_b32 s5, 0
	s_delay_alu instid0(VALU_DEP_2) | instskip(NEXT) | instid1(VALU_DEP_1)
	v_bfe_u32 v3, v2, 16, 1
	v_add3_u32 v2, v2, v3, 0x7fff
	s_delay_alu instid0(VALU_DEP_1) | instskip(NEXT) | instid1(VALU_DEP_1)
	v_lshrrev_b32_e32 v2, 16, v2
	v_cndmask_b32_e32 v2, 0x7fc0, v2, vcc_lo
	global_store_b32 v[0:1], v2, off
	s_branch .LBB85_1493
.LBB85_1488:
	s_or_b32 exec_lo, exec_lo, s7
	s_and_saveexec_b32 s4, s40
	s_cbranch_execnz .LBB85_1561
.LBB85_1489:
	s_or_b32 exec_lo, exec_lo, s4
	s_and_saveexec_b32 s4, s0
	s_delay_alu instid0(SALU_CYCLE_1)
	s_xor_b32 s0, exec_lo, s4
	s_cbranch_execz .LBB85_1562
.LBB85_1490:
	s_wait_loadcnt 0x0
	v_and_b32_e32 v2, 0x7fff, v8
	s_delay_alu instid0(VALU_DEP_1)
	v_cmp_ne_u16_e32 vcc_lo, 0, v2
	v_cndmask_b32_e64 v2, 0, 1, vcc_lo
	global_store_b8 v[0:1], v2, off
	s_wait_xcnt 0x0
	s_or_b32 exec_lo, exec_lo, s0
	s_and_saveexec_b32 s0, s8
	s_delay_alu instid0(SALU_CYCLE_1)
	s_xor_b32 s0, exec_lo, s0
	s_cbranch_execz .LBB85_1600
	s_branch .LBB85_1563
.LBB85_1491:
	s_mov_b32 s9, 0
	s_mov_b32 s5, -1
	s_mov_b32 s0, s40
	s_branch .LBB85_1560
.LBB85_1492:
	s_mov_b32 s5, 0
.LBB85_1493:
	s_delay_alu instid0(SALU_CYCLE_1)
	s_and_b32 vcc_lo, exec_lo, s5
	s_cbranch_vccz .LBB85_1498
; %bb.1494:
	s_cmp_eq_u32 s4, 44
	s_mov_b32 s0, -1
	s_cbranch_scc0 .LBB85_1498
; %bb.1495:
	s_wait_xcnt 0x0
	v_cvt_f32_f16_e32 v2, v8
	v_mov_b32_e32 v3, 0xff
	s_mov_b32 s5, exec_lo
	s_delay_alu instid0(VALU_DEP_2) | instskip(NEXT) | instid1(VALU_DEP_1)
	v_bfe_u32 v4, v2, 23, 8
	v_cmpx_ne_u32_e32 0xff, v4
	s_cbranch_execz .LBB85_1497
; %bb.1496:
	v_and_b32_e32 v3, 0x400000, v2
	v_and_or_b32 v4, 0x3fffff, v2, v4
	v_lshrrev_b32_e32 v2, 23, v2
	s_delay_alu instid0(VALU_DEP_3) | instskip(NEXT) | instid1(VALU_DEP_3)
	v_cmp_ne_u32_e32 vcc_lo, 0, v3
	v_cmp_ne_u32_e64 s0, 0, v4
	s_and_b32 s0, vcc_lo, s0
	s_delay_alu instid0(SALU_CYCLE_1) | instskip(NEXT) | instid1(VALU_DEP_1)
	v_cndmask_b32_e64 v3, 0, 1, s0
	v_add_nc_u32_e32 v3, v2, v3
.LBB85_1497:
	s_or_b32 exec_lo, exec_lo, s5
	s_mov_b32 s0, 0
	global_store_b8 v[0:1], v3, off
.LBB85_1498:
	s_mov_b32 s5, 0
.LBB85_1499:
	s_delay_alu instid0(SALU_CYCLE_1)
	s_and_b32 vcc_lo, exec_lo, s5
	s_cbranch_vccz .LBB85_1502
; %bb.1500:
	s_cmp_eq_u32 s4, 29
	s_mov_b32 s0, -1
	s_cbranch_scc0 .LBB85_1502
; %bb.1501:
	s_wait_xcnt 0x0
	v_cvt_f32_f16_e32 v2, v8
	v_mov_b32_e32 v3, 0
	s_mov_b32 s0, 0
	s_mov_b32 s5, 0
	s_delay_alu instid0(VALU_DEP_2)
	v_cvt_u32_f32_e32 v2, v2
	global_store_b64 v[0:1], v[2:3], off
	s_branch .LBB85_1503
.LBB85_1502:
	s_mov_b32 s5, 0
.LBB85_1503:
	s_delay_alu instid0(SALU_CYCLE_1)
	s_and_b32 vcc_lo, exec_lo, s5
	s_cbranch_vccz .LBB85_1518
; %bb.1504:
	s_cmp_lt_i32 s4, 27
	s_mov_b32 s5, -1
	s_cbranch_scc1 .LBB85_1510
; %bb.1505:
	s_cmp_gt_i32 s4, 27
	s_cbranch_scc0 .LBB85_1507
; %bb.1506:
	s_wait_xcnt 0x0
	v_cvt_f32_f16_e32 v2, v8
	s_mov_b32 s5, 0
	s_delay_alu instid0(VALU_DEP_1)
	v_cvt_u32_f32_e32 v2, v2
	global_store_b32 v[0:1], v2, off
.LBB85_1507:
	s_and_not1_b32 vcc_lo, exec_lo, s5
	s_cbranch_vccnz .LBB85_1509
; %bb.1508:
	s_wait_xcnt 0x0
	v_cvt_u16_f16_e32 v2, v8
	global_store_b16 v[0:1], v2, off
.LBB85_1509:
	s_mov_b32 s5, 0
.LBB85_1510:
	s_delay_alu instid0(SALU_CYCLE_1)
	s_and_not1_b32 vcc_lo, exec_lo, s5
	s_cbranch_vccnz .LBB85_1518
; %bb.1511:
	s_wait_xcnt 0x0
	v_cvt_f32_f16_e32 v2, v8
	v_mov_b32_e32 v4, 0x80
	s_mov_b32 s5, exec_lo
	s_delay_alu instid0(VALU_DEP_2) | instskip(NEXT) | instid1(VALU_DEP_1)
	v_and_b32_e32 v3, 0x7fffffff, v2
	v_cmpx_gt_u32_e32 0x43800000, v3
	s_cbranch_execz .LBB85_1517
; %bb.1512:
	v_cmp_lt_u32_e32 vcc_lo, 0x3bffffff, v3
                                        ; implicit-def: $vgpr3
	s_and_saveexec_b32 s9, vcc_lo
	s_delay_alu instid0(SALU_CYCLE_1)
	s_xor_b32 s9, exec_lo, s9
	s_cbranch_execz .LBB85_1659
; %bb.1513:
	v_bfe_u32 v3, v2, 20, 1
	s_mov_b32 s8, exec_lo
	s_delay_alu instid0(VALU_DEP_1) | instskip(NEXT) | instid1(VALU_DEP_1)
	v_add3_u32 v3, v2, v3, 0x487ffff
	v_lshrrev_b32_e32 v3, 20, v3
	s_and_not1_saveexec_b32 s9, s9
	s_cbranch_execnz .LBB85_1660
.LBB85_1514:
	s_or_b32 exec_lo, exec_lo, s9
	v_mov_b32_e32 v4, 0
	s_and_saveexec_b32 s9, s8
.LBB85_1515:
	v_lshrrev_b32_e32 v2, 24, v2
	s_delay_alu instid0(VALU_DEP_1)
	v_and_or_b32 v4, 0x80, v2, v3
.LBB85_1516:
	s_or_b32 exec_lo, exec_lo, s9
.LBB85_1517:
	s_delay_alu instid0(SALU_CYCLE_1)
	s_or_b32 exec_lo, exec_lo, s5
	global_store_b8 v[0:1], v4, off
.LBB85_1518:
	s_mov_b32 s5, 0
.LBB85_1519:
	s_delay_alu instid0(SALU_CYCLE_1)
	s_and_b32 vcc_lo, exec_lo, s5
	s_mov_b32 s5, 0
	s_cbranch_vccz .LBB85_1559
; %bb.1520:
	s_cmp_gt_i32 s4, 22
	s_mov_b32 s8, -1
	s_cbranch_scc0 .LBB85_1552
; %bb.1521:
	s_cmp_lt_i32 s4, 24
	s_cbranch_scc1 .LBB85_1541
; %bb.1522:
	s_cmp_gt_i32 s4, 24
	s_cbranch_scc0 .LBB85_1530
; %bb.1523:
	s_wait_xcnt 0x0
	v_cvt_f32_f16_e32 v2, v8
	v_mov_b32_e32 v4, 0x80
	s_mov_b32 s8, exec_lo
	s_delay_alu instid0(VALU_DEP_2) | instskip(NEXT) | instid1(VALU_DEP_1)
	v_and_b32_e32 v3, 0x7fffffff, v2
	v_cmpx_gt_u32_e32 0x47800000, v3
	s_cbranch_execz .LBB85_1529
; %bb.1524:
	v_cmp_lt_u32_e32 vcc_lo, 0x37ffffff, v3
	s_mov_b32 s9, 0
                                        ; implicit-def: $vgpr3
	s_and_saveexec_b32 s10, vcc_lo
	s_delay_alu instid0(SALU_CYCLE_1)
	s_xor_b32 s10, exec_lo, s10
	s_cbranch_execz .LBB85_1785
; %bb.1525:
	v_bfe_u32 v3, v2, 21, 1
	s_mov_b32 s9, exec_lo
	s_delay_alu instid0(VALU_DEP_1) | instskip(NEXT) | instid1(VALU_DEP_1)
	v_add3_u32 v3, v2, v3, 0x88fffff
	v_lshrrev_b32_e32 v3, 21, v3
	s_and_not1_saveexec_b32 s10, s10
	s_cbranch_execnz .LBB85_1786
.LBB85_1526:
	s_or_b32 exec_lo, exec_lo, s10
	v_mov_b32_e32 v4, 0
	s_and_saveexec_b32 s10, s9
.LBB85_1527:
	v_lshrrev_b32_e32 v2, 24, v2
	s_delay_alu instid0(VALU_DEP_1)
	v_and_or_b32 v4, 0x80, v2, v3
.LBB85_1528:
	s_or_b32 exec_lo, exec_lo, s10
.LBB85_1529:
	s_delay_alu instid0(SALU_CYCLE_1)
	s_or_b32 exec_lo, exec_lo, s8
	s_mov_b32 s8, 0
	global_store_b8 v[0:1], v4, off
.LBB85_1530:
	s_and_b32 vcc_lo, exec_lo, s8
	s_cbranch_vccz .LBB85_1540
; %bb.1531:
	s_wait_xcnt 0x0
	v_cvt_f32_f16_e32 v2, v8
	s_mov_b32 s8, exec_lo
                                        ; implicit-def: $vgpr3
	s_delay_alu instid0(VALU_DEP_1) | instskip(NEXT) | instid1(VALU_DEP_1)
	v_and_b32_e32 v4, 0x7fffffff, v2
	v_cmpx_gt_u32_e32 0x43f00000, v4
	s_xor_b32 s8, exec_lo, s8
	s_cbranch_execz .LBB85_1537
; %bb.1532:
	s_mov_b32 s9, exec_lo
                                        ; implicit-def: $vgpr3
	v_cmpx_lt_u32_e32 0x3c7fffff, v4
	s_xor_b32 s9, exec_lo, s9
; %bb.1533:
	v_bfe_u32 v3, v2, 20, 1
	s_delay_alu instid0(VALU_DEP_1) | instskip(NEXT) | instid1(VALU_DEP_1)
	v_add3_u32 v3, v2, v3, 0x407ffff
	v_and_b32_e32 v4, 0xff00000, v3
	v_lshrrev_b32_e32 v3, 20, v3
	s_delay_alu instid0(VALU_DEP_2) | instskip(NEXT) | instid1(VALU_DEP_2)
	v_cmp_ne_u32_e32 vcc_lo, 0x7f00000, v4
	v_cndmask_b32_e32 v3, 0x7e, v3, vcc_lo
; %bb.1534:
	s_and_not1_saveexec_b32 s9, s9
; %bb.1535:
	v_add_f32_e64 v3, 0x46800000, |v2|
; %bb.1536:
	s_or_b32 exec_lo, exec_lo, s9
                                        ; implicit-def: $vgpr4
.LBB85_1537:
	s_and_not1_saveexec_b32 s8, s8
; %bb.1538:
	v_mov_b32_e32 v3, 0x7f
	v_cmp_lt_u32_e32 vcc_lo, 0x7f800000, v4
	s_delay_alu instid0(VALU_DEP_2)
	v_cndmask_b32_e32 v3, 0x7e, v3, vcc_lo
; %bb.1539:
	s_or_b32 exec_lo, exec_lo, s8
	v_lshrrev_b32_e32 v2, 24, v2
	s_delay_alu instid0(VALU_DEP_1)
	v_and_or_b32 v2, 0x80, v2, v3
	global_store_b8 v[0:1], v2, off
.LBB85_1540:
	s_mov_b32 s8, 0
.LBB85_1541:
	s_delay_alu instid0(SALU_CYCLE_1)
	s_and_not1_b32 vcc_lo, exec_lo, s8
	s_cbranch_vccnz .LBB85_1551
; %bb.1542:
	s_wait_xcnt 0x0
	v_cvt_f32_f16_e32 v2, v8
	s_mov_b32 s8, exec_lo
                                        ; implicit-def: $vgpr3
	s_delay_alu instid0(VALU_DEP_1) | instskip(NEXT) | instid1(VALU_DEP_1)
	v_and_b32_e32 v4, 0x7fffffff, v2
	v_cmpx_gt_u32_e32 0x47800000, v4
	s_xor_b32 s8, exec_lo, s8
	s_cbranch_execz .LBB85_1548
; %bb.1543:
	s_mov_b32 s9, exec_lo
                                        ; implicit-def: $vgpr3
	v_cmpx_lt_u32_e32 0x387fffff, v4
	s_xor_b32 s9, exec_lo, s9
; %bb.1544:
	v_bfe_u32 v3, v2, 21, 1
	s_delay_alu instid0(VALU_DEP_1) | instskip(NEXT) | instid1(VALU_DEP_1)
	v_add3_u32 v3, v2, v3, 0x80fffff
	v_lshrrev_b32_e32 v3, 21, v3
; %bb.1545:
	s_and_not1_saveexec_b32 s9, s9
; %bb.1546:
	v_add_f32_e64 v3, 0x43000000, |v2|
; %bb.1547:
	s_or_b32 exec_lo, exec_lo, s9
                                        ; implicit-def: $vgpr4
.LBB85_1548:
	s_and_not1_saveexec_b32 s8, s8
; %bb.1549:
	v_mov_b32_e32 v3, 0x7f
	v_cmp_lt_u32_e32 vcc_lo, 0x7f800000, v4
	s_delay_alu instid0(VALU_DEP_2)
	v_cndmask_b32_e32 v3, 0x7c, v3, vcc_lo
; %bb.1550:
	s_or_b32 exec_lo, exec_lo, s8
	v_lshrrev_b32_e32 v2, 24, v2
	s_delay_alu instid0(VALU_DEP_1)
	v_and_or_b32 v2, 0x80, v2, v3
	global_store_b8 v[0:1], v2, off
.LBB85_1551:
	s_mov_b32 s8, 0
.LBB85_1552:
	s_delay_alu instid0(SALU_CYCLE_1)
	s_and_not1_b32 vcc_lo, exec_lo, s8
	s_mov_b32 s9, 0
	s_cbranch_vccnz .LBB85_1560
; %bb.1553:
	s_cmp_gt_i32 s4, 14
	s_mov_b32 s8, -1
	s_cbranch_scc0 .LBB85_1557
; %bb.1554:
	s_cmp_eq_u32 s4, 15
	s_mov_b32 s0, -1
	s_cbranch_scc0 .LBB85_1556
; %bb.1555:
	s_wait_xcnt 0x0
	v_cvt_f32_f16_e32 v2, v8
	v_cmp_o_f16_e32 vcc_lo, v8, v8
	s_mov_b32 s0, 0
	s_delay_alu instid0(VALU_DEP_2) | instskip(NEXT) | instid1(VALU_DEP_1)
	v_bfe_u32 v3, v2, 16, 1
	v_add3_u32 v2, v2, v3, 0x7fff
	s_delay_alu instid0(VALU_DEP_1) | instskip(NEXT) | instid1(VALU_DEP_1)
	v_lshrrev_b32_e32 v2, 16, v2
	v_cndmask_b32_e32 v2, 0x7fc0, v2, vcc_lo
	global_store_b16 v[0:1], v2, off
.LBB85_1556:
	s_mov_b32 s8, 0
.LBB85_1557:
	s_delay_alu instid0(SALU_CYCLE_1)
	s_and_b32 vcc_lo, exec_lo, s8
	s_cbranch_vccz .LBB85_1560
; %bb.1558:
	s_cmp_lg_u32 s4, 11
	s_mov_b32 s9, -1
	s_cselect_b32 s4, -1, 0
	s_and_not1_b32 s0, s0, exec_lo
	s_and_b32 s4, s4, exec_lo
	s_delay_alu instid0(SALU_CYCLE_1)
	s_or_b32 s0, s0, s4
	s_branch .LBB85_1560
.LBB85_1559:
	s_mov_b32 s9, 0
.LBB85_1560:
	s_and_b32 s8, s5, exec_lo
	s_and_not1_b32 s4, s40, exec_lo
	s_and_b32 s5, s0, exec_lo
	s_and_b32 s0, s9, exec_lo
	s_or_b32 s40, s4, s5
	s_wait_xcnt 0x0
	s_or_b32 exec_lo, exec_lo, s7
	s_and_saveexec_b32 s4, s40
	s_cbranch_execz .LBB85_1489
.LBB85_1561:
	s_or_b32 s1, s1, exec_lo
	s_and_not1_b32 s0, s0, exec_lo
	s_trap 2
	s_or_b32 exec_lo, exec_lo, s4
	s_and_saveexec_b32 s4, s0
	s_delay_alu instid0(SALU_CYCLE_1)
	s_xor_b32 s0, exec_lo, s4
	s_cbranch_execnz .LBB85_1490
.LBB85_1562:
	s_or_b32 exec_lo, exec_lo, s0
	s_and_saveexec_b32 s0, s8
	s_delay_alu instid0(SALU_CYCLE_1)
	s_xor_b32 s0, exec_lo, s0
	s_cbranch_execz .LBB85_1600
.LBB85_1563:
	s_sext_i32_i16 s5, s6
	s_mov_b32 s4, -1
	s_cmp_lt_i32 s5, 5
	s_cbranch_scc1 .LBB85_1584
; %bb.1564:
	s_cmp_lt_i32 s5, 8
	s_cbranch_scc1 .LBB85_1574
; %bb.1565:
	;; [unrolled: 3-line block ×3, first 2 shown]
	s_cmp_gt_i32 s5, 9
	s_cbranch_scc0 .LBB85_1568
; %bb.1567:
	s_wait_loadcnt 0x0
	v_cvt_f32_f16_e32 v2, v8
	v_mov_b32_e32 v4, 0
	s_mov_b32 s4, 0
	s_delay_alu instid0(VALU_DEP_2) | instskip(NEXT) | instid1(VALU_DEP_2)
	v_cvt_f64_f32_e32 v[2:3], v2
	v_mov_b32_e32 v5, v4
	global_store_b128 v[0:1], v[2:5], off
.LBB85_1568:
	s_and_not1_b32 vcc_lo, exec_lo, s4
	s_cbranch_vccnz .LBB85_1570
; %bb.1569:
	s_wait_loadcnt 0x0
	v_cvt_f32_f16_e32 v2, v8
	v_mov_b32_e32 v3, 0
	global_store_b64 v[0:1], v[2:3], off
.LBB85_1570:
	s_mov_b32 s4, 0
.LBB85_1571:
	s_delay_alu instid0(SALU_CYCLE_1)
	s_and_not1_b32 vcc_lo, exec_lo, s4
	s_cbranch_vccnz .LBB85_1573
; %bb.1572:
	s_wait_loadcnt 0x0
	v_and_b32_e32 v2, 0xffff, v8
	global_store_b32 v[0:1], v2, off
.LBB85_1573:
	s_mov_b32 s4, 0
.LBB85_1574:
	s_delay_alu instid0(SALU_CYCLE_1)
	s_and_not1_b32 vcc_lo, exec_lo, s4
	s_cbranch_vccnz .LBB85_1583
; %bb.1575:
	s_sext_i32_i16 s5, s6
	s_mov_b32 s4, -1
	s_cmp_lt_i32 s5, 6
	s_cbranch_scc1 .LBB85_1581
; %bb.1576:
	s_cmp_gt_i32 s5, 6
	s_cbranch_scc0 .LBB85_1578
; %bb.1577:
	s_wait_loadcnt 0x0
	v_cvt_f32_f16_e32 v2, v8
	s_mov_b32 s4, 0
	s_delay_alu instid0(VALU_DEP_1)
	v_cvt_f64_f32_e32 v[2:3], v2
	global_store_b64 v[0:1], v[2:3], off
.LBB85_1578:
	s_and_not1_b32 vcc_lo, exec_lo, s4
	s_cbranch_vccnz .LBB85_1580
; %bb.1579:
	s_wait_loadcnt 0x0
	v_cvt_f32_f16_e32 v2, v8
	global_store_b32 v[0:1], v2, off
.LBB85_1580:
	s_mov_b32 s4, 0
.LBB85_1581:
	s_delay_alu instid0(SALU_CYCLE_1)
	s_and_not1_b32 vcc_lo, exec_lo, s4
	s_cbranch_vccnz .LBB85_1583
; %bb.1582:
	s_wait_loadcnt 0x0
	global_store_b16 v[0:1], v8, off
.LBB85_1583:
	s_mov_b32 s4, 0
.LBB85_1584:
	s_delay_alu instid0(SALU_CYCLE_1)
	s_and_not1_b32 vcc_lo, exec_lo, s4
	s_cbranch_vccnz .LBB85_1600
; %bb.1585:
	s_sext_i32_i16 s5, s6
	s_mov_b32 s4, -1
	s_cmp_lt_i32 s5, 2
	s_cbranch_scc1 .LBB85_1595
; %bb.1586:
	s_cmp_lt_i32 s5, 3
	s_cbranch_scc1 .LBB85_1592
; %bb.1587:
	s_cmp_gt_i32 s5, 3
	s_cbranch_scc0 .LBB85_1589
; %bb.1588:
	s_wait_loadcnt 0x0
	v_cvt_f32_f16_e32 v2, v8
	s_mov_b32 s4, 0
	s_delay_alu instid0(VALU_DEP_1) | instskip(NEXT) | instid1(VALU_DEP_1)
	v_cvt_i32_f32_e32 v2, v2
	v_ashrrev_i32_e32 v3, 31, v2
	global_store_b64 v[0:1], v[2:3], off
.LBB85_1589:
	s_and_not1_b32 vcc_lo, exec_lo, s4
	s_cbranch_vccnz .LBB85_1591
; %bb.1590:
	s_wait_loadcnt 0x0
	v_cvt_f32_f16_e32 v2, v8
	s_delay_alu instid0(VALU_DEP_1)
	v_cvt_i32_f32_e32 v2, v2
	global_store_b32 v[0:1], v2, off
.LBB85_1591:
	s_mov_b32 s4, 0
.LBB85_1592:
	s_delay_alu instid0(SALU_CYCLE_1)
	s_and_not1_b32 vcc_lo, exec_lo, s4
	s_cbranch_vccnz .LBB85_1594
; %bb.1593:
	s_wait_loadcnt 0x0
	v_cvt_i16_f16_e32 v2, v8
	global_store_b16 v[0:1], v2, off
.LBB85_1594:
	s_mov_b32 s4, 0
.LBB85_1595:
	s_delay_alu instid0(SALU_CYCLE_1)
	s_and_not1_b32 vcc_lo, exec_lo, s4
	s_cbranch_vccnz .LBB85_1600
; %bb.1596:
	s_sext_i32_i16 s4, s6
	s_delay_alu instid0(SALU_CYCLE_1)
	s_cmp_gt_i32 s4, 0
	s_mov_b32 s4, -1
	s_cbranch_scc0 .LBB85_1598
; %bb.1597:
	s_wait_loadcnt 0x0
	v_cvt_i16_f16_e32 v2, v8
	s_mov_b32 s4, 0
	global_store_b8 v[0:1], v2, off
.LBB85_1598:
	s_and_not1_b32 vcc_lo, exec_lo, s4
	s_cbranch_vccnz .LBB85_1600
; %bb.1599:
	s_wait_loadcnt 0x0
	v_cvt_f32_f16_e32 v2, v8
	s_delay_alu instid0(VALU_DEP_1)
	v_cvt_i32_f32_e32 v2, v2
	global_store_b8 v[0:1], v2, off
.LBB85_1600:
	s_wait_xcnt 0x0
	s_or_b32 exec_lo, exec_lo, s0
	s_delay_alu instid0(SALU_CYCLE_1)
	s_and_b32 s10, s1, exec_lo
                                        ; implicit-def: $vgpr1
                                        ; implicit-def: $vgpr0
.LBB85_1601:
	s_or_saveexec_b32 s11, s33
	s_mov_b32 s0, 0
                                        ; implicit-def: $vgpr2_vgpr3
                                        ; implicit-def: $sgpr1
                                        ; implicit-def: $vgpr12
	s_xor_b32 exec_lo, exec_lo, s11
	s_cbranch_execz .LBB85_2776
; %bb.1602:
	s_wait_loadcnt 0x0
	v_cndmask_b32_e64 v3, 0, 1, s31
	s_and_not1_b32 vcc_lo, exec_lo, s31
	s_cbranch_vccnz .LBB85_1608
; %bb.1603:
	s_cmp_lg_u32 s28, 0
	s_mov_b32 s4, 0
	s_cbranch_scc0 .LBB85_1612
; %bb.1604:
	s_min_u32 s5, s29, 15
	v_dual_mov_b32 v6, 0 :: v_dual_mov_b32 v2, v0
	v_dual_mov_b32 v22, 0 :: v_dual_mov_b32 v20, 0
	s_add_co_i32 s6, s5, 1
	s_mov_b64 s[0:1], 0xffffffffffffffe8
	s_and_b32 s6, s6, 30
	s_add_nc_u64 s[0:1], s[2:3], s[0:1]
.LBB85_1605:                            ; =>This Inner Loop Header: Depth=1
	s_clause 0x1
	s_load_b128 s[12:15], s[0:1], 0x1c
	s_load_b64 s[8:9], s[0:1], 0x2c
	s_add_co_i32 s6, s6, -2
	s_delay_alu instid0(SALU_CYCLE_1) | instskip(SKIP_2) | instid1(VALU_DEP_1)
	s_cmp_lg_u32 s6, 0
	s_wait_kmcnt 0x0
	v_mul_hi_u32 v4, s13, v2
	v_add_nc_u32_e32 v4, v2, v4
	s_delay_alu instid0(VALU_DEP_1) | instskip(NEXT) | instid1(VALU_DEP_1)
	v_lshrrev_b32_e32 v4, s14, v4
	v_mul_hi_u32 v5, s8, v4
	v_mul_lo_u32 v7, v4, s12
	s_clause 0x1
	s_load_b128 s[16:19], s[0:1], 0xdc
	s_load_b64 s[12:13], s[0:1], 0xec
	s_wait_xcnt 0x0
	s_add_nc_u64 s[0:1], s[0:1], 24
	s_delay_alu instid0(VALU_DEP_1) | instskip(NEXT) | instid1(VALU_DEP_1)
	v_dual_add_nc_u32 v5, v4, v5 :: v_dual_sub_nc_u32 v7, v2, v7
	v_lshrrev_b32_e32 v2, s9, v5
	s_wait_kmcnt 0x0
	s_delay_alu instid0(VALU_DEP_2) | instskip(NEXT) | instid1(VALU_DEP_2)
	v_mad_u32 v6, v7, s16, v6
	v_mul_lo_u32 v5, v2, s15
	v_mad_u32 v8, v7, s18, v20
	v_mad_u32 v7, v7, s17, v22
	s_delay_alu instid0(VALU_DEP_3) | instskip(NEXT) | instid1(VALU_DEP_1)
	v_sub_nc_u32_e32 v4, v4, v5
	v_mad_u32 v6, v4, s19, v6
	s_delay_alu instid0(VALU_DEP_4) | instskip(NEXT) | instid1(VALU_DEP_4)
	v_mad_u32 v20, v4, s13, v8
	v_mad_u32 v22, v4, s12, v7
	s_cbranch_scc1 .LBB85_1605
; %bb.1606:
	s_bitcmp1_b32 s5, 0
	s_cselect_b32 s5, -1, 0
	s_delay_alu instid0(SALU_CYCLE_1)
	s_and_b32 vcc_lo, exec_lo, s5
	s_cbranch_vccnz .LBB85_1609
; %bb.1607:
	s_clause 0x1
	s_load_b96 s[12:14], s[0:1], 0x1c
	s_load_b96 s[16:18], s[0:1], 0xdc
	s_wait_kmcnt 0x0
	v_mul_hi_u32 v4, s13, v2
	s_delay_alu instid0(VALU_DEP_1) | instskip(NEXT) | instid1(VALU_DEP_1)
	v_add_nc_u32_e32 v4, v2, v4
	v_lshrrev_b32_e32 v4, s14, v4
	s_delay_alu instid0(VALU_DEP_1) | instskip(NEXT) | instid1(VALU_DEP_1)
	v_mul_lo_u32 v4, v4, s12
	v_sub_nc_u32_e32 v2, v2, v4
	s_delay_alu instid0(VALU_DEP_1)
	v_mad_u32 v6, v2, s16, v6
	v_mad_u32 v22, v2, s17, v22
	;; [unrolled: 1-line block ×3, first 2 shown]
	s_and_not1_b32 vcc_lo, exec_lo, s4
	s_cbranch_vccz .LBB85_1610
	s_branch .LBB85_1613
.LBB85_1608:
	s_mov_b32 s4, -1
                                        ; implicit-def: $vgpr20
                                        ; implicit-def: $vgpr22
                                        ; implicit-def: $vgpr6
.LBB85_1609:
	s_delay_alu instid0(SALU_CYCLE_1)
	s_and_not1_b32 vcc_lo, exec_lo, s4
	s_cbranch_vccnz .LBB85_1613
.LBB85_1610:
	s_clause 0x1
	s_load_b96 s[4:6], s[2:3], 0x4
	s_load_b96 s[12:14], s[2:3], 0xc4
	s_cmp_lt_u32 s28, 2
	s_wait_kmcnt 0x0
	v_mul_hi_u32 v2, s5, v0
	s_delay_alu instid0(VALU_DEP_1) | instskip(NEXT) | instid1(VALU_DEP_1)
	v_add_nc_u32_e32 v2, v0, v2
	v_lshrrev_b32_e32 v2, s6, v2
	s_delay_alu instid0(VALU_DEP_1) | instskip(NEXT) | instid1(VALU_DEP_1)
	v_mul_lo_u32 v4, v2, s4
	v_sub_nc_u32_e32 v4, v0, v4
	s_delay_alu instid0(VALU_DEP_1)
	v_mul_lo_u32 v6, v4, s12
	v_mul_lo_u32 v20, v4, s14
	;; [unrolled: 1-line block ×3, first 2 shown]
	s_cbranch_scc1 .LBB85_1613
; %bb.1611:
	s_clause 0x1
	s_load_b96 s[4:6], s[2:3], 0x10
	s_load_b96 s[12:14], s[2:3], 0xd0
	s_wait_kmcnt 0x0
	v_mul_hi_u32 v4, s5, v2
	s_delay_alu instid0(VALU_DEP_1) | instskip(NEXT) | instid1(VALU_DEP_1)
	v_add_nc_u32_e32 v4, v2, v4
	v_lshrrev_b32_e32 v4, s6, v4
	s_delay_alu instid0(VALU_DEP_1) | instskip(NEXT) | instid1(VALU_DEP_1)
	v_mul_lo_u32 v4, v4, s4
	v_sub_nc_u32_e32 v2, v2, v4
	s_delay_alu instid0(VALU_DEP_1)
	v_mad_u32 v6, v2, s12, v6
	v_mad_u32 v22, v2, s13, v22
	;; [unrolled: 1-line block ×3, first 2 shown]
	s_branch .LBB85_1613
.LBB85_1612:
	v_dual_mov_b32 v20, 0 :: v_dual_mov_b32 v22, 0
	v_mov_b32_e32 v6, 0
	s_and_not1_b32 vcc_lo, exec_lo, s4
	s_cbranch_vccz .LBB85_1610
.LBB85_1613:
	v_cmp_ne_u32_e32 vcc_lo, 1, v3
	v_add_nc_u32_e32 v2, 0x80, v0
	s_cbranch_vccnz .LBB85_1619
; %bb.1614:
	s_cmp_lg_u32 s28, 0
	s_mov_b32 s4, 0
	s_cbranch_scc0 .LBB85_1623
; %bb.1615:
	s_min_u32 s5, s29, 15
	v_dual_mov_b32 v4, 0 :: v_dual_mov_b32 v5, v2
	v_dual_mov_b32 v18, 0 :: v_dual_mov_b32 v16, 0
	s_add_co_i32 s6, s5, 1
	s_mov_b64 s[0:1], 0xffffffffffffffe8
	s_and_b32 s6, s6, 30
	s_add_nc_u64 s[0:1], s[2:3], s[0:1]
.LBB85_1616:                            ; =>This Inner Loop Header: Depth=1
	s_clause 0x1
	s_load_b128 s[12:15], s[0:1], 0x1c
	s_load_b64 s[8:9], s[0:1], 0x2c
	s_add_co_i32 s6, s6, -2
	s_delay_alu instid0(SALU_CYCLE_1) | instskip(SKIP_2) | instid1(VALU_DEP_1)
	s_cmp_lg_u32 s6, 0
	s_wait_kmcnt 0x0
	v_mul_hi_u32 v7, s13, v5
	v_add_nc_u32_e32 v7, v5, v7
	s_delay_alu instid0(VALU_DEP_1) | instskip(NEXT) | instid1(VALU_DEP_1)
	v_lshrrev_b32_e32 v7, s14, v7
	v_mul_hi_u32 v8, s8, v7
	v_mul_lo_u32 v9, v7, s12
	s_clause 0x1
	s_load_b128 s[16:19], s[0:1], 0xdc
	s_load_b64 s[12:13], s[0:1], 0xec
	s_wait_xcnt 0x0
	s_add_nc_u64 s[0:1], s[0:1], 24
	s_delay_alu instid0(VALU_DEP_1) | instskip(NEXT) | instid1(VALU_DEP_1)
	v_dual_add_nc_u32 v8, v7, v8 :: v_dual_sub_nc_u32 v9, v5, v9
	v_lshrrev_b32_e32 v5, s9, v8
	s_wait_kmcnt 0x0
	s_delay_alu instid0(VALU_DEP_2) | instskip(NEXT) | instid1(VALU_DEP_2)
	v_mad_u32 v4, v9, s16, v4
	v_mul_lo_u32 v8, v5, s15
	v_mad_u32 v10, v9, s18, v16
	v_mad_u32 v9, v9, s17, v18
	s_delay_alu instid0(VALU_DEP_3) | instskip(NEXT) | instid1(VALU_DEP_1)
	v_sub_nc_u32_e32 v7, v7, v8
	v_mad_u32 v4, v7, s19, v4
	s_delay_alu instid0(VALU_DEP_4) | instskip(NEXT) | instid1(VALU_DEP_4)
	v_mad_u32 v16, v7, s13, v10
	v_mad_u32 v18, v7, s12, v9
	s_cbranch_scc1 .LBB85_1616
; %bb.1617:
	s_bitcmp1_b32 s5, 0
	s_cselect_b32 s5, -1, 0
	s_delay_alu instid0(SALU_CYCLE_1)
	s_and_b32 vcc_lo, exec_lo, s5
	s_cbranch_vccnz .LBB85_1620
; %bb.1618:
	s_clause 0x1
	s_load_b96 s[12:14], s[0:1], 0x1c
	s_load_b96 s[16:18], s[0:1], 0xdc
	s_wait_kmcnt 0x0
	v_mul_hi_u32 v7, s13, v5
	s_delay_alu instid0(VALU_DEP_1) | instskip(NEXT) | instid1(VALU_DEP_1)
	v_add_nc_u32_e32 v7, v5, v7
	v_lshrrev_b32_e32 v7, s14, v7
	s_delay_alu instid0(VALU_DEP_1) | instskip(NEXT) | instid1(VALU_DEP_1)
	v_mul_lo_u32 v7, v7, s12
	v_sub_nc_u32_e32 v5, v5, v7
	s_delay_alu instid0(VALU_DEP_1)
	v_mad_u32 v4, v5, s16, v4
	v_mad_u32 v18, v5, s17, v18
	;; [unrolled: 1-line block ×3, first 2 shown]
	s_and_not1_b32 vcc_lo, exec_lo, s4
	s_cbranch_vccz .LBB85_1621
	s_branch .LBB85_1624
.LBB85_1619:
	s_mov_b32 s4, -1
                                        ; implicit-def: $vgpr16
                                        ; implicit-def: $vgpr18
                                        ; implicit-def: $vgpr4
.LBB85_1620:
	s_delay_alu instid0(SALU_CYCLE_1)
	s_and_not1_b32 vcc_lo, exec_lo, s4
	s_cbranch_vccnz .LBB85_1624
.LBB85_1621:
	s_clause 0x1
	s_load_b96 s[4:6], s[2:3], 0x4
	s_load_b96 s[12:14], s[2:3], 0xc4
	s_cmp_lt_u32 s28, 2
	s_wait_kmcnt 0x0
	v_mul_hi_u32 v4, s5, v2
	s_delay_alu instid0(VALU_DEP_1) | instskip(NEXT) | instid1(VALU_DEP_1)
	v_add_nc_u32_e32 v4, v2, v4
	v_lshrrev_b32_e32 v5, s6, v4
	s_delay_alu instid0(VALU_DEP_1) | instskip(NEXT) | instid1(VALU_DEP_1)
	v_mul_lo_u32 v4, v5, s4
	v_sub_nc_u32_e32 v2, v2, v4
	s_delay_alu instid0(VALU_DEP_1)
	v_mul_lo_u32 v4, v2, s12
	v_mul_lo_u32 v16, v2, s14
	;; [unrolled: 1-line block ×3, first 2 shown]
	s_cbranch_scc1 .LBB85_1624
; %bb.1622:
	s_clause 0x1
	s_load_b96 s[4:6], s[2:3], 0x10
	s_load_b96 s[12:14], s[2:3], 0xd0
	s_wait_kmcnt 0x0
	v_mul_hi_u32 v2, s5, v5
	s_delay_alu instid0(VALU_DEP_1) | instskip(NEXT) | instid1(VALU_DEP_1)
	v_add_nc_u32_e32 v2, v5, v2
	v_lshrrev_b32_e32 v2, s6, v2
	s_delay_alu instid0(VALU_DEP_1) | instskip(NEXT) | instid1(VALU_DEP_1)
	v_mul_lo_u32 v2, v2, s4
	v_sub_nc_u32_e32 v2, v5, v2
	s_delay_alu instid0(VALU_DEP_1)
	v_mad_u32 v4, v2, s12, v4
	v_mad_u32 v18, v2, s13, v18
	;; [unrolled: 1-line block ×3, first 2 shown]
	s_branch .LBB85_1624
.LBB85_1623:
	v_dual_mov_b32 v16, 0 :: v_dual_mov_b32 v18, 0
	v_mov_b32_e32 v4, 0
	s_and_not1_b32 vcc_lo, exec_lo, s4
	s_cbranch_vccz .LBB85_1621
.LBB85_1624:
	v_cmp_ne_u32_e32 vcc_lo, 1, v3
	v_add_nc_u32_e32 v0, 0x100, v0
	s_cbranch_vccnz .LBB85_1630
; %bb.1625:
	s_cmp_lg_u32 s28, 0
	s_mov_b32 s4, 0
	s_cbranch_scc0 .LBB85_1634
; %bb.1626:
	s_min_u32 s5, s29, 15
	v_dual_mov_b32 v2, 0 :: v_dual_mov_b32 v5, v0
	v_dual_mov_b32 v14, 0 :: v_dual_mov_b32 v12, 0
	s_add_co_i32 s6, s5, 1
	s_mov_b64 s[0:1], 0xffffffffffffffe8
	s_and_b32 s6, s6, 30
	s_add_nc_u64 s[0:1], s[2:3], s[0:1]
.LBB85_1627:                            ; =>This Inner Loop Header: Depth=1
	s_clause 0x1
	s_load_b128 s[12:15], s[0:1], 0x1c
	s_load_b64 s[8:9], s[0:1], 0x2c
	s_add_co_i32 s6, s6, -2
	s_delay_alu instid0(SALU_CYCLE_1) | instskip(SKIP_2) | instid1(VALU_DEP_1)
	s_cmp_lg_u32 s6, 0
	s_wait_kmcnt 0x0
	v_mul_hi_u32 v7, s13, v5
	v_add_nc_u32_e32 v7, v5, v7
	s_delay_alu instid0(VALU_DEP_1) | instskip(NEXT) | instid1(VALU_DEP_1)
	v_lshrrev_b32_e32 v7, s14, v7
	v_mul_hi_u32 v8, s8, v7
	v_mul_lo_u32 v9, v7, s12
	s_clause 0x1
	s_load_b128 s[16:19], s[0:1], 0xdc
	s_load_b64 s[12:13], s[0:1], 0xec
	s_wait_xcnt 0x0
	s_add_nc_u64 s[0:1], s[0:1], 24
	s_delay_alu instid0(VALU_DEP_1) | instskip(NEXT) | instid1(VALU_DEP_1)
	v_dual_add_nc_u32 v8, v7, v8 :: v_dual_sub_nc_u32 v9, v5, v9
	v_lshrrev_b32_e32 v5, s9, v8
	s_wait_kmcnt 0x0
	s_delay_alu instid0(VALU_DEP_2) | instskip(NEXT) | instid1(VALU_DEP_2)
	v_mad_u32 v2, v9, s16, v2
	v_mul_lo_u32 v8, v5, s15
	v_mad_u32 v10, v9, s18, v12
	v_mad_u32 v9, v9, s17, v14
	s_delay_alu instid0(VALU_DEP_3) | instskip(NEXT) | instid1(VALU_DEP_1)
	v_sub_nc_u32_e32 v7, v7, v8
	v_mad_u32 v2, v7, s19, v2
	s_delay_alu instid0(VALU_DEP_4) | instskip(NEXT) | instid1(VALU_DEP_4)
	v_mad_u32 v12, v7, s13, v10
	v_mad_u32 v14, v7, s12, v9
	s_cbranch_scc1 .LBB85_1627
; %bb.1628:
	s_bitcmp1_b32 s5, 0
	s_cselect_b32 s5, -1, 0
	s_delay_alu instid0(SALU_CYCLE_1)
	s_and_b32 vcc_lo, exec_lo, s5
	s_cbranch_vccnz .LBB85_1631
; %bb.1629:
	s_clause 0x1
	s_load_b96 s[12:14], s[0:1], 0x1c
	s_load_b96 s[16:18], s[0:1], 0xdc
	s_wait_kmcnt 0x0
	v_mul_hi_u32 v7, s13, v5
	s_delay_alu instid0(VALU_DEP_1) | instskip(NEXT) | instid1(VALU_DEP_1)
	v_add_nc_u32_e32 v7, v5, v7
	v_lshrrev_b32_e32 v7, s14, v7
	s_delay_alu instid0(VALU_DEP_1) | instskip(NEXT) | instid1(VALU_DEP_1)
	v_mul_lo_u32 v7, v7, s12
	v_sub_nc_u32_e32 v5, v5, v7
	s_delay_alu instid0(VALU_DEP_1)
	v_mad_u32 v2, v5, s16, v2
	v_mad_u32 v14, v5, s17, v14
	;; [unrolled: 1-line block ×3, first 2 shown]
	s_and_not1_b32 vcc_lo, exec_lo, s4
	s_cbranch_vccz .LBB85_1632
	s_branch .LBB85_1635
.LBB85_1630:
	s_mov_b32 s4, -1
                                        ; implicit-def: $vgpr12
                                        ; implicit-def: $vgpr14
                                        ; implicit-def: $vgpr2
.LBB85_1631:
	s_delay_alu instid0(SALU_CYCLE_1)
	s_and_not1_b32 vcc_lo, exec_lo, s4
	s_cbranch_vccnz .LBB85_1635
.LBB85_1632:
	s_clause 0x1
	s_load_b96 s[4:6], s[2:3], 0x4
	s_load_b96 s[12:14], s[2:3], 0xc4
	s_cmp_lt_u32 s28, 2
	s_wait_kmcnt 0x0
	v_mul_hi_u32 v2, s5, v0
	s_delay_alu instid0(VALU_DEP_1) | instskip(NEXT) | instid1(VALU_DEP_1)
	v_add_nc_u32_e32 v2, v0, v2
	v_lshrrev_b32_e32 v5, s6, v2
	s_delay_alu instid0(VALU_DEP_1) | instskip(NEXT) | instid1(VALU_DEP_1)
	v_mul_lo_u32 v2, v5, s4
	v_sub_nc_u32_e32 v0, v0, v2
	s_delay_alu instid0(VALU_DEP_1)
	v_mul_lo_u32 v2, v0, s12
	v_mul_lo_u32 v12, v0, s14
	;; [unrolled: 1-line block ×3, first 2 shown]
	s_cbranch_scc1 .LBB85_1635
; %bb.1633:
	s_clause 0x1
	s_load_b96 s[4:6], s[2:3], 0x10
	s_load_b96 s[12:14], s[2:3], 0xd0
	s_wait_kmcnt 0x0
	v_mul_hi_u32 v0, s5, v5
	s_delay_alu instid0(VALU_DEP_1) | instskip(NEXT) | instid1(VALU_DEP_1)
	v_add_nc_u32_e32 v0, v5, v0
	v_lshrrev_b32_e32 v0, s6, v0
	s_delay_alu instid0(VALU_DEP_1) | instskip(NEXT) | instid1(VALU_DEP_1)
	v_mul_lo_u32 v0, v0, s4
	v_sub_nc_u32_e32 v0, v5, v0
	s_delay_alu instid0(VALU_DEP_1)
	v_mad_u32 v2, v0, s12, v2
	v_mad_u32 v14, v0, s13, v14
	;; [unrolled: 1-line block ×3, first 2 shown]
	s_branch .LBB85_1635
.LBB85_1634:
	v_dual_mov_b32 v12, 0 :: v_dual_mov_b32 v14, 0
	v_mov_b32_e32 v2, 0
	s_and_not1_b32 vcc_lo, exec_lo, s4
	s_cbranch_vccz .LBB85_1632
.LBB85_1635:
	v_cmp_ne_u32_e32 vcc_lo, 1, v3
	s_cbranch_vccnz .LBB85_1641
; %bb.1636:
	s_cmp_lg_u32 s28, 0
	s_mov_b32 s4, 0
	s_cbranch_scc0 .LBB85_1645
; %bb.1637:
	s_min_u32 s5, s29, 15
	v_dual_mov_b32 v0, 0 :: v_dual_mov_b32 v3, v1
	v_dual_mov_b32 v10, 0 :: v_dual_mov_b32 v8, 0
	s_add_co_i32 s6, s5, 1
	s_mov_b64 s[0:1], 0xffffffffffffffe8
	s_and_b32 s6, s6, 30
	s_add_nc_u64 s[0:1], s[2:3], s[0:1]
.LBB85_1638:                            ; =>This Inner Loop Header: Depth=1
	s_clause 0x1
	s_load_b128 s[12:15], s[0:1], 0x1c
	s_load_b64 s[8:9], s[0:1], 0x2c
	s_add_co_i32 s6, s6, -2
	s_delay_alu instid0(SALU_CYCLE_1) | instskip(SKIP_2) | instid1(VALU_DEP_1)
	s_cmp_lg_u32 s6, 0
	s_wait_kmcnt 0x0
	v_mul_hi_u32 v5, s13, v3
	v_add_nc_u32_e32 v5, v3, v5
	s_delay_alu instid0(VALU_DEP_1) | instskip(NEXT) | instid1(VALU_DEP_1)
	v_lshrrev_b32_e32 v5, s14, v5
	v_mul_hi_u32 v7, s8, v5
	v_mul_lo_u32 v9, v5, s12
	s_clause 0x1
	s_load_b128 s[16:19], s[0:1], 0xdc
	s_load_b64 s[12:13], s[0:1], 0xec
	s_wait_xcnt 0x0
	s_add_nc_u64 s[0:1], s[0:1], 24
	s_delay_alu instid0(VALU_DEP_1) | instskip(NEXT) | instid1(VALU_DEP_1)
	v_dual_add_nc_u32 v7, v5, v7 :: v_dual_sub_nc_u32 v9, v3, v9
	v_lshrrev_b32_e32 v3, s9, v7
	s_wait_kmcnt 0x0
	s_delay_alu instid0(VALU_DEP_2) | instskip(NEXT) | instid1(VALU_DEP_2)
	v_mad_u32 v0, v9, s16, v0
	v_mul_lo_u32 v7, v3, s15
	v_mad_u32 v8, v9, s18, v8
	v_mad_u32 v9, v9, s17, v10
	s_delay_alu instid0(VALU_DEP_3) | instskip(NEXT) | instid1(VALU_DEP_1)
	v_sub_nc_u32_e32 v5, v5, v7
	v_mad_u32 v0, v5, s19, v0
	s_delay_alu instid0(VALU_DEP_4) | instskip(NEXT) | instid1(VALU_DEP_4)
	v_mad_u32 v8, v5, s13, v8
	v_mad_u32 v10, v5, s12, v9
	s_cbranch_scc1 .LBB85_1638
; %bb.1639:
	s_bitcmp1_b32 s5, 0
	s_cselect_b32 s5, -1, 0
	s_delay_alu instid0(SALU_CYCLE_1)
	s_and_b32 vcc_lo, exec_lo, s5
	s_cbranch_vccnz .LBB85_1642
; %bb.1640:
	s_clause 0x1
	s_load_b96 s[12:14], s[0:1], 0x1c
	s_load_b96 s[16:18], s[0:1], 0xdc
	s_wait_kmcnt 0x0
	v_mul_hi_u32 v5, s13, v3
	s_delay_alu instid0(VALU_DEP_1) | instskip(NEXT) | instid1(VALU_DEP_1)
	v_add_nc_u32_e32 v5, v3, v5
	v_lshrrev_b32_e32 v5, s14, v5
	s_delay_alu instid0(VALU_DEP_1) | instskip(NEXT) | instid1(VALU_DEP_1)
	v_mul_lo_u32 v5, v5, s12
	v_sub_nc_u32_e32 v3, v3, v5
	s_delay_alu instid0(VALU_DEP_1)
	v_mad_u32 v0, v3, s16, v0
	v_mad_u32 v10, v3, s17, v10
	;; [unrolled: 1-line block ×3, first 2 shown]
	s_and_not1_b32 vcc_lo, exec_lo, s4
	s_cbranch_vccz .LBB85_1643
	s_branch .LBB85_1646
.LBB85_1641:
	s_mov_b32 s4, -1
                                        ; implicit-def: $vgpr8
                                        ; implicit-def: $vgpr10
                                        ; implicit-def: $vgpr0
.LBB85_1642:
	s_delay_alu instid0(SALU_CYCLE_1)
	s_and_not1_b32 vcc_lo, exec_lo, s4
	s_cbranch_vccnz .LBB85_1646
.LBB85_1643:
	s_clause 0x1
	s_load_b96 s[4:6], s[2:3], 0x4
	s_load_b96 s[12:14], s[2:3], 0xc4
	s_cmp_lt_u32 s28, 2
	s_wait_kmcnt 0x0
	v_mul_hi_u32 v0, s5, v1
	s_delay_alu instid0(VALU_DEP_1) | instskip(NEXT) | instid1(VALU_DEP_1)
	v_add_nc_u32_e32 v0, v1, v0
	v_lshrrev_b32_e32 v3, s6, v0
	s_delay_alu instid0(VALU_DEP_1) | instskip(NEXT) | instid1(VALU_DEP_1)
	v_mul_lo_u32 v0, v3, s4
	v_sub_nc_u32_e32 v1, v1, v0
	s_delay_alu instid0(VALU_DEP_1)
	v_mul_lo_u32 v0, v1, s12
	v_mul_lo_u32 v8, v1, s14
	;; [unrolled: 1-line block ×3, first 2 shown]
	s_cbranch_scc1 .LBB85_1646
; %bb.1644:
	s_clause 0x1
	s_load_b96 s[4:6], s[2:3], 0x10
	s_load_b96 s[12:14], s[2:3], 0xd0
	s_wait_kmcnt 0x0
	v_mul_hi_u32 v1, s5, v3
	s_delay_alu instid0(VALU_DEP_1) | instskip(NEXT) | instid1(VALU_DEP_1)
	v_add_nc_u32_e32 v1, v3, v1
	v_lshrrev_b32_e32 v1, s6, v1
	s_delay_alu instid0(VALU_DEP_1) | instskip(NEXT) | instid1(VALU_DEP_1)
	v_mul_lo_u32 v1, v1, s4
	v_sub_nc_u32_e32 v1, v3, v1
	s_delay_alu instid0(VALU_DEP_1)
	v_mad_u32 v0, v1, s12, v0
	v_mad_u32 v10, v1, s13, v10
	;; [unrolled: 1-line block ×3, first 2 shown]
	s_branch .LBB85_1646
.LBB85_1645:
	v_dual_mov_b32 v8, 0 :: v_dual_mov_b32 v10, 0
	v_mov_b32_e32 v0, 0
	s_and_not1_b32 vcc_lo, exec_lo, s4
	s_cbranch_vccz .LBB85_1643
.LBB85_1646:
	v_mov_b32_e32 v23, 0
	s_load_b128 s[4:7], s[2:3], 0x188
	global_load_u8 v1, v23, s[2:3] offset:425
	s_wait_kmcnt 0x0
	v_add_nc_u64_e32 v[22:23], s[6:7], v[22:23]
	s_wait_loadcnt 0x0
	v_and_b32_e32 v3, 0xffff, v1
	v_readfirstlane_b32 s13, v1
	s_delay_alu instid0(VALU_DEP_2)
	v_cmp_gt_i32_e32 vcc_lo, 11, v3
	s_cbranch_vccnz .LBB85_1653
; %bb.1647:
	s_and_b32 s0, 0xffff, s13
	s_mov_b32 s8, 0
	s_cmp_gt_i32 s0, 25
	s_cbranch_scc0 .LBB85_1655
; %bb.1648:
	s_cmp_gt_i32 s0, 28
	s_cbranch_scc0 .LBB85_1656
; %bb.1649:
	s_cmp_gt_i32 s0, 43
	s_cbranch_scc0 .LBB85_1657
; %bb.1650:
	s_cmp_gt_i32 s0, 45
	s_cbranch_scc0 .LBB85_1658
; %bb.1651:
	s_cmp_eq_u32 s0, 46
	s_mov_b32 s12, 0
	s_cbranch_scc0 .LBB85_1661
; %bb.1652:
	global_load_b32 v1, v[22:23], off
	s_mov_b32 s1, 0
	s_mov_b32 s9, -1
	s_wait_loadcnt 0x0
	v_lshlrev_b32_e32 v1, 16, v1
	s_delay_alu instid0(VALU_DEP_1)
	v_cvt_f16_f32_e32 v1, v1
	s_branch .LBB85_1663
.LBB85_1653:
	s_mov_b32 s9, 0
	s_mov_b32 s12, s10
                                        ; implicit-def: $vgpr1
	s_cbranch_execnz .LBB85_1726
.LBB85_1654:
	s_and_not1_b32 vcc_lo, exec_lo, s9
	s_cbranch_vccz .LBB85_1771
	s_branch .LBB85_2774
.LBB85_1655:
	s_mov_b32 s9, 0
	s_mov_b32 s1, 0
                                        ; implicit-def: $vgpr1
	s_cbranch_execnz .LBB85_1691
	s_branch .LBB85_1722
.LBB85_1656:
	s_mov_b32 s12, -1
	s_mov_b32 s9, 0
	s_mov_b32 s1, 0
                                        ; implicit-def: $vgpr1
	s_branch .LBB85_1672
.LBB85_1657:
	s_mov_b32 s9, 0
	s_mov_b32 s1, 0
                                        ; implicit-def: $vgpr1
	s_cbranch_execnz .LBB85_1668
	s_branch .LBB85_1671
.LBB85_1658:
	s_mov_b32 s12, -1
	s_mov_b32 s9, 0
	s_mov_b32 s1, 0
	s_branch .LBB85_1662
.LBB85_1659:
	s_and_not1_saveexec_b32 s9, s9
	s_cbranch_execz .LBB85_1514
.LBB85_1660:
	v_add_f32_e64 v3, 0x46000000, |v2|
	s_and_not1_b32 s8, s8, exec_lo
	s_delay_alu instid0(VALU_DEP_1) | instskip(NEXT) | instid1(VALU_DEP_1)
	v_and_b32_e32 v3, 0xff, v3
	v_cmp_ne_u32_e32 vcc_lo, 0, v3
	s_and_b32 s10, vcc_lo, exec_lo
	s_delay_alu instid0(SALU_CYCLE_1)
	s_or_b32 s8, s8, s10
	s_or_b32 exec_lo, exec_lo, s9
	v_mov_b32_e32 v4, 0
	s_and_saveexec_b32 s9, s8
	s_cbranch_execnz .LBB85_1515
	s_branch .LBB85_1516
.LBB85_1661:
	s_mov_b32 s1, -1
	s_mov_b32 s9, 0
.LBB85_1662:
                                        ; implicit-def: $vgpr1
.LBB85_1663:
	s_and_b32 vcc_lo, exec_lo, s12
	s_cbranch_vccz .LBB85_1666
; %bb.1664:
	s_cmp_eq_u32 s0, 44
	s_cbranch_scc0 .LBB85_1667
; %bb.1665:
	global_load_u8 v1, v[22:23], off
	s_mov_b32 s1, 0
	s_mov_b32 s9, -1
	s_wait_loadcnt 0x0
	v_lshlrev_b32_e32 v3, 23, v1
	v_cmp_ne_u32_e32 vcc_lo, 0xff, v1
	s_delay_alu instid0(VALU_DEP_2) | instskip(NEXT) | instid1(VALU_DEP_1)
	v_cvt_f16_f32_e32 v3, v3
	v_cndmask_b32_e32 v3, 0x7e00, v3, vcc_lo
	v_cmp_ne_u32_e32 vcc_lo, 0, v1
	s_delay_alu instid0(VALU_DEP_2)
	v_cndmask_b32_e32 v1, 0, v3, vcc_lo
.LBB85_1666:
	s_branch .LBB85_1671
.LBB85_1667:
	s_mov_b32 s1, -1
                                        ; implicit-def: $vgpr1
	s_branch .LBB85_1671
.LBB85_1668:
	s_cmp_eq_u32 s0, 29
	s_cbranch_scc0 .LBB85_1670
; %bb.1669:
	global_load_b64 v[24:25], v[22:23], off
	s_mov_b32 s1, 0
	s_mov_b32 s9, -1
	s_mov_b32 s12, 0
	s_wait_loadcnt 0x0
	v_clz_i32_u32_e32 v1, v25
	s_delay_alu instid0(VALU_DEP_1) | instskip(NEXT) | instid1(VALU_DEP_1)
	v_min_u32_e32 v1, 32, v1
	v_lshlrev_b64_e32 v[24:25], v1, v[24:25]
	v_sub_nc_u32_e32 v1, 32, v1
	s_delay_alu instid0(VALU_DEP_2) | instskip(NEXT) | instid1(VALU_DEP_1)
	v_min_u32_e32 v3, 1, v24
	v_or_b32_e32 v3, v25, v3
	s_delay_alu instid0(VALU_DEP_1) | instskip(NEXT) | instid1(VALU_DEP_1)
	v_cvt_f32_u32_e32 v3, v3
	v_ldexp_f32 v1, v3, v1
	s_delay_alu instid0(VALU_DEP_1)
	v_cvt_f16_f32_e32 v1, v1
	s_branch .LBB85_1672
.LBB85_1670:
	s_mov_b32 s1, -1
                                        ; implicit-def: $vgpr1
.LBB85_1671:
	s_mov_b32 s12, 0
.LBB85_1672:
	s_delay_alu instid0(SALU_CYCLE_1)
	s_and_b32 vcc_lo, exec_lo, s12
	s_cbranch_vccz .LBB85_1690
; %bb.1673:
	s_cmp_lt_i32 s0, 27
	s_cbranch_scc1 .LBB85_1676
; %bb.1674:
	s_cmp_gt_i32 s0, 27
	s_cbranch_scc0 .LBB85_1677
; %bb.1675:
	global_load_b32 v1, v[22:23], off
	s_mov_b32 s9, 0
	s_wait_loadcnt 0x0
	v_cvt_f32_u32_e32 v1, v1
	s_delay_alu instid0(VALU_DEP_1)
	v_cvt_f16_f32_e32 v1, v1
	s_branch .LBB85_1678
.LBB85_1676:
	s_mov_b32 s9, -1
                                        ; implicit-def: $vgpr1
	s_branch .LBB85_1681
.LBB85_1677:
	s_mov_b32 s9, -1
                                        ; implicit-def: $vgpr1
.LBB85_1678:
	s_delay_alu instid0(SALU_CYCLE_1)
	s_and_not1_b32 vcc_lo, exec_lo, s9
	s_cbranch_vccnz .LBB85_1680
; %bb.1679:
	global_load_u16 v1, v[22:23], off
	s_wait_loadcnt 0x0
	v_cvt_f16_u16_e32 v1, v1
.LBB85_1680:
	s_mov_b32 s9, 0
.LBB85_1681:
	s_delay_alu instid0(SALU_CYCLE_1)
	s_and_not1_b32 vcc_lo, exec_lo, s9
	s_cbranch_vccnz .LBB85_1689
; %bb.1682:
	global_load_u8 v3, v[22:23], off
	s_mov_b32 s9, 0
	s_mov_b32 s12, exec_lo
	s_wait_loadcnt 0x0
	v_cmpx_lt_i16_e32 0x7f, v3
	s_xor_b32 s12, exec_lo, s12
	s_cbranch_execz .LBB85_1702
; %bb.1683:
	s_mov_b32 s9, -1
	s_mov_b32 s14, exec_lo
	v_cmpx_eq_u16_e32 0x80, v3
; %bb.1684:
	s_xor_b32 s9, exec_lo, -1
; %bb.1685:
	s_or_b32 exec_lo, exec_lo, s14
	s_delay_alu instid0(SALU_CYCLE_1)
	s_and_b32 s9, s9, exec_lo
	s_or_saveexec_b32 s12, s12
	v_mov_b32_e32 v1, 0x7e00
	s_xor_b32 exec_lo, exec_lo, s12
	s_cbranch_execnz .LBB85_1703
.LBB85_1686:
	s_or_b32 exec_lo, exec_lo, s12
	s_and_saveexec_b32 s12, s9
	s_cbranch_execz .LBB85_1688
.LBB85_1687:
	v_and_b32_e32 v1, 0xffff, v3
	s_delay_alu instid0(VALU_DEP_1) | instskip(SKIP_1) | instid1(VALU_DEP_2)
	v_and_b32_e32 v5, 7, v1
	v_bfe_u32 v11, v1, 3, 4
	v_clz_i32_u32_e32 v7, v5
	s_delay_alu instid0(VALU_DEP_2) | instskip(NEXT) | instid1(VALU_DEP_2)
	v_cmp_eq_u32_e32 vcc_lo, 0, v11
	v_min_u32_e32 v7, 32, v7
	s_delay_alu instid0(VALU_DEP_1) | instskip(NEXT) | instid1(VALU_DEP_1)
	v_subrev_nc_u32_e32 v9, 28, v7
	v_dual_lshlrev_b32 v1, v9, v1 :: v_dual_sub_nc_u32 v7, 29, v7
	s_delay_alu instid0(VALU_DEP_1) | instskip(NEXT) | instid1(VALU_DEP_1)
	v_dual_lshlrev_b32 v3, 24, v3 :: v_dual_bitop2_b32 v1, 7, v1 bitop3:0x40
	v_dual_cndmask_b32 v1, v5, v1, vcc_lo :: v_dual_cndmask_b32 v7, v11, v7, vcc_lo
	s_delay_alu instid0(VALU_DEP_2) | instskip(NEXT) | instid1(VALU_DEP_2)
	v_and_b32_e32 v3, 0x80000000, v3
	v_lshlrev_b32_e32 v1, 20, v1
	s_delay_alu instid0(VALU_DEP_3) | instskip(NEXT) | instid1(VALU_DEP_1)
	v_lshl_add_u32 v5, v7, 23, 0x3b800000
	v_or3_b32 v1, v3, v5, v1
	s_delay_alu instid0(VALU_DEP_1)
	v_cvt_f16_f32_e32 v1, v1
.LBB85_1688:
	s_or_b32 exec_lo, exec_lo, s12
.LBB85_1689:
	s_mov_b32 s9, -1
.LBB85_1690:
	s_branch .LBB85_1722
.LBB85_1691:
	s_cmp_gt_i32 s0, 22
	s_cbranch_scc0 .LBB85_1701
; %bb.1692:
	s_cmp_lt_i32 s0, 24
	s_cbranch_scc1 .LBB85_1704
; %bb.1693:
	s_cmp_gt_i32 s0, 24
	s_cbranch_scc0 .LBB85_1705
; %bb.1694:
	global_load_u8 v3, v[22:23], off
	s_mov_b32 s9, exec_lo
	s_wait_loadcnt 0x0
	v_cmpx_lt_i16_e32 0x7f, v3
	s_xor_b32 s9, exec_lo, s9
	s_cbranch_execz .LBB85_1716
; %bb.1695:
	s_mov_b32 s8, -1
	s_mov_b32 s12, exec_lo
	v_cmpx_eq_u16_e32 0x80, v3
; %bb.1696:
	s_xor_b32 s8, exec_lo, -1
; %bb.1697:
	s_or_b32 exec_lo, exec_lo, s12
	s_delay_alu instid0(SALU_CYCLE_1)
	s_and_b32 s8, s8, exec_lo
	s_or_saveexec_b32 s9, s9
	v_mov_b32_e32 v1, 0x7e00
	s_xor_b32 exec_lo, exec_lo, s9
	s_cbranch_execnz .LBB85_1717
.LBB85_1698:
	s_or_b32 exec_lo, exec_lo, s9
	s_and_saveexec_b32 s9, s8
	s_cbranch_execz .LBB85_1700
.LBB85_1699:
	v_and_b32_e32 v1, 0xffff, v3
	s_delay_alu instid0(VALU_DEP_1) | instskip(SKIP_1) | instid1(VALU_DEP_2)
	v_and_b32_e32 v5, 3, v1
	v_bfe_u32 v11, v1, 2, 5
	v_clz_i32_u32_e32 v7, v5
	s_delay_alu instid0(VALU_DEP_2) | instskip(NEXT) | instid1(VALU_DEP_2)
	v_cmp_eq_u32_e32 vcc_lo, 0, v11
	v_min_u32_e32 v7, 32, v7
	s_delay_alu instid0(VALU_DEP_1) | instskip(NEXT) | instid1(VALU_DEP_1)
	v_subrev_nc_u32_e32 v9, 29, v7
	v_dual_lshlrev_b32 v1, v9, v1 :: v_dual_sub_nc_u32 v7, 30, v7
	s_delay_alu instid0(VALU_DEP_1) | instskip(NEXT) | instid1(VALU_DEP_1)
	v_dual_lshlrev_b32 v3, 24, v3 :: v_dual_bitop2_b32 v1, 3, v1 bitop3:0x40
	v_dual_cndmask_b32 v1, v5, v1, vcc_lo :: v_dual_cndmask_b32 v7, v11, v7, vcc_lo
	s_delay_alu instid0(VALU_DEP_2) | instskip(NEXT) | instid1(VALU_DEP_2)
	v_and_b32_e32 v3, 0x80000000, v3
	v_lshlrev_b32_e32 v1, 21, v1
	s_delay_alu instid0(VALU_DEP_3) | instskip(NEXT) | instid1(VALU_DEP_1)
	v_lshl_add_u32 v5, v7, 23, 0x37800000
	v_or3_b32 v1, v3, v5, v1
	s_delay_alu instid0(VALU_DEP_1)
	v_cvt_f16_f32_e32 v1, v1
.LBB85_1700:
	s_or_b32 exec_lo, exec_lo, s9
	s_mov_b32 s8, 0
	s_branch .LBB85_1706
.LBB85_1701:
                                        ; implicit-def: $vgpr1
	s_mov_b32 s8, 0
	s_branch .LBB85_1712
.LBB85_1702:
	s_or_saveexec_b32 s12, s12
	v_mov_b32_e32 v1, 0x7e00
	s_xor_b32 exec_lo, exec_lo, s12
	s_cbranch_execz .LBB85_1686
.LBB85_1703:
	v_cmp_ne_u16_e32 vcc_lo, 0, v3
	v_mov_b32_e32 v1, v3
	s_and_not1_b32 s9, s9, exec_lo
	s_and_b32 s14, vcc_lo, exec_lo
	s_delay_alu instid0(SALU_CYCLE_1)
	s_or_b32 s9, s9, s14
	s_or_b32 exec_lo, exec_lo, s12
	s_and_saveexec_b32 s12, s9
	s_cbranch_execnz .LBB85_1687
	s_branch .LBB85_1688
.LBB85_1704:
	s_mov_b32 s8, -1
                                        ; implicit-def: $vgpr1
	s_branch .LBB85_1709
.LBB85_1705:
	s_mov_b32 s8, -1
                                        ; implicit-def: $vgpr1
.LBB85_1706:
	s_delay_alu instid0(SALU_CYCLE_1)
	s_and_b32 vcc_lo, exec_lo, s8
	s_cbranch_vccz .LBB85_1708
; %bb.1707:
	global_load_u8 v1, v[22:23], off
	s_wait_loadcnt 0x0
	v_lshlrev_b32_e32 v1, 24, v1
	s_delay_alu instid0(VALU_DEP_1) | instskip(NEXT) | instid1(VALU_DEP_1)
	v_and_b32_e32 v3, 0x7f000000, v1
	v_clz_i32_u32_e32 v5, v3
	v_add_nc_u32_e32 v9, 0x1000000, v3
	v_cmp_ne_u32_e32 vcc_lo, 0, v3
	s_delay_alu instid0(VALU_DEP_3) | instskip(NEXT) | instid1(VALU_DEP_1)
	v_min_u32_e32 v5, 32, v5
	v_sub_nc_u32_e64 v5, v5, 4 clamp
	s_delay_alu instid0(VALU_DEP_1) | instskip(NEXT) | instid1(VALU_DEP_1)
	v_dual_lshlrev_b32 v7, v5, v3 :: v_dual_lshlrev_b32 v5, 23, v5
	v_lshrrev_b32_e32 v7, 4, v7
	s_delay_alu instid0(VALU_DEP_1) | instskip(SKIP_1) | instid1(VALU_DEP_2)
	v_sub_nc_u32_e32 v5, v7, v5
	v_ashrrev_i32_e32 v7, 8, v9
	v_add_nc_u32_e32 v5, 0x3c000000, v5
	s_delay_alu instid0(VALU_DEP_1) | instskip(NEXT) | instid1(VALU_DEP_1)
	v_and_or_b32 v5, 0x7f800000, v7, v5
	v_cndmask_b32_e32 v3, 0, v5, vcc_lo
	s_delay_alu instid0(VALU_DEP_1) | instskip(NEXT) | instid1(VALU_DEP_1)
	v_and_or_b32 v1, 0x80000000, v1, v3
	v_cvt_f16_f32_e32 v1, v1
.LBB85_1708:
	s_mov_b32 s8, 0
.LBB85_1709:
	s_delay_alu instid0(SALU_CYCLE_1)
	s_and_not1_b32 vcc_lo, exec_lo, s8
	s_cbranch_vccnz .LBB85_1711
; %bb.1710:
	global_load_u8 v1, v[22:23], off
	s_wait_loadcnt 0x0
	v_lshlrev_b32_e32 v3, 25, v1
	v_lshlrev_b16 v1, 8, v1
	s_delay_alu instid0(VALU_DEP_1) | instskip(SKIP_1) | instid1(VALU_DEP_2)
	v_and_or_b32 v7, 0x7f00, v1, 0.5
	v_bfe_i32 v1, v1, 0, 16
	v_add_f32_e32 v7, -0.5, v7
	v_lshrrev_b32_e32 v5, 4, v3
	v_cmp_gt_u32_e32 vcc_lo, 0x8000000, v3
	s_delay_alu instid0(VALU_DEP_2) | instskip(NEXT) | instid1(VALU_DEP_1)
	v_or_b32_e32 v5, 0x70000000, v5
	v_mul_f32_e32 v5, 0x7800000, v5
	s_delay_alu instid0(VALU_DEP_1) | instskip(NEXT) | instid1(VALU_DEP_1)
	v_cndmask_b32_e32 v3, v5, v7, vcc_lo
	v_and_or_b32 v1, 0x80000000, v1, v3
	s_delay_alu instid0(VALU_DEP_1)
	v_cvt_f16_f32_e32 v1, v1
.LBB85_1711:
	s_mov_b32 s9, -1
	s_mov_b32 s8, 0
	s_cbranch_execnz .LBB85_1722
.LBB85_1712:
	s_cmp_gt_i32 s0, 14
	s_cbranch_scc0 .LBB85_1715
; %bb.1713:
	s_cmp_eq_u32 s0, 15
	s_cbranch_scc0 .LBB85_1718
; %bb.1714:
	global_load_u16 v1, v[22:23], off
	s_mov_b32 s1, 0
	s_mov_b32 s9, -1
	s_wait_loadcnt 0x0
	v_lshlrev_b32_e32 v1, 16, v1
	s_delay_alu instid0(VALU_DEP_1)
	v_cvt_f16_f32_e32 v1, v1
	s_branch .LBB85_1720
.LBB85_1715:
	s_mov_b32 s8, -1
	s_branch .LBB85_1719
.LBB85_1716:
	s_or_saveexec_b32 s9, s9
	v_mov_b32_e32 v1, 0x7e00
	s_xor_b32 exec_lo, exec_lo, s9
	s_cbranch_execz .LBB85_1698
.LBB85_1717:
	v_cmp_ne_u16_e32 vcc_lo, 0, v3
	v_mov_b32_e32 v1, v3
	s_and_not1_b32 s8, s8, exec_lo
	s_and_b32 s12, vcc_lo, exec_lo
	s_delay_alu instid0(SALU_CYCLE_1)
	s_or_b32 s8, s8, s12
	s_or_b32 exec_lo, exec_lo, s9
	s_and_saveexec_b32 s9, s8
	s_cbranch_execnz .LBB85_1699
	s_branch .LBB85_1700
.LBB85_1718:
	s_mov_b32 s1, -1
.LBB85_1719:
                                        ; implicit-def: $vgpr1
.LBB85_1720:
	s_and_b32 vcc_lo, exec_lo, s8
	s_mov_b32 s8, 0
	s_cbranch_vccz .LBB85_1722
; %bb.1721:
	s_cmp_lg_u32 s0, 11
	s_mov_b32 s8, -1
	s_cselect_b32 s1, -1, 0
.LBB85_1722:
	s_delay_alu instid0(SALU_CYCLE_1)
	s_and_b32 vcc_lo, exec_lo, s1
	s_mov_b32 s12, s10
	s_cbranch_vccnz .LBB85_1783
; %bb.1723:
	s_and_not1_b32 vcc_lo, exec_lo, s8
	s_cbranch_vccnz .LBB85_1725
.LBB85_1724:
	global_load_u8 v1, v[22:23], off
	s_mov_b32 s9, -1
	s_wait_loadcnt 0x0
	v_cmp_ne_u16_e32 vcc_lo, 0, v1
	v_cndmask_b32_e64 v1, 0, 0x3c00, vcc_lo
.LBB85_1725:
	s_branch .LBB85_1654
.LBB85_1726:
	s_and_b32 s0, 0xffff, s13
	s_delay_alu instid0(SALU_CYCLE_1)
	s_cmp_lt_i32 s0, 5
	s_cbranch_scc1 .LBB85_1731
; %bb.1727:
	s_cmp_lt_i32 s0, 8
	s_cbranch_scc1 .LBB85_1732
; %bb.1728:
	;; [unrolled: 3-line block ×3, first 2 shown]
	s_cmp_gt_i32 s0, 9
	s_cbranch_scc0 .LBB85_1734
; %bb.1730:
	global_load_b64 v[24:25], v[22:23], off
	s_mov_b32 s1, 0
	s_wait_loadcnt 0x0
	v_and_or_b32 v1, 0x1ff, v25, v24
	v_lshrrev_b32_e32 v3, 8, v25
	v_bfe_u32 v5, v25, 20, 11
	s_delay_alu instid0(VALU_DEP_3) | instskip(NEXT) | instid1(VALU_DEP_2)
	v_cmp_ne_u32_e32 vcc_lo, 0, v1
	v_sub_nc_u32_e32 v7, 0x3f1, v5
	v_add_nc_u32_e32 v5, 0xfffffc10, v5
	v_cndmask_b32_e64 v1, 0, 1, vcc_lo
	s_delay_alu instid0(VALU_DEP_1) | instskip(NEXT) | instid1(VALU_DEP_4)
	v_and_or_b32 v1, 0xffe, v3, v1
	v_med3_i32 v3, v7, 0, 13
	s_delay_alu instid0(VALU_DEP_2) | instskip(NEXT) | instid1(VALU_DEP_1)
	v_or_b32_e32 v7, 0x1000, v1
	v_lshrrev_b32_e32 v9, v3, v7
	s_delay_alu instid0(VALU_DEP_1) | instskip(NEXT) | instid1(VALU_DEP_1)
	v_lshlrev_b32_e32 v3, v3, v9
	v_cmp_ne_u32_e32 vcc_lo, v3, v7
	v_lshl_or_b32 v7, v5, 12, v1
	v_cndmask_b32_e64 v3, 0, 1, vcc_lo
	v_cmp_gt_i32_e32 vcc_lo, 1, v5
	s_delay_alu instid0(VALU_DEP_2) | instskip(NEXT) | instid1(VALU_DEP_1)
	v_or_b32_e32 v3, v9, v3
	v_cndmask_b32_e32 v3, v7, v3, vcc_lo
	s_delay_alu instid0(VALU_DEP_1) | instskip(NEXT) | instid1(VALU_DEP_1)
	v_and_b32_e32 v7, 7, v3
	v_cmp_lt_i32_e32 vcc_lo, 5, v7
	v_cndmask_b32_e64 v9, 0, 1, vcc_lo
	v_cmp_eq_u32_e32 vcc_lo, 3, v7
	v_cndmask_b32_e64 v7, 0, 1, vcc_lo
	v_cmp_ne_u32_e32 vcc_lo, 0, v1
	s_delay_alu instid0(VALU_DEP_2) | instskip(SKIP_1) | instid1(VALU_DEP_2)
	v_dual_lshrrev_b32 v3, 2, v3 :: v_dual_bitop2_b32 v7, v7, v9 bitop3:0x54
	v_mov_b32_e32 v9, 0x7e00
	v_add_nc_u32_e32 v3, v3, v7
	s_delay_alu instid0(VALU_DEP_2) | instskip(SKIP_1) | instid1(VALU_DEP_3)
	v_cndmask_b32_e32 v1, 0x7c00, v9, vcc_lo
	v_cmp_gt_i32_e32 vcc_lo, 31, v5
	v_cndmask_b32_e32 v3, 0x7c00, v3, vcc_lo
	v_cmp_eq_u32_e32 vcc_lo, 0x40f, v5
	s_delay_alu instid0(VALU_DEP_2) | instskip(SKIP_1) | instid1(VALU_DEP_1)
	v_cndmask_b32_e32 v1, v3, v1, vcc_lo
	v_lshrrev_b32_e32 v3, 16, v25
	v_and_or_b32 v1, 0x8000, v3, v1
	s_branch .LBB85_1735
.LBB85_1731:
                                        ; implicit-def: $vgpr1
	s_branch .LBB85_1752
.LBB85_1732:
                                        ; implicit-def: $vgpr1
	s_branch .LBB85_1741
.LBB85_1733:
	s_mov_b32 s1, -1
                                        ; implicit-def: $vgpr1
	s_branch .LBB85_1738
.LBB85_1734:
	s_mov_b32 s1, -1
                                        ; implicit-def: $vgpr1
.LBB85_1735:
	s_delay_alu instid0(SALU_CYCLE_1)
	s_and_not1_b32 vcc_lo, exec_lo, s1
	s_cbranch_vccnz .LBB85_1737
; %bb.1736:
	global_load_b32 v1, v[22:23], off
	s_wait_loadcnt 0x0
	v_cvt_f16_f32_e32 v1, v1
.LBB85_1737:
	s_mov_b32 s1, 0
.LBB85_1738:
	s_delay_alu instid0(SALU_CYCLE_1)
	s_and_not1_b32 vcc_lo, exec_lo, s1
	s_cbranch_vccnz .LBB85_1740
; %bb.1739:
	global_load_b32 v1, v[22:23], off
.LBB85_1740:
	s_cbranch_execnz .LBB85_1751
.LBB85_1741:
	s_cmp_lt_i32 s0, 6
	s_cbranch_scc1 .LBB85_1744
; %bb.1742:
	s_cmp_gt_i32 s0, 6
	s_cbranch_scc0 .LBB85_1745
; %bb.1743:
	global_load_b64 v[24:25], v[22:23], off
	s_mov_b32 s1, 0
	s_wait_loadcnt 0x0
	v_and_or_b32 v1, 0x1ff, v25, v24
	v_lshrrev_b32_e32 v3, 8, v25
	v_bfe_u32 v5, v25, 20, 11
	s_delay_alu instid0(VALU_DEP_3) | instskip(NEXT) | instid1(VALU_DEP_2)
	v_cmp_ne_u32_e32 vcc_lo, 0, v1
	v_sub_nc_u32_e32 v7, 0x3f1, v5
	v_add_nc_u32_e32 v5, 0xfffffc10, v5
	v_cndmask_b32_e64 v1, 0, 1, vcc_lo
	s_delay_alu instid0(VALU_DEP_1) | instskip(NEXT) | instid1(VALU_DEP_4)
	v_and_or_b32 v1, 0xffe, v3, v1
	v_med3_i32 v3, v7, 0, 13
	s_delay_alu instid0(VALU_DEP_2) | instskip(NEXT) | instid1(VALU_DEP_1)
	v_or_b32_e32 v7, 0x1000, v1
	v_lshrrev_b32_e32 v9, v3, v7
	s_delay_alu instid0(VALU_DEP_1) | instskip(NEXT) | instid1(VALU_DEP_1)
	v_lshlrev_b32_e32 v3, v3, v9
	v_cmp_ne_u32_e32 vcc_lo, v3, v7
	v_lshl_or_b32 v7, v5, 12, v1
	v_cndmask_b32_e64 v3, 0, 1, vcc_lo
	v_cmp_gt_i32_e32 vcc_lo, 1, v5
	s_delay_alu instid0(VALU_DEP_2) | instskip(NEXT) | instid1(VALU_DEP_1)
	v_or_b32_e32 v3, v9, v3
	v_cndmask_b32_e32 v3, v7, v3, vcc_lo
	s_delay_alu instid0(VALU_DEP_1) | instskip(NEXT) | instid1(VALU_DEP_1)
	v_and_b32_e32 v7, 7, v3
	v_cmp_lt_i32_e32 vcc_lo, 5, v7
	v_cndmask_b32_e64 v9, 0, 1, vcc_lo
	v_cmp_eq_u32_e32 vcc_lo, 3, v7
	v_cndmask_b32_e64 v7, 0, 1, vcc_lo
	v_cmp_ne_u32_e32 vcc_lo, 0, v1
	s_delay_alu instid0(VALU_DEP_2) | instskip(SKIP_1) | instid1(VALU_DEP_2)
	v_dual_lshrrev_b32 v3, 2, v3 :: v_dual_bitop2_b32 v7, v7, v9 bitop3:0x54
	v_mov_b32_e32 v9, 0x7e00
	v_add_nc_u32_e32 v3, v3, v7
	s_delay_alu instid0(VALU_DEP_2) | instskip(SKIP_1) | instid1(VALU_DEP_3)
	v_cndmask_b32_e32 v1, 0x7c00, v9, vcc_lo
	v_cmp_gt_i32_e32 vcc_lo, 31, v5
	v_cndmask_b32_e32 v3, 0x7c00, v3, vcc_lo
	v_cmp_eq_u32_e32 vcc_lo, 0x40f, v5
	s_delay_alu instid0(VALU_DEP_2) | instskip(SKIP_1) | instid1(VALU_DEP_1)
	v_cndmask_b32_e32 v1, v3, v1, vcc_lo
	v_lshrrev_b32_e32 v3, 16, v25
	v_and_or_b32 v1, 0x8000, v3, v1
	s_branch .LBB85_1746
.LBB85_1744:
	s_mov_b32 s1, -1
                                        ; implicit-def: $vgpr1
	s_branch .LBB85_1749
.LBB85_1745:
	s_mov_b32 s1, -1
                                        ; implicit-def: $vgpr1
.LBB85_1746:
	s_delay_alu instid0(SALU_CYCLE_1)
	s_and_not1_b32 vcc_lo, exec_lo, s1
	s_cbranch_vccnz .LBB85_1748
; %bb.1747:
	s_wait_loadcnt 0x0
	global_load_b32 v1, v[22:23], off
	s_wait_loadcnt 0x0
	v_cvt_f16_f32_e32 v1, v1
.LBB85_1748:
	s_mov_b32 s1, 0
.LBB85_1749:
	s_delay_alu instid0(SALU_CYCLE_1)
	s_and_not1_b32 vcc_lo, exec_lo, s1
	s_cbranch_vccnz .LBB85_1751
; %bb.1750:
	s_wait_loadcnt 0x0
	global_load_u16 v1, v[22:23], off
.LBB85_1751:
	s_cbranch_execnz .LBB85_1770
.LBB85_1752:
	s_cmp_lt_i32 s0, 2
	s_cbranch_scc1 .LBB85_1756
; %bb.1753:
	s_cmp_lt_i32 s0, 3
	s_cbranch_scc1 .LBB85_1757
; %bb.1754:
	s_cmp_gt_i32 s0, 3
	s_cbranch_scc0 .LBB85_1758
; %bb.1755:
	global_load_b64 v[24:25], v[22:23], off
	s_mov_b32 s1, 0
	s_wait_loadcnt 0x0
	v_xor_b32_e32 v1, v24, v25
	v_cls_i32_e32 v3, v25
	s_delay_alu instid0(VALU_DEP_2) | instskip(NEXT) | instid1(VALU_DEP_1)
	v_ashrrev_i32_e32 v1, 31, v1
	v_add_nc_u32_e32 v1, 32, v1
	s_delay_alu instid0(VALU_DEP_1) | instskip(NEXT) | instid1(VALU_DEP_1)
	v_add_min_u32_e64 v1, v3, -1, v1
	v_lshlrev_b64_e32 v[24:25], v1, v[24:25]
	v_sub_nc_u32_e32 v1, 32, v1
	s_delay_alu instid0(VALU_DEP_2) | instskip(NEXT) | instid1(VALU_DEP_1)
	v_min_u32_e32 v3, 1, v24
	v_or_b32_e32 v3, v25, v3
	s_delay_alu instid0(VALU_DEP_1) | instskip(NEXT) | instid1(VALU_DEP_1)
	v_cvt_f32_i32_e32 v3, v3
	v_ldexp_f32 v1, v3, v1
	s_delay_alu instid0(VALU_DEP_1)
	v_cvt_f16_f32_e32 v1, v1
	s_branch .LBB85_1759
.LBB85_1756:
                                        ; implicit-def: $vgpr1
	s_branch .LBB85_1765
.LBB85_1757:
	s_mov_b32 s1, -1
                                        ; implicit-def: $vgpr1
	s_branch .LBB85_1762
.LBB85_1758:
	s_mov_b32 s1, -1
                                        ; implicit-def: $vgpr1
.LBB85_1759:
	s_delay_alu instid0(SALU_CYCLE_1)
	s_and_not1_b32 vcc_lo, exec_lo, s1
	s_cbranch_vccnz .LBB85_1761
; %bb.1760:
	s_wait_loadcnt 0x0
	global_load_b32 v1, v[22:23], off
	s_wait_loadcnt 0x0
	v_cvt_f32_i32_e32 v1, v1
	s_delay_alu instid0(VALU_DEP_1)
	v_cvt_f16_f32_e32 v1, v1
.LBB85_1761:
	s_mov_b32 s1, 0
.LBB85_1762:
	s_delay_alu instid0(SALU_CYCLE_1)
	s_and_not1_b32 vcc_lo, exec_lo, s1
	s_cbranch_vccnz .LBB85_1764
; %bb.1763:
	s_wait_loadcnt 0x0
	global_load_u16 v1, v[22:23], off
	s_wait_loadcnt 0x0
	v_cvt_f16_i16_e32 v1, v1
.LBB85_1764:
	s_cbranch_execnz .LBB85_1770
.LBB85_1765:
	s_cmp_gt_i32 s0, 0
	s_mov_b32 s0, 0
	s_cbranch_scc0 .LBB85_1767
; %bb.1766:
	s_wait_loadcnt 0x0
	global_load_i8 v1, v[22:23], off
	s_wait_loadcnt 0x0
	v_cvt_f16_i16_e32 v1, v1
	s_branch .LBB85_1768
.LBB85_1767:
	s_mov_b32 s0, -1
                                        ; implicit-def: $vgpr1
.LBB85_1768:
	s_delay_alu instid0(SALU_CYCLE_1)
	s_and_not1_b32 vcc_lo, exec_lo, s0
	s_cbranch_vccnz .LBB85_1770
; %bb.1769:
	s_wait_loadcnt 0x0
	global_load_u8 v1, v[22:23], off
	s_wait_loadcnt 0x0
	v_cvt_f16_u16_e32 v1, v1
.LBB85_1770:
.LBB85_1771:
	v_mov_b32_e32 v21, 0
	s_load_b64 s[0:1], s[2:3], 0x198
	global_load_u8 v3, v21, s[2:3] offset:426
	s_wait_kmcnt 0x0
	v_add_nc_u64_e32 v[20:21], s[0:1], v[20:21]
	s_wait_loadcnt 0x0
	v_and_b32_e32 v5, 0xffff, v3
	v_readfirstlane_b32 s14, v3
	s_delay_alu instid0(VALU_DEP_2)
	v_cmp_gt_i32_e32 vcc_lo, 11, v5
	s_cbranch_vccnz .LBB85_1778
; %bb.1772:
	s_and_b32 s8, 0xffff, s14
	s_mov_b32 s15, 0
	s_cmp_gt_i32 s8, 25
	s_cbranch_scc0 .LBB85_1780
; %bb.1773:
	s_cmp_gt_i32 s8, 28
	s_cbranch_scc0 .LBB85_1781
; %bb.1774:
	;; [unrolled: 3-line block ×4, first 2 shown]
	s_cmp_eq_u32 s8, 46
	s_mov_b32 s17, 0
	s_cbranch_scc0 .LBB85_1787
; %bb.1777:
	global_load_b32 v3, v[20:21], off
	s_mov_b32 s9, 0
	s_mov_b32 s16, -1
	s_wait_loadcnt 0x0
	v_lshlrev_b32_e32 v3, 16, v3
	s_delay_alu instid0(VALU_DEP_1)
	v_cvt_f16_f32_e32 v3, v3
	s_branch .LBB85_1789
.LBB85_1778:
	s_mov_b32 s16, 0
                                        ; implicit-def: $vgpr3
	s_cbranch_execnz .LBB85_1854
.LBB85_1779:
	s_and_not1_b32 vcc_lo, exec_lo, s16
	s_cbranch_vccnz .LBB85_2774
	s_branch .LBB85_1901
.LBB85_1780:
	s_mov_b32 s16, 0
	s_mov_b32 s9, 0
                                        ; implicit-def: $vgpr3
	s_cbranch_execnz .LBB85_1818
	s_branch .LBB85_1850
.LBB85_1781:
	s_mov_b32 s17, -1
	s_mov_b32 s16, 0
	s_mov_b32 s9, 0
                                        ; implicit-def: $vgpr3
	s_branch .LBB85_1799
.LBB85_1782:
	s_mov_b32 s17, -1
	s_mov_b32 s16, 0
	s_mov_b32 s9, 0
                                        ; implicit-def: $vgpr3
	s_branch .LBB85_1794
.LBB85_1783:
	s_or_b32 s12, s10, exec_lo
	s_trap 2
	s_cbranch_execz .LBB85_1724
	s_branch .LBB85_1725
.LBB85_1784:
	s_mov_b32 s17, -1
	s_mov_b32 s16, 0
	s_mov_b32 s9, 0
	s_branch .LBB85_1788
.LBB85_1785:
	s_and_not1_saveexec_b32 s10, s10
	s_cbranch_execz .LBB85_1526
.LBB85_1786:
	v_add_f32_e64 v3, 0x42800000, |v2|
	s_and_not1_b32 s9, s9, exec_lo
	s_delay_alu instid0(VALU_DEP_1) | instskip(NEXT) | instid1(VALU_DEP_1)
	v_and_b32_e32 v3, 0xff, v3
	v_cmp_ne_u32_e32 vcc_lo, 0, v3
	s_and_b32 s11, vcc_lo, exec_lo
	s_delay_alu instid0(SALU_CYCLE_1)
	s_or_b32 s9, s9, s11
	s_or_b32 exec_lo, exec_lo, s10
	v_mov_b32_e32 v4, 0
	s_and_saveexec_b32 s10, s9
	s_cbranch_execnz .LBB85_1527
	s_branch .LBB85_1528
.LBB85_1787:
	s_mov_b32 s9, -1
	s_mov_b32 s16, 0
.LBB85_1788:
                                        ; implicit-def: $vgpr3
.LBB85_1789:
	s_and_b32 vcc_lo, exec_lo, s17
	s_cbranch_vccz .LBB85_1793
; %bb.1790:
	s_cmp_eq_u32 s8, 44
	s_cbranch_scc0 .LBB85_1792
; %bb.1791:
	global_load_u8 v3, v[20:21], off
	s_mov_b32 s9, 0
	s_mov_b32 s16, -1
	s_wait_loadcnt 0x0
	v_lshlrev_b32_e32 v5, 23, v3
	v_cmp_ne_u32_e32 vcc_lo, 0xff, v3
	s_delay_alu instid0(VALU_DEP_2) | instskip(NEXT) | instid1(VALU_DEP_1)
	v_cvt_f16_f32_e32 v5, v5
	v_cndmask_b32_e32 v5, 0x7e00, v5, vcc_lo
	v_cmp_ne_u32_e32 vcc_lo, 0, v3
	s_delay_alu instid0(VALU_DEP_2)
	v_cndmask_b32_e32 v3, 0, v5, vcc_lo
	s_branch .LBB85_1793
.LBB85_1792:
	s_mov_b32 s9, -1
                                        ; implicit-def: $vgpr3
.LBB85_1793:
	s_mov_b32 s17, 0
.LBB85_1794:
	s_delay_alu instid0(SALU_CYCLE_1)
	s_and_b32 vcc_lo, exec_lo, s17
	s_cbranch_vccz .LBB85_1798
; %bb.1795:
	s_cmp_eq_u32 s8, 29
	s_cbranch_scc0 .LBB85_1797
; %bb.1796:
	global_load_b64 v[22:23], v[20:21], off
	s_mov_b32 s9, 0
	s_mov_b32 s16, -1
	s_mov_b32 s17, 0
	s_wait_loadcnt 0x0
	v_clz_i32_u32_e32 v3, v23
	s_delay_alu instid0(VALU_DEP_1) | instskip(NEXT) | instid1(VALU_DEP_1)
	v_min_u32_e32 v3, 32, v3
	v_lshlrev_b64_e32 v[22:23], v3, v[22:23]
	v_sub_nc_u32_e32 v3, 32, v3
	s_delay_alu instid0(VALU_DEP_2) | instskip(NEXT) | instid1(VALU_DEP_1)
	v_min_u32_e32 v5, 1, v22
	v_or_b32_e32 v5, v23, v5
	s_delay_alu instid0(VALU_DEP_1) | instskip(NEXT) | instid1(VALU_DEP_1)
	v_cvt_f32_u32_e32 v5, v5
	v_ldexp_f32 v3, v5, v3
	s_delay_alu instid0(VALU_DEP_1)
	v_cvt_f16_f32_e32 v3, v3
	s_branch .LBB85_1799
.LBB85_1797:
	s_mov_b32 s9, -1
                                        ; implicit-def: $vgpr3
.LBB85_1798:
	s_mov_b32 s17, 0
.LBB85_1799:
	s_delay_alu instid0(SALU_CYCLE_1)
	s_and_b32 vcc_lo, exec_lo, s17
	s_cbranch_vccz .LBB85_1817
; %bb.1800:
	s_cmp_lt_i32 s8, 27
	s_cbranch_scc1 .LBB85_1803
; %bb.1801:
	s_cmp_gt_i32 s8, 27
	s_cbranch_scc0 .LBB85_1804
; %bb.1802:
	global_load_b32 v3, v[20:21], off
	s_mov_b32 s16, 0
	s_wait_loadcnt 0x0
	v_cvt_f32_u32_e32 v3, v3
	s_delay_alu instid0(VALU_DEP_1)
	v_cvt_f16_f32_e32 v3, v3
	s_branch .LBB85_1805
.LBB85_1803:
	s_mov_b32 s16, -1
                                        ; implicit-def: $vgpr3
	s_branch .LBB85_1808
.LBB85_1804:
	s_mov_b32 s16, -1
                                        ; implicit-def: $vgpr3
.LBB85_1805:
	s_delay_alu instid0(SALU_CYCLE_1)
	s_and_not1_b32 vcc_lo, exec_lo, s16
	s_cbranch_vccnz .LBB85_1807
; %bb.1806:
	global_load_u16 v3, v[20:21], off
	s_wait_loadcnt 0x0
	v_cvt_f16_u16_e32 v3, v3
.LBB85_1807:
	s_mov_b32 s16, 0
.LBB85_1808:
	s_delay_alu instid0(SALU_CYCLE_1)
	s_and_not1_b32 vcc_lo, exec_lo, s16
	s_cbranch_vccnz .LBB85_1816
; %bb.1809:
	global_load_u8 v5, v[20:21], off
	s_mov_b32 s16, 0
	s_mov_b32 s17, exec_lo
	s_wait_loadcnt 0x0
	v_cmpx_lt_i16_e32 0x7f, v5
	s_xor_b32 s17, exec_lo, s17
	s_cbranch_execz .LBB85_1829
; %bb.1810:
	s_mov_b32 s16, -1
	s_mov_b32 s18, exec_lo
	v_cmpx_eq_u16_e32 0x80, v5
; %bb.1811:
	s_xor_b32 s16, exec_lo, -1
; %bb.1812:
	s_or_b32 exec_lo, exec_lo, s18
	s_delay_alu instid0(SALU_CYCLE_1)
	s_and_b32 s16, s16, exec_lo
	s_or_saveexec_b32 s17, s17
	v_mov_b32_e32 v3, 0x7e00
	s_xor_b32 exec_lo, exec_lo, s17
	s_cbranch_execnz .LBB85_1830
.LBB85_1813:
	s_or_b32 exec_lo, exec_lo, s17
	s_and_saveexec_b32 s17, s16
	s_cbranch_execz .LBB85_1815
.LBB85_1814:
	v_and_b32_e32 v3, 0xffff, v5
	s_delay_alu instid0(VALU_DEP_1) | instskip(SKIP_1) | instid1(VALU_DEP_2)
	v_and_b32_e32 v7, 7, v3
	v_bfe_u32 v13, v3, 3, 4
	v_clz_i32_u32_e32 v9, v7
	s_delay_alu instid0(VALU_DEP_2) | instskip(NEXT) | instid1(VALU_DEP_2)
	v_cmp_eq_u32_e32 vcc_lo, 0, v13
	v_min_u32_e32 v9, 32, v9
	s_delay_alu instid0(VALU_DEP_1) | instskip(NEXT) | instid1(VALU_DEP_1)
	v_subrev_nc_u32_e32 v11, 28, v9
	v_dual_lshlrev_b32 v3, v11, v3 :: v_dual_sub_nc_u32 v9, 29, v9
	s_delay_alu instid0(VALU_DEP_1) | instskip(NEXT) | instid1(VALU_DEP_1)
	v_dual_lshlrev_b32 v5, 24, v5 :: v_dual_bitop2_b32 v3, 7, v3 bitop3:0x40
	v_dual_cndmask_b32 v3, v7, v3, vcc_lo :: v_dual_cndmask_b32 v9, v13, v9, vcc_lo
	s_delay_alu instid0(VALU_DEP_2) | instskip(NEXT) | instid1(VALU_DEP_2)
	v_and_b32_e32 v5, 0x80000000, v5
	v_lshlrev_b32_e32 v3, 20, v3
	s_delay_alu instid0(VALU_DEP_3) | instskip(NEXT) | instid1(VALU_DEP_1)
	v_lshl_add_u32 v7, v9, 23, 0x3b800000
	v_or3_b32 v3, v5, v7, v3
	s_delay_alu instid0(VALU_DEP_1)
	v_cvt_f16_f32_e32 v3, v3
.LBB85_1815:
	s_or_b32 exec_lo, exec_lo, s17
.LBB85_1816:
	s_mov_b32 s16, -1
.LBB85_1817:
	s_branch .LBB85_1850
.LBB85_1818:
	s_cmp_gt_i32 s8, 22
	s_cbranch_scc0 .LBB85_1828
; %bb.1819:
	s_cmp_lt_i32 s8, 24
	s_cbranch_scc1 .LBB85_1831
; %bb.1820:
	s_cmp_gt_i32 s8, 24
	s_cbranch_scc0 .LBB85_1832
; %bb.1821:
	global_load_u8 v5, v[20:21], off
	s_mov_b32 s16, exec_lo
	s_wait_loadcnt 0x0
	v_cmpx_lt_i16_e32 0x7f, v5
	s_xor_b32 s16, exec_lo, s16
	s_cbranch_execz .LBB85_1844
; %bb.1822:
	s_mov_b32 s15, -1
	s_mov_b32 s17, exec_lo
	v_cmpx_eq_u16_e32 0x80, v5
; %bb.1823:
	s_xor_b32 s15, exec_lo, -1
; %bb.1824:
	s_or_b32 exec_lo, exec_lo, s17
	s_delay_alu instid0(SALU_CYCLE_1)
	s_and_b32 s15, s15, exec_lo
	s_or_saveexec_b32 s16, s16
	v_mov_b32_e32 v3, 0x7e00
	s_xor_b32 exec_lo, exec_lo, s16
	s_cbranch_execnz .LBB85_1845
.LBB85_1825:
	s_or_b32 exec_lo, exec_lo, s16
	s_and_saveexec_b32 s16, s15
	s_cbranch_execz .LBB85_1827
.LBB85_1826:
	v_and_b32_e32 v3, 0xffff, v5
	s_delay_alu instid0(VALU_DEP_1) | instskip(SKIP_1) | instid1(VALU_DEP_2)
	v_and_b32_e32 v7, 3, v3
	v_bfe_u32 v13, v3, 2, 5
	v_clz_i32_u32_e32 v9, v7
	s_delay_alu instid0(VALU_DEP_2) | instskip(NEXT) | instid1(VALU_DEP_2)
	v_cmp_eq_u32_e32 vcc_lo, 0, v13
	v_min_u32_e32 v9, 32, v9
	s_delay_alu instid0(VALU_DEP_1) | instskip(NEXT) | instid1(VALU_DEP_1)
	v_subrev_nc_u32_e32 v11, 29, v9
	v_dual_lshlrev_b32 v3, v11, v3 :: v_dual_sub_nc_u32 v9, 30, v9
	s_delay_alu instid0(VALU_DEP_1) | instskip(NEXT) | instid1(VALU_DEP_1)
	v_dual_lshlrev_b32 v5, 24, v5 :: v_dual_bitop2_b32 v3, 3, v3 bitop3:0x40
	v_dual_cndmask_b32 v3, v7, v3, vcc_lo :: v_dual_cndmask_b32 v9, v13, v9, vcc_lo
	s_delay_alu instid0(VALU_DEP_2) | instskip(NEXT) | instid1(VALU_DEP_2)
	v_and_b32_e32 v5, 0x80000000, v5
	v_lshlrev_b32_e32 v3, 21, v3
	s_delay_alu instid0(VALU_DEP_3) | instskip(NEXT) | instid1(VALU_DEP_1)
	v_lshl_add_u32 v7, v9, 23, 0x37800000
	v_or3_b32 v3, v5, v7, v3
	s_delay_alu instid0(VALU_DEP_1)
	v_cvt_f16_f32_e32 v3, v3
.LBB85_1827:
	s_or_b32 exec_lo, exec_lo, s16
	s_mov_b32 s15, 0
	s_branch .LBB85_1833
.LBB85_1828:
	s_mov_b32 s15, -1
                                        ; implicit-def: $vgpr3
	s_branch .LBB85_1839
.LBB85_1829:
	s_or_saveexec_b32 s17, s17
	v_mov_b32_e32 v3, 0x7e00
	s_xor_b32 exec_lo, exec_lo, s17
	s_cbranch_execz .LBB85_1813
.LBB85_1830:
	v_cmp_ne_u16_e32 vcc_lo, 0, v5
	v_mov_b32_e32 v3, v5
	s_and_not1_b32 s16, s16, exec_lo
	s_and_b32 s18, vcc_lo, exec_lo
	s_delay_alu instid0(SALU_CYCLE_1)
	s_or_b32 s16, s16, s18
	s_or_b32 exec_lo, exec_lo, s17
	s_and_saveexec_b32 s17, s16
	s_cbranch_execnz .LBB85_1814
	s_branch .LBB85_1815
.LBB85_1831:
	s_mov_b32 s15, -1
                                        ; implicit-def: $vgpr3
	s_branch .LBB85_1836
.LBB85_1832:
	s_mov_b32 s15, -1
                                        ; implicit-def: $vgpr3
.LBB85_1833:
	s_delay_alu instid0(SALU_CYCLE_1)
	s_and_b32 vcc_lo, exec_lo, s15
	s_cbranch_vccz .LBB85_1835
; %bb.1834:
	global_load_u8 v3, v[20:21], off
	s_wait_loadcnt 0x0
	v_lshlrev_b32_e32 v3, 24, v3
	s_delay_alu instid0(VALU_DEP_1) | instskip(NEXT) | instid1(VALU_DEP_1)
	v_and_b32_e32 v5, 0x7f000000, v3
	v_clz_i32_u32_e32 v7, v5
	v_add_nc_u32_e32 v11, 0x1000000, v5
	v_cmp_ne_u32_e32 vcc_lo, 0, v5
	s_delay_alu instid0(VALU_DEP_3) | instskip(NEXT) | instid1(VALU_DEP_1)
	v_min_u32_e32 v7, 32, v7
	v_sub_nc_u32_e64 v7, v7, 4 clamp
	s_delay_alu instid0(VALU_DEP_1) | instskip(NEXT) | instid1(VALU_DEP_1)
	v_dual_lshlrev_b32 v9, v7, v5 :: v_dual_lshlrev_b32 v7, 23, v7
	v_lshrrev_b32_e32 v9, 4, v9
	s_delay_alu instid0(VALU_DEP_1) | instskip(SKIP_1) | instid1(VALU_DEP_2)
	v_sub_nc_u32_e32 v7, v9, v7
	v_ashrrev_i32_e32 v9, 8, v11
	v_add_nc_u32_e32 v7, 0x3c000000, v7
	s_delay_alu instid0(VALU_DEP_1) | instskip(NEXT) | instid1(VALU_DEP_1)
	v_and_or_b32 v7, 0x7f800000, v9, v7
	v_cndmask_b32_e32 v5, 0, v7, vcc_lo
	s_delay_alu instid0(VALU_DEP_1) | instskip(NEXT) | instid1(VALU_DEP_1)
	v_and_or_b32 v3, 0x80000000, v3, v5
	v_cvt_f16_f32_e32 v3, v3
.LBB85_1835:
	s_mov_b32 s15, 0
.LBB85_1836:
	s_delay_alu instid0(SALU_CYCLE_1)
	s_and_not1_b32 vcc_lo, exec_lo, s15
	s_cbranch_vccnz .LBB85_1838
; %bb.1837:
	global_load_u8 v3, v[20:21], off
	s_wait_loadcnt 0x0
	v_lshlrev_b32_e32 v5, 25, v3
	v_lshlrev_b16 v3, 8, v3
	s_delay_alu instid0(VALU_DEP_1) | instskip(SKIP_1) | instid1(VALU_DEP_2)
	v_and_or_b32 v9, 0x7f00, v3, 0.5
	v_bfe_i32 v3, v3, 0, 16
	v_add_f32_e32 v9, -0.5, v9
	v_lshrrev_b32_e32 v7, 4, v5
	v_cmp_gt_u32_e32 vcc_lo, 0x8000000, v5
	s_delay_alu instid0(VALU_DEP_2) | instskip(NEXT) | instid1(VALU_DEP_1)
	v_or_b32_e32 v7, 0x70000000, v7
	v_mul_f32_e32 v7, 0x7800000, v7
	s_delay_alu instid0(VALU_DEP_1) | instskip(NEXT) | instid1(VALU_DEP_1)
	v_cndmask_b32_e32 v5, v7, v9, vcc_lo
	v_and_or_b32 v3, 0x80000000, v3, v5
	s_delay_alu instid0(VALU_DEP_1)
	v_cvt_f16_f32_e32 v3, v3
.LBB85_1838:
	s_mov_b32 s15, 0
	s_mov_b32 s16, -1
.LBB85_1839:
	s_and_not1_b32 vcc_lo, exec_lo, s15
	s_mov_b32 s15, 0
	s_cbranch_vccnz .LBB85_1850
; %bb.1840:
	s_cmp_gt_i32 s8, 14
	s_cbranch_scc0 .LBB85_1843
; %bb.1841:
	s_cmp_eq_u32 s8, 15
	s_cbranch_scc0 .LBB85_1846
; %bb.1842:
	global_load_u16 v3, v[20:21], off
	s_mov_b32 s9, 0
	s_mov_b32 s16, -1
	s_wait_loadcnt 0x0
	v_lshlrev_b32_e32 v3, 16, v3
	s_delay_alu instid0(VALU_DEP_1)
	v_cvt_f16_f32_e32 v3, v3
	s_branch .LBB85_1848
.LBB85_1843:
	s_mov_b32 s15, -1
	s_branch .LBB85_1847
.LBB85_1844:
	s_or_saveexec_b32 s16, s16
	v_mov_b32_e32 v3, 0x7e00
	s_xor_b32 exec_lo, exec_lo, s16
	s_cbranch_execz .LBB85_1825
.LBB85_1845:
	v_cmp_ne_u16_e32 vcc_lo, 0, v5
	v_mov_b32_e32 v3, v5
	s_and_not1_b32 s15, s15, exec_lo
	s_and_b32 s17, vcc_lo, exec_lo
	s_delay_alu instid0(SALU_CYCLE_1)
	s_or_b32 s15, s15, s17
	s_or_b32 exec_lo, exec_lo, s16
	s_and_saveexec_b32 s16, s15
	s_cbranch_execnz .LBB85_1826
	s_branch .LBB85_1827
.LBB85_1846:
	s_mov_b32 s9, -1
.LBB85_1847:
                                        ; implicit-def: $vgpr3
.LBB85_1848:
	s_and_b32 vcc_lo, exec_lo, s15
	s_mov_b32 s15, 0
	s_cbranch_vccz .LBB85_1850
; %bb.1849:
	s_cmp_lg_u32 s8, 11
	s_mov_b32 s15, -1
	s_cselect_b32 s9, -1, 0
.LBB85_1850:
	s_delay_alu instid0(SALU_CYCLE_1)
	s_and_b32 vcc_lo, exec_lo, s9
	s_cbranch_vccnz .LBB85_1915
; %bb.1851:
	s_and_not1_b32 vcc_lo, exec_lo, s15
	s_cbranch_vccnz .LBB85_1853
.LBB85_1852:
	global_load_u8 v3, v[20:21], off
	s_mov_b32 s16, -1
	s_wait_loadcnt 0x0
	v_cmp_ne_u16_e32 vcc_lo, 0, v3
	v_cndmask_b32_e64 v3, 0, 0x3c00, vcc_lo
.LBB85_1853:
	s_branch .LBB85_1779
.LBB85_1854:
	s_and_b32 s8, 0xffff, s14
	s_delay_alu instid0(SALU_CYCLE_1)
	s_cmp_lt_i32 s8, 5
	s_cbranch_scc1 .LBB85_1859
; %bb.1855:
	s_cmp_lt_i32 s8, 8
	s_cbranch_scc1 .LBB85_1860
; %bb.1856:
	;; [unrolled: 3-line block ×3, first 2 shown]
	s_cmp_gt_i32 s8, 9
	s_cbranch_scc0 .LBB85_1862
; %bb.1858:
	global_load_b64 v[22:23], v[20:21], off
	s_mov_b32 s9, 0
	s_wait_loadcnt 0x0
	v_and_or_b32 v3, 0x1ff, v23, v22
	v_lshrrev_b32_e32 v5, 8, v23
	v_bfe_u32 v7, v23, 20, 11
	s_delay_alu instid0(VALU_DEP_3) | instskip(NEXT) | instid1(VALU_DEP_2)
	v_cmp_ne_u32_e32 vcc_lo, 0, v3
	v_sub_nc_u32_e32 v9, 0x3f1, v7
	v_add_nc_u32_e32 v7, 0xfffffc10, v7
	v_cndmask_b32_e64 v3, 0, 1, vcc_lo
	s_delay_alu instid0(VALU_DEP_1) | instskip(NEXT) | instid1(VALU_DEP_4)
	v_and_or_b32 v3, 0xffe, v5, v3
	v_med3_i32 v5, v9, 0, 13
	s_delay_alu instid0(VALU_DEP_2) | instskip(NEXT) | instid1(VALU_DEP_1)
	v_or_b32_e32 v9, 0x1000, v3
	v_lshrrev_b32_e32 v11, v5, v9
	s_delay_alu instid0(VALU_DEP_1) | instskip(NEXT) | instid1(VALU_DEP_1)
	v_lshlrev_b32_e32 v5, v5, v11
	v_cmp_ne_u32_e32 vcc_lo, v5, v9
	v_lshl_or_b32 v9, v7, 12, v3
	v_cndmask_b32_e64 v5, 0, 1, vcc_lo
	v_cmp_gt_i32_e32 vcc_lo, 1, v7
	s_delay_alu instid0(VALU_DEP_2) | instskip(NEXT) | instid1(VALU_DEP_1)
	v_or_b32_e32 v5, v11, v5
	v_cndmask_b32_e32 v5, v9, v5, vcc_lo
	s_delay_alu instid0(VALU_DEP_1) | instskip(NEXT) | instid1(VALU_DEP_1)
	v_and_b32_e32 v9, 7, v5
	v_cmp_lt_i32_e32 vcc_lo, 5, v9
	v_cndmask_b32_e64 v11, 0, 1, vcc_lo
	v_cmp_eq_u32_e32 vcc_lo, 3, v9
	v_cndmask_b32_e64 v9, 0, 1, vcc_lo
	v_cmp_ne_u32_e32 vcc_lo, 0, v3
	s_delay_alu instid0(VALU_DEP_2) | instskip(SKIP_1) | instid1(VALU_DEP_2)
	v_dual_lshrrev_b32 v5, 2, v5 :: v_dual_bitop2_b32 v9, v9, v11 bitop3:0x54
	v_mov_b32_e32 v11, 0x7e00
	v_add_nc_u32_e32 v5, v5, v9
	s_delay_alu instid0(VALU_DEP_2) | instskip(SKIP_1) | instid1(VALU_DEP_3)
	v_cndmask_b32_e32 v3, 0x7c00, v11, vcc_lo
	v_cmp_gt_i32_e32 vcc_lo, 31, v7
	v_cndmask_b32_e32 v5, 0x7c00, v5, vcc_lo
	v_cmp_eq_u32_e32 vcc_lo, 0x40f, v7
	s_delay_alu instid0(VALU_DEP_2) | instskip(SKIP_1) | instid1(VALU_DEP_1)
	v_cndmask_b32_e32 v3, v5, v3, vcc_lo
	v_lshrrev_b32_e32 v5, 16, v23
	v_and_or_b32 v3, 0x8000, v5, v3
	s_branch .LBB85_1863
.LBB85_1859:
                                        ; implicit-def: $vgpr3
	s_branch .LBB85_1881
.LBB85_1860:
	s_mov_b32 s9, -1
                                        ; implicit-def: $vgpr3
	s_branch .LBB85_1869
.LBB85_1861:
	s_mov_b32 s9, -1
                                        ; implicit-def: $vgpr3
	s_branch .LBB85_1866
.LBB85_1862:
	s_mov_b32 s9, -1
                                        ; implicit-def: $vgpr3
.LBB85_1863:
	s_delay_alu instid0(SALU_CYCLE_1)
	s_and_not1_b32 vcc_lo, exec_lo, s9
	s_cbranch_vccnz .LBB85_1865
; %bb.1864:
	global_load_b32 v3, v[20:21], off
	s_wait_loadcnt 0x0
	v_cvt_f16_f32_e32 v3, v3
.LBB85_1865:
	s_mov_b32 s9, 0
.LBB85_1866:
	s_delay_alu instid0(SALU_CYCLE_1)
	s_and_not1_b32 vcc_lo, exec_lo, s9
	s_cbranch_vccnz .LBB85_1868
; %bb.1867:
	global_load_b32 v3, v[20:21], off
.LBB85_1868:
	s_mov_b32 s9, 0
.LBB85_1869:
	s_delay_alu instid0(SALU_CYCLE_1)
	s_and_not1_b32 vcc_lo, exec_lo, s9
	s_cbranch_vccnz .LBB85_1880
; %bb.1870:
	s_cmp_lt_i32 s8, 6
	s_cbranch_scc1 .LBB85_1873
; %bb.1871:
	s_cmp_gt_i32 s8, 6
	s_cbranch_scc0 .LBB85_1874
; %bb.1872:
	global_load_b64 v[22:23], v[20:21], off
	s_mov_b32 s9, 0
	s_wait_loadcnt 0x0
	v_and_or_b32 v3, 0x1ff, v23, v22
	v_lshrrev_b32_e32 v5, 8, v23
	v_bfe_u32 v7, v23, 20, 11
	s_delay_alu instid0(VALU_DEP_3) | instskip(NEXT) | instid1(VALU_DEP_2)
	v_cmp_ne_u32_e32 vcc_lo, 0, v3
	v_sub_nc_u32_e32 v9, 0x3f1, v7
	v_add_nc_u32_e32 v7, 0xfffffc10, v7
	v_cndmask_b32_e64 v3, 0, 1, vcc_lo
	s_delay_alu instid0(VALU_DEP_1) | instskip(NEXT) | instid1(VALU_DEP_4)
	v_and_or_b32 v3, 0xffe, v5, v3
	v_med3_i32 v5, v9, 0, 13
	s_delay_alu instid0(VALU_DEP_2) | instskip(NEXT) | instid1(VALU_DEP_1)
	v_or_b32_e32 v9, 0x1000, v3
	v_lshrrev_b32_e32 v11, v5, v9
	s_delay_alu instid0(VALU_DEP_1) | instskip(NEXT) | instid1(VALU_DEP_1)
	v_lshlrev_b32_e32 v5, v5, v11
	v_cmp_ne_u32_e32 vcc_lo, v5, v9
	v_lshl_or_b32 v9, v7, 12, v3
	v_cndmask_b32_e64 v5, 0, 1, vcc_lo
	v_cmp_gt_i32_e32 vcc_lo, 1, v7
	s_delay_alu instid0(VALU_DEP_2) | instskip(NEXT) | instid1(VALU_DEP_1)
	v_or_b32_e32 v5, v11, v5
	v_cndmask_b32_e32 v5, v9, v5, vcc_lo
	s_delay_alu instid0(VALU_DEP_1) | instskip(NEXT) | instid1(VALU_DEP_1)
	v_and_b32_e32 v9, 7, v5
	v_cmp_lt_i32_e32 vcc_lo, 5, v9
	v_cndmask_b32_e64 v11, 0, 1, vcc_lo
	v_cmp_eq_u32_e32 vcc_lo, 3, v9
	v_cndmask_b32_e64 v9, 0, 1, vcc_lo
	v_cmp_ne_u32_e32 vcc_lo, 0, v3
	s_delay_alu instid0(VALU_DEP_2) | instskip(SKIP_1) | instid1(VALU_DEP_2)
	v_dual_lshrrev_b32 v5, 2, v5 :: v_dual_bitop2_b32 v9, v9, v11 bitop3:0x54
	v_mov_b32_e32 v11, 0x7e00
	v_add_nc_u32_e32 v5, v5, v9
	s_delay_alu instid0(VALU_DEP_2) | instskip(SKIP_1) | instid1(VALU_DEP_3)
	v_cndmask_b32_e32 v3, 0x7c00, v11, vcc_lo
	v_cmp_gt_i32_e32 vcc_lo, 31, v7
	v_cndmask_b32_e32 v5, 0x7c00, v5, vcc_lo
	v_cmp_eq_u32_e32 vcc_lo, 0x40f, v7
	s_delay_alu instid0(VALU_DEP_2) | instskip(SKIP_1) | instid1(VALU_DEP_1)
	v_cndmask_b32_e32 v3, v5, v3, vcc_lo
	v_lshrrev_b32_e32 v5, 16, v23
	v_and_or_b32 v3, 0x8000, v5, v3
	s_branch .LBB85_1875
.LBB85_1873:
	s_mov_b32 s9, -1
                                        ; implicit-def: $vgpr3
	s_branch .LBB85_1878
.LBB85_1874:
	s_mov_b32 s9, -1
                                        ; implicit-def: $vgpr3
.LBB85_1875:
	s_delay_alu instid0(SALU_CYCLE_1)
	s_and_not1_b32 vcc_lo, exec_lo, s9
	s_cbranch_vccnz .LBB85_1877
; %bb.1876:
	s_wait_loadcnt 0x0
	global_load_b32 v3, v[20:21], off
	s_wait_loadcnt 0x0
	v_cvt_f16_f32_e32 v3, v3
.LBB85_1877:
	s_mov_b32 s9, 0
.LBB85_1878:
	s_delay_alu instid0(SALU_CYCLE_1)
	s_and_not1_b32 vcc_lo, exec_lo, s9
	s_cbranch_vccnz .LBB85_1880
; %bb.1879:
	s_wait_loadcnt 0x0
	global_load_u16 v3, v[20:21], off
.LBB85_1880:
	s_cbranch_execnz .LBB85_1900
.LBB85_1881:
	s_cmp_lt_i32 s8, 2
	s_cbranch_scc1 .LBB85_1885
; %bb.1882:
	s_cmp_lt_i32 s8, 3
	s_cbranch_scc1 .LBB85_1886
; %bb.1883:
	s_cmp_gt_i32 s8, 3
	s_cbranch_scc0 .LBB85_1887
; %bb.1884:
	global_load_b64 v[22:23], v[20:21], off
	s_mov_b32 s9, 0
	s_wait_loadcnt 0x0
	v_xor_b32_e32 v3, v22, v23
	v_cls_i32_e32 v5, v23
	s_delay_alu instid0(VALU_DEP_2) | instskip(NEXT) | instid1(VALU_DEP_1)
	v_ashrrev_i32_e32 v3, 31, v3
	v_add_nc_u32_e32 v3, 32, v3
	s_delay_alu instid0(VALU_DEP_1) | instskip(NEXT) | instid1(VALU_DEP_1)
	v_add_min_u32_e64 v3, v5, -1, v3
	v_lshlrev_b64_e32 v[22:23], v3, v[22:23]
	v_sub_nc_u32_e32 v3, 32, v3
	s_delay_alu instid0(VALU_DEP_2) | instskip(NEXT) | instid1(VALU_DEP_1)
	v_min_u32_e32 v5, 1, v22
	v_or_b32_e32 v5, v23, v5
	s_delay_alu instid0(VALU_DEP_1) | instskip(NEXT) | instid1(VALU_DEP_1)
	v_cvt_f32_i32_e32 v5, v5
	v_ldexp_f32 v3, v5, v3
	s_delay_alu instid0(VALU_DEP_1)
	v_cvt_f16_f32_e32 v3, v3
	s_branch .LBB85_1888
.LBB85_1885:
	s_mov_b32 s9, -1
                                        ; implicit-def: $vgpr3
	s_branch .LBB85_1894
.LBB85_1886:
	s_mov_b32 s9, -1
                                        ; implicit-def: $vgpr3
	s_branch .LBB85_1891
.LBB85_1887:
	s_mov_b32 s9, -1
                                        ; implicit-def: $vgpr3
.LBB85_1888:
	s_delay_alu instid0(SALU_CYCLE_1)
	s_and_not1_b32 vcc_lo, exec_lo, s9
	s_cbranch_vccnz .LBB85_1890
; %bb.1889:
	s_wait_loadcnt 0x0
	global_load_b32 v3, v[20:21], off
	s_wait_loadcnt 0x0
	v_cvt_f32_i32_e32 v3, v3
	s_delay_alu instid0(VALU_DEP_1)
	v_cvt_f16_f32_e32 v3, v3
.LBB85_1890:
	s_mov_b32 s9, 0
.LBB85_1891:
	s_delay_alu instid0(SALU_CYCLE_1)
	s_and_not1_b32 vcc_lo, exec_lo, s9
	s_cbranch_vccnz .LBB85_1893
; %bb.1892:
	s_wait_loadcnt 0x0
	global_load_u16 v3, v[20:21], off
	s_wait_loadcnt 0x0
	v_cvt_f16_i16_e32 v3, v3
.LBB85_1893:
	s_mov_b32 s9, 0
.LBB85_1894:
	s_delay_alu instid0(SALU_CYCLE_1)
	s_and_not1_b32 vcc_lo, exec_lo, s9
	s_cbranch_vccnz .LBB85_1900
; %bb.1895:
	s_cmp_gt_i32 s8, 0
	s_mov_b32 s8, 0
	s_cbranch_scc0 .LBB85_1897
; %bb.1896:
	s_wait_loadcnt 0x0
	global_load_i8 v3, v[20:21], off
	s_wait_loadcnt 0x0
	v_cvt_f16_i16_e32 v3, v3
	s_branch .LBB85_1898
.LBB85_1897:
	s_mov_b32 s8, -1
                                        ; implicit-def: $vgpr3
.LBB85_1898:
	s_delay_alu instid0(SALU_CYCLE_1)
	s_and_not1_b32 vcc_lo, exec_lo, s8
	s_cbranch_vccnz .LBB85_1900
; %bb.1899:
	s_wait_loadcnt 0x0
	global_load_u8 v3, v[20:21], off
	s_wait_loadcnt 0x0
	v_cvt_f16_u16_e32 v3, v3
.LBB85_1900:
.LBB85_1901:
	s_load_b64 s[8:9], s[2:3], 0x1a0
	s_wait_loadcnt 0x0
	s_delay_alu instid0(VALU_DEP_1) | instskip(SKIP_2) | instid1(VALU_DEP_1)
	v_cvt_f32_f16_e32 v3, v3
	s_mov_b32 s15, exec_lo
	s_wait_kmcnt 0x0
	v_mul_f32_e32 v3, s8, v3
	s_delay_alu instid0(VALU_DEP_1)
	v_cmpx_nlt_f32_e32 s9, v3
	s_cbranch_execz .LBB85_1903
; %bb.1902:
	v_mul_f32_e32 v5, 0x3fb8aa3b, v3
	v_cvt_f32_f16_e32 v1, v1
	v_cmp_ngt_f32_e32 vcc_lo, 0xc2ce8ed0, v3
	s_delay_alu instid0(VALU_DEP_3) | instskip(SKIP_1) | instid1(VALU_DEP_2)
	v_rndne_f32_e32 v7, v5
	v_fma_f32 v9, 0x3fb8aa3b, v3, -v5
	v_sub_f32_e32 v5, v5, v7
	s_delay_alu instid0(VALU_DEP_2) | instskip(SKIP_1) | instid1(VALU_DEP_2)
	v_fmamk_f32 v9, v3, 0x32a5705f, v9
	v_cvt_i32_f32_e32 v7, v7
	v_add_f32_e32 v5, v5, v9
	s_delay_alu instid0(VALU_DEP_1) | instskip(SKIP_1) | instid1(TRANS32_DEP_1)
	v_exp_f32_e32 v5, v5
	v_nop
	v_ldexp_f32 v5, v5, v7
	s_delay_alu instid0(VALU_DEP_1) | instskip(SKIP_1) | instid1(VALU_DEP_2)
	v_cndmask_b32_e32 v5, 0, v5, vcc_lo
	v_cmp_nlt_f32_e32 vcc_lo, 0x42b17218, v3
	v_cndmask_b32_e32 v3, 0x7f800000, v5, vcc_lo
	s_delay_alu instid0(VALU_DEP_1) | instskip(NEXT) | instid1(VALU_DEP_1)
	v_dual_mul_f32 v1, v3, v1 :: v_dual_add_f32 v3, 1.0, v3
	v_div_scale_f32 v5, null, v3, v3, v1
	s_delay_alu instid0(VALU_DEP_1) | instskip(SKIP_1) | instid1(TRANS32_DEP_1)
	v_rcp_f32_e32 v7, v5
	v_nop
	v_fma_f32 v9, -v5, v7, 1.0
	s_delay_alu instid0(VALU_DEP_1) | instskip(SKIP_1) | instid1(VALU_DEP_1)
	v_fmac_f32_e32 v7, v9, v7
	v_div_scale_f32 v9, vcc_lo, v1, v3, v1
	v_mul_f32_e32 v11, v9, v7
	s_delay_alu instid0(VALU_DEP_1) | instskip(NEXT) | instid1(VALU_DEP_1)
	v_fma_f32 v13, -v5, v11, v9
	v_fmac_f32_e32 v11, v13, v7
	s_delay_alu instid0(VALU_DEP_1) | instskip(NEXT) | instid1(VALU_DEP_1)
	v_fma_f32 v5, -v5, v11, v9
	v_div_fmas_f32 v5, v5, v7, v11
	s_delay_alu instid0(VALU_DEP_1) | instskip(NEXT) | instid1(VALU_DEP_1)
	v_div_fixup_f32 v1, v5, v3, v1
	v_cvt_f16_f32_e32 v1, v1
.LBB85_1903:
	s_or_b32 exec_lo, exec_lo, s15
	v_mov_b32_e32 v19, 0
	s_and_b32 s13, 0xffff, s13
	s_delay_alu instid0(SALU_CYCLE_1) | instskip(NEXT) | instid1(VALU_DEP_1)
	s_cmp_lt_i32 s13, 11
	v_add_nc_u64_e32 v[18:19], s[6:7], v[18:19]
	s_cbranch_scc1 .LBB85_1910
; %bb.1904:
	s_cmp_gt_i32 s13, 25
	s_mov_b32 s16, 0
	s_cbranch_scc0 .LBB85_1912
; %bb.1905:
	s_cmp_gt_i32 s13, 28
	s_cbranch_scc0 .LBB85_1913
; %bb.1906:
	s_cmp_gt_i32 s13, 43
	;; [unrolled: 3-line block ×3, first 2 shown]
	s_cbranch_scc0 .LBB85_1916
; %bb.1908:
	s_cmp_eq_u32 s13, 46
	s_mov_b32 s18, 0
	s_cbranch_scc0 .LBB85_1917
; %bb.1909:
	global_load_b32 v3, v[18:19], off
	s_mov_b32 s15, 0
	s_mov_b32 s17, -1
	s_wait_loadcnt 0x0
	v_lshlrev_b32_e32 v3, 16, v3
	s_delay_alu instid0(VALU_DEP_1)
	v_cvt_f16_f32_e32 v3, v3
	s_branch .LBB85_1919
.LBB85_1910:
	s_mov_b32 s17, 0
                                        ; implicit-def: $vgpr3
	s_cbranch_execnz .LBB85_1985
.LBB85_1911:
	s_and_not1_b32 vcc_lo, exec_lo, s17
	s_cbranch_vccnz .LBB85_2774
	s_branch .LBB85_2033
.LBB85_1912:
	s_mov_b32 s18, -1
	s_mov_b32 s17, 0
	s_mov_b32 s15, 0
                                        ; implicit-def: $vgpr3
	s_branch .LBB85_1948
.LBB85_1913:
	s_mov_b32 s18, -1
	s_mov_b32 s17, 0
	s_mov_b32 s15, 0
                                        ; implicit-def: $vgpr3
	s_branch .LBB85_1929
.LBB85_1914:
	s_mov_b32 s18, -1
	s_mov_b32 s17, 0
	s_mov_b32 s15, 0
                                        ; implicit-def: $vgpr3
	s_branch .LBB85_1924
.LBB85_1915:
	s_or_b32 s12, s12, exec_lo
	s_trap 2
	s_cbranch_execz .LBB85_1852
	s_branch .LBB85_1853
.LBB85_1916:
	s_mov_b32 s18, -1
	s_mov_b32 s17, 0
	s_mov_b32 s15, 0
	s_branch .LBB85_1918
.LBB85_1917:
	s_mov_b32 s15, -1
	s_mov_b32 s17, 0
.LBB85_1918:
                                        ; implicit-def: $vgpr3
.LBB85_1919:
	s_and_b32 vcc_lo, exec_lo, s18
	s_cbranch_vccz .LBB85_1923
; %bb.1920:
	s_cmp_eq_u32 s13, 44
	s_cbranch_scc0 .LBB85_1922
; %bb.1921:
	global_load_u8 v3, v[18:19], off
	s_mov_b32 s15, 0
	s_mov_b32 s17, -1
	s_wait_loadcnt 0x0
	v_lshlrev_b32_e32 v5, 23, v3
	v_cmp_ne_u32_e32 vcc_lo, 0xff, v3
	s_delay_alu instid0(VALU_DEP_2) | instskip(NEXT) | instid1(VALU_DEP_1)
	v_cvt_f16_f32_e32 v5, v5
	v_cndmask_b32_e32 v5, 0x7e00, v5, vcc_lo
	v_cmp_ne_u32_e32 vcc_lo, 0, v3
	s_delay_alu instid0(VALU_DEP_2)
	v_cndmask_b32_e32 v3, 0, v5, vcc_lo
	s_branch .LBB85_1923
.LBB85_1922:
	s_mov_b32 s15, -1
                                        ; implicit-def: $vgpr3
.LBB85_1923:
	s_mov_b32 s18, 0
.LBB85_1924:
	s_delay_alu instid0(SALU_CYCLE_1)
	s_and_b32 vcc_lo, exec_lo, s18
	s_cbranch_vccz .LBB85_1928
; %bb.1925:
	s_cmp_eq_u32 s13, 29
	s_cbranch_scc0 .LBB85_1927
; %bb.1926:
	global_load_b64 v[20:21], v[18:19], off
	s_mov_b32 s15, 0
	s_mov_b32 s17, -1
	s_mov_b32 s18, 0
	s_wait_loadcnt 0x0
	v_clz_i32_u32_e32 v3, v21
	s_delay_alu instid0(VALU_DEP_1) | instskip(NEXT) | instid1(VALU_DEP_1)
	v_min_u32_e32 v3, 32, v3
	v_lshlrev_b64_e32 v[20:21], v3, v[20:21]
	v_sub_nc_u32_e32 v3, 32, v3
	s_delay_alu instid0(VALU_DEP_2) | instskip(NEXT) | instid1(VALU_DEP_1)
	v_min_u32_e32 v5, 1, v20
	v_or_b32_e32 v5, v21, v5
	s_delay_alu instid0(VALU_DEP_1) | instskip(NEXT) | instid1(VALU_DEP_1)
	v_cvt_f32_u32_e32 v5, v5
	v_ldexp_f32 v3, v5, v3
	s_delay_alu instid0(VALU_DEP_1)
	v_cvt_f16_f32_e32 v3, v3
	s_branch .LBB85_1929
.LBB85_1927:
	s_mov_b32 s15, -1
                                        ; implicit-def: $vgpr3
.LBB85_1928:
	s_mov_b32 s18, 0
.LBB85_1929:
	s_delay_alu instid0(SALU_CYCLE_1)
	s_and_b32 vcc_lo, exec_lo, s18
	s_cbranch_vccz .LBB85_1947
; %bb.1930:
	s_cmp_lt_i32 s13, 27
	s_cbranch_scc1 .LBB85_1933
; %bb.1931:
	s_cmp_gt_i32 s13, 27
	s_cbranch_scc0 .LBB85_1934
; %bb.1932:
	global_load_b32 v3, v[18:19], off
	s_mov_b32 s17, 0
	s_wait_loadcnt 0x0
	v_cvt_f32_u32_e32 v3, v3
	s_delay_alu instid0(VALU_DEP_1)
	v_cvt_f16_f32_e32 v3, v3
	s_branch .LBB85_1935
.LBB85_1933:
	s_mov_b32 s17, -1
                                        ; implicit-def: $vgpr3
	s_branch .LBB85_1938
.LBB85_1934:
	s_mov_b32 s17, -1
                                        ; implicit-def: $vgpr3
.LBB85_1935:
	s_delay_alu instid0(SALU_CYCLE_1)
	s_and_not1_b32 vcc_lo, exec_lo, s17
	s_cbranch_vccnz .LBB85_1937
; %bb.1936:
	global_load_u16 v3, v[18:19], off
	s_wait_loadcnt 0x0
	v_cvt_f16_u16_e32 v3, v3
.LBB85_1937:
	s_mov_b32 s17, 0
.LBB85_1938:
	s_delay_alu instid0(SALU_CYCLE_1)
	s_and_not1_b32 vcc_lo, exec_lo, s17
	s_cbranch_vccnz .LBB85_1946
; %bb.1939:
	global_load_u8 v5, v[18:19], off
	s_mov_b32 s17, 0
	s_mov_b32 s18, exec_lo
	s_wait_loadcnt 0x0
	v_cmpx_lt_i16_e32 0x7f, v5
	s_xor_b32 s18, exec_lo, s18
	s_cbranch_execz .LBB85_1960
; %bb.1940:
	s_mov_b32 s17, -1
	s_mov_b32 s19, exec_lo
	v_cmpx_eq_u16_e32 0x80, v5
; %bb.1941:
	s_xor_b32 s17, exec_lo, -1
; %bb.1942:
	s_or_b32 exec_lo, exec_lo, s19
	s_delay_alu instid0(SALU_CYCLE_1)
	s_and_b32 s17, s17, exec_lo
	s_or_saveexec_b32 s18, s18
	v_mov_b32_e32 v3, 0x7e00
	s_xor_b32 exec_lo, exec_lo, s18
	s_cbranch_execnz .LBB85_1961
.LBB85_1943:
	s_or_b32 exec_lo, exec_lo, s18
	s_and_saveexec_b32 s18, s17
	s_cbranch_execz .LBB85_1945
.LBB85_1944:
	v_and_b32_e32 v3, 0xffff, v5
	s_delay_alu instid0(VALU_DEP_1) | instskip(SKIP_1) | instid1(VALU_DEP_2)
	v_and_b32_e32 v7, 7, v3
	v_bfe_u32 v13, v3, 3, 4
	v_clz_i32_u32_e32 v9, v7
	s_delay_alu instid0(VALU_DEP_2) | instskip(NEXT) | instid1(VALU_DEP_2)
	v_cmp_eq_u32_e32 vcc_lo, 0, v13
	v_min_u32_e32 v9, 32, v9
	s_delay_alu instid0(VALU_DEP_1) | instskip(NEXT) | instid1(VALU_DEP_1)
	v_subrev_nc_u32_e32 v11, 28, v9
	v_dual_lshlrev_b32 v3, v11, v3 :: v_dual_sub_nc_u32 v9, 29, v9
	s_delay_alu instid0(VALU_DEP_1) | instskip(NEXT) | instid1(VALU_DEP_1)
	v_dual_lshlrev_b32 v5, 24, v5 :: v_dual_bitop2_b32 v3, 7, v3 bitop3:0x40
	v_dual_cndmask_b32 v3, v7, v3, vcc_lo :: v_dual_cndmask_b32 v9, v13, v9, vcc_lo
	s_delay_alu instid0(VALU_DEP_2) | instskip(NEXT) | instid1(VALU_DEP_2)
	v_and_b32_e32 v5, 0x80000000, v5
	v_lshlrev_b32_e32 v3, 20, v3
	s_delay_alu instid0(VALU_DEP_3) | instskip(NEXT) | instid1(VALU_DEP_1)
	v_lshl_add_u32 v7, v9, 23, 0x3b800000
	v_or3_b32 v3, v5, v7, v3
	s_delay_alu instid0(VALU_DEP_1)
	v_cvt_f16_f32_e32 v3, v3
.LBB85_1945:
	s_or_b32 exec_lo, exec_lo, s18
.LBB85_1946:
	s_mov_b32 s17, -1
.LBB85_1947:
	s_mov_b32 s18, 0
.LBB85_1948:
	s_delay_alu instid0(SALU_CYCLE_1)
	s_and_b32 vcc_lo, exec_lo, s18
	s_cbranch_vccz .LBB85_1981
; %bb.1949:
	s_cmp_gt_i32 s13, 22
	s_cbranch_scc0 .LBB85_1959
; %bb.1950:
	s_cmp_lt_i32 s13, 24
	s_cbranch_scc1 .LBB85_1962
; %bb.1951:
	s_cmp_gt_i32 s13, 24
	s_cbranch_scc0 .LBB85_1963
; %bb.1952:
	global_load_u8 v5, v[18:19], off
	s_mov_b32 s17, exec_lo
	s_wait_loadcnt 0x0
	v_cmpx_lt_i16_e32 0x7f, v5
	s_xor_b32 s17, exec_lo, s17
	s_cbranch_execz .LBB85_1975
; %bb.1953:
	s_mov_b32 s16, -1
	s_mov_b32 s18, exec_lo
	v_cmpx_eq_u16_e32 0x80, v5
; %bb.1954:
	s_xor_b32 s16, exec_lo, -1
; %bb.1955:
	s_or_b32 exec_lo, exec_lo, s18
	s_delay_alu instid0(SALU_CYCLE_1)
	s_and_b32 s16, s16, exec_lo
	s_or_saveexec_b32 s17, s17
	v_mov_b32_e32 v3, 0x7e00
	s_xor_b32 exec_lo, exec_lo, s17
	s_cbranch_execnz .LBB85_1976
.LBB85_1956:
	s_or_b32 exec_lo, exec_lo, s17
	s_and_saveexec_b32 s17, s16
	s_cbranch_execz .LBB85_1958
.LBB85_1957:
	v_and_b32_e32 v3, 0xffff, v5
	s_delay_alu instid0(VALU_DEP_1) | instskip(SKIP_1) | instid1(VALU_DEP_2)
	v_and_b32_e32 v7, 3, v3
	v_bfe_u32 v13, v3, 2, 5
	v_clz_i32_u32_e32 v9, v7
	s_delay_alu instid0(VALU_DEP_2) | instskip(NEXT) | instid1(VALU_DEP_2)
	v_cmp_eq_u32_e32 vcc_lo, 0, v13
	v_min_u32_e32 v9, 32, v9
	s_delay_alu instid0(VALU_DEP_1) | instskip(NEXT) | instid1(VALU_DEP_1)
	v_subrev_nc_u32_e32 v11, 29, v9
	v_dual_lshlrev_b32 v3, v11, v3 :: v_dual_sub_nc_u32 v9, 30, v9
	s_delay_alu instid0(VALU_DEP_1) | instskip(NEXT) | instid1(VALU_DEP_1)
	v_dual_lshlrev_b32 v5, 24, v5 :: v_dual_bitop2_b32 v3, 3, v3 bitop3:0x40
	v_dual_cndmask_b32 v3, v7, v3, vcc_lo :: v_dual_cndmask_b32 v9, v13, v9, vcc_lo
	s_delay_alu instid0(VALU_DEP_2) | instskip(NEXT) | instid1(VALU_DEP_2)
	v_and_b32_e32 v5, 0x80000000, v5
	v_lshlrev_b32_e32 v3, 21, v3
	s_delay_alu instid0(VALU_DEP_3) | instskip(NEXT) | instid1(VALU_DEP_1)
	v_lshl_add_u32 v7, v9, 23, 0x37800000
	v_or3_b32 v3, v5, v7, v3
	s_delay_alu instid0(VALU_DEP_1)
	v_cvt_f16_f32_e32 v3, v3
.LBB85_1958:
	s_or_b32 exec_lo, exec_lo, s17
	s_mov_b32 s16, 0
	s_branch .LBB85_1964
.LBB85_1959:
	s_mov_b32 s16, -1
                                        ; implicit-def: $vgpr3
	s_branch .LBB85_1970
.LBB85_1960:
	s_or_saveexec_b32 s18, s18
	v_mov_b32_e32 v3, 0x7e00
	s_xor_b32 exec_lo, exec_lo, s18
	s_cbranch_execz .LBB85_1943
.LBB85_1961:
	v_cmp_ne_u16_e32 vcc_lo, 0, v5
	v_mov_b32_e32 v3, v5
	s_and_not1_b32 s17, s17, exec_lo
	s_and_b32 s19, vcc_lo, exec_lo
	s_delay_alu instid0(SALU_CYCLE_1)
	s_or_b32 s17, s17, s19
	s_or_b32 exec_lo, exec_lo, s18
	s_and_saveexec_b32 s18, s17
	s_cbranch_execnz .LBB85_1944
	s_branch .LBB85_1945
.LBB85_1962:
	s_mov_b32 s16, -1
                                        ; implicit-def: $vgpr3
	s_branch .LBB85_1967
.LBB85_1963:
	s_mov_b32 s16, -1
                                        ; implicit-def: $vgpr3
.LBB85_1964:
	s_delay_alu instid0(SALU_CYCLE_1)
	s_and_b32 vcc_lo, exec_lo, s16
	s_cbranch_vccz .LBB85_1966
; %bb.1965:
	global_load_u8 v3, v[18:19], off
	s_wait_loadcnt 0x0
	v_lshlrev_b32_e32 v3, 24, v3
	s_delay_alu instid0(VALU_DEP_1) | instskip(NEXT) | instid1(VALU_DEP_1)
	v_and_b32_e32 v5, 0x7f000000, v3
	v_clz_i32_u32_e32 v7, v5
	v_add_nc_u32_e32 v11, 0x1000000, v5
	v_cmp_ne_u32_e32 vcc_lo, 0, v5
	s_delay_alu instid0(VALU_DEP_3) | instskip(NEXT) | instid1(VALU_DEP_1)
	v_min_u32_e32 v7, 32, v7
	v_sub_nc_u32_e64 v7, v7, 4 clamp
	s_delay_alu instid0(VALU_DEP_1) | instskip(NEXT) | instid1(VALU_DEP_1)
	v_dual_lshlrev_b32 v9, v7, v5 :: v_dual_lshlrev_b32 v7, 23, v7
	v_lshrrev_b32_e32 v9, 4, v9
	s_delay_alu instid0(VALU_DEP_1) | instskip(SKIP_1) | instid1(VALU_DEP_2)
	v_sub_nc_u32_e32 v7, v9, v7
	v_ashrrev_i32_e32 v9, 8, v11
	v_add_nc_u32_e32 v7, 0x3c000000, v7
	s_delay_alu instid0(VALU_DEP_1) | instskip(NEXT) | instid1(VALU_DEP_1)
	v_and_or_b32 v7, 0x7f800000, v9, v7
	v_cndmask_b32_e32 v5, 0, v7, vcc_lo
	s_delay_alu instid0(VALU_DEP_1) | instskip(NEXT) | instid1(VALU_DEP_1)
	v_and_or_b32 v3, 0x80000000, v3, v5
	v_cvt_f16_f32_e32 v3, v3
.LBB85_1966:
	s_mov_b32 s16, 0
.LBB85_1967:
	s_delay_alu instid0(SALU_CYCLE_1)
	s_and_not1_b32 vcc_lo, exec_lo, s16
	s_cbranch_vccnz .LBB85_1969
; %bb.1968:
	global_load_u8 v3, v[18:19], off
	s_wait_loadcnt 0x0
	v_lshlrev_b32_e32 v5, 25, v3
	v_lshlrev_b16 v3, 8, v3
	s_delay_alu instid0(VALU_DEP_1) | instskip(SKIP_1) | instid1(VALU_DEP_2)
	v_and_or_b32 v9, 0x7f00, v3, 0.5
	v_bfe_i32 v3, v3, 0, 16
	v_add_f32_e32 v9, -0.5, v9
	v_lshrrev_b32_e32 v7, 4, v5
	v_cmp_gt_u32_e32 vcc_lo, 0x8000000, v5
	s_delay_alu instid0(VALU_DEP_2) | instskip(NEXT) | instid1(VALU_DEP_1)
	v_or_b32_e32 v7, 0x70000000, v7
	v_mul_f32_e32 v7, 0x7800000, v7
	s_delay_alu instid0(VALU_DEP_1) | instskip(NEXT) | instid1(VALU_DEP_1)
	v_cndmask_b32_e32 v5, v7, v9, vcc_lo
	v_and_or_b32 v3, 0x80000000, v3, v5
	s_delay_alu instid0(VALU_DEP_1)
	v_cvt_f16_f32_e32 v3, v3
.LBB85_1969:
	s_mov_b32 s16, 0
	s_mov_b32 s17, -1
.LBB85_1970:
	s_and_not1_b32 vcc_lo, exec_lo, s16
	s_mov_b32 s16, 0
	s_cbranch_vccnz .LBB85_1981
; %bb.1971:
	s_cmp_gt_i32 s13, 14
	s_cbranch_scc0 .LBB85_1974
; %bb.1972:
	s_cmp_eq_u32 s13, 15
	s_cbranch_scc0 .LBB85_1977
; %bb.1973:
	global_load_u16 v3, v[18:19], off
	s_mov_b32 s15, 0
	s_mov_b32 s17, -1
	s_wait_loadcnt 0x0
	v_lshlrev_b32_e32 v3, 16, v3
	s_delay_alu instid0(VALU_DEP_1)
	v_cvt_f16_f32_e32 v3, v3
	s_branch .LBB85_1979
.LBB85_1974:
	s_mov_b32 s16, -1
	s_branch .LBB85_1978
.LBB85_1975:
	s_or_saveexec_b32 s17, s17
	v_mov_b32_e32 v3, 0x7e00
	s_xor_b32 exec_lo, exec_lo, s17
	s_cbranch_execz .LBB85_1956
.LBB85_1976:
	v_cmp_ne_u16_e32 vcc_lo, 0, v5
	v_mov_b32_e32 v3, v5
	s_and_not1_b32 s16, s16, exec_lo
	s_and_b32 s18, vcc_lo, exec_lo
	s_delay_alu instid0(SALU_CYCLE_1)
	s_or_b32 s16, s16, s18
	s_or_b32 exec_lo, exec_lo, s17
	s_and_saveexec_b32 s17, s16
	s_cbranch_execnz .LBB85_1957
	s_branch .LBB85_1958
.LBB85_1977:
	s_mov_b32 s15, -1
.LBB85_1978:
                                        ; implicit-def: $vgpr3
.LBB85_1979:
	s_and_b32 vcc_lo, exec_lo, s16
	s_mov_b32 s16, 0
	s_cbranch_vccz .LBB85_1981
; %bb.1980:
	s_cmp_lg_u32 s13, 11
	s_mov_b32 s16, -1
	s_cselect_b32 s15, -1, 0
.LBB85_1981:
	s_delay_alu instid0(SALU_CYCLE_1)
	s_and_b32 vcc_lo, exec_lo, s15
	s_cbranch_vccnz .LBB85_2044
; %bb.1982:
	s_and_not1_b32 vcc_lo, exec_lo, s16
	s_cbranch_vccnz .LBB85_1984
.LBB85_1983:
	global_load_u8 v3, v[18:19], off
	s_mov_b32 s17, -1
	s_wait_loadcnt 0x0
	v_cmp_ne_u16_e32 vcc_lo, 0, v3
	v_cndmask_b32_e64 v3, 0, 0x3c00, vcc_lo
.LBB85_1984:
	s_branch .LBB85_1911
.LBB85_1985:
	s_cmp_lt_i32 s13, 5
	s_cbranch_scc1 .LBB85_1990
; %bb.1986:
	s_cmp_lt_i32 s13, 8
	s_cbranch_scc1 .LBB85_1991
; %bb.1987:
	;; [unrolled: 3-line block ×3, first 2 shown]
	s_cmp_gt_i32 s13, 9
	s_cbranch_scc0 .LBB85_1993
; %bb.1989:
	global_load_b64 v[20:21], v[18:19], off
	s_mov_b32 s15, 0
	s_wait_loadcnt 0x0
	v_and_or_b32 v3, 0x1ff, v21, v20
	v_lshrrev_b32_e32 v5, 8, v21
	v_bfe_u32 v7, v21, 20, 11
	s_delay_alu instid0(VALU_DEP_3) | instskip(NEXT) | instid1(VALU_DEP_2)
	v_cmp_ne_u32_e32 vcc_lo, 0, v3
	v_sub_nc_u32_e32 v9, 0x3f1, v7
	v_add_nc_u32_e32 v7, 0xfffffc10, v7
	v_cndmask_b32_e64 v3, 0, 1, vcc_lo
	s_delay_alu instid0(VALU_DEP_1) | instskip(NEXT) | instid1(VALU_DEP_4)
	v_and_or_b32 v3, 0xffe, v5, v3
	v_med3_i32 v5, v9, 0, 13
	s_delay_alu instid0(VALU_DEP_2) | instskip(NEXT) | instid1(VALU_DEP_1)
	v_or_b32_e32 v9, 0x1000, v3
	v_lshrrev_b32_e32 v11, v5, v9
	s_delay_alu instid0(VALU_DEP_1) | instskip(NEXT) | instid1(VALU_DEP_1)
	v_lshlrev_b32_e32 v5, v5, v11
	v_cmp_ne_u32_e32 vcc_lo, v5, v9
	v_lshl_or_b32 v9, v7, 12, v3
	v_cndmask_b32_e64 v5, 0, 1, vcc_lo
	v_cmp_gt_i32_e32 vcc_lo, 1, v7
	s_delay_alu instid0(VALU_DEP_2) | instskip(NEXT) | instid1(VALU_DEP_1)
	v_or_b32_e32 v5, v11, v5
	v_cndmask_b32_e32 v5, v9, v5, vcc_lo
	s_delay_alu instid0(VALU_DEP_1) | instskip(NEXT) | instid1(VALU_DEP_1)
	v_dual_lshrrev_b32 v5, 2, v5 :: v_dual_bitop2_b32 v9, 7, v5 bitop3:0x40
	v_cmp_lt_i32_e32 vcc_lo, 5, v9
	v_cndmask_b32_e64 v11, 0, 1, vcc_lo
	v_cmp_eq_u32_e32 vcc_lo, 3, v9
	v_cndmask_b32_e64 v9, 0, 1, vcc_lo
	v_cmp_ne_u32_e32 vcc_lo, 0, v3
	s_delay_alu instid0(VALU_DEP_2) | instskip(SKIP_1) | instid1(VALU_DEP_2)
	v_or_b32_e32 v9, v9, v11
	v_mov_b32_e32 v11, 0x7e00
	v_add_nc_u32_e32 v5, v5, v9
	s_delay_alu instid0(VALU_DEP_2) | instskip(SKIP_1) | instid1(VALU_DEP_3)
	v_cndmask_b32_e32 v3, 0x7c00, v11, vcc_lo
	v_cmp_gt_i32_e32 vcc_lo, 31, v7
	v_cndmask_b32_e32 v5, 0x7c00, v5, vcc_lo
	v_cmp_eq_u32_e32 vcc_lo, 0x40f, v7
	s_delay_alu instid0(VALU_DEP_2) | instskip(NEXT) | instid1(VALU_DEP_1)
	v_dual_cndmask_b32 v3, v5, v3, vcc_lo :: v_dual_lshrrev_b32 v5, 16, v21
	v_and_or_b32 v3, 0x8000, v5, v3
	s_branch .LBB85_1994
.LBB85_1990:
	s_mov_b32 s15, -1
                                        ; implicit-def: $vgpr3
	s_branch .LBB85_2012
.LBB85_1991:
	s_mov_b32 s15, -1
                                        ; implicit-def: $vgpr3
	s_branch .LBB85_2000
.LBB85_1992:
	s_mov_b32 s15, -1
                                        ; implicit-def: $vgpr3
	s_branch .LBB85_1997
.LBB85_1993:
	s_mov_b32 s15, -1
                                        ; implicit-def: $vgpr3
.LBB85_1994:
	s_delay_alu instid0(SALU_CYCLE_1)
	s_and_not1_b32 vcc_lo, exec_lo, s15
	s_cbranch_vccnz .LBB85_1996
; %bb.1995:
	global_load_b32 v3, v[18:19], off
	s_wait_loadcnt 0x0
	v_cvt_f16_f32_e32 v3, v3
.LBB85_1996:
	s_mov_b32 s15, 0
.LBB85_1997:
	s_delay_alu instid0(SALU_CYCLE_1)
	s_and_not1_b32 vcc_lo, exec_lo, s15
	s_cbranch_vccnz .LBB85_1999
; %bb.1998:
	global_load_b32 v3, v[18:19], off
.LBB85_1999:
	s_mov_b32 s15, 0
.LBB85_2000:
	s_delay_alu instid0(SALU_CYCLE_1)
	s_and_not1_b32 vcc_lo, exec_lo, s15
	s_cbranch_vccnz .LBB85_2011
; %bb.2001:
	s_cmp_lt_i32 s13, 6
	s_cbranch_scc1 .LBB85_2004
; %bb.2002:
	s_cmp_gt_i32 s13, 6
	s_cbranch_scc0 .LBB85_2005
; %bb.2003:
	global_load_b64 v[20:21], v[18:19], off
	s_mov_b32 s15, 0
	s_wait_loadcnt 0x0
	v_and_or_b32 v3, 0x1ff, v21, v20
	v_lshrrev_b32_e32 v5, 8, v21
	v_bfe_u32 v7, v21, 20, 11
	s_delay_alu instid0(VALU_DEP_3) | instskip(NEXT) | instid1(VALU_DEP_2)
	v_cmp_ne_u32_e32 vcc_lo, 0, v3
	v_sub_nc_u32_e32 v9, 0x3f1, v7
	v_add_nc_u32_e32 v7, 0xfffffc10, v7
	v_cndmask_b32_e64 v3, 0, 1, vcc_lo
	s_delay_alu instid0(VALU_DEP_1) | instskip(NEXT) | instid1(VALU_DEP_4)
	v_and_or_b32 v3, 0xffe, v5, v3
	v_med3_i32 v5, v9, 0, 13
	s_delay_alu instid0(VALU_DEP_2) | instskip(NEXT) | instid1(VALU_DEP_1)
	v_or_b32_e32 v9, 0x1000, v3
	v_lshrrev_b32_e32 v11, v5, v9
	s_delay_alu instid0(VALU_DEP_1) | instskip(NEXT) | instid1(VALU_DEP_1)
	v_lshlrev_b32_e32 v5, v5, v11
	v_cmp_ne_u32_e32 vcc_lo, v5, v9
	v_lshl_or_b32 v9, v7, 12, v3
	v_cndmask_b32_e64 v5, 0, 1, vcc_lo
	v_cmp_gt_i32_e32 vcc_lo, 1, v7
	s_delay_alu instid0(VALU_DEP_2) | instskip(NEXT) | instid1(VALU_DEP_1)
	v_or_b32_e32 v5, v11, v5
	v_cndmask_b32_e32 v5, v9, v5, vcc_lo
	s_delay_alu instid0(VALU_DEP_1) | instskip(NEXT) | instid1(VALU_DEP_1)
	v_dual_lshrrev_b32 v5, 2, v5 :: v_dual_bitop2_b32 v9, 7, v5 bitop3:0x40
	v_cmp_lt_i32_e32 vcc_lo, 5, v9
	v_cndmask_b32_e64 v11, 0, 1, vcc_lo
	v_cmp_eq_u32_e32 vcc_lo, 3, v9
	v_cndmask_b32_e64 v9, 0, 1, vcc_lo
	v_cmp_ne_u32_e32 vcc_lo, 0, v3
	s_delay_alu instid0(VALU_DEP_2) | instskip(SKIP_1) | instid1(VALU_DEP_2)
	v_or_b32_e32 v9, v9, v11
	v_mov_b32_e32 v11, 0x7e00
	v_add_nc_u32_e32 v5, v5, v9
	s_delay_alu instid0(VALU_DEP_2) | instskip(SKIP_1) | instid1(VALU_DEP_3)
	v_cndmask_b32_e32 v3, 0x7c00, v11, vcc_lo
	v_cmp_gt_i32_e32 vcc_lo, 31, v7
	v_cndmask_b32_e32 v5, 0x7c00, v5, vcc_lo
	v_cmp_eq_u32_e32 vcc_lo, 0x40f, v7
	s_delay_alu instid0(VALU_DEP_2) | instskip(NEXT) | instid1(VALU_DEP_1)
	v_dual_cndmask_b32 v3, v5, v3, vcc_lo :: v_dual_lshrrev_b32 v5, 16, v21
	v_and_or_b32 v3, 0x8000, v5, v3
	s_branch .LBB85_2006
.LBB85_2004:
	s_mov_b32 s15, -1
                                        ; implicit-def: $vgpr3
	s_branch .LBB85_2009
.LBB85_2005:
	s_mov_b32 s15, -1
                                        ; implicit-def: $vgpr3
.LBB85_2006:
	s_delay_alu instid0(SALU_CYCLE_1)
	s_and_not1_b32 vcc_lo, exec_lo, s15
	s_cbranch_vccnz .LBB85_2008
; %bb.2007:
	s_wait_loadcnt 0x0
	global_load_b32 v3, v[18:19], off
	s_wait_loadcnt 0x0
	v_cvt_f16_f32_e32 v3, v3
.LBB85_2008:
	s_mov_b32 s15, 0
.LBB85_2009:
	s_delay_alu instid0(SALU_CYCLE_1)
	s_and_not1_b32 vcc_lo, exec_lo, s15
	s_cbranch_vccnz .LBB85_2011
; %bb.2010:
	s_wait_loadcnt 0x0
	global_load_u16 v3, v[18:19], off
.LBB85_2011:
	s_mov_b32 s15, 0
.LBB85_2012:
	s_delay_alu instid0(SALU_CYCLE_1)
	s_and_not1_b32 vcc_lo, exec_lo, s15
	s_cbranch_vccnz .LBB85_2032
; %bb.2013:
	s_cmp_lt_i32 s13, 2
	s_cbranch_scc1 .LBB85_2017
; %bb.2014:
	s_cmp_lt_i32 s13, 3
	s_cbranch_scc1 .LBB85_2018
; %bb.2015:
	s_cmp_gt_i32 s13, 3
	s_cbranch_scc0 .LBB85_2019
; %bb.2016:
	global_load_b64 v[20:21], v[18:19], off
	s_mov_b32 s15, 0
	s_wait_loadcnt 0x0
	v_xor_b32_e32 v3, v20, v21
	v_cls_i32_e32 v5, v21
	s_delay_alu instid0(VALU_DEP_2) | instskip(NEXT) | instid1(VALU_DEP_1)
	v_ashrrev_i32_e32 v3, 31, v3
	v_add_nc_u32_e32 v3, 32, v3
	s_delay_alu instid0(VALU_DEP_1) | instskip(NEXT) | instid1(VALU_DEP_1)
	v_add_min_u32_e64 v3, v5, -1, v3
	v_lshlrev_b64_e32 v[20:21], v3, v[20:21]
	v_sub_nc_u32_e32 v3, 32, v3
	s_delay_alu instid0(VALU_DEP_2) | instskip(NEXT) | instid1(VALU_DEP_1)
	v_min_u32_e32 v5, 1, v20
	v_or_b32_e32 v5, v21, v5
	s_delay_alu instid0(VALU_DEP_1) | instskip(NEXT) | instid1(VALU_DEP_1)
	v_cvt_f32_i32_e32 v5, v5
	v_ldexp_f32 v3, v5, v3
	s_delay_alu instid0(VALU_DEP_1)
	v_cvt_f16_f32_e32 v3, v3
	s_branch .LBB85_2020
.LBB85_2017:
	s_mov_b32 s15, -1
                                        ; implicit-def: $vgpr3
	s_branch .LBB85_2026
.LBB85_2018:
	s_mov_b32 s15, -1
                                        ; implicit-def: $vgpr3
	s_branch .LBB85_2023
.LBB85_2019:
	s_mov_b32 s15, -1
                                        ; implicit-def: $vgpr3
.LBB85_2020:
	s_delay_alu instid0(SALU_CYCLE_1)
	s_and_not1_b32 vcc_lo, exec_lo, s15
	s_cbranch_vccnz .LBB85_2022
; %bb.2021:
	s_wait_loadcnt 0x0
	global_load_b32 v3, v[18:19], off
	s_wait_loadcnt 0x0
	v_cvt_f32_i32_e32 v3, v3
	s_delay_alu instid0(VALU_DEP_1)
	v_cvt_f16_f32_e32 v3, v3
.LBB85_2022:
	s_mov_b32 s15, 0
.LBB85_2023:
	s_delay_alu instid0(SALU_CYCLE_1)
	s_and_not1_b32 vcc_lo, exec_lo, s15
	s_cbranch_vccnz .LBB85_2025
; %bb.2024:
	s_wait_loadcnt 0x0
	global_load_u16 v3, v[18:19], off
	s_wait_loadcnt 0x0
	v_cvt_f16_i16_e32 v3, v3
.LBB85_2025:
	s_mov_b32 s15, 0
.LBB85_2026:
	s_delay_alu instid0(SALU_CYCLE_1)
	s_and_not1_b32 vcc_lo, exec_lo, s15
	s_cbranch_vccnz .LBB85_2032
; %bb.2027:
	s_cmp_gt_i32 s13, 0
	s_mov_b32 s15, 0
	s_cbranch_scc0 .LBB85_2029
; %bb.2028:
	s_wait_loadcnt 0x0
	global_load_i8 v3, v[18:19], off
	s_wait_loadcnt 0x0
	v_cvt_f16_i16_e32 v3, v3
	s_branch .LBB85_2030
.LBB85_2029:
	s_mov_b32 s15, -1
                                        ; implicit-def: $vgpr3
.LBB85_2030:
	s_delay_alu instid0(SALU_CYCLE_1)
	s_and_not1_b32 vcc_lo, exec_lo, s15
	s_cbranch_vccnz .LBB85_2032
; %bb.2031:
	s_wait_loadcnt 0x0
	global_load_u8 v3, v[18:19], off
	s_wait_loadcnt 0x0
	v_cvt_f16_u16_e32 v3, v3
.LBB85_2032:
.LBB85_2033:
	v_mov_b32_e32 v17, 0
	s_and_b32 s14, 0xffff, s14
	s_delay_alu instid0(SALU_CYCLE_1) | instskip(NEXT) | instid1(VALU_DEP_1)
	s_cmp_lt_i32 s14, 11
	v_add_nc_u64_e32 v[16:17], s[0:1], v[16:17]
	s_cbranch_scc1 .LBB85_2040
; %bb.2034:
	s_cmp_gt_i32 s14, 25
	s_mov_b32 s16, 0
	s_cbranch_scc0 .LBB85_2041
; %bb.2035:
	s_cmp_gt_i32 s14, 28
	s_cbranch_scc0 .LBB85_2042
; %bb.2036:
	s_cmp_gt_i32 s14, 43
	;; [unrolled: 3-line block ×3, first 2 shown]
	s_cbranch_scc0 .LBB85_2045
; %bb.2038:
	s_cmp_eq_u32 s14, 46
	s_mov_b32 s18, 0
	s_cbranch_scc0 .LBB85_2046
; %bb.2039:
	global_load_b32 v5, v[16:17], off
	s_mov_b32 s15, 0
	s_mov_b32 s17, -1
	s_wait_loadcnt 0x0
	v_lshlrev_b32_e32 v5, 16, v5
	s_delay_alu instid0(VALU_DEP_1)
	v_cvt_f16_f32_e32 v5, v5
	s_branch .LBB85_2048
.LBB85_2040:
	s_mov_b32 s15, -1
	s_mov_b32 s17, 0
                                        ; implicit-def: $vgpr5
	s_branch .LBB85_2114
.LBB85_2041:
	s_mov_b32 s18, -1
	s_mov_b32 s17, 0
	s_mov_b32 s15, 0
                                        ; implicit-def: $vgpr5
	s_branch .LBB85_2077
.LBB85_2042:
	s_mov_b32 s18, -1
	s_mov_b32 s17, 0
	s_mov_b32 s15, 0
                                        ; implicit-def: $vgpr5
	s_branch .LBB85_2058
.LBB85_2043:
	s_mov_b32 s18, -1
	s_mov_b32 s17, 0
	s_mov_b32 s15, 0
                                        ; implicit-def: $vgpr5
	s_branch .LBB85_2053
.LBB85_2044:
	s_or_b32 s12, s12, exec_lo
	s_trap 2
	s_cbranch_execz .LBB85_1983
	s_branch .LBB85_1984
.LBB85_2045:
	s_mov_b32 s18, -1
	s_mov_b32 s17, 0
	s_mov_b32 s15, 0
	s_branch .LBB85_2047
.LBB85_2046:
	s_mov_b32 s15, -1
	s_mov_b32 s17, 0
.LBB85_2047:
                                        ; implicit-def: $vgpr5
.LBB85_2048:
	s_and_b32 vcc_lo, exec_lo, s18
	s_cbranch_vccz .LBB85_2052
; %bb.2049:
	s_cmp_eq_u32 s14, 44
	s_cbranch_scc0 .LBB85_2051
; %bb.2050:
	global_load_u8 v5, v[16:17], off
	s_mov_b32 s15, 0
	s_mov_b32 s17, -1
	s_wait_loadcnt 0x0
	v_lshlrev_b32_e32 v7, 23, v5
	v_cmp_ne_u32_e32 vcc_lo, 0xff, v5
	s_delay_alu instid0(VALU_DEP_2) | instskip(NEXT) | instid1(VALU_DEP_1)
	v_cvt_f16_f32_e32 v7, v7
	v_cndmask_b32_e32 v7, 0x7e00, v7, vcc_lo
	v_cmp_ne_u32_e32 vcc_lo, 0, v5
	s_delay_alu instid0(VALU_DEP_2)
	v_cndmask_b32_e32 v5, 0, v7, vcc_lo
	s_branch .LBB85_2052
.LBB85_2051:
	s_mov_b32 s15, -1
                                        ; implicit-def: $vgpr5
.LBB85_2052:
	s_mov_b32 s18, 0
.LBB85_2053:
	s_delay_alu instid0(SALU_CYCLE_1)
	s_and_b32 vcc_lo, exec_lo, s18
	s_cbranch_vccz .LBB85_2057
; %bb.2054:
	s_cmp_eq_u32 s14, 29
	s_cbranch_scc0 .LBB85_2056
; %bb.2055:
	global_load_b64 v[18:19], v[16:17], off
	s_mov_b32 s15, 0
	s_mov_b32 s17, -1
	s_mov_b32 s18, 0
	s_wait_loadcnt 0x0
	v_clz_i32_u32_e32 v5, v19
	s_delay_alu instid0(VALU_DEP_1) | instskip(NEXT) | instid1(VALU_DEP_1)
	v_min_u32_e32 v5, 32, v5
	v_lshlrev_b64_e32 v[18:19], v5, v[18:19]
	v_sub_nc_u32_e32 v5, 32, v5
	s_delay_alu instid0(VALU_DEP_2) | instskip(NEXT) | instid1(VALU_DEP_1)
	v_min_u32_e32 v7, 1, v18
	v_or_b32_e32 v7, v19, v7
	s_delay_alu instid0(VALU_DEP_1) | instskip(NEXT) | instid1(VALU_DEP_1)
	v_cvt_f32_u32_e32 v7, v7
	v_ldexp_f32 v5, v7, v5
	s_delay_alu instid0(VALU_DEP_1)
	v_cvt_f16_f32_e32 v5, v5
	s_branch .LBB85_2058
.LBB85_2056:
	s_mov_b32 s15, -1
                                        ; implicit-def: $vgpr5
.LBB85_2057:
	s_mov_b32 s18, 0
.LBB85_2058:
	s_delay_alu instid0(SALU_CYCLE_1)
	s_and_b32 vcc_lo, exec_lo, s18
	s_cbranch_vccz .LBB85_2076
; %bb.2059:
	s_cmp_lt_i32 s14, 27
	s_cbranch_scc1 .LBB85_2062
; %bb.2060:
	s_cmp_gt_i32 s14, 27
	s_cbranch_scc0 .LBB85_2063
; %bb.2061:
	global_load_b32 v5, v[16:17], off
	s_mov_b32 s17, 0
	s_wait_loadcnt 0x0
	v_cvt_f32_u32_e32 v5, v5
	s_delay_alu instid0(VALU_DEP_1)
	v_cvt_f16_f32_e32 v5, v5
	s_branch .LBB85_2064
.LBB85_2062:
	s_mov_b32 s17, -1
                                        ; implicit-def: $vgpr5
	s_branch .LBB85_2067
.LBB85_2063:
	s_mov_b32 s17, -1
                                        ; implicit-def: $vgpr5
.LBB85_2064:
	s_delay_alu instid0(SALU_CYCLE_1)
	s_and_not1_b32 vcc_lo, exec_lo, s17
	s_cbranch_vccnz .LBB85_2066
; %bb.2065:
	global_load_u16 v5, v[16:17], off
	s_wait_loadcnt 0x0
	v_cvt_f16_u16_e32 v5, v5
.LBB85_2066:
	s_mov_b32 s17, 0
.LBB85_2067:
	s_delay_alu instid0(SALU_CYCLE_1)
	s_and_not1_b32 vcc_lo, exec_lo, s17
	s_cbranch_vccnz .LBB85_2075
; %bb.2068:
	global_load_u8 v7, v[16:17], off
	s_mov_b32 s17, 0
	s_mov_b32 s18, exec_lo
	s_wait_loadcnt 0x0
	v_cmpx_lt_i16_e32 0x7f, v7
	s_xor_b32 s18, exec_lo, s18
	s_cbranch_execz .LBB85_2089
; %bb.2069:
	s_mov_b32 s17, -1
	s_mov_b32 s19, exec_lo
	v_cmpx_eq_u16_e32 0x80, v7
; %bb.2070:
	s_xor_b32 s17, exec_lo, -1
; %bb.2071:
	s_or_b32 exec_lo, exec_lo, s19
	s_delay_alu instid0(SALU_CYCLE_1)
	s_and_b32 s17, s17, exec_lo
	s_or_saveexec_b32 s18, s18
	v_mov_b32_e32 v5, 0x7e00
	s_xor_b32 exec_lo, exec_lo, s18
	s_cbranch_execnz .LBB85_2090
.LBB85_2072:
	s_or_b32 exec_lo, exec_lo, s18
	s_and_saveexec_b32 s18, s17
	s_cbranch_execz .LBB85_2074
.LBB85_2073:
	v_and_b32_e32 v5, 0xffff, v7
	s_delay_alu instid0(VALU_DEP_1) | instskip(SKIP_1) | instid1(VALU_DEP_2)
	v_and_b32_e32 v9, 7, v5
	v_bfe_u32 v15, v5, 3, 4
	v_clz_i32_u32_e32 v11, v9
	s_delay_alu instid0(VALU_DEP_2) | instskip(NEXT) | instid1(VALU_DEP_2)
	v_cmp_eq_u32_e32 vcc_lo, 0, v15
	v_min_u32_e32 v11, 32, v11
	s_delay_alu instid0(VALU_DEP_1) | instskip(NEXT) | instid1(VALU_DEP_1)
	v_subrev_nc_u32_e32 v13, 28, v11
	v_dual_lshlrev_b32 v5, v13, v5 :: v_dual_sub_nc_u32 v11, 29, v11
	s_delay_alu instid0(VALU_DEP_1) | instskip(NEXT) | instid1(VALU_DEP_1)
	v_dual_lshlrev_b32 v7, 24, v7 :: v_dual_bitop2_b32 v5, 7, v5 bitop3:0x40
	v_dual_cndmask_b32 v5, v9, v5, vcc_lo :: v_dual_cndmask_b32 v11, v15, v11, vcc_lo
	s_delay_alu instid0(VALU_DEP_2) | instskip(NEXT) | instid1(VALU_DEP_2)
	v_and_b32_e32 v7, 0x80000000, v7
	v_lshlrev_b32_e32 v5, 20, v5
	s_delay_alu instid0(VALU_DEP_3) | instskip(NEXT) | instid1(VALU_DEP_1)
	v_lshl_add_u32 v9, v11, 23, 0x3b800000
	v_or3_b32 v5, v7, v9, v5
	s_delay_alu instid0(VALU_DEP_1)
	v_cvt_f16_f32_e32 v5, v5
.LBB85_2074:
	s_or_b32 exec_lo, exec_lo, s18
.LBB85_2075:
	s_mov_b32 s17, -1
.LBB85_2076:
	s_mov_b32 s18, 0
.LBB85_2077:
	s_delay_alu instid0(SALU_CYCLE_1)
	s_and_b32 vcc_lo, exec_lo, s18
	s_cbranch_vccz .LBB85_2110
; %bb.2078:
	s_cmp_gt_i32 s14, 22
	s_cbranch_scc0 .LBB85_2088
; %bb.2079:
	s_cmp_lt_i32 s14, 24
	s_cbranch_scc1 .LBB85_2091
; %bb.2080:
	s_cmp_gt_i32 s14, 24
	s_cbranch_scc0 .LBB85_2092
; %bb.2081:
	global_load_u8 v7, v[16:17], off
	s_mov_b32 s17, exec_lo
	s_wait_loadcnt 0x0
	v_cmpx_lt_i16_e32 0x7f, v7
	s_xor_b32 s17, exec_lo, s17
	s_cbranch_execz .LBB85_2104
; %bb.2082:
	s_mov_b32 s16, -1
	s_mov_b32 s18, exec_lo
	v_cmpx_eq_u16_e32 0x80, v7
; %bb.2083:
	s_xor_b32 s16, exec_lo, -1
; %bb.2084:
	s_or_b32 exec_lo, exec_lo, s18
	s_delay_alu instid0(SALU_CYCLE_1)
	s_and_b32 s16, s16, exec_lo
	s_or_saveexec_b32 s17, s17
	v_mov_b32_e32 v5, 0x7e00
	s_xor_b32 exec_lo, exec_lo, s17
	s_cbranch_execnz .LBB85_2105
.LBB85_2085:
	s_or_b32 exec_lo, exec_lo, s17
	s_and_saveexec_b32 s17, s16
	s_cbranch_execz .LBB85_2087
.LBB85_2086:
	v_and_b32_e32 v5, 0xffff, v7
	s_delay_alu instid0(VALU_DEP_1) | instskip(SKIP_1) | instid1(VALU_DEP_2)
	v_and_b32_e32 v9, 3, v5
	v_bfe_u32 v15, v5, 2, 5
	v_clz_i32_u32_e32 v11, v9
	s_delay_alu instid0(VALU_DEP_2) | instskip(NEXT) | instid1(VALU_DEP_2)
	v_cmp_eq_u32_e32 vcc_lo, 0, v15
	v_min_u32_e32 v11, 32, v11
	s_delay_alu instid0(VALU_DEP_1) | instskip(NEXT) | instid1(VALU_DEP_1)
	v_subrev_nc_u32_e32 v13, 29, v11
	v_dual_lshlrev_b32 v5, v13, v5 :: v_dual_sub_nc_u32 v11, 30, v11
	s_delay_alu instid0(VALU_DEP_1) | instskip(NEXT) | instid1(VALU_DEP_1)
	v_dual_lshlrev_b32 v7, 24, v7 :: v_dual_bitop2_b32 v5, 3, v5 bitop3:0x40
	v_dual_cndmask_b32 v5, v9, v5, vcc_lo :: v_dual_cndmask_b32 v11, v15, v11, vcc_lo
	s_delay_alu instid0(VALU_DEP_2) | instskip(NEXT) | instid1(VALU_DEP_2)
	v_and_b32_e32 v7, 0x80000000, v7
	v_lshlrev_b32_e32 v5, 21, v5
	s_delay_alu instid0(VALU_DEP_3) | instskip(NEXT) | instid1(VALU_DEP_1)
	v_lshl_add_u32 v9, v11, 23, 0x37800000
	v_or3_b32 v5, v7, v9, v5
	s_delay_alu instid0(VALU_DEP_1)
	v_cvt_f16_f32_e32 v5, v5
.LBB85_2087:
	s_or_b32 exec_lo, exec_lo, s17
	s_mov_b32 s16, 0
	s_branch .LBB85_2093
.LBB85_2088:
	s_mov_b32 s16, -1
                                        ; implicit-def: $vgpr5
	s_branch .LBB85_2099
.LBB85_2089:
	s_or_saveexec_b32 s18, s18
	v_mov_b32_e32 v5, 0x7e00
	s_xor_b32 exec_lo, exec_lo, s18
	s_cbranch_execz .LBB85_2072
.LBB85_2090:
	v_cmp_ne_u16_e32 vcc_lo, 0, v7
	v_mov_b32_e32 v5, v7
	s_and_not1_b32 s17, s17, exec_lo
	s_and_b32 s19, vcc_lo, exec_lo
	s_delay_alu instid0(SALU_CYCLE_1)
	s_or_b32 s17, s17, s19
	s_or_b32 exec_lo, exec_lo, s18
	s_and_saveexec_b32 s18, s17
	s_cbranch_execnz .LBB85_2073
	s_branch .LBB85_2074
.LBB85_2091:
	s_mov_b32 s16, -1
                                        ; implicit-def: $vgpr5
	s_branch .LBB85_2096
.LBB85_2092:
	s_mov_b32 s16, -1
                                        ; implicit-def: $vgpr5
.LBB85_2093:
	s_delay_alu instid0(SALU_CYCLE_1)
	s_and_b32 vcc_lo, exec_lo, s16
	s_cbranch_vccz .LBB85_2095
; %bb.2094:
	global_load_u8 v5, v[16:17], off
	s_wait_loadcnt 0x0
	v_lshlrev_b32_e32 v5, 24, v5
	s_delay_alu instid0(VALU_DEP_1) | instskip(NEXT) | instid1(VALU_DEP_1)
	v_and_b32_e32 v7, 0x7f000000, v5
	v_clz_i32_u32_e32 v9, v7
	v_add_nc_u32_e32 v13, 0x1000000, v7
	v_cmp_ne_u32_e32 vcc_lo, 0, v7
	s_delay_alu instid0(VALU_DEP_3) | instskip(NEXT) | instid1(VALU_DEP_1)
	v_min_u32_e32 v9, 32, v9
	v_sub_nc_u32_e64 v9, v9, 4 clamp
	s_delay_alu instid0(VALU_DEP_1) | instskip(NEXT) | instid1(VALU_DEP_1)
	v_dual_lshlrev_b32 v11, v9, v7 :: v_dual_lshlrev_b32 v9, 23, v9
	v_lshrrev_b32_e32 v11, 4, v11
	s_delay_alu instid0(VALU_DEP_1) | instskip(SKIP_1) | instid1(VALU_DEP_2)
	v_sub_nc_u32_e32 v9, v11, v9
	v_ashrrev_i32_e32 v11, 8, v13
	v_add_nc_u32_e32 v9, 0x3c000000, v9
	s_delay_alu instid0(VALU_DEP_1) | instskip(NEXT) | instid1(VALU_DEP_1)
	v_and_or_b32 v9, 0x7f800000, v11, v9
	v_cndmask_b32_e32 v7, 0, v9, vcc_lo
	s_delay_alu instid0(VALU_DEP_1) | instskip(NEXT) | instid1(VALU_DEP_1)
	v_and_or_b32 v5, 0x80000000, v5, v7
	v_cvt_f16_f32_e32 v5, v5
.LBB85_2095:
	s_mov_b32 s16, 0
.LBB85_2096:
	s_delay_alu instid0(SALU_CYCLE_1)
	s_and_not1_b32 vcc_lo, exec_lo, s16
	s_cbranch_vccnz .LBB85_2098
; %bb.2097:
	global_load_u8 v5, v[16:17], off
	s_wait_loadcnt 0x0
	v_lshlrev_b32_e32 v7, 25, v5
	v_lshlrev_b16 v5, 8, v5
	s_delay_alu instid0(VALU_DEP_1) | instskip(SKIP_1) | instid1(VALU_DEP_2)
	v_and_or_b32 v11, 0x7f00, v5, 0.5
	v_bfe_i32 v5, v5, 0, 16
	v_add_f32_e32 v11, -0.5, v11
	v_lshrrev_b32_e32 v9, 4, v7
	v_cmp_gt_u32_e32 vcc_lo, 0x8000000, v7
	s_delay_alu instid0(VALU_DEP_2) | instskip(NEXT) | instid1(VALU_DEP_1)
	v_or_b32_e32 v9, 0x70000000, v9
	v_mul_f32_e32 v9, 0x7800000, v9
	s_delay_alu instid0(VALU_DEP_1) | instskip(NEXT) | instid1(VALU_DEP_1)
	v_cndmask_b32_e32 v7, v9, v11, vcc_lo
	v_and_or_b32 v5, 0x80000000, v5, v7
	s_delay_alu instid0(VALU_DEP_1)
	v_cvt_f16_f32_e32 v5, v5
.LBB85_2098:
	s_mov_b32 s16, 0
	s_mov_b32 s17, -1
.LBB85_2099:
	s_and_not1_b32 vcc_lo, exec_lo, s16
	s_mov_b32 s16, 0
	s_cbranch_vccnz .LBB85_2110
; %bb.2100:
	s_cmp_gt_i32 s14, 14
	s_cbranch_scc0 .LBB85_2103
; %bb.2101:
	s_cmp_eq_u32 s14, 15
	s_cbranch_scc0 .LBB85_2106
; %bb.2102:
	global_load_u16 v5, v[16:17], off
	s_mov_b32 s15, 0
	s_mov_b32 s17, -1
	s_wait_loadcnt 0x0
	v_lshlrev_b32_e32 v5, 16, v5
	s_delay_alu instid0(VALU_DEP_1)
	v_cvt_f16_f32_e32 v5, v5
	s_branch .LBB85_2108
.LBB85_2103:
	s_mov_b32 s16, -1
	s_branch .LBB85_2107
.LBB85_2104:
	s_or_saveexec_b32 s17, s17
	v_mov_b32_e32 v5, 0x7e00
	s_xor_b32 exec_lo, exec_lo, s17
	s_cbranch_execz .LBB85_2085
.LBB85_2105:
	v_cmp_ne_u16_e32 vcc_lo, 0, v7
	v_mov_b32_e32 v5, v7
	s_and_not1_b32 s16, s16, exec_lo
	s_and_b32 s18, vcc_lo, exec_lo
	s_delay_alu instid0(SALU_CYCLE_1)
	s_or_b32 s16, s16, s18
	s_or_b32 exec_lo, exec_lo, s17
	s_and_saveexec_b32 s17, s16
	s_cbranch_execnz .LBB85_2086
	s_branch .LBB85_2087
.LBB85_2106:
	s_mov_b32 s15, -1
.LBB85_2107:
                                        ; implicit-def: $vgpr5
.LBB85_2108:
	s_and_b32 vcc_lo, exec_lo, s16
	s_mov_b32 s16, 0
	s_cbranch_vccz .LBB85_2110
; %bb.2109:
	s_cmp_lg_u32 s14, 11
	s_mov_b32 s16, -1
	s_cselect_b32 s15, -1, 0
.LBB85_2110:
	s_delay_alu instid0(SALU_CYCLE_1)
	s_and_b32 vcc_lo, exec_lo, s15
	s_cbranch_vccnz .LBB85_2177
; %bb.2111:
	s_and_not1_b32 vcc_lo, exec_lo, s16
	s_cbranch_vccnz .LBB85_2113
.LBB85_2112:
	global_load_u8 v5, v[16:17], off
	s_mov_b32 s17, -1
	s_wait_loadcnt 0x0
	v_cmp_ne_u16_e32 vcc_lo, 0, v5
	v_cndmask_b32_e64 v5, 0, 0x3c00, vcc_lo
.LBB85_2113:
	s_mov_b32 s15, 0
.LBB85_2114:
	s_delay_alu instid0(SALU_CYCLE_1)
	s_and_b32 vcc_lo, exec_lo, s15
	s_cbranch_vccz .LBB85_2163
; %bb.2115:
	s_cmp_lt_i32 s14, 5
	s_cbranch_scc1 .LBB85_2120
; %bb.2116:
	s_cmp_lt_i32 s14, 8
	s_cbranch_scc1 .LBB85_2121
; %bb.2117:
	s_cmp_lt_i32 s14, 9
	s_cbranch_scc1 .LBB85_2122
; %bb.2118:
	s_cmp_gt_i32 s14, 9
	s_cbranch_scc0 .LBB85_2123
; %bb.2119:
	global_load_b64 v[18:19], v[16:17], off
	s_mov_b32 s15, 0
	s_wait_loadcnt 0x0
	v_and_or_b32 v5, 0x1ff, v19, v18
	v_lshrrev_b32_e32 v7, 8, v19
	v_bfe_u32 v9, v19, 20, 11
	s_delay_alu instid0(VALU_DEP_3) | instskip(NEXT) | instid1(VALU_DEP_2)
	v_cmp_ne_u32_e32 vcc_lo, 0, v5
	v_sub_nc_u32_e32 v11, 0x3f1, v9
	v_add_nc_u32_e32 v9, 0xfffffc10, v9
	v_cndmask_b32_e64 v5, 0, 1, vcc_lo
	s_delay_alu instid0(VALU_DEP_1) | instskip(NEXT) | instid1(VALU_DEP_4)
	v_and_or_b32 v5, 0xffe, v7, v5
	v_med3_i32 v7, v11, 0, 13
	s_delay_alu instid0(VALU_DEP_2) | instskip(NEXT) | instid1(VALU_DEP_1)
	v_or_b32_e32 v11, 0x1000, v5
	v_lshrrev_b32_e32 v13, v7, v11
	s_delay_alu instid0(VALU_DEP_1) | instskip(NEXT) | instid1(VALU_DEP_1)
	v_lshlrev_b32_e32 v7, v7, v13
	v_cmp_ne_u32_e32 vcc_lo, v7, v11
	v_lshl_or_b32 v11, v9, 12, v5
	v_cndmask_b32_e64 v7, 0, 1, vcc_lo
	v_cmp_gt_i32_e32 vcc_lo, 1, v9
	s_delay_alu instid0(VALU_DEP_2) | instskip(NEXT) | instid1(VALU_DEP_1)
	v_or_b32_e32 v7, v13, v7
	v_cndmask_b32_e32 v7, v11, v7, vcc_lo
	s_delay_alu instid0(VALU_DEP_1) | instskip(NEXT) | instid1(VALU_DEP_1)
	v_dual_lshrrev_b32 v7, 2, v7 :: v_dual_bitop2_b32 v11, 7, v7 bitop3:0x40
	v_cmp_lt_i32_e32 vcc_lo, 5, v11
	v_cndmask_b32_e64 v13, 0, 1, vcc_lo
	v_cmp_eq_u32_e32 vcc_lo, 3, v11
	v_cndmask_b32_e64 v11, 0, 1, vcc_lo
	v_cmp_ne_u32_e32 vcc_lo, 0, v5
	s_delay_alu instid0(VALU_DEP_2) | instskip(SKIP_1) | instid1(VALU_DEP_2)
	v_or_b32_e32 v11, v11, v13
	v_mov_b32_e32 v13, 0x7e00
	v_add_nc_u32_e32 v7, v7, v11
	s_delay_alu instid0(VALU_DEP_2) | instskip(SKIP_1) | instid1(VALU_DEP_3)
	v_cndmask_b32_e32 v5, 0x7c00, v13, vcc_lo
	v_cmp_gt_i32_e32 vcc_lo, 31, v9
	v_cndmask_b32_e32 v7, 0x7c00, v7, vcc_lo
	v_cmp_eq_u32_e32 vcc_lo, 0x40f, v9
	s_delay_alu instid0(VALU_DEP_2) | instskip(NEXT) | instid1(VALU_DEP_1)
	v_dual_cndmask_b32 v5, v7, v5, vcc_lo :: v_dual_lshrrev_b32 v7, 16, v19
	v_and_or_b32 v5, 0x8000, v7, v5
	s_branch .LBB85_2124
.LBB85_2120:
	s_mov_b32 s15, -1
                                        ; implicit-def: $vgpr5
	s_branch .LBB85_2142
.LBB85_2121:
	s_mov_b32 s15, -1
                                        ; implicit-def: $vgpr5
	s_branch .LBB85_2130
.LBB85_2122:
	s_mov_b32 s15, -1
                                        ; implicit-def: $vgpr5
	s_branch .LBB85_2127
.LBB85_2123:
	s_mov_b32 s15, -1
                                        ; implicit-def: $vgpr5
.LBB85_2124:
	s_delay_alu instid0(SALU_CYCLE_1)
	s_and_not1_b32 vcc_lo, exec_lo, s15
	s_cbranch_vccnz .LBB85_2126
; %bb.2125:
	global_load_b32 v5, v[16:17], off
	s_wait_loadcnt 0x0
	v_cvt_f16_f32_e32 v5, v5
.LBB85_2126:
	s_mov_b32 s15, 0
.LBB85_2127:
	s_delay_alu instid0(SALU_CYCLE_1)
	s_and_not1_b32 vcc_lo, exec_lo, s15
	s_cbranch_vccnz .LBB85_2129
; %bb.2128:
	global_load_b32 v5, v[16:17], off
.LBB85_2129:
	s_mov_b32 s15, 0
.LBB85_2130:
	s_delay_alu instid0(SALU_CYCLE_1)
	s_and_not1_b32 vcc_lo, exec_lo, s15
	s_cbranch_vccnz .LBB85_2141
; %bb.2131:
	s_cmp_lt_i32 s14, 6
	s_cbranch_scc1 .LBB85_2134
; %bb.2132:
	s_cmp_gt_i32 s14, 6
	s_cbranch_scc0 .LBB85_2135
; %bb.2133:
	global_load_b64 v[18:19], v[16:17], off
	s_mov_b32 s15, 0
	s_wait_loadcnt 0x0
	v_and_or_b32 v5, 0x1ff, v19, v18
	v_lshrrev_b32_e32 v7, 8, v19
	v_bfe_u32 v9, v19, 20, 11
	s_delay_alu instid0(VALU_DEP_3) | instskip(NEXT) | instid1(VALU_DEP_2)
	v_cmp_ne_u32_e32 vcc_lo, 0, v5
	v_sub_nc_u32_e32 v11, 0x3f1, v9
	v_add_nc_u32_e32 v9, 0xfffffc10, v9
	v_cndmask_b32_e64 v5, 0, 1, vcc_lo
	s_delay_alu instid0(VALU_DEP_1) | instskip(NEXT) | instid1(VALU_DEP_4)
	v_and_or_b32 v5, 0xffe, v7, v5
	v_med3_i32 v7, v11, 0, 13
	s_delay_alu instid0(VALU_DEP_2) | instskip(NEXT) | instid1(VALU_DEP_1)
	v_or_b32_e32 v11, 0x1000, v5
	v_lshrrev_b32_e32 v13, v7, v11
	s_delay_alu instid0(VALU_DEP_1) | instskip(NEXT) | instid1(VALU_DEP_1)
	v_lshlrev_b32_e32 v7, v7, v13
	v_cmp_ne_u32_e32 vcc_lo, v7, v11
	v_lshl_or_b32 v11, v9, 12, v5
	v_cndmask_b32_e64 v7, 0, 1, vcc_lo
	v_cmp_gt_i32_e32 vcc_lo, 1, v9
	s_delay_alu instid0(VALU_DEP_2) | instskip(NEXT) | instid1(VALU_DEP_1)
	v_or_b32_e32 v7, v13, v7
	v_cndmask_b32_e32 v7, v11, v7, vcc_lo
	s_delay_alu instid0(VALU_DEP_1) | instskip(NEXT) | instid1(VALU_DEP_1)
	v_dual_lshrrev_b32 v7, 2, v7 :: v_dual_bitop2_b32 v11, 7, v7 bitop3:0x40
	v_cmp_lt_i32_e32 vcc_lo, 5, v11
	v_cndmask_b32_e64 v13, 0, 1, vcc_lo
	v_cmp_eq_u32_e32 vcc_lo, 3, v11
	v_cndmask_b32_e64 v11, 0, 1, vcc_lo
	v_cmp_ne_u32_e32 vcc_lo, 0, v5
	s_delay_alu instid0(VALU_DEP_2) | instskip(SKIP_1) | instid1(VALU_DEP_2)
	v_or_b32_e32 v11, v11, v13
	v_mov_b32_e32 v13, 0x7e00
	v_add_nc_u32_e32 v7, v7, v11
	s_delay_alu instid0(VALU_DEP_2) | instskip(SKIP_1) | instid1(VALU_DEP_3)
	v_cndmask_b32_e32 v5, 0x7c00, v13, vcc_lo
	v_cmp_gt_i32_e32 vcc_lo, 31, v9
	v_cndmask_b32_e32 v7, 0x7c00, v7, vcc_lo
	v_cmp_eq_u32_e32 vcc_lo, 0x40f, v9
	s_delay_alu instid0(VALU_DEP_2) | instskip(NEXT) | instid1(VALU_DEP_1)
	v_dual_cndmask_b32 v5, v7, v5, vcc_lo :: v_dual_lshrrev_b32 v7, 16, v19
	v_and_or_b32 v5, 0x8000, v7, v5
	s_branch .LBB85_2136
.LBB85_2134:
	s_mov_b32 s15, -1
                                        ; implicit-def: $vgpr5
	s_branch .LBB85_2139
.LBB85_2135:
	s_mov_b32 s15, -1
                                        ; implicit-def: $vgpr5
.LBB85_2136:
	s_delay_alu instid0(SALU_CYCLE_1)
	s_and_not1_b32 vcc_lo, exec_lo, s15
	s_cbranch_vccnz .LBB85_2138
; %bb.2137:
	s_wait_loadcnt 0x0
	global_load_b32 v5, v[16:17], off
	s_wait_loadcnt 0x0
	v_cvt_f16_f32_e32 v5, v5
.LBB85_2138:
	s_mov_b32 s15, 0
.LBB85_2139:
	s_delay_alu instid0(SALU_CYCLE_1)
	s_and_not1_b32 vcc_lo, exec_lo, s15
	s_cbranch_vccnz .LBB85_2141
; %bb.2140:
	s_wait_loadcnt 0x0
	global_load_u16 v5, v[16:17], off
.LBB85_2141:
	s_mov_b32 s15, 0
.LBB85_2142:
	s_delay_alu instid0(SALU_CYCLE_1)
	s_and_not1_b32 vcc_lo, exec_lo, s15
	s_cbranch_vccnz .LBB85_2162
; %bb.2143:
	s_cmp_lt_i32 s14, 2
	s_cbranch_scc1 .LBB85_2147
; %bb.2144:
	s_cmp_lt_i32 s14, 3
	s_cbranch_scc1 .LBB85_2148
; %bb.2145:
	s_cmp_gt_i32 s14, 3
	s_cbranch_scc0 .LBB85_2149
; %bb.2146:
	global_load_b64 v[18:19], v[16:17], off
	s_mov_b32 s15, 0
	s_wait_loadcnt 0x0
	v_xor_b32_e32 v5, v18, v19
	v_cls_i32_e32 v7, v19
	s_delay_alu instid0(VALU_DEP_2) | instskip(NEXT) | instid1(VALU_DEP_1)
	v_ashrrev_i32_e32 v5, 31, v5
	v_add_nc_u32_e32 v5, 32, v5
	s_delay_alu instid0(VALU_DEP_1) | instskip(NEXT) | instid1(VALU_DEP_1)
	v_add_min_u32_e64 v5, v7, -1, v5
	v_lshlrev_b64_e32 v[18:19], v5, v[18:19]
	v_sub_nc_u32_e32 v5, 32, v5
	s_delay_alu instid0(VALU_DEP_2) | instskip(NEXT) | instid1(VALU_DEP_1)
	v_min_u32_e32 v7, 1, v18
	v_or_b32_e32 v7, v19, v7
	s_delay_alu instid0(VALU_DEP_1) | instskip(NEXT) | instid1(VALU_DEP_1)
	v_cvt_f32_i32_e32 v7, v7
	v_ldexp_f32 v5, v7, v5
	s_delay_alu instid0(VALU_DEP_1)
	v_cvt_f16_f32_e32 v5, v5
	s_branch .LBB85_2150
.LBB85_2147:
	s_mov_b32 s15, -1
                                        ; implicit-def: $vgpr5
	s_branch .LBB85_2156
.LBB85_2148:
	s_mov_b32 s15, -1
                                        ; implicit-def: $vgpr5
	s_branch .LBB85_2153
.LBB85_2149:
	s_mov_b32 s15, -1
                                        ; implicit-def: $vgpr5
.LBB85_2150:
	s_delay_alu instid0(SALU_CYCLE_1)
	s_and_not1_b32 vcc_lo, exec_lo, s15
	s_cbranch_vccnz .LBB85_2152
; %bb.2151:
	s_wait_loadcnt 0x0
	global_load_b32 v5, v[16:17], off
	s_wait_loadcnt 0x0
	v_cvt_f32_i32_e32 v5, v5
	s_delay_alu instid0(VALU_DEP_1)
	v_cvt_f16_f32_e32 v5, v5
.LBB85_2152:
	s_mov_b32 s15, 0
.LBB85_2153:
	s_delay_alu instid0(SALU_CYCLE_1)
	s_and_not1_b32 vcc_lo, exec_lo, s15
	s_cbranch_vccnz .LBB85_2155
; %bb.2154:
	s_wait_loadcnt 0x0
	global_load_u16 v5, v[16:17], off
	s_wait_loadcnt 0x0
	v_cvt_f16_i16_e32 v5, v5
.LBB85_2155:
	s_mov_b32 s15, 0
.LBB85_2156:
	s_delay_alu instid0(SALU_CYCLE_1)
	s_and_not1_b32 vcc_lo, exec_lo, s15
	s_cbranch_vccnz .LBB85_2162
; %bb.2157:
	s_cmp_gt_i32 s14, 0
	s_mov_b32 s15, 0
	s_cbranch_scc0 .LBB85_2159
; %bb.2158:
	s_wait_loadcnt 0x0
	global_load_i8 v5, v[16:17], off
	s_wait_loadcnt 0x0
	v_cvt_f16_i16_e32 v5, v5
	s_branch .LBB85_2160
.LBB85_2159:
	s_mov_b32 s15, -1
                                        ; implicit-def: $vgpr5
.LBB85_2160:
	s_delay_alu instid0(SALU_CYCLE_1)
	s_and_not1_b32 vcc_lo, exec_lo, s15
	s_cbranch_vccnz .LBB85_2162
; %bb.2161:
	s_wait_loadcnt 0x0
	global_load_u8 v5, v[16:17], off
	s_wait_loadcnt 0x0
	v_cvt_f16_u16_e32 v5, v5
.LBB85_2162:
	s_mov_b32 s17, -1
.LBB85_2163:
	s_delay_alu instid0(SALU_CYCLE_1)
	s_and_not1_b32 vcc_lo, exec_lo, s17
	s_cbranch_vccnz .LBB85_2774
; %bb.2164:
	s_wait_loadcnt 0x0
	v_cvt_f32_f16_e32 v5, v5
	s_mov_b32 s15, exec_lo
	s_delay_alu instid0(VALU_DEP_1) | instskip(SKIP_1) | instid1(VALU_DEP_1)
	v_mul_f32_e32 v5, s8, v5
	s_wait_xcnt 0x0
	v_cmpx_nlt_f32_e32 s9, v5
	s_cbranch_execz .LBB85_2166
; %bb.2165:
	v_mul_f32_e32 v7, 0x3fb8aa3b, v5
	v_cvt_f32_f16_e32 v3, v3
	v_cmp_ngt_f32_e32 vcc_lo, 0xc2ce8ed0, v5
	s_delay_alu instid0(VALU_DEP_3) | instskip(SKIP_1) | instid1(VALU_DEP_2)
	v_rndne_f32_e32 v9, v7
	v_fma_f32 v11, 0x3fb8aa3b, v5, -v7
	v_sub_f32_e32 v7, v7, v9
	s_delay_alu instid0(VALU_DEP_2) | instskip(SKIP_1) | instid1(VALU_DEP_2)
	v_fmamk_f32 v11, v5, 0x32a5705f, v11
	v_cvt_i32_f32_e32 v9, v9
	v_add_f32_e32 v7, v7, v11
	s_delay_alu instid0(VALU_DEP_1) | instskip(SKIP_1) | instid1(TRANS32_DEP_1)
	v_exp_f32_e32 v7, v7
	v_nop
	v_ldexp_f32 v7, v7, v9
	s_delay_alu instid0(VALU_DEP_1) | instskip(SKIP_1) | instid1(VALU_DEP_2)
	v_cndmask_b32_e32 v7, 0, v7, vcc_lo
	v_cmp_nlt_f32_e32 vcc_lo, 0x42b17218, v5
	v_cndmask_b32_e32 v5, 0x7f800000, v7, vcc_lo
	s_delay_alu instid0(VALU_DEP_1) | instskip(NEXT) | instid1(VALU_DEP_1)
	v_dual_mul_f32 v3, v5, v3 :: v_dual_add_f32 v5, 1.0, v5
	v_div_scale_f32 v7, null, v5, v5, v3
	s_delay_alu instid0(VALU_DEP_1) | instskip(SKIP_1) | instid1(TRANS32_DEP_1)
	v_rcp_f32_e32 v9, v7
	v_nop
	v_fma_f32 v11, -v7, v9, 1.0
	s_delay_alu instid0(VALU_DEP_1) | instskip(SKIP_1) | instid1(VALU_DEP_1)
	v_fmac_f32_e32 v9, v11, v9
	v_div_scale_f32 v11, vcc_lo, v3, v5, v3
	v_mul_f32_e32 v13, v11, v9
	s_delay_alu instid0(VALU_DEP_1) | instskip(NEXT) | instid1(VALU_DEP_1)
	v_fma_f32 v15, -v7, v13, v11
	v_fmac_f32_e32 v13, v15, v9
	s_delay_alu instid0(VALU_DEP_1) | instskip(NEXT) | instid1(VALU_DEP_1)
	v_fma_f32 v7, -v7, v13, v11
	v_div_fmas_f32 v7, v7, v9, v13
	s_delay_alu instid0(VALU_DEP_1) | instskip(NEXT) | instid1(VALU_DEP_1)
	v_div_fixup_f32 v3, v7, v5, v3
	v_cvt_f16_f32_e32 v3, v3
.LBB85_2166:
	s_or_b32 exec_lo, exec_lo, s15
	v_mov_b32_e32 v15, 0
	s_cmp_lt_i32 s13, 11
	s_delay_alu instid0(VALU_DEP_1)
	v_add_nc_u64_e32 v[14:15], s[6:7], v[14:15]
	s_cbranch_scc1 .LBB85_2173
; %bb.2167:
	s_cmp_gt_i32 s13, 25
	s_mov_b32 s16, 0
	s_cbranch_scc0 .LBB85_2174
; %bb.2168:
	s_cmp_gt_i32 s13, 28
	s_cbranch_scc0 .LBB85_2175
; %bb.2169:
	s_cmp_gt_i32 s13, 43
	;; [unrolled: 3-line block ×3, first 2 shown]
	s_cbranch_scc0 .LBB85_2178
; %bb.2171:
	s_cmp_eq_u32 s13, 46
	s_mov_b32 s18, 0
	s_cbranch_scc0 .LBB85_2179
; %bb.2172:
	global_load_b32 v5, v[14:15], off
	s_mov_b32 s15, 0
	s_mov_b32 s17, -1
	s_wait_loadcnt 0x0
	v_lshlrev_b32_e32 v5, 16, v5
	s_delay_alu instid0(VALU_DEP_1)
	v_cvt_f16_f32_e32 v16, v5
	s_branch .LBB85_2181
.LBB85_2173:
	s_mov_b32 s15, -1
	s_mov_b32 s17, 0
                                        ; implicit-def: $vgpr16
	s_branch .LBB85_2247
.LBB85_2174:
	s_mov_b32 s18, -1
	s_mov_b32 s17, 0
	s_mov_b32 s15, 0
                                        ; implicit-def: $vgpr16
	s_branch .LBB85_2210
.LBB85_2175:
	s_mov_b32 s18, -1
	s_mov_b32 s17, 0
	s_mov_b32 s15, 0
                                        ; implicit-def: $vgpr16
	s_branch .LBB85_2191
.LBB85_2176:
	s_mov_b32 s18, -1
	s_mov_b32 s17, 0
	s_mov_b32 s15, 0
                                        ; implicit-def: $vgpr16
	s_branch .LBB85_2186
.LBB85_2177:
	s_or_b32 s12, s12, exec_lo
	s_trap 2
	s_cbranch_execz .LBB85_2112
	s_branch .LBB85_2113
.LBB85_2178:
	s_mov_b32 s18, -1
	s_mov_b32 s17, 0
	s_mov_b32 s15, 0
	s_branch .LBB85_2180
.LBB85_2179:
	s_mov_b32 s15, -1
	s_mov_b32 s17, 0
.LBB85_2180:
                                        ; implicit-def: $vgpr16
.LBB85_2181:
	s_and_b32 vcc_lo, exec_lo, s18
	s_cbranch_vccz .LBB85_2185
; %bb.2182:
	s_cmp_eq_u32 s13, 44
	s_cbranch_scc0 .LBB85_2184
; %bb.2183:
	global_load_u8 v5, v[14:15], off
	s_mov_b32 s15, 0
	s_mov_b32 s17, -1
	s_wait_loadcnt 0x0
	v_lshlrev_b32_e32 v7, 23, v5
	v_cmp_ne_u32_e32 vcc_lo, 0xff, v5
	s_delay_alu instid0(VALU_DEP_2) | instskip(NEXT) | instid1(VALU_DEP_1)
	v_cvt_f16_f32_e32 v7, v7
	v_cndmask_b32_e32 v7, 0x7e00, v7, vcc_lo
	v_cmp_ne_u32_e32 vcc_lo, 0, v5
	s_delay_alu instid0(VALU_DEP_2)
	v_cndmask_b32_e32 v16, 0, v7, vcc_lo
	s_branch .LBB85_2185
.LBB85_2184:
	s_mov_b32 s15, -1
                                        ; implicit-def: $vgpr16
.LBB85_2185:
	s_mov_b32 s18, 0
.LBB85_2186:
	s_delay_alu instid0(SALU_CYCLE_1)
	s_and_b32 vcc_lo, exec_lo, s18
	s_cbranch_vccz .LBB85_2190
; %bb.2187:
	s_cmp_eq_u32 s13, 29
	s_cbranch_scc0 .LBB85_2189
; %bb.2188:
	global_load_b64 v[16:17], v[14:15], off
	s_mov_b32 s15, 0
	s_mov_b32 s17, -1
	s_mov_b32 s18, 0
	s_wait_loadcnt 0x0
	v_clz_i32_u32_e32 v5, v17
	s_delay_alu instid0(VALU_DEP_1) | instskip(NEXT) | instid1(VALU_DEP_1)
	v_min_u32_e32 v5, 32, v5
	v_lshlrev_b64_e32 v[16:17], v5, v[16:17]
	v_sub_nc_u32_e32 v5, 32, v5
	s_delay_alu instid0(VALU_DEP_2) | instskip(NEXT) | instid1(VALU_DEP_1)
	v_min_u32_e32 v7, 1, v16
	v_or_b32_e32 v7, v17, v7
	s_delay_alu instid0(VALU_DEP_1) | instskip(NEXT) | instid1(VALU_DEP_1)
	v_cvt_f32_u32_e32 v7, v7
	v_ldexp_f32 v5, v7, v5
	s_delay_alu instid0(VALU_DEP_1)
	v_cvt_f16_f32_e32 v16, v5
	s_branch .LBB85_2191
.LBB85_2189:
	s_mov_b32 s15, -1
                                        ; implicit-def: $vgpr16
.LBB85_2190:
	s_mov_b32 s18, 0
.LBB85_2191:
	s_delay_alu instid0(SALU_CYCLE_1)
	s_and_b32 vcc_lo, exec_lo, s18
	s_cbranch_vccz .LBB85_2209
; %bb.2192:
	s_cmp_lt_i32 s13, 27
	s_cbranch_scc1 .LBB85_2195
; %bb.2193:
	s_cmp_gt_i32 s13, 27
	s_cbranch_scc0 .LBB85_2196
; %bb.2194:
	global_load_b32 v5, v[14:15], off
	s_mov_b32 s17, 0
	s_wait_loadcnt 0x0
	v_cvt_f32_u32_e32 v5, v5
	s_delay_alu instid0(VALU_DEP_1)
	v_cvt_f16_f32_e32 v16, v5
	s_branch .LBB85_2197
.LBB85_2195:
	s_mov_b32 s17, -1
                                        ; implicit-def: $vgpr16
	s_branch .LBB85_2200
.LBB85_2196:
	s_mov_b32 s17, -1
                                        ; implicit-def: $vgpr16
.LBB85_2197:
	s_delay_alu instid0(SALU_CYCLE_1)
	s_and_not1_b32 vcc_lo, exec_lo, s17
	s_cbranch_vccnz .LBB85_2199
; %bb.2198:
	global_load_u16 v5, v[14:15], off
	s_wait_loadcnt 0x0
	v_cvt_f16_u16_e32 v16, v5
.LBB85_2199:
	s_mov_b32 s17, 0
.LBB85_2200:
	s_delay_alu instid0(SALU_CYCLE_1)
	s_and_not1_b32 vcc_lo, exec_lo, s17
	s_cbranch_vccnz .LBB85_2208
; %bb.2201:
	global_load_u8 v5, v[14:15], off
	s_mov_b32 s17, 0
	s_mov_b32 s18, exec_lo
	s_wait_loadcnt 0x0
	v_cmpx_lt_i16_e32 0x7f, v5
	s_xor_b32 s18, exec_lo, s18
	s_cbranch_execz .LBB85_2222
; %bb.2202:
	s_mov_b32 s17, -1
	s_mov_b32 s19, exec_lo
	v_cmpx_eq_u16_e32 0x80, v5
; %bb.2203:
	s_xor_b32 s17, exec_lo, -1
; %bb.2204:
	s_or_b32 exec_lo, exec_lo, s19
	s_delay_alu instid0(SALU_CYCLE_1)
	s_and_b32 s17, s17, exec_lo
	s_or_saveexec_b32 s18, s18
	v_mov_b32_e32 v16, 0x7e00
	s_xor_b32 exec_lo, exec_lo, s18
	s_cbranch_execnz .LBB85_2223
.LBB85_2205:
	s_or_b32 exec_lo, exec_lo, s18
	s_and_saveexec_b32 s18, s17
	s_cbranch_execz .LBB85_2207
.LBB85_2206:
	v_and_b32_e32 v7, 0xffff, v5
	s_delay_alu instid0(VALU_DEP_1) | instskip(SKIP_1) | instid1(VALU_DEP_2)
	v_dual_lshlrev_b32 v5, 24, v5 :: v_dual_bitop2_b32 v9, 7, v7 bitop3:0x40
	v_bfe_u32 v16, v7, 3, 4
	v_and_b32_e32 v5, 0x80000000, v5
	s_delay_alu instid0(VALU_DEP_3) | instskip(NEXT) | instid1(VALU_DEP_3)
	v_clz_i32_u32_e32 v11, v9
	v_cmp_eq_u32_e32 vcc_lo, 0, v16
	s_delay_alu instid0(VALU_DEP_2) | instskip(NEXT) | instid1(VALU_DEP_1)
	v_min_u32_e32 v11, 32, v11
	v_subrev_nc_u32_e32 v13, 28, v11
	v_sub_nc_u32_e32 v11, 29, v11
	s_delay_alu instid0(VALU_DEP_2) | instskip(NEXT) | instid1(VALU_DEP_2)
	v_lshlrev_b32_e32 v7, v13, v7
	v_cndmask_b32_e32 v11, v16, v11, vcc_lo
	s_delay_alu instid0(VALU_DEP_2) | instskip(NEXT) | instid1(VALU_DEP_1)
	v_and_b32_e32 v7, 7, v7
	v_cndmask_b32_e32 v7, v9, v7, vcc_lo
	s_delay_alu instid0(VALU_DEP_3) | instskip(NEXT) | instid1(VALU_DEP_2)
	v_lshl_add_u32 v9, v11, 23, 0x3b800000
	v_lshlrev_b32_e32 v7, 20, v7
	s_delay_alu instid0(VALU_DEP_1) | instskip(NEXT) | instid1(VALU_DEP_1)
	v_or3_b32 v5, v5, v9, v7
	v_cvt_f16_f32_e32 v16, v5
.LBB85_2207:
	s_or_b32 exec_lo, exec_lo, s18
.LBB85_2208:
	s_mov_b32 s17, -1
.LBB85_2209:
	s_mov_b32 s18, 0
.LBB85_2210:
	s_delay_alu instid0(SALU_CYCLE_1)
	s_and_b32 vcc_lo, exec_lo, s18
	s_cbranch_vccz .LBB85_2243
; %bb.2211:
	s_cmp_gt_i32 s13, 22
	s_cbranch_scc0 .LBB85_2221
; %bb.2212:
	s_cmp_lt_i32 s13, 24
	s_cbranch_scc1 .LBB85_2224
; %bb.2213:
	s_cmp_gt_i32 s13, 24
	s_cbranch_scc0 .LBB85_2225
; %bb.2214:
	global_load_u8 v5, v[14:15], off
	s_mov_b32 s17, exec_lo
	s_wait_loadcnt 0x0
	v_cmpx_lt_i16_e32 0x7f, v5
	s_xor_b32 s17, exec_lo, s17
	s_cbranch_execz .LBB85_2237
; %bb.2215:
	s_mov_b32 s16, -1
	s_mov_b32 s18, exec_lo
	v_cmpx_eq_u16_e32 0x80, v5
; %bb.2216:
	s_xor_b32 s16, exec_lo, -1
; %bb.2217:
	s_or_b32 exec_lo, exec_lo, s18
	s_delay_alu instid0(SALU_CYCLE_1)
	s_and_b32 s16, s16, exec_lo
	s_or_saveexec_b32 s17, s17
	v_mov_b32_e32 v16, 0x7e00
	s_xor_b32 exec_lo, exec_lo, s17
	s_cbranch_execnz .LBB85_2238
.LBB85_2218:
	s_or_b32 exec_lo, exec_lo, s17
	s_and_saveexec_b32 s17, s16
	s_cbranch_execz .LBB85_2220
.LBB85_2219:
	v_and_b32_e32 v7, 0xffff, v5
	s_delay_alu instid0(VALU_DEP_1) | instskip(SKIP_1) | instid1(VALU_DEP_2)
	v_dual_lshlrev_b32 v5, 24, v5 :: v_dual_bitop2_b32 v9, 3, v7 bitop3:0x40
	v_bfe_u32 v16, v7, 2, 5
	v_and_b32_e32 v5, 0x80000000, v5
	s_delay_alu instid0(VALU_DEP_3) | instskip(NEXT) | instid1(VALU_DEP_3)
	v_clz_i32_u32_e32 v11, v9
	v_cmp_eq_u32_e32 vcc_lo, 0, v16
	s_delay_alu instid0(VALU_DEP_2) | instskip(NEXT) | instid1(VALU_DEP_1)
	v_min_u32_e32 v11, 32, v11
	v_subrev_nc_u32_e32 v13, 29, v11
	v_sub_nc_u32_e32 v11, 30, v11
	s_delay_alu instid0(VALU_DEP_2) | instskip(NEXT) | instid1(VALU_DEP_2)
	v_lshlrev_b32_e32 v7, v13, v7
	v_cndmask_b32_e32 v11, v16, v11, vcc_lo
	s_delay_alu instid0(VALU_DEP_2) | instskip(NEXT) | instid1(VALU_DEP_1)
	v_and_b32_e32 v7, 3, v7
	v_cndmask_b32_e32 v7, v9, v7, vcc_lo
	s_delay_alu instid0(VALU_DEP_3) | instskip(NEXT) | instid1(VALU_DEP_2)
	v_lshl_add_u32 v9, v11, 23, 0x37800000
	v_lshlrev_b32_e32 v7, 21, v7
	s_delay_alu instid0(VALU_DEP_1) | instskip(NEXT) | instid1(VALU_DEP_1)
	v_or3_b32 v5, v5, v9, v7
	v_cvt_f16_f32_e32 v16, v5
.LBB85_2220:
	s_or_b32 exec_lo, exec_lo, s17
	s_mov_b32 s16, 0
	s_branch .LBB85_2226
.LBB85_2221:
	s_mov_b32 s16, -1
                                        ; implicit-def: $vgpr16
	s_branch .LBB85_2232
.LBB85_2222:
	s_or_saveexec_b32 s18, s18
	v_mov_b32_e32 v16, 0x7e00
	s_xor_b32 exec_lo, exec_lo, s18
	s_cbranch_execz .LBB85_2205
.LBB85_2223:
	v_cmp_ne_u16_e32 vcc_lo, 0, v5
	v_mov_b32_e32 v16, v5
	s_and_not1_b32 s17, s17, exec_lo
	s_and_b32 s19, vcc_lo, exec_lo
	s_delay_alu instid0(SALU_CYCLE_1)
	s_or_b32 s17, s17, s19
	s_or_b32 exec_lo, exec_lo, s18
	s_and_saveexec_b32 s18, s17
	s_cbranch_execnz .LBB85_2206
	s_branch .LBB85_2207
.LBB85_2224:
	s_mov_b32 s16, -1
                                        ; implicit-def: $vgpr16
	s_branch .LBB85_2229
.LBB85_2225:
	s_mov_b32 s16, -1
                                        ; implicit-def: $vgpr16
.LBB85_2226:
	s_delay_alu instid0(SALU_CYCLE_1)
	s_and_b32 vcc_lo, exec_lo, s16
	s_cbranch_vccz .LBB85_2228
; %bb.2227:
	global_load_u8 v5, v[14:15], off
	s_wait_loadcnt 0x0
	v_lshlrev_b32_e32 v5, 24, v5
	s_delay_alu instid0(VALU_DEP_1) | instskip(NEXT) | instid1(VALU_DEP_1)
	v_and_b32_e32 v7, 0x7f000000, v5
	v_clz_i32_u32_e32 v9, v7
	v_add_nc_u32_e32 v13, 0x1000000, v7
	v_cmp_ne_u32_e32 vcc_lo, 0, v7
	s_delay_alu instid0(VALU_DEP_3) | instskip(NEXT) | instid1(VALU_DEP_1)
	v_min_u32_e32 v9, 32, v9
	v_sub_nc_u32_e64 v9, v9, 4 clamp
	s_delay_alu instid0(VALU_DEP_1) | instskip(NEXT) | instid1(VALU_DEP_1)
	v_dual_lshlrev_b32 v11, v9, v7 :: v_dual_lshlrev_b32 v9, 23, v9
	v_lshrrev_b32_e32 v11, 4, v11
	s_delay_alu instid0(VALU_DEP_1) | instskip(SKIP_1) | instid1(VALU_DEP_2)
	v_sub_nc_u32_e32 v9, v11, v9
	v_ashrrev_i32_e32 v11, 8, v13
	v_add_nc_u32_e32 v9, 0x3c000000, v9
	s_delay_alu instid0(VALU_DEP_1) | instskip(NEXT) | instid1(VALU_DEP_1)
	v_and_or_b32 v9, 0x7f800000, v11, v9
	v_cndmask_b32_e32 v7, 0, v9, vcc_lo
	s_delay_alu instid0(VALU_DEP_1) | instskip(NEXT) | instid1(VALU_DEP_1)
	v_and_or_b32 v5, 0x80000000, v5, v7
	v_cvt_f16_f32_e32 v16, v5
.LBB85_2228:
	s_mov_b32 s16, 0
.LBB85_2229:
	s_delay_alu instid0(SALU_CYCLE_1)
	s_and_not1_b32 vcc_lo, exec_lo, s16
	s_cbranch_vccnz .LBB85_2231
; %bb.2230:
	global_load_u8 v5, v[14:15], off
	s_wait_loadcnt 0x0
	v_lshlrev_b32_e32 v7, 25, v5
	v_lshlrev_b16 v5, 8, v5
	s_delay_alu instid0(VALU_DEP_1) | instskip(SKIP_1) | instid1(VALU_DEP_2)
	v_and_or_b32 v11, 0x7f00, v5, 0.5
	v_bfe_i32 v5, v5, 0, 16
	v_add_f32_e32 v11, -0.5, v11
	v_lshrrev_b32_e32 v9, 4, v7
	v_cmp_gt_u32_e32 vcc_lo, 0x8000000, v7
	s_delay_alu instid0(VALU_DEP_2) | instskip(NEXT) | instid1(VALU_DEP_1)
	v_or_b32_e32 v9, 0x70000000, v9
	v_mul_f32_e32 v9, 0x7800000, v9
	s_delay_alu instid0(VALU_DEP_1) | instskip(NEXT) | instid1(VALU_DEP_1)
	v_cndmask_b32_e32 v7, v9, v11, vcc_lo
	v_and_or_b32 v5, 0x80000000, v5, v7
	s_delay_alu instid0(VALU_DEP_1)
	v_cvt_f16_f32_e32 v16, v5
.LBB85_2231:
	s_mov_b32 s16, 0
	s_mov_b32 s17, -1
.LBB85_2232:
	s_and_not1_b32 vcc_lo, exec_lo, s16
	s_mov_b32 s16, 0
	s_cbranch_vccnz .LBB85_2243
; %bb.2233:
	s_cmp_gt_i32 s13, 14
	s_cbranch_scc0 .LBB85_2236
; %bb.2234:
	s_cmp_eq_u32 s13, 15
	s_cbranch_scc0 .LBB85_2239
; %bb.2235:
	global_load_u16 v5, v[14:15], off
	s_mov_b32 s15, 0
	s_mov_b32 s17, -1
	s_wait_loadcnt 0x0
	v_lshlrev_b32_e32 v5, 16, v5
	s_delay_alu instid0(VALU_DEP_1)
	v_cvt_f16_f32_e32 v16, v5
	s_branch .LBB85_2241
.LBB85_2236:
	s_mov_b32 s16, -1
	s_branch .LBB85_2240
.LBB85_2237:
	s_or_saveexec_b32 s17, s17
	v_mov_b32_e32 v16, 0x7e00
	s_xor_b32 exec_lo, exec_lo, s17
	s_cbranch_execz .LBB85_2218
.LBB85_2238:
	v_cmp_ne_u16_e32 vcc_lo, 0, v5
	v_mov_b32_e32 v16, v5
	s_and_not1_b32 s16, s16, exec_lo
	s_and_b32 s18, vcc_lo, exec_lo
	s_delay_alu instid0(SALU_CYCLE_1)
	s_or_b32 s16, s16, s18
	s_or_b32 exec_lo, exec_lo, s17
	s_and_saveexec_b32 s17, s16
	s_cbranch_execnz .LBB85_2219
	s_branch .LBB85_2220
.LBB85_2239:
	s_mov_b32 s15, -1
.LBB85_2240:
                                        ; implicit-def: $vgpr16
.LBB85_2241:
	s_and_b32 vcc_lo, exec_lo, s16
	s_mov_b32 s16, 0
	s_cbranch_vccz .LBB85_2243
; %bb.2242:
	s_cmp_lg_u32 s13, 11
	s_mov_b32 s16, -1
	s_cselect_b32 s15, -1, 0
.LBB85_2243:
	s_delay_alu instid0(SALU_CYCLE_1)
	s_and_b32 vcc_lo, exec_lo, s15
	s_cbranch_vccnz .LBB85_2308
; %bb.2244:
	s_and_not1_b32 vcc_lo, exec_lo, s16
	s_cbranch_vccnz .LBB85_2246
.LBB85_2245:
	global_load_u8 v5, v[14:15], off
	s_mov_b32 s17, -1
	s_wait_loadcnt 0x0
	v_cmp_ne_u16_e32 vcc_lo, 0, v5
	v_cndmask_b32_e64 v16, 0, 0x3c00, vcc_lo
.LBB85_2246:
	s_mov_b32 s15, 0
.LBB85_2247:
	s_delay_alu instid0(SALU_CYCLE_1)
	s_and_b32 vcc_lo, exec_lo, s15
	s_cbranch_vccz .LBB85_2296
; %bb.2248:
	s_cmp_lt_i32 s13, 5
	s_cbranch_scc1 .LBB85_2253
; %bb.2249:
	s_cmp_lt_i32 s13, 8
	s_cbranch_scc1 .LBB85_2254
	;; [unrolled: 3-line block ×3, first 2 shown]
; %bb.2251:
	s_cmp_gt_i32 s13, 9
	s_cbranch_scc0 .LBB85_2256
; %bb.2252:
	global_load_b64 v[16:17], v[14:15], off
	s_mov_b32 s15, 0
	s_wait_loadcnt 0x0
	v_and_or_b32 v5, 0x1ff, v17, v16
	v_lshrrev_b32_e32 v7, 8, v17
	v_bfe_u32 v9, v17, 20, 11
	s_delay_alu instid0(VALU_DEP_3) | instskip(NEXT) | instid1(VALU_DEP_2)
	v_cmp_ne_u32_e32 vcc_lo, 0, v5
	v_sub_nc_u32_e32 v11, 0x3f1, v9
	v_add_nc_u32_e32 v9, 0xfffffc10, v9
	v_cndmask_b32_e64 v5, 0, 1, vcc_lo
	s_delay_alu instid0(VALU_DEP_1) | instskip(NEXT) | instid1(VALU_DEP_4)
	v_and_or_b32 v5, 0xffe, v7, v5
	v_med3_i32 v7, v11, 0, 13
	s_delay_alu instid0(VALU_DEP_2) | instskip(NEXT) | instid1(VALU_DEP_1)
	v_or_b32_e32 v11, 0x1000, v5
	v_lshrrev_b32_e32 v13, v7, v11
	s_delay_alu instid0(VALU_DEP_1) | instskip(NEXT) | instid1(VALU_DEP_1)
	v_lshlrev_b32_e32 v7, v7, v13
	v_cmp_ne_u32_e32 vcc_lo, v7, v11
	v_lshl_or_b32 v11, v9, 12, v5
	v_cndmask_b32_e64 v7, 0, 1, vcc_lo
	v_cmp_gt_i32_e32 vcc_lo, 1, v9
	s_delay_alu instid0(VALU_DEP_2) | instskip(NEXT) | instid1(VALU_DEP_1)
	v_or_b32_e32 v7, v13, v7
	v_cndmask_b32_e32 v7, v11, v7, vcc_lo
	s_delay_alu instid0(VALU_DEP_1) | instskip(NEXT) | instid1(VALU_DEP_1)
	v_and_b32_e32 v11, 7, v7
	v_cmp_lt_i32_e32 vcc_lo, 5, v11
	v_cndmask_b32_e64 v13, 0, 1, vcc_lo
	v_cmp_eq_u32_e32 vcc_lo, 3, v11
	v_cndmask_b32_e64 v11, 0, 1, vcc_lo
	v_cmp_ne_u32_e32 vcc_lo, 0, v5
	s_delay_alu instid0(VALU_DEP_2) | instskip(SKIP_1) | instid1(VALU_DEP_2)
	v_dual_lshrrev_b32 v7, 2, v7 :: v_dual_bitop2_b32 v11, v11, v13 bitop3:0x54
	v_mov_b32_e32 v13, 0x7e00
	v_add_nc_u32_e32 v7, v7, v11
	s_delay_alu instid0(VALU_DEP_2) | instskip(SKIP_1) | instid1(VALU_DEP_3)
	v_cndmask_b32_e32 v5, 0x7c00, v13, vcc_lo
	v_cmp_gt_i32_e32 vcc_lo, 31, v9
	v_cndmask_b32_e32 v7, 0x7c00, v7, vcc_lo
	v_cmp_eq_u32_e32 vcc_lo, 0x40f, v9
	s_delay_alu instid0(VALU_DEP_2) | instskip(SKIP_1) | instid1(VALU_DEP_1)
	v_cndmask_b32_e32 v5, v7, v5, vcc_lo
	v_lshrrev_b32_e32 v7, 16, v17
	v_and_or_b32 v16, 0x8000, v7, v5
	s_branch .LBB85_2257
.LBB85_2253:
	s_mov_b32 s15, -1
                                        ; implicit-def: $vgpr16
	s_branch .LBB85_2275
.LBB85_2254:
	s_mov_b32 s15, -1
                                        ; implicit-def: $vgpr16
	s_branch .LBB85_2263
.LBB85_2255:
	s_mov_b32 s15, -1
                                        ; implicit-def: $vgpr16
	s_branch .LBB85_2260
.LBB85_2256:
	s_mov_b32 s15, -1
                                        ; implicit-def: $vgpr16
.LBB85_2257:
	s_delay_alu instid0(SALU_CYCLE_1)
	s_and_not1_b32 vcc_lo, exec_lo, s15
	s_cbranch_vccnz .LBB85_2259
; %bb.2258:
	global_load_b32 v5, v[14:15], off
	s_wait_loadcnt 0x0
	v_cvt_f16_f32_e32 v16, v5
.LBB85_2259:
	s_mov_b32 s15, 0
.LBB85_2260:
	s_delay_alu instid0(SALU_CYCLE_1)
	s_and_not1_b32 vcc_lo, exec_lo, s15
	s_cbranch_vccnz .LBB85_2262
; %bb.2261:
	global_load_b32 v16, v[14:15], off
.LBB85_2262:
	s_mov_b32 s15, 0
.LBB85_2263:
	s_delay_alu instid0(SALU_CYCLE_1)
	s_and_not1_b32 vcc_lo, exec_lo, s15
	s_cbranch_vccnz .LBB85_2274
; %bb.2264:
	s_cmp_lt_i32 s13, 6
	s_cbranch_scc1 .LBB85_2267
; %bb.2265:
	s_cmp_gt_i32 s13, 6
	s_cbranch_scc0 .LBB85_2268
; %bb.2266:
	s_wait_loadcnt 0x0
	global_load_b64 v[16:17], v[14:15], off
	s_mov_b32 s15, 0
	s_wait_loadcnt 0x0
	v_and_or_b32 v5, 0x1ff, v17, v16
	v_lshrrev_b32_e32 v7, 8, v17
	v_bfe_u32 v9, v17, 20, 11
	s_delay_alu instid0(VALU_DEP_3) | instskip(NEXT) | instid1(VALU_DEP_2)
	v_cmp_ne_u32_e32 vcc_lo, 0, v5
	v_sub_nc_u32_e32 v11, 0x3f1, v9
	v_add_nc_u32_e32 v9, 0xfffffc10, v9
	v_cndmask_b32_e64 v5, 0, 1, vcc_lo
	s_delay_alu instid0(VALU_DEP_1) | instskip(NEXT) | instid1(VALU_DEP_4)
	v_and_or_b32 v5, 0xffe, v7, v5
	v_med3_i32 v7, v11, 0, 13
	s_delay_alu instid0(VALU_DEP_2) | instskip(NEXT) | instid1(VALU_DEP_1)
	v_or_b32_e32 v11, 0x1000, v5
	v_lshrrev_b32_e32 v13, v7, v11
	s_delay_alu instid0(VALU_DEP_1) | instskip(NEXT) | instid1(VALU_DEP_1)
	v_lshlrev_b32_e32 v7, v7, v13
	v_cmp_ne_u32_e32 vcc_lo, v7, v11
	v_lshl_or_b32 v11, v9, 12, v5
	v_cndmask_b32_e64 v7, 0, 1, vcc_lo
	v_cmp_gt_i32_e32 vcc_lo, 1, v9
	s_delay_alu instid0(VALU_DEP_2) | instskip(NEXT) | instid1(VALU_DEP_1)
	v_or_b32_e32 v7, v13, v7
	v_cndmask_b32_e32 v7, v11, v7, vcc_lo
	s_delay_alu instid0(VALU_DEP_1) | instskip(NEXT) | instid1(VALU_DEP_1)
	v_and_b32_e32 v11, 7, v7
	v_cmp_lt_i32_e32 vcc_lo, 5, v11
	v_cndmask_b32_e64 v13, 0, 1, vcc_lo
	v_cmp_eq_u32_e32 vcc_lo, 3, v11
	v_cndmask_b32_e64 v11, 0, 1, vcc_lo
	v_cmp_ne_u32_e32 vcc_lo, 0, v5
	s_delay_alu instid0(VALU_DEP_2) | instskip(SKIP_1) | instid1(VALU_DEP_2)
	v_dual_lshrrev_b32 v7, 2, v7 :: v_dual_bitop2_b32 v11, v11, v13 bitop3:0x54
	v_mov_b32_e32 v13, 0x7e00
	v_add_nc_u32_e32 v7, v7, v11
	s_delay_alu instid0(VALU_DEP_2) | instskip(SKIP_1) | instid1(VALU_DEP_3)
	v_cndmask_b32_e32 v5, 0x7c00, v13, vcc_lo
	v_cmp_gt_i32_e32 vcc_lo, 31, v9
	v_cndmask_b32_e32 v7, 0x7c00, v7, vcc_lo
	v_cmp_eq_u32_e32 vcc_lo, 0x40f, v9
	s_delay_alu instid0(VALU_DEP_2) | instskip(SKIP_1) | instid1(VALU_DEP_1)
	v_cndmask_b32_e32 v5, v7, v5, vcc_lo
	v_lshrrev_b32_e32 v7, 16, v17
	v_and_or_b32 v16, 0x8000, v7, v5
	s_branch .LBB85_2269
.LBB85_2267:
	s_mov_b32 s15, -1
                                        ; implicit-def: $vgpr16
	s_branch .LBB85_2272
.LBB85_2268:
	s_mov_b32 s15, -1
                                        ; implicit-def: $vgpr16
.LBB85_2269:
	s_delay_alu instid0(SALU_CYCLE_1)
	s_and_not1_b32 vcc_lo, exec_lo, s15
	s_cbranch_vccnz .LBB85_2271
; %bb.2270:
	global_load_b32 v5, v[14:15], off
	s_wait_loadcnt 0x0
	v_cvt_f16_f32_e32 v16, v5
.LBB85_2271:
	s_mov_b32 s15, 0
.LBB85_2272:
	s_delay_alu instid0(SALU_CYCLE_1)
	s_and_not1_b32 vcc_lo, exec_lo, s15
	s_cbranch_vccnz .LBB85_2274
; %bb.2273:
	s_wait_loadcnt 0x0
	global_load_u16 v16, v[14:15], off
.LBB85_2274:
	s_mov_b32 s15, 0
.LBB85_2275:
	s_delay_alu instid0(SALU_CYCLE_1)
	s_and_not1_b32 vcc_lo, exec_lo, s15
	s_cbranch_vccnz .LBB85_2295
; %bb.2276:
	s_cmp_lt_i32 s13, 2
	s_cbranch_scc1 .LBB85_2280
; %bb.2277:
	s_cmp_lt_i32 s13, 3
	s_cbranch_scc1 .LBB85_2281
; %bb.2278:
	s_cmp_gt_i32 s13, 3
	s_cbranch_scc0 .LBB85_2282
; %bb.2279:
	s_wait_loadcnt 0x0
	global_load_b64 v[16:17], v[14:15], off
	s_mov_b32 s15, 0
	s_wait_loadcnt 0x0
	v_xor_b32_e32 v5, v16, v17
	v_cls_i32_e32 v7, v17
	s_delay_alu instid0(VALU_DEP_2) | instskip(NEXT) | instid1(VALU_DEP_1)
	v_ashrrev_i32_e32 v5, 31, v5
	v_add_nc_u32_e32 v5, 32, v5
	s_delay_alu instid0(VALU_DEP_1) | instskip(NEXT) | instid1(VALU_DEP_1)
	v_add_min_u32_e64 v5, v7, -1, v5
	v_lshlrev_b64_e32 v[16:17], v5, v[16:17]
	v_sub_nc_u32_e32 v5, 32, v5
	s_delay_alu instid0(VALU_DEP_2) | instskip(NEXT) | instid1(VALU_DEP_1)
	v_min_u32_e32 v7, 1, v16
	v_or_b32_e32 v7, v17, v7
	s_delay_alu instid0(VALU_DEP_1) | instskip(NEXT) | instid1(VALU_DEP_1)
	v_cvt_f32_i32_e32 v7, v7
	v_ldexp_f32 v5, v7, v5
	s_delay_alu instid0(VALU_DEP_1)
	v_cvt_f16_f32_e32 v16, v5
	s_branch .LBB85_2283
.LBB85_2280:
	s_mov_b32 s15, -1
                                        ; implicit-def: $vgpr16
	s_branch .LBB85_2289
.LBB85_2281:
	s_mov_b32 s15, -1
                                        ; implicit-def: $vgpr16
	s_branch .LBB85_2286
.LBB85_2282:
	s_mov_b32 s15, -1
                                        ; implicit-def: $vgpr16
.LBB85_2283:
	s_delay_alu instid0(SALU_CYCLE_1)
	s_and_not1_b32 vcc_lo, exec_lo, s15
	s_cbranch_vccnz .LBB85_2285
; %bb.2284:
	global_load_b32 v5, v[14:15], off
	s_wait_loadcnt 0x0
	v_cvt_f32_i32_e32 v5, v5
	s_delay_alu instid0(VALU_DEP_1)
	v_cvt_f16_f32_e32 v16, v5
.LBB85_2285:
	s_mov_b32 s15, 0
.LBB85_2286:
	s_delay_alu instid0(SALU_CYCLE_1)
	s_and_not1_b32 vcc_lo, exec_lo, s15
	s_cbranch_vccnz .LBB85_2288
; %bb.2287:
	global_load_u16 v5, v[14:15], off
	s_wait_loadcnt 0x0
	v_cvt_f16_i16_e32 v16, v5
.LBB85_2288:
	s_mov_b32 s15, 0
.LBB85_2289:
	s_delay_alu instid0(SALU_CYCLE_1)
	s_and_not1_b32 vcc_lo, exec_lo, s15
	s_cbranch_vccnz .LBB85_2295
; %bb.2290:
	s_cmp_gt_i32 s13, 0
	s_mov_b32 s15, 0
	s_cbranch_scc0 .LBB85_2292
; %bb.2291:
	global_load_i8 v5, v[14:15], off
	s_wait_loadcnt 0x0
	v_cvt_f16_i16_e32 v16, v5
	s_branch .LBB85_2293
.LBB85_2292:
	s_mov_b32 s15, -1
                                        ; implicit-def: $vgpr16
.LBB85_2293:
	s_delay_alu instid0(SALU_CYCLE_1)
	s_and_not1_b32 vcc_lo, exec_lo, s15
	s_cbranch_vccnz .LBB85_2295
; %bb.2294:
	global_load_u8 v5, v[14:15], off
	s_wait_loadcnt 0x0
	v_cvt_f16_u16_e32 v16, v5
.LBB85_2295:
	s_mov_b32 s17, -1
.LBB85_2296:
	s_delay_alu instid0(SALU_CYCLE_1)
	s_and_not1_b32 vcc_lo, exec_lo, s17
	s_cbranch_vccnz .LBB85_2774
; %bb.2297:
	v_mov_b32_e32 v13, 0
	s_cmp_lt_i32 s14, 11
	s_delay_alu instid0(VALU_DEP_1)
	v_add_nc_u64_e32 v[12:13], s[0:1], v[12:13]
	s_cbranch_scc1 .LBB85_2304
; %bb.2298:
	s_cmp_gt_i32 s14, 25
	s_mov_b32 s16, 0
	s_cbranch_scc0 .LBB85_2305
; %bb.2299:
	s_cmp_gt_i32 s14, 28
	s_cbranch_scc0 .LBB85_2306
; %bb.2300:
	s_cmp_gt_i32 s14, 43
	;; [unrolled: 3-line block ×3, first 2 shown]
	s_cbranch_scc0 .LBB85_2309
; %bb.2302:
	s_cmp_eq_u32 s14, 46
	s_mov_b32 s18, 0
	s_cbranch_scc0 .LBB85_2312
; %bb.2303:
	global_load_b32 v5, v[12:13], off
	s_mov_b32 s15, 0
	s_mov_b32 s17, -1
	s_wait_loadcnt 0x0
	v_lshlrev_b32_e32 v5, 16, v5
	s_delay_alu instid0(VALU_DEP_1)
	v_cvt_f16_f32_e32 v5, v5
	s_branch .LBB85_2314
.LBB85_2304:
	s_mov_b32 s15, -1
	s_mov_b32 s17, 0
                                        ; implicit-def: $vgpr5
	s_branch .LBB85_2380
.LBB85_2305:
	s_mov_b32 s18, -1
	s_mov_b32 s17, 0
	s_mov_b32 s15, 0
                                        ; implicit-def: $vgpr5
	s_branch .LBB85_2343
.LBB85_2306:
	s_mov_b32 s18, -1
	s_mov_b32 s17, 0
	s_mov_b32 s15, 0
                                        ; implicit-def: $vgpr5
	s_branch .LBB85_2324
.LBB85_2307:
	s_mov_b32 s18, -1
	s_mov_b32 s17, 0
	s_mov_b32 s15, 0
                                        ; implicit-def: $vgpr5
	s_branch .LBB85_2319
.LBB85_2308:
	s_or_b32 s12, s12, exec_lo
	s_trap 2
	s_cbranch_execz .LBB85_2245
	s_branch .LBB85_2246
.LBB85_2309:
	s_mov_b32 s18, -1
	s_mov_b32 s17, 0
	s_mov_b32 s15, 0
	s_branch .LBB85_2313
.LBB85_2310:
	s_and_not1_saveexec_b32 s53, s53
	s_cbranch_execz .LBB85_1127
.LBB85_2311:
	v_add_f32_e64 v5, 0x42800000, |v4|
	s_and_not1_b32 s52, s52, exec_lo
	s_delay_alu instid0(VALU_DEP_1) | instskip(NEXT) | instid1(VALU_DEP_1)
	v_and_b32_e32 v5, 0xff, v5
	v_cmp_ne_u32_e32 vcc_lo, 0, v5
	s_and_b32 s54, vcc_lo, exec_lo
	s_delay_alu instid0(SALU_CYCLE_1)
	s_or_b32 s52, s52, s54
	s_or_b32 exec_lo, exec_lo, s53
	v_mov_b32_e32 v6, 0
	s_and_saveexec_b32 s53, s52
	s_cbranch_execnz .LBB85_1128
	s_branch .LBB85_1129
.LBB85_2312:
	s_mov_b32 s15, -1
	s_mov_b32 s17, 0
.LBB85_2313:
                                        ; implicit-def: $vgpr5
.LBB85_2314:
	s_and_b32 vcc_lo, exec_lo, s18
	s_cbranch_vccz .LBB85_2318
; %bb.2315:
	s_cmp_eq_u32 s14, 44
	s_cbranch_scc0 .LBB85_2317
; %bb.2316:
	global_load_u8 v5, v[12:13], off
	s_mov_b32 s15, 0
	s_mov_b32 s17, -1
	s_wait_loadcnt 0x0
	v_lshlrev_b32_e32 v7, 23, v5
	v_cmp_ne_u32_e32 vcc_lo, 0xff, v5
	s_delay_alu instid0(VALU_DEP_2) | instskip(NEXT) | instid1(VALU_DEP_1)
	v_cvt_f16_f32_e32 v7, v7
	v_cndmask_b32_e32 v7, 0x7e00, v7, vcc_lo
	v_cmp_ne_u32_e32 vcc_lo, 0, v5
	s_delay_alu instid0(VALU_DEP_2)
	v_cndmask_b32_e32 v5, 0, v7, vcc_lo
	s_branch .LBB85_2318
.LBB85_2317:
	s_mov_b32 s15, -1
                                        ; implicit-def: $vgpr5
.LBB85_2318:
	s_mov_b32 s18, 0
.LBB85_2319:
	s_delay_alu instid0(SALU_CYCLE_1)
	s_and_b32 vcc_lo, exec_lo, s18
	s_cbranch_vccz .LBB85_2323
; %bb.2320:
	s_cmp_eq_u32 s14, 29
	s_cbranch_scc0 .LBB85_2322
; %bb.2321:
	global_load_b64 v[14:15], v[12:13], off
	s_mov_b32 s15, 0
	s_mov_b32 s17, -1
	s_mov_b32 s18, 0
	s_wait_loadcnt 0x0
	v_clz_i32_u32_e32 v5, v15
	s_delay_alu instid0(VALU_DEP_1) | instskip(NEXT) | instid1(VALU_DEP_1)
	v_min_u32_e32 v5, 32, v5
	v_lshlrev_b64_e32 v[14:15], v5, v[14:15]
	v_sub_nc_u32_e32 v5, 32, v5
	s_delay_alu instid0(VALU_DEP_2) | instskip(NEXT) | instid1(VALU_DEP_1)
	v_min_u32_e32 v7, 1, v14
	v_or_b32_e32 v7, v15, v7
	s_delay_alu instid0(VALU_DEP_1) | instskip(NEXT) | instid1(VALU_DEP_1)
	v_cvt_f32_u32_e32 v7, v7
	v_ldexp_f32 v5, v7, v5
	s_delay_alu instid0(VALU_DEP_1)
	v_cvt_f16_f32_e32 v5, v5
	s_branch .LBB85_2324
.LBB85_2322:
	s_mov_b32 s15, -1
                                        ; implicit-def: $vgpr5
.LBB85_2323:
	s_mov_b32 s18, 0
.LBB85_2324:
	s_delay_alu instid0(SALU_CYCLE_1)
	s_and_b32 vcc_lo, exec_lo, s18
	s_cbranch_vccz .LBB85_2342
; %bb.2325:
	s_cmp_lt_i32 s14, 27
	s_cbranch_scc1 .LBB85_2328
; %bb.2326:
	s_cmp_gt_i32 s14, 27
	s_cbranch_scc0 .LBB85_2329
; %bb.2327:
	global_load_b32 v5, v[12:13], off
	s_mov_b32 s17, 0
	s_wait_loadcnt 0x0
	v_cvt_f32_u32_e32 v5, v5
	s_delay_alu instid0(VALU_DEP_1)
	v_cvt_f16_f32_e32 v5, v5
	s_branch .LBB85_2330
.LBB85_2328:
	s_mov_b32 s17, -1
                                        ; implicit-def: $vgpr5
	s_branch .LBB85_2333
.LBB85_2329:
	s_mov_b32 s17, -1
                                        ; implicit-def: $vgpr5
.LBB85_2330:
	s_delay_alu instid0(SALU_CYCLE_1)
	s_and_not1_b32 vcc_lo, exec_lo, s17
	s_cbranch_vccnz .LBB85_2332
; %bb.2331:
	global_load_u16 v5, v[12:13], off
	s_wait_loadcnt 0x0
	v_cvt_f16_u16_e32 v5, v5
.LBB85_2332:
	s_mov_b32 s17, 0
.LBB85_2333:
	s_delay_alu instid0(SALU_CYCLE_1)
	s_and_not1_b32 vcc_lo, exec_lo, s17
	s_cbranch_vccnz .LBB85_2341
; %bb.2334:
	global_load_u8 v7, v[12:13], off
	s_mov_b32 s17, 0
	s_mov_b32 s18, exec_lo
	s_wait_loadcnt 0x0
	v_cmpx_lt_i16_e32 0x7f, v7
	s_xor_b32 s18, exec_lo, s18
	s_cbranch_execz .LBB85_2355
; %bb.2335:
	s_mov_b32 s17, -1
	s_mov_b32 s19, exec_lo
	v_cmpx_eq_u16_e32 0x80, v7
; %bb.2336:
	s_xor_b32 s17, exec_lo, -1
; %bb.2337:
	s_or_b32 exec_lo, exec_lo, s19
	s_delay_alu instid0(SALU_CYCLE_1)
	s_and_b32 s17, s17, exec_lo
	s_or_saveexec_b32 s18, s18
	v_mov_b32_e32 v5, 0x7e00
	s_xor_b32 exec_lo, exec_lo, s18
	s_cbranch_execnz .LBB85_2356
.LBB85_2338:
	s_or_b32 exec_lo, exec_lo, s18
	s_and_saveexec_b32 s18, s17
	s_cbranch_execz .LBB85_2340
.LBB85_2339:
	v_and_b32_e32 v5, 0xffff, v7
	s_delay_alu instid0(VALU_DEP_1) | instskip(SKIP_1) | instid1(VALU_DEP_2)
	v_and_b32_e32 v9, 7, v5
	v_bfe_u32 v15, v5, 3, 4
	v_clz_i32_u32_e32 v11, v9
	s_delay_alu instid0(VALU_DEP_2) | instskip(NEXT) | instid1(VALU_DEP_2)
	v_cmp_eq_u32_e32 vcc_lo, 0, v15
	v_min_u32_e32 v11, 32, v11
	s_delay_alu instid0(VALU_DEP_1) | instskip(NEXT) | instid1(VALU_DEP_1)
	v_subrev_nc_u32_e32 v14, 28, v11
	v_dual_lshlrev_b32 v5, v14, v5 :: v_dual_sub_nc_u32 v11, 29, v11
	s_delay_alu instid0(VALU_DEP_1) | instskip(NEXT) | instid1(VALU_DEP_1)
	v_dual_lshlrev_b32 v7, 24, v7 :: v_dual_bitop2_b32 v5, 7, v5 bitop3:0x40
	v_dual_cndmask_b32 v5, v9, v5, vcc_lo :: v_dual_cndmask_b32 v11, v15, v11, vcc_lo
	s_delay_alu instid0(VALU_DEP_2) | instskip(NEXT) | instid1(VALU_DEP_2)
	v_and_b32_e32 v7, 0x80000000, v7
	v_lshlrev_b32_e32 v5, 20, v5
	s_delay_alu instid0(VALU_DEP_3) | instskip(NEXT) | instid1(VALU_DEP_1)
	v_lshl_add_u32 v9, v11, 23, 0x3b800000
	v_or3_b32 v5, v7, v9, v5
	s_delay_alu instid0(VALU_DEP_1)
	v_cvt_f16_f32_e32 v5, v5
.LBB85_2340:
	s_or_b32 exec_lo, exec_lo, s18
.LBB85_2341:
	s_mov_b32 s17, -1
.LBB85_2342:
	s_mov_b32 s18, 0
.LBB85_2343:
	s_delay_alu instid0(SALU_CYCLE_1)
	s_and_b32 vcc_lo, exec_lo, s18
	s_cbranch_vccz .LBB85_2376
; %bb.2344:
	s_cmp_gt_i32 s14, 22
	s_cbranch_scc0 .LBB85_2354
; %bb.2345:
	s_cmp_lt_i32 s14, 24
	s_cbranch_scc1 .LBB85_2357
; %bb.2346:
	s_cmp_gt_i32 s14, 24
	s_cbranch_scc0 .LBB85_2358
; %bb.2347:
	global_load_u8 v7, v[12:13], off
	s_mov_b32 s17, exec_lo
	s_wait_loadcnt 0x0
	v_cmpx_lt_i16_e32 0x7f, v7
	s_xor_b32 s17, exec_lo, s17
	s_cbranch_execz .LBB85_2370
; %bb.2348:
	s_mov_b32 s16, -1
	s_mov_b32 s18, exec_lo
	v_cmpx_eq_u16_e32 0x80, v7
; %bb.2349:
	s_xor_b32 s16, exec_lo, -1
; %bb.2350:
	s_or_b32 exec_lo, exec_lo, s18
	s_delay_alu instid0(SALU_CYCLE_1)
	s_and_b32 s16, s16, exec_lo
	s_or_saveexec_b32 s17, s17
	v_mov_b32_e32 v5, 0x7e00
	s_xor_b32 exec_lo, exec_lo, s17
	s_cbranch_execnz .LBB85_2371
.LBB85_2351:
	s_or_b32 exec_lo, exec_lo, s17
	s_and_saveexec_b32 s17, s16
	s_cbranch_execz .LBB85_2353
.LBB85_2352:
	v_and_b32_e32 v5, 0xffff, v7
	s_delay_alu instid0(VALU_DEP_1) | instskip(SKIP_1) | instid1(VALU_DEP_2)
	v_and_b32_e32 v9, 3, v5
	v_bfe_u32 v15, v5, 2, 5
	v_clz_i32_u32_e32 v11, v9
	s_delay_alu instid0(VALU_DEP_2) | instskip(NEXT) | instid1(VALU_DEP_2)
	v_cmp_eq_u32_e32 vcc_lo, 0, v15
	v_min_u32_e32 v11, 32, v11
	s_delay_alu instid0(VALU_DEP_1) | instskip(NEXT) | instid1(VALU_DEP_1)
	v_subrev_nc_u32_e32 v14, 29, v11
	v_dual_lshlrev_b32 v5, v14, v5 :: v_dual_sub_nc_u32 v11, 30, v11
	s_delay_alu instid0(VALU_DEP_1) | instskip(NEXT) | instid1(VALU_DEP_1)
	v_dual_lshlrev_b32 v7, 24, v7 :: v_dual_bitop2_b32 v5, 3, v5 bitop3:0x40
	v_dual_cndmask_b32 v5, v9, v5, vcc_lo :: v_dual_cndmask_b32 v11, v15, v11, vcc_lo
	s_delay_alu instid0(VALU_DEP_2) | instskip(NEXT) | instid1(VALU_DEP_2)
	v_and_b32_e32 v7, 0x80000000, v7
	v_lshlrev_b32_e32 v5, 21, v5
	s_delay_alu instid0(VALU_DEP_3) | instskip(NEXT) | instid1(VALU_DEP_1)
	v_lshl_add_u32 v9, v11, 23, 0x37800000
	v_or3_b32 v5, v7, v9, v5
	s_delay_alu instid0(VALU_DEP_1)
	v_cvt_f16_f32_e32 v5, v5
.LBB85_2353:
	s_or_b32 exec_lo, exec_lo, s17
	s_mov_b32 s16, 0
	s_branch .LBB85_2359
.LBB85_2354:
	s_mov_b32 s16, -1
                                        ; implicit-def: $vgpr5
	s_branch .LBB85_2365
.LBB85_2355:
	s_or_saveexec_b32 s18, s18
	v_mov_b32_e32 v5, 0x7e00
	s_xor_b32 exec_lo, exec_lo, s18
	s_cbranch_execz .LBB85_2338
.LBB85_2356:
	v_cmp_ne_u16_e32 vcc_lo, 0, v7
	v_mov_b32_e32 v5, v7
	s_and_not1_b32 s17, s17, exec_lo
	s_and_b32 s19, vcc_lo, exec_lo
	s_delay_alu instid0(SALU_CYCLE_1)
	s_or_b32 s17, s17, s19
	s_or_b32 exec_lo, exec_lo, s18
	s_and_saveexec_b32 s18, s17
	s_cbranch_execnz .LBB85_2339
	s_branch .LBB85_2340
.LBB85_2357:
	s_mov_b32 s16, -1
                                        ; implicit-def: $vgpr5
	s_branch .LBB85_2362
.LBB85_2358:
	s_mov_b32 s16, -1
                                        ; implicit-def: $vgpr5
.LBB85_2359:
	s_delay_alu instid0(SALU_CYCLE_1)
	s_and_b32 vcc_lo, exec_lo, s16
	s_cbranch_vccz .LBB85_2361
; %bb.2360:
	global_load_u8 v5, v[12:13], off
	s_wait_loadcnt 0x0
	v_lshlrev_b32_e32 v5, 24, v5
	s_delay_alu instid0(VALU_DEP_1) | instskip(NEXT) | instid1(VALU_DEP_1)
	v_and_b32_e32 v7, 0x7f000000, v5
	v_clz_i32_u32_e32 v9, v7
	v_cmp_ne_u32_e32 vcc_lo, 0, v7
	s_wait_xcnt 0x1
	v_add_nc_u32_e32 v14, 0x1000000, v7
	s_delay_alu instid0(VALU_DEP_3) | instskip(NEXT) | instid1(VALU_DEP_1)
	v_min_u32_e32 v9, 32, v9
	v_sub_nc_u32_e64 v9, v9, 4 clamp
	s_delay_alu instid0(VALU_DEP_1) | instskip(NEXT) | instid1(VALU_DEP_1)
	v_dual_lshlrev_b32 v11, v9, v7 :: v_dual_lshlrev_b32 v9, 23, v9
	v_lshrrev_b32_e32 v11, 4, v11
	s_delay_alu instid0(VALU_DEP_1) | instskip(NEXT) | instid1(VALU_DEP_1)
	v_dual_sub_nc_u32 v9, v11, v9 :: v_dual_ashrrev_i32 v11, 8, v14
	v_add_nc_u32_e32 v9, 0x3c000000, v9
	s_delay_alu instid0(VALU_DEP_1) | instskip(NEXT) | instid1(VALU_DEP_1)
	v_and_or_b32 v9, 0x7f800000, v11, v9
	v_cndmask_b32_e32 v7, 0, v9, vcc_lo
	s_delay_alu instid0(VALU_DEP_1) | instskip(NEXT) | instid1(VALU_DEP_1)
	v_and_or_b32 v5, 0x80000000, v5, v7
	v_cvt_f16_f32_e32 v5, v5
.LBB85_2361:
	s_mov_b32 s16, 0
.LBB85_2362:
	s_delay_alu instid0(SALU_CYCLE_1)
	s_and_not1_b32 vcc_lo, exec_lo, s16
	s_cbranch_vccnz .LBB85_2364
; %bb.2363:
	global_load_u8 v5, v[12:13], off
	s_wait_loadcnt 0x0
	v_lshlrev_b32_e32 v7, 25, v5
	v_lshlrev_b16 v5, 8, v5
	s_delay_alu instid0(VALU_DEP_1) | instskip(SKIP_1) | instid1(VALU_DEP_2)
	v_and_or_b32 v11, 0x7f00, v5, 0.5
	v_bfe_i32 v5, v5, 0, 16
	v_add_f32_e32 v11, -0.5, v11
	v_lshrrev_b32_e32 v9, 4, v7
	v_cmp_gt_u32_e32 vcc_lo, 0x8000000, v7
	s_delay_alu instid0(VALU_DEP_2) | instskip(NEXT) | instid1(VALU_DEP_1)
	v_or_b32_e32 v9, 0x70000000, v9
	v_mul_f32_e32 v9, 0x7800000, v9
	s_delay_alu instid0(VALU_DEP_1) | instskip(NEXT) | instid1(VALU_DEP_1)
	v_cndmask_b32_e32 v7, v9, v11, vcc_lo
	v_and_or_b32 v5, 0x80000000, v5, v7
	s_delay_alu instid0(VALU_DEP_1)
	v_cvt_f16_f32_e32 v5, v5
.LBB85_2364:
	s_mov_b32 s16, 0
	s_mov_b32 s17, -1
.LBB85_2365:
	s_and_not1_b32 vcc_lo, exec_lo, s16
	s_mov_b32 s16, 0
	s_cbranch_vccnz .LBB85_2376
; %bb.2366:
	s_cmp_gt_i32 s14, 14
	s_cbranch_scc0 .LBB85_2369
; %bb.2367:
	s_cmp_eq_u32 s14, 15
	s_cbranch_scc0 .LBB85_2372
; %bb.2368:
	global_load_u16 v5, v[12:13], off
	s_mov_b32 s15, 0
	s_mov_b32 s17, -1
	s_wait_loadcnt 0x0
	v_lshlrev_b32_e32 v5, 16, v5
	s_delay_alu instid0(VALU_DEP_1)
	v_cvt_f16_f32_e32 v5, v5
	s_branch .LBB85_2374
.LBB85_2369:
	s_mov_b32 s16, -1
	s_branch .LBB85_2373
.LBB85_2370:
	s_or_saveexec_b32 s17, s17
	v_mov_b32_e32 v5, 0x7e00
	s_xor_b32 exec_lo, exec_lo, s17
	s_cbranch_execz .LBB85_2351
.LBB85_2371:
	v_cmp_ne_u16_e32 vcc_lo, 0, v7
	v_mov_b32_e32 v5, v7
	s_and_not1_b32 s16, s16, exec_lo
	s_and_b32 s18, vcc_lo, exec_lo
	s_delay_alu instid0(SALU_CYCLE_1)
	s_or_b32 s16, s16, s18
	s_or_b32 exec_lo, exec_lo, s17
	s_and_saveexec_b32 s17, s16
	s_cbranch_execnz .LBB85_2352
	s_branch .LBB85_2353
.LBB85_2372:
	s_mov_b32 s15, -1
.LBB85_2373:
                                        ; implicit-def: $vgpr5
.LBB85_2374:
	s_and_b32 vcc_lo, exec_lo, s16
	s_mov_b32 s16, 0
	s_cbranch_vccz .LBB85_2376
; %bb.2375:
	s_cmp_lg_u32 s14, 11
	s_mov_b32 s16, -1
	s_cselect_b32 s15, -1, 0
.LBB85_2376:
	s_delay_alu instid0(SALU_CYCLE_1)
	s_and_b32 vcc_lo, exec_lo, s15
	s_cbranch_vccnz .LBB85_2443
; %bb.2377:
	s_and_not1_b32 vcc_lo, exec_lo, s16
	s_cbranch_vccnz .LBB85_2379
.LBB85_2378:
	global_load_u8 v5, v[12:13], off
	s_mov_b32 s17, -1
	s_wait_loadcnt 0x0
	v_cmp_ne_u16_e32 vcc_lo, 0, v5
	v_cndmask_b32_e64 v5, 0, 0x3c00, vcc_lo
.LBB85_2379:
	s_mov_b32 s15, 0
.LBB85_2380:
	s_delay_alu instid0(SALU_CYCLE_1)
	s_and_b32 vcc_lo, exec_lo, s15
	s_cbranch_vccz .LBB85_2429
; %bb.2381:
	s_cmp_lt_i32 s14, 5
	s_cbranch_scc1 .LBB85_2386
; %bb.2382:
	s_cmp_lt_i32 s14, 8
	s_cbranch_scc1 .LBB85_2387
	;; [unrolled: 3-line block ×3, first 2 shown]
; %bb.2384:
	s_cmp_gt_i32 s14, 9
	s_cbranch_scc0 .LBB85_2389
; %bb.2385:
	global_load_b64 v[14:15], v[12:13], off
	s_mov_b32 s15, 0
	s_wait_loadcnt 0x0
	v_and_or_b32 v5, 0x1ff, v15, v14
	v_lshrrev_b32_e32 v7, 8, v15
	v_bfe_u32 v9, v15, 20, 11
	s_delay_alu instid0(VALU_DEP_3) | instskip(NEXT) | instid1(VALU_DEP_2)
	v_cmp_ne_u32_e32 vcc_lo, 0, v5
	v_sub_nc_u32_e32 v11, 0x3f1, v9
	v_add_nc_u32_e32 v9, 0xfffffc10, v9
	v_cndmask_b32_e64 v5, 0, 1, vcc_lo
	s_delay_alu instid0(VALU_DEP_1) | instskip(NEXT) | instid1(VALU_DEP_4)
	v_and_or_b32 v5, 0xffe, v7, v5
	v_med3_i32 v7, v11, 0, 13
	s_delay_alu instid0(VALU_DEP_2) | instskip(NEXT) | instid1(VALU_DEP_1)
	v_or_b32_e32 v11, 0x1000, v5
	v_lshrrev_b32_e32 v14, v7, v11
	s_delay_alu instid0(VALU_DEP_1) | instskip(NEXT) | instid1(VALU_DEP_1)
	v_lshlrev_b32_e32 v7, v7, v14
	v_cmp_ne_u32_e32 vcc_lo, v7, v11
	v_lshl_or_b32 v11, v9, 12, v5
	v_cndmask_b32_e64 v7, 0, 1, vcc_lo
	v_cmp_gt_i32_e32 vcc_lo, 1, v9
	s_delay_alu instid0(VALU_DEP_2) | instskip(NEXT) | instid1(VALU_DEP_1)
	v_or_b32_e32 v7, v14, v7
	v_cndmask_b32_e32 v7, v11, v7, vcc_lo
	s_delay_alu instid0(VALU_DEP_1) | instskip(NEXT) | instid1(VALU_DEP_1)
	v_dual_lshrrev_b32 v7, 2, v7 :: v_dual_bitop2_b32 v11, 7, v7 bitop3:0x40
	v_cmp_lt_i32_e32 vcc_lo, 5, v11
	v_cndmask_b32_e64 v14, 0, 1, vcc_lo
	v_cmp_eq_u32_e32 vcc_lo, 3, v11
	v_cndmask_b32_e64 v11, 0, 1, vcc_lo
	v_cmp_ne_u32_e32 vcc_lo, 0, v5
	s_delay_alu instid0(VALU_DEP_2) | instskip(NEXT) | instid1(VALU_DEP_1)
	v_or_b32_e32 v11, v11, v14
	v_dual_mov_b32 v14, 0x7e00 :: v_dual_add_nc_u32 v7, v7, v11
	s_delay_alu instid0(VALU_DEP_1) | instskip(SKIP_1) | instid1(VALU_DEP_3)
	v_cndmask_b32_e32 v5, 0x7c00, v14, vcc_lo
	v_cmp_gt_i32_e32 vcc_lo, 31, v9
	v_cndmask_b32_e32 v7, 0x7c00, v7, vcc_lo
	v_cmp_eq_u32_e32 vcc_lo, 0x40f, v9
	s_delay_alu instid0(VALU_DEP_2) | instskip(NEXT) | instid1(VALU_DEP_1)
	v_dual_cndmask_b32 v5, v7, v5, vcc_lo :: v_dual_lshrrev_b32 v7, 16, v15
	v_and_or_b32 v5, 0x8000, v7, v5
	s_branch .LBB85_2390
.LBB85_2386:
	s_mov_b32 s15, -1
                                        ; implicit-def: $vgpr5
	s_branch .LBB85_2408
.LBB85_2387:
	s_mov_b32 s15, -1
                                        ; implicit-def: $vgpr5
	s_branch .LBB85_2396
.LBB85_2388:
	s_mov_b32 s15, -1
                                        ; implicit-def: $vgpr5
	s_branch .LBB85_2393
.LBB85_2389:
	s_mov_b32 s15, -1
                                        ; implicit-def: $vgpr5
.LBB85_2390:
	s_delay_alu instid0(SALU_CYCLE_1)
	s_and_not1_b32 vcc_lo, exec_lo, s15
	s_cbranch_vccnz .LBB85_2392
; %bb.2391:
	global_load_b32 v5, v[12:13], off
	s_wait_loadcnt 0x0
	v_cvt_f16_f32_e32 v5, v5
.LBB85_2392:
	s_mov_b32 s15, 0
.LBB85_2393:
	s_delay_alu instid0(SALU_CYCLE_1)
	s_and_not1_b32 vcc_lo, exec_lo, s15
	s_cbranch_vccnz .LBB85_2395
; %bb.2394:
	global_load_b32 v5, v[12:13], off
.LBB85_2395:
	s_mov_b32 s15, 0
.LBB85_2396:
	s_delay_alu instid0(SALU_CYCLE_1)
	s_and_not1_b32 vcc_lo, exec_lo, s15
	s_cbranch_vccnz .LBB85_2407
; %bb.2397:
	s_cmp_lt_i32 s14, 6
	s_cbranch_scc1 .LBB85_2400
; %bb.2398:
	s_cmp_gt_i32 s14, 6
	s_cbranch_scc0 .LBB85_2401
; %bb.2399:
	global_load_b64 v[14:15], v[12:13], off
	s_mov_b32 s15, 0
	s_wait_loadcnt 0x0
	v_and_or_b32 v5, 0x1ff, v15, v14
	v_lshrrev_b32_e32 v7, 8, v15
	v_bfe_u32 v9, v15, 20, 11
	s_delay_alu instid0(VALU_DEP_3) | instskip(NEXT) | instid1(VALU_DEP_2)
	v_cmp_ne_u32_e32 vcc_lo, 0, v5
	v_sub_nc_u32_e32 v11, 0x3f1, v9
	v_add_nc_u32_e32 v9, 0xfffffc10, v9
	v_cndmask_b32_e64 v5, 0, 1, vcc_lo
	s_delay_alu instid0(VALU_DEP_1) | instskip(NEXT) | instid1(VALU_DEP_4)
	v_and_or_b32 v5, 0xffe, v7, v5
	v_med3_i32 v7, v11, 0, 13
	s_delay_alu instid0(VALU_DEP_2) | instskip(NEXT) | instid1(VALU_DEP_1)
	v_or_b32_e32 v11, 0x1000, v5
	v_lshrrev_b32_e32 v14, v7, v11
	s_delay_alu instid0(VALU_DEP_1) | instskip(NEXT) | instid1(VALU_DEP_1)
	v_lshlrev_b32_e32 v7, v7, v14
	v_cmp_ne_u32_e32 vcc_lo, v7, v11
	v_lshl_or_b32 v11, v9, 12, v5
	v_cndmask_b32_e64 v7, 0, 1, vcc_lo
	v_cmp_gt_i32_e32 vcc_lo, 1, v9
	s_delay_alu instid0(VALU_DEP_2) | instskip(NEXT) | instid1(VALU_DEP_1)
	v_or_b32_e32 v7, v14, v7
	v_cndmask_b32_e32 v7, v11, v7, vcc_lo
	s_delay_alu instid0(VALU_DEP_1) | instskip(NEXT) | instid1(VALU_DEP_1)
	v_dual_lshrrev_b32 v7, 2, v7 :: v_dual_bitop2_b32 v11, 7, v7 bitop3:0x40
	v_cmp_lt_i32_e32 vcc_lo, 5, v11
	v_cndmask_b32_e64 v14, 0, 1, vcc_lo
	v_cmp_eq_u32_e32 vcc_lo, 3, v11
	v_cndmask_b32_e64 v11, 0, 1, vcc_lo
	v_cmp_ne_u32_e32 vcc_lo, 0, v5
	s_delay_alu instid0(VALU_DEP_2) | instskip(NEXT) | instid1(VALU_DEP_1)
	v_or_b32_e32 v11, v11, v14
	v_dual_mov_b32 v14, 0x7e00 :: v_dual_add_nc_u32 v7, v7, v11
	s_delay_alu instid0(VALU_DEP_1) | instskip(SKIP_1) | instid1(VALU_DEP_3)
	v_cndmask_b32_e32 v5, 0x7c00, v14, vcc_lo
	v_cmp_gt_i32_e32 vcc_lo, 31, v9
	v_cndmask_b32_e32 v7, 0x7c00, v7, vcc_lo
	v_cmp_eq_u32_e32 vcc_lo, 0x40f, v9
	s_delay_alu instid0(VALU_DEP_2) | instskip(NEXT) | instid1(VALU_DEP_1)
	v_dual_cndmask_b32 v5, v7, v5, vcc_lo :: v_dual_lshrrev_b32 v7, 16, v15
	v_and_or_b32 v5, 0x8000, v7, v5
	s_branch .LBB85_2402
.LBB85_2400:
	s_mov_b32 s15, -1
                                        ; implicit-def: $vgpr5
	s_branch .LBB85_2405
.LBB85_2401:
	s_mov_b32 s15, -1
                                        ; implicit-def: $vgpr5
.LBB85_2402:
	s_delay_alu instid0(SALU_CYCLE_1)
	s_and_not1_b32 vcc_lo, exec_lo, s15
	s_cbranch_vccnz .LBB85_2404
; %bb.2403:
	s_wait_loadcnt 0x0
	global_load_b32 v5, v[12:13], off
	s_wait_loadcnt 0x0
	v_cvt_f16_f32_e32 v5, v5
.LBB85_2404:
	s_mov_b32 s15, 0
.LBB85_2405:
	s_delay_alu instid0(SALU_CYCLE_1)
	s_and_not1_b32 vcc_lo, exec_lo, s15
	s_cbranch_vccnz .LBB85_2407
; %bb.2406:
	s_wait_loadcnt 0x0
	global_load_u16 v5, v[12:13], off
.LBB85_2407:
	s_mov_b32 s15, 0
.LBB85_2408:
	s_delay_alu instid0(SALU_CYCLE_1)
	s_and_not1_b32 vcc_lo, exec_lo, s15
	s_cbranch_vccnz .LBB85_2428
; %bb.2409:
	s_cmp_lt_i32 s14, 2
	s_cbranch_scc1 .LBB85_2413
; %bb.2410:
	s_cmp_lt_i32 s14, 3
	s_cbranch_scc1 .LBB85_2414
; %bb.2411:
	s_cmp_gt_i32 s14, 3
	s_cbranch_scc0 .LBB85_2415
; %bb.2412:
	global_load_b64 v[14:15], v[12:13], off
	s_mov_b32 s15, 0
	s_wait_loadcnt 0x0
	v_xor_b32_e32 v5, v14, v15
	v_cls_i32_e32 v7, v15
	s_delay_alu instid0(VALU_DEP_2) | instskip(NEXT) | instid1(VALU_DEP_1)
	v_ashrrev_i32_e32 v5, 31, v5
	v_add_nc_u32_e32 v5, 32, v5
	s_delay_alu instid0(VALU_DEP_1) | instskip(NEXT) | instid1(VALU_DEP_1)
	v_add_min_u32_e64 v5, v7, -1, v5
	v_lshlrev_b64_e32 v[14:15], v5, v[14:15]
	v_sub_nc_u32_e32 v5, 32, v5
	s_delay_alu instid0(VALU_DEP_2) | instskip(NEXT) | instid1(VALU_DEP_1)
	v_min_u32_e32 v7, 1, v14
	v_or_b32_e32 v7, v15, v7
	s_delay_alu instid0(VALU_DEP_1) | instskip(NEXT) | instid1(VALU_DEP_1)
	v_cvt_f32_i32_e32 v7, v7
	v_ldexp_f32 v5, v7, v5
	s_delay_alu instid0(VALU_DEP_1)
	v_cvt_f16_f32_e32 v5, v5
	s_branch .LBB85_2416
.LBB85_2413:
	s_mov_b32 s15, -1
                                        ; implicit-def: $vgpr5
	s_branch .LBB85_2422
.LBB85_2414:
	s_mov_b32 s15, -1
                                        ; implicit-def: $vgpr5
	s_branch .LBB85_2419
.LBB85_2415:
	s_mov_b32 s15, -1
                                        ; implicit-def: $vgpr5
.LBB85_2416:
	s_delay_alu instid0(SALU_CYCLE_1)
	s_and_not1_b32 vcc_lo, exec_lo, s15
	s_cbranch_vccnz .LBB85_2418
; %bb.2417:
	s_wait_loadcnt 0x0
	global_load_b32 v5, v[12:13], off
	s_wait_loadcnt 0x0
	v_cvt_f32_i32_e32 v5, v5
	s_delay_alu instid0(VALU_DEP_1)
	v_cvt_f16_f32_e32 v5, v5
.LBB85_2418:
	s_mov_b32 s15, 0
.LBB85_2419:
	s_delay_alu instid0(SALU_CYCLE_1)
	s_and_not1_b32 vcc_lo, exec_lo, s15
	s_cbranch_vccnz .LBB85_2421
; %bb.2420:
	s_wait_loadcnt 0x0
	global_load_u16 v5, v[12:13], off
	s_wait_loadcnt 0x0
	v_cvt_f16_i16_e32 v5, v5
.LBB85_2421:
	s_mov_b32 s15, 0
.LBB85_2422:
	s_delay_alu instid0(SALU_CYCLE_1)
	s_and_not1_b32 vcc_lo, exec_lo, s15
	s_cbranch_vccnz .LBB85_2428
; %bb.2423:
	s_cmp_gt_i32 s14, 0
	s_mov_b32 s15, 0
	s_cbranch_scc0 .LBB85_2425
; %bb.2424:
	s_wait_loadcnt 0x0
	global_load_i8 v5, v[12:13], off
	s_wait_loadcnt 0x0
	v_cvt_f16_i16_e32 v5, v5
	s_branch .LBB85_2426
.LBB85_2425:
	s_mov_b32 s15, -1
                                        ; implicit-def: $vgpr5
.LBB85_2426:
	s_delay_alu instid0(SALU_CYCLE_1)
	s_and_not1_b32 vcc_lo, exec_lo, s15
	s_cbranch_vccnz .LBB85_2428
; %bb.2427:
	s_wait_loadcnt 0x0
	global_load_u8 v5, v[12:13], off
	s_wait_loadcnt 0x0
	v_cvt_f16_u16_e32 v5, v5
.LBB85_2428:
	s_mov_b32 s17, -1
.LBB85_2429:
	s_delay_alu instid0(SALU_CYCLE_1)
	s_and_not1_b32 vcc_lo, exec_lo, s17
	s_cbranch_vccnz .LBB85_2774
; %bb.2430:
	s_wait_loadcnt 0x0
	v_cvt_f32_f16_e32 v5, v5
	s_mov_b32 s15, exec_lo
	s_delay_alu instid0(VALU_DEP_1) | instskip(SKIP_1) | instid1(VALU_DEP_1)
	v_mul_f32_e32 v5, s8, v5
	s_wait_xcnt 0x0
	v_cmpx_nlt_f32_e32 s9, v5
	s_cbranch_execz .LBB85_2432
; %bb.2431:
	v_mul_f32_e32 v7, 0x3fb8aa3b, v5
	v_cmp_ngt_f32_e32 vcc_lo, 0xc2ce8ed0, v5
	s_delay_alu instid0(VALU_DEP_2) | instskip(SKIP_1) | instid1(VALU_DEP_2)
	v_rndne_f32_e32 v9, v7
	v_fma_f32 v11, 0x3fb8aa3b, v5, -v7
	v_sub_f32_e32 v7, v7, v9
	s_delay_alu instid0(VALU_DEP_2) | instskip(SKIP_1) | instid1(VALU_DEP_2)
	v_fmamk_f32 v11, v5, 0x32a5705f, v11
	v_cvt_i32_f32_e32 v9, v9
	v_add_f32_e32 v7, v7, v11
	s_delay_alu instid0(VALU_DEP_1) | instskip(SKIP_1) | instid1(TRANS32_DEP_1)
	v_exp_f32_e32 v7, v7
	v_nop
	v_ldexp_f32 v7, v7, v9
	v_cvt_f32_f16_e32 v9, v16
	s_delay_alu instid0(VALU_DEP_2) | instskip(SKIP_1) | instid1(VALU_DEP_2)
	v_cndmask_b32_e32 v7, 0, v7, vcc_lo
	v_cmp_nlt_f32_e32 vcc_lo, 0x42b17218, v5
	v_cndmask_b32_e32 v5, 0x7f800000, v7, vcc_lo
	s_delay_alu instid0(VALU_DEP_1) | instskip(SKIP_1) | instid1(VALU_DEP_1)
	v_mul_f32_e32 v7, v5, v9
	v_add_f32_e32 v5, 1.0, v5
	v_div_scale_f32 v9, null, v5, v5, v7
	s_delay_alu instid0(VALU_DEP_1) | instskip(SKIP_1) | instid1(TRANS32_DEP_1)
	v_rcp_f32_e32 v11, v9
	v_nop
	v_fma_f32 v12, -v9, v11, 1.0
	s_delay_alu instid0(VALU_DEP_1) | instskip(SKIP_1) | instid1(VALU_DEP_1)
	v_fmac_f32_e32 v11, v12, v11
	v_div_scale_f32 v12, vcc_lo, v7, v5, v7
	v_mul_f32_e32 v13, v12, v11
	s_delay_alu instid0(VALU_DEP_1) | instskip(NEXT) | instid1(VALU_DEP_1)
	v_fma_f32 v14, -v9, v13, v12
	v_fmac_f32_e32 v13, v14, v11
	s_delay_alu instid0(VALU_DEP_1) | instskip(NEXT) | instid1(VALU_DEP_1)
	v_fma_f32 v9, -v9, v13, v12
	v_div_fmas_f32 v9, v9, v11, v13
	s_delay_alu instid0(VALU_DEP_1) | instskip(NEXT) | instid1(VALU_DEP_1)
	v_div_fixup_f32 v5, v9, v5, v7
	v_cvt_f16_f32_e32 v16, v5
.LBB85_2432:
	s_or_b32 exec_lo, exec_lo, s15
	v_mov_b32_e32 v11, 0
	s_cmp_lt_i32 s13, 11
	s_delay_alu instid0(VALU_DEP_1)
	v_add_nc_u64_e32 v[10:11], s[6:7], v[10:11]
	s_cbranch_scc1 .LBB85_2439
; %bb.2433:
	s_cmp_gt_i32 s13, 25
	s_mov_b32 s7, 0
	s_cbranch_scc0 .LBB85_2440
; %bb.2434:
	s_cmp_gt_i32 s13, 28
	s_cbranch_scc0 .LBB85_2441
; %bb.2435:
	s_cmp_gt_i32 s13, 43
	;; [unrolled: 3-line block ×3, first 2 shown]
	s_cbranch_scc0 .LBB85_2444
; %bb.2437:
	s_cmp_eq_u32 s13, 46
	s_mov_b32 s16, 0
	s_cbranch_scc0 .LBB85_2445
; %bb.2438:
	global_load_b32 v5, v[10:11], off
	s_mov_b32 s6, 0
	s_mov_b32 s15, -1
	s_wait_loadcnt 0x0
	v_lshlrev_b32_e32 v5, 16, v5
	s_delay_alu instid0(VALU_DEP_1)
	v_cvt_f16_f32_e32 v12, v5
	s_branch .LBB85_2447
.LBB85_2439:
	s_mov_b32 s6, -1
	s_mov_b32 s15, 0
                                        ; implicit-def: $vgpr12
	s_branch .LBB85_2513
.LBB85_2440:
	s_mov_b32 s16, -1
	s_mov_b32 s15, 0
	s_mov_b32 s6, 0
                                        ; implicit-def: $vgpr12
	s_branch .LBB85_2476
.LBB85_2441:
	s_mov_b32 s16, -1
	s_mov_b32 s15, 0
	s_mov_b32 s6, 0
                                        ; implicit-def: $vgpr12
	s_branch .LBB85_2457
.LBB85_2442:
	s_mov_b32 s16, -1
	s_mov_b32 s15, 0
	s_mov_b32 s6, 0
                                        ; implicit-def: $vgpr12
	s_branch .LBB85_2452
.LBB85_2443:
	s_or_b32 s12, s12, exec_lo
	s_trap 2
	s_cbranch_execz .LBB85_2378
	s_branch .LBB85_2379
.LBB85_2444:
	s_mov_b32 s16, -1
	s_mov_b32 s15, 0
	s_mov_b32 s6, 0
	s_branch .LBB85_2446
.LBB85_2445:
	s_mov_b32 s6, -1
	s_mov_b32 s15, 0
.LBB85_2446:
                                        ; implicit-def: $vgpr12
.LBB85_2447:
	s_and_b32 vcc_lo, exec_lo, s16
	s_cbranch_vccz .LBB85_2451
; %bb.2448:
	s_cmp_eq_u32 s13, 44
	s_cbranch_scc0 .LBB85_2450
; %bb.2449:
	global_load_u8 v5, v[10:11], off
	s_mov_b32 s6, 0
	s_mov_b32 s15, -1
	s_wait_loadcnt 0x0
	v_lshlrev_b32_e32 v7, 23, v5
	v_cmp_ne_u32_e32 vcc_lo, 0xff, v5
	s_delay_alu instid0(VALU_DEP_2) | instskip(NEXT) | instid1(VALU_DEP_1)
	v_cvt_f16_f32_e32 v7, v7
	v_cndmask_b32_e32 v7, 0x7e00, v7, vcc_lo
	v_cmp_ne_u32_e32 vcc_lo, 0, v5
	s_delay_alu instid0(VALU_DEP_2)
	v_cndmask_b32_e32 v12, 0, v7, vcc_lo
	s_branch .LBB85_2451
.LBB85_2450:
	s_mov_b32 s6, -1
                                        ; implicit-def: $vgpr12
.LBB85_2451:
	s_mov_b32 s16, 0
.LBB85_2452:
	s_delay_alu instid0(SALU_CYCLE_1)
	s_and_b32 vcc_lo, exec_lo, s16
	s_cbranch_vccz .LBB85_2456
; %bb.2453:
	s_cmp_eq_u32 s13, 29
	s_cbranch_scc0 .LBB85_2455
; %bb.2454:
	global_load_b64 v[12:13], v[10:11], off
	s_mov_b32 s6, 0
	s_mov_b32 s15, -1
	s_mov_b32 s16, 0
	s_wait_loadcnt 0x0
	v_clz_i32_u32_e32 v5, v13
	s_delay_alu instid0(VALU_DEP_1) | instskip(NEXT) | instid1(VALU_DEP_1)
	v_min_u32_e32 v5, 32, v5
	v_lshlrev_b64_e32 v[12:13], v5, v[12:13]
	v_sub_nc_u32_e32 v5, 32, v5
	s_delay_alu instid0(VALU_DEP_2) | instskip(NEXT) | instid1(VALU_DEP_1)
	v_min_u32_e32 v7, 1, v12
	v_or_b32_e32 v7, v13, v7
	s_delay_alu instid0(VALU_DEP_1) | instskip(NEXT) | instid1(VALU_DEP_1)
	v_cvt_f32_u32_e32 v7, v7
	v_ldexp_f32 v5, v7, v5
	s_delay_alu instid0(VALU_DEP_1)
	v_cvt_f16_f32_e32 v12, v5
	s_branch .LBB85_2457
.LBB85_2455:
	s_mov_b32 s6, -1
                                        ; implicit-def: $vgpr12
.LBB85_2456:
	s_mov_b32 s16, 0
.LBB85_2457:
	s_delay_alu instid0(SALU_CYCLE_1)
	s_and_b32 vcc_lo, exec_lo, s16
	s_cbranch_vccz .LBB85_2475
; %bb.2458:
	s_cmp_lt_i32 s13, 27
	s_cbranch_scc1 .LBB85_2461
; %bb.2459:
	s_cmp_gt_i32 s13, 27
	s_cbranch_scc0 .LBB85_2462
; %bb.2460:
	global_load_b32 v5, v[10:11], off
	s_mov_b32 s15, 0
	s_wait_loadcnt 0x0
	v_cvt_f32_u32_e32 v5, v5
	s_delay_alu instid0(VALU_DEP_1)
	v_cvt_f16_f32_e32 v12, v5
	s_branch .LBB85_2463
.LBB85_2461:
	s_mov_b32 s15, -1
                                        ; implicit-def: $vgpr12
	s_branch .LBB85_2466
.LBB85_2462:
	s_mov_b32 s15, -1
                                        ; implicit-def: $vgpr12
.LBB85_2463:
	s_delay_alu instid0(SALU_CYCLE_1)
	s_and_not1_b32 vcc_lo, exec_lo, s15
	s_cbranch_vccnz .LBB85_2465
; %bb.2464:
	global_load_u16 v5, v[10:11], off
	s_wait_loadcnt 0x0
	v_cvt_f16_u16_e32 v12, v5
.LBB85_2465:
	s_mov_b32 s15, 0
.LBB85_2466:
	s_delay_alu instid0(SALU_CYCLE_1)
	s_and_not1_b32 vcc_lo, exec_lo, s15
	s_cbranch_vccnz .LBB85_2474
; %bb.2467:
	global_load_u8 v5, v[10:11], off
	s_mov_b32 s15, 0
	s_mov_b32 s16, exec_lo
	s_wait_loadcnt 0x0
	v_cmpx_lt_i16_e32 0x7f, v5
	s_xor_b32 s16, exec_lo, s16
	s_cbranch_execz .LBB85_2488
; %bb.2468:
	s_mov_b32 s15, -1
	s_mov_b32 s17, exec_lo
	v_cmpx_eq_u16_e32 0x80, v5
; %bb.2469:
	s_xor_b32 s15, exec_lo, -1
; %bb.2470:
	s_or_b32 exec_lo, exec_lo, s17
	s_delay_alu instid0(SALU_CYCLE_1)
	s_and_b32 s15, s15, exec_lo
	s_or_saveexec_b32 s16, s16
	v_mov_b32_e32 v12, 0x7e00
	s_xor_b32 exec_lo, exec_lo, s16
	s_cbranch_execnz .LBB85_2489
.LBB85_2471:
	s_or_b32 exec_lo, exec_lo, s16
	s_and_saveexec_b32 s16, s15
	s_cbranch_execz .LBB85_2473
.LBB85_2472:
	v_and_b32_e32 v7, 0xffff, v5
	s_delay_alu instid0(VALU_DEP_1) | instskip(SKIP_1) | instid1(VALU_DEP_2)
	v_and_b32_e32 v9, 7, v7
	v_bfe_u32 v14, v7, 3, 4
	v_clz_i32_u32_e32 v12, v9
	s_delay_alu instid0(VALU_DEP_2) | instskip(NEXT) | instid1(VALU_DEP_2)
	v_cmp_eq_u32_e32 vcc_lo, 0, v14
	v_min_u32_e32 v12, 32, v12
	s_delay_alu instid0(VALU_DEP_1) | instskip(NEXT) | instid1(VALU_DEP_1)
	v_subrev_nc_u32_e32 v13, 28, v12
	v_dual_lshlrev_b32 v7, v13, v7 :: v_dual_sub_nc_u32 v12, 29, v12
	s_delay_alu instid0(VALU_DEP_1) | instskip(NEXT) | instid1(VALU_DEP_1)
	v_dual_lshlrev_b32 v5, 24, v5 :: v_dual_bitop2_b32 v7, 7, v7 bitop3:0x40
	v_dual_cndmask_b32 v12, v14, v12 :: v_dual_cndmask_b32 v7, v9, v7
	s_delay_alu instid0(VALU_DEP_2) | instskip(NEXT) | instid1(VALU_DEP_2)
	v_and_b32_e32 v5, 0x80000000, v5
	v_lshl_add_u32 v9, v12, 23, 0x3b800000
	s_delay_alu instid0(VALU_DEP_3) | instskip(NEXT) | instid1(VALU_DEP_1)
	v_lshlrev_b32_e32 v7, 20, v7
	v_or3_b32 v5, v5, v9, v7
	s_delay_alu instid0(VALU_DEP_1)
	v_cvt_f16_f32_e32 v12, v5
.LBB85_2473:
	s_or_b32 exec_lo, exec_lo, s16
.LBB85_2474:
	s_mov_b32 s15, -1
.LBB85_2475:
	s_mov_b32 s16, 0
.LBB85_2476:
	s_delay_alu instid0(SALU_CYCLE_1)
	s_and_b32 vcc_lo, exec_lo, s16
	s_cbranch_vccz .LBB85_2509
; %bb.2477:
	s_cmp_gt_i32 s13, 22
	s_cbranch_scc0 .LBB85_2487
; %bb.2478:
	s_cmp_lt_i32 s13, 24
	s_cbranch_scc1 .LBB85_2490
; %bb.2479:
	s_cmp_gt_i32 s13, 24
	s_cbranch_scc0 .LBB85_2491
; %bb.2480:
	global_load_u8 v5, v[10:11], off
	s_mov_b32 s15, exec_lo
	s_wait_loadcnt 0x0
	v_cmpx_lt_i16_e32 0x7f, v5
	s_xor_b32 s15, exec_lo, s15
	s_cbranch_execz .LBB85_2503
; %bb.2481:
	s_mov_b32 s7, -1
	s_mov_b32 s16, exec_lo
	v_cmpx_eq_u16_e32 0x80, v5
; %bb.2482:
	s_xor_b32 s7, exec_lo, -1
; %bb.2483:
	s_or_b32 exec_lo, exec_lo, s16
	s_delay_alu instid0(SALU_CYCLE_1)
	s_and_b32 s7, s7, exec_lo
	s_or_saveexec_b32 s15, s15
	v_mov_b32_e32 v12, 0x7e00
	s_xor_b32 exec_lo, exec_lo, s15
	s_cbranch_execnz .LBB85_2504
.LBB85_2484:
	s_or_b32 exec_lo, exec_lo, s15
	s_and_saveexec_b32 s15, s7
	s_cbranch_execz .LBB85_2486
.LBB85_2485:
	v_and_b32_e32 v7, 0xffff, v5
	s_delay_alu instid0(VALU_DEP_1) | instskip(SKIP_1) | instid1(VALU_DEP_2)
	v_and_b32_e32 v9, 3, v7
	v_bfe_u32 v14, v7, 2, 5
	v_clz_i32_u32_e32 v12, v9
	s_delay_alu instid0(VALU_DEP_2) | instskip(NEXT) | instid1(VALU_DEP_2)
	v_cmp_eq_u32_e32 vcc_lo, 0, v14
	v_min_u32_e32 v12, 32, v12
	s_delay_alu instid0(VALU_DEP_1) | instskip(NEXT) | instid1(VALU_DEP_1)
	v_subrev_nc_u32_e32 v13, 29, v12
	v_dual_lshlrev_b32 v7, v13, v7 :: v_dual_sub_nc_u32 v12, 30, v12
	s_delay_alu instid0(VALU_DEP_1) | instskip(NEXT) | instid1(VALU_DEP_1)
	v_dual_lshlrev_b32 v5, 24, v5 :: v_dual_bitop2_b32 v7, 3, v7 bitop3:0x40
	v_dual_cndmask_b32 v12, v14, v12 :: v_dual_cndmask_b32 v7, v9, v7
	s_delay_alu instid0(VALU_DEP_2) | instskip(NEXT) | instid1(VALU_DEP_2)
	v_and_b32_e32 v5, 0x80000000, v5
	v_lshl_add_u32 v9, v12, 23, 0x37800000
	s_delay_alu instid0(VALU_DEP_3) | instskip(NEXT) | instid1(VALU_DEP_1)
	v_lshlrev_b32_e32 v7, 21, v7
	v_or3_b32 v5, v5, v9, v7
	s_delay_alu instid0(VALU_DEP_1)
	v_cvt_f16_f32_e32 v12, v5
.LBB85_2486:
	s_or_b32 exec_lo, exec_lo, s15
	s_mov_b32 s7, 0
	s_branch .LBB85_2492
.LBB85_2487:
	s_mov_b32 s7, -1
                                        ; implicit-def: $vgpr12
	s_branch .LBB85_2498
.LBB85_2488:
	s_or_saveexec_b32 s16, s16
	v_mov_b32_e32 v12, 0x7e00
	s_xor_b32 exec_lo, exec_lo, s16
	s_cbranch_execz .LBB85_2471
.LBB85_2489:
	v_cmp_ne_u16_e32 vcc_lo, 0, v5
	v_mov_b32_e32 v12, v5
	s_and_not1_b32 s15, s15, exec_lo
	s_and_b32 s17, vcc_lo, exec_lo
	s_delay_alu instid0(SALU_CYCLE_1)
	s_or_b32 s15, s15, s17
	s_or_b32 exec_lo, exec_lo, s16
	s_and_saveexec_b32 s16, s15
	s_cbranch_execnz .LBB85_2472
	s_branch .LBB85_2473
.LBB85_2490:
	s_mov_b32 s7, -1
                                        ; implicit-def: $vgpr12
	s_branch .LBB85_2495
.LBB85_2491:
	s_mov_b32 s7, -1
                                        ; implicit-def: $vgpr12
.LBB85_2492:
	s_delay_alu instid0(SALU_CYCLE_1)
	s_and_b32 vcc_lo, exec_lo, s7
	s_cbranch_vccz .LBB85_2494
; %bb.2493:
	global_load_u8 v5, v[10:11], off
	s_wait_loadcnt 0x0
	v_lshlrev_b32_e32 v5, 24, v5
	s_delay_alu instid0(VALU_DEP_1) | instskip(NEXT) | instid1(VALU_DEP_1)
	v_and_b32_e32 v7, 0x7f000000, v5
	v_clz_i32_u32_e32 v9, v7
	v_add_nc_u32_e32 v13, 0x1000000, v7
	v_cmp_ne_u32_e32 vcc_lo, 0, v7
	s_delay_alu instid0(VALU_DEP_3) | instskip(NEXT) | instid1(VALU_DEP_1)
	v_min_u32_e32 v9, 32, v9
	v_sub_nc_u32_e64 v9, v9, 4 clamp
	s_delay_alu instid0(VALU_DEP_1) | instskip(NEXT) | instid1(VALU_DEP_1)
	v_dual_lshlrev_b32 v12, v9, v7 :: v_dual_lshlrev_b32 v9, 23, v9
	v_lshrrev_b32_e32 v12, 4, v12
	s_delay_alu instid0(VALU_DEP_1) | instskip(SKIP_1) | instid1(VALU_DEP_2)
	v_sub_nc_u32_e32 v9, v12, v9
	v_ashrrev_i32_e32 v12, 8, v13
	v_add_nc_u32_e32 v9, 0x3c000000, v9
	s_delay_alu instid0(VALU_DEP_1) | instskip(NEXT) | instid1(VALU_DEP_1)
	v_and_or_b32 v9, 0x7f800000, v12, v9
	v_cndmask_b32_e32 v7, 0, v9, vcc_lo
	s_delay_alu instid0(VALU_DEP_1) | instskip(NEXT) | instid1(VALU_DEP_1)
	v_and_or_b32 v5, 0x80000000, v5, v7
	v_cvt_f16_f32_e32 v12, v5
.LBB85_2494:
	s_mov_b32 s7, 0
.LBB85_2495:
	s_delay_alu instid0(SALU_CYCLE_1)
	s_and_not1_b32 vcc_lo, exec_lo, s7
	s_cbranch_vccnz .LBB85_2497
; %bb.2496:
	global_load_u8 v5, v[10:11], off
	s_wait_loadcnt 0x0
	v_lshlrev_b32_e32 v7, 25, v5
	v_lshlrev_b16 v5, 8, v5
	s_delay_alu instid0(VALU_DEP_1) | instskip(SKIP_1) | instid1(VALU_DEP_2)
	v_and_or_b32 v12, 0x7f00, v5, 0.5
	v_bfe_i32 v5, v5, 0, 16
	v_dual_add_f32 v12, -0.5, v12 :: v_dual_lshrrev_b32 v9, 4, v7
	v_cmp_gt_u32_e32 vcc_lo, 0x8000000, v7
	s_delay_alu instid0(VALU_DEP_2) | instskip(NEXT) | instid1(VALU_DEP_1)
	v_or_b32_e32 v9, 0x70000000, v9
	v_mul_f32_e32 v9, 0x7800000, v9
	s_delay_alu instid0(VALU_DEP_1) | instskip(NEXT) | instid1(VALU_DEP_1)
	v_cndmask_b32_e32 v7, v9, v12, vcc_lo
	v_and_or_b32 v5, 0x80000000, v5, v7
	s_delay_alu instid0(VALU_DEP_1)
	v_cvt_f16_f32_e32 v12, v5
.LBB85_2497:
	s_mov_b32 s7, 0
	s_mov_b32 s15, -1
.LBB85_2498:
	s_and_not1_b32 vcc_lo, exec_lo, s7
	s_mov_b32 s7, 0
	s_cbranch_vccnz .LBB85_2509
; %bb.2499:
	s_cmp_gt_i32 s13, 14
	s_cbranch_scc0 .LBB85_2502
; %bb.2500:
	s_cmp_eq_u32 s13, 15
	s_cbranch_scc0 .LBB85_2505
; %bb.2501:
	global_load_u16 v5, v[10:11], off
	s_mov_b32 s6, 0
	s_mov_b32 s15, -1
	s_wait_loadcnt 0x0
	v_lshlrev_b32_e32 v5, 16, v5
	s_delay_alu instid0(VALU_DEP_1)
	v_cvt_f16_f32_e32 v12, v5
	s_branch .LBB85_2507
.LBB85_2502:
	s_mov_b32 s7, -1
	s_branch .LBB85_2506
.LBB85_2503:
	s_or_saveexec_b32 s15, s15
	v_mov_b32_e32 v12, 0x7e00
	s_xor_b32 exec_lo, exec_lo, s15
	s_cbranch_execz .LBB85_2484
.LBB85_2504:
	v_cmp_ne_u16_e32 vcc_lo, 0, v5
	v_mov_b32_e32 v12, v5
	s_and_not1_b32 s7, s7, exec_lo
	s_and_b32 s16, vcc_lo, exec_lo
	s_delay_alu instid0(SALU_CYCLE_1)
	s_or_b32 s7, s7, s16
	s_or_b32 exec_lo, exec_lo, s15
	s_and_saveexec_b32 s15, s7
	s_cbranch_execnz .LBB85_2485
	s_branch .LBB85_2486
.LBB85_2505:
	s_mov_b32 s6, -1
.LBB85_2506:
                                        ; implicit-def: $vgpr12
.LBB85_2507:
	s_and_b32 vcc_lo, exec_lo, s7
	s_mov_b32 s7, 0
	s_cbranch_vccz .LBB85_2509
; %bb.2508:
	s_cmp_lg_u32 s13, 11
	s_mov_b32 s7, -1
	s_cselect_b32 s6, -1, 0
.LBB85_2509:
	s_delay_alu instid0(SALU_CYCLE_1)
	s_and_b32 vcc_lo, exec_lo, s6
	s_cbranch_vccnz .LBB85_2574
; %bb.2510:
	s_and_not1_b32 vcc_lo, exec_lo, s7
	s_cbranch_vccnz .LBB85_2512
.LBB85_2511:
	global_load_u8 v5, v[10:11], off
	s_mov_b32 s15, -1
	s_wait_loadcnt 0x0
	v_cmp_ne_u16_e32 vcc_lo, 0, v5
	v_cndmask_b32_e64 v12, 0, 0x3c00, vcc_lo
.LBB85_2512:
	s_mov_b32 s6, 0
.LBB85_2513:
	s_delay_alu instid0(SALU_CYCLE_1)
	s_and_b32 vcc_lo, exec_lo, s6
	s_cbranch_vccz .LBB85_2562
; %bb.2514:
	s_cmp_lt_i32 s13, 5
	s_cbranch_scc1 .LBB85_2519
; %bb.2515:
	s_cmp_lt_i32 s13, 8
	s_cbranch_scc1 .LBB85_2520
	;; [unrolled: 3-line block ×3, first 2 shown]
; %bb.2517:
	s_cmp_gt_i32 s13, 9
	s_cbranch_scc0 .LBB85_2522
; %bb.2518:
	global_load_b64 v[12:13], v[10:11], off
	s_mov_b32 s6, 0
	s_wait_loadcnt 0x0
	v_and_or_b32 v5, 0x1ff, v13, v12
	v_lshrrev_b32_e32 v7, 8, v13
	v_bfe_u32 v9, v13, 20, 11
	s_delay_alu instid0(VALU_DEP_3) | instskip(NEXT) | instid1(VALU_DEP_2)
	v_cmp_ne_u32_e32 vcc_lo, 0, v5
	v_sub_nc_u32_e32 v12, 0x3f1, v9
	v_add_nc_u32_e32 v9, 0xfffffc10, v9
	v_cndmask_b32_e64 v5, 0, 1, vcc_lo
	s_delay_alu instid0(VALU_DEP_1) | instskip(NEXT) | instid1(VALU_DEP_4)
	v_and_or_b32 v5, 0xffe, v7, v5
	v_med3_i32 v7, v12, 0, 13
	s_delay_alu instid0(VALU_DEP_2) | instskip(NEXT) | instid1(VALU_DEP_1)
	v_or_b32_e32 v12, 0x1000, v5
	v_lshrrev_b32_e32 v14, v7, v12
	s_delay_alu instid0(VALU_DEP_1) | instskip(NEXT) | instid1(VALU_DEP_1)
	v_lshlrev_b32_e32 v7, v7, v14
	v_cmp_ne_u32_e32 vcc_lo, v7, v12
	v_lshl_or_b32 v12, v9, 12, v5
	v_cndmask_b32_e64 v7, 0, 1, vcc_lo
	v_cmp_gt_i32_e32 vcc_lo, 1, v9
	s_delay_alu instid0(VALU_DEP_2) | instskip(NEXT) | instid1(VALU_DEP_1)
	v_or_b32_e32 v7, v14, v7
	v_cndmask_b32_e32 v7, v12, v7, vcc_lo
	s_delay_alu instid0(VALU_DEP_1) | instskip(NEXT) | instid1(VALU_DEP_1)
	v_dual_lshrrev_b32 v7, 2, v7 :: v_dual_bitop2_b32 v12, 7, v7 bitop3:0x40
	v_cmp_lt_i32_e32 vcc_lo, 5, v12
	v_cndmask_b32_e64 v14, 0, 1, vcc_lo
	v_cmp_eq_u32_e32 vcc_lo, 3, v12
	v_cndmask_b32_e64 v12, 0, 1, vcc_lo
	v_cmp_ne_u32_e32 vcc_lo, 0, v5
	s_delay_alu instid0(VALU_DEP_2) | instskip(NEXT) | instid1(VALU_DEP_1)
	v_or_b32_e32 v12, v12, v14
	v_dual_mov_b32 v14, 0x7e00 :: v_dual_add_nc_u32 v7, v7, v12
	s_delay_alu instid0(VALU_DEP_1) | instskip(SKIP_1) | instid1(VALU_DEP_3)
	v_cndmask_b32_e32 v5, 0x7c00, v14, vcc_lo
	v_cmp_gt_i32_e32 vcc_lo, 31, v9
	v_cndmask_b32_e32 v7, 0x7c00, v7, vcc_lo
	v_cmp_eq_u32_e32 vcc_lo, 0x40f, v9
	s_delay_alu instid0(VALU_DEP_2) | instskip(SKIP_1) | instid1(VALU_DEP_1)
	v_cndmask_b32_e32 v5, v7, v5, vcc_lo
	v_lshrrev_b32_e32 v7, 16, v13
	v_and_or_b32 v12, 0x8000, v7, v5
	s_branch .LBB85_2523
.LBB85_2519:
	s_mov_b32 s6, -1
                                        ; implicit-def: $vgpr12
	s_branch .LBB85_2541
.LBB85_2520:
	s_mov_b32 s6, -1
                                        ; implicit-def: $vgpr12
	s_branch .LBB85_2529
.LBB85_2521:
	s_mov_b32 s6, -1
                                        ; implicit-def: $vgpr12
	s_branch .LBB85_2526
.LBB85_2522:
	s_mov_b32 s6, -1
                                        ; implicit-def: $vgpr12
.LBB85_2523:
	s_delay_alu instid0(SALU_CYCLE_1)
	s_and_not1_b32 vcc_lo, exec_lo, s6
	s_cbranch_vccnz .LBB85_2525
; %bb.2524:
	global_load_b32 v5, v[10:11], off
	s_wait_loadcnt 0x0
	v_cvt_f16_f32_e32 v12, v5
.LBB85_2525:
	s_mov_b32 s6, 0
.LBB85_2526:
	s_delay_alu instid0(SALU_CYCLE_1)
	s_and_not1_b32 vcc_lo, exec_lo, s6
	s_cbranch_vccnz .LBB85_2528
; %bb.2527:
	global_load_b32 v12, v[10:11], off
.LBB85_2528:
	s_mov_b32 s6, 0
.LBB85_2529:
	s_delay_alu instid0(SALU_CYCLE_1)
	s_and_not1_b32 vcc_lo, exec_lo, s6
	s_cbranch_vccnz .LBB85_2540
; %bb.2530:
	s_cmp_lt_i32 s13, 6
	s_cbranch_scc1 .LBB85_2533
; %bb.2531:
	s_cmp_gt_i32 s13, 6
	s_cbranch_scc0 .LBB85_2534
; %bb.2532:
	s_wait_loadcnt 0x0
	global_load_b64 v[12:13], v[10:11], off
	s_mov_b32 s6, 0
	s_wait_loadcnt 0x0
	v_and_or_b32 v5, 0x1ff, v13, v12
	v_lshrrev_b32_e32 v7, 8, v13
	v_bfe_u32 v9, v13, 20, 11
	s_delay_alu instid0(VALU_DEP_3) | instskip(NEXT) | instid1(VALU_DEP_2)
	v_cmp_ne_u32_e32 vcc_lo, 0, v5
	v_sub_nc_u32_e32 v12, 0x3f1, v9
	v_add_nc_u32_e32 v9, 0xfffffc10, v9
	v_cndmask_b32_e64 v5, 0, 1, vcc_lo
	s_delay_alu instid0(VALU_DEP_1) | instskip(NEXT) | instid1(VALU_DEP_4)
	v_and_or_b32 v5, 0xffe, v7, v5
	v_med3_i32 v7, v12, 0, 13
	s_delay_alu instid0(VALU_DEP_2) | instskip(NEXT) | instid1(VALU_DEP_1)
	v_or_b32_e32 v12, 0x1000, v5
	v_lshrrev_b32_e32 v14, v7, v12
	s_delay_alu instid0(VALU_DEP_1) | instskip(NEXT) | instid1(VALU_DEP_1)
	v_lshlrev_b32_e32 v7, v7, v14
	v_cmp_ne_u32_e32 vcc_lo, v7, v12
	v_lshl_or_b32 v12, v9, 12, v5
	v_cndmask_b32_e64 v7, 0, 1, vcc_lo
	v_cmp_gt_i32_e32 vcc_lo, 1, v9
	s_delay_alu instid0(VALU_DEP_2) | instskip(NEXT) | instid1(VALU_DEP_1)
	v_or_b32_e32 v7, v14, v7
	v_cndmask_b32_e32 v7, v12, v7, vcc_lo
	s_delay_alu instid0(VALU_DEP_1) | instskip(NEXT) | instid1(VALU_DEP_1)
	v_dual_lshrrev_b32 v7, 2, v7 :: v_dual_bitop2_b32 v12, 7, v7 bitop3:0x40
	v_cmp_lt_i32_e32 vcc_lo, 5, v12
	v_cndmask_b32_e64 v14, 0, 1, vcc_lo
	v_cmp_eq_u32_e32 vcc_lo, 3, v12
	v_cndmask_b32_e64 v12, 0, 1, vcc_lo
	v_cmp_ne_u32_e32 vcc_lo, 0, v5
	s_delay_alu instid0(VALU_DEP_2) | instskip(NEXT) | instid1(VALU_DEP_1)
	v_or_b32_e32 v12, v12, v14
	v_dual_mov_b32 v14, 0x7e00 :: v_dual_add_nc_u32 v7, v7, v12
	s_delay_alu instid0(VALU_DEP_1) | instskip(SKIP_1) | instid1(VALU_DEP_3)
	v_cndmask_b32_e32 v5, 0x7c00, v14, vcc_lo
	v_cmp_gt_i32_e32 vcc_lo, 31, v9
	v_cndmask_b32_e32 v7, 0x7c00, v7, vcc_lo
	v_cmp_eq_u32_e32 vcc_lo, 0x40f, v9
	s_delay_alu instid0(VALU_DEP_2) | instskip(SKIP_1) | instid1(VALU_DEP_1)
	v_cndmask_b32_e32 v5, v7, v5, vcc_lo
	v_lshrrev_b32_e32 v7, 16, v13
	v_and_or_b32 v12, 0x8000, v7, v5
	s_branch .LBB85_2535
.LBB85_2533:
	s_mov_b32 s6, -1
                                        ; implicit-def: $vgpr12
	s_branch .LBB85_2538
.LBB85_2534:
	s_mov_b32 s6, -1
                                        ; implicit-def: $vgpr12
.LBB85_2535:
	s_delay_alu instid0(SALU_CYCLE_1)
	s_and_not1_b32 vcc_lo, exec_lo, s6
	s_cbranch_vccnz .LBB85_2537
; %bb.2536:
	global_load_b32 v5, v[10:11], off
	s_wait_loadcnt 0x0
	v_cvt_f16_f32_e32 v12, v5
.LBB85_2537:
	s_mov_b32 s6, 0
.LBB85_2538:
	s_delay_alu instid0(SALU_CYCLE_1)
	s_and_not1_b32 vcc_lo, exec_lo, s6
	s_cbranch_vccnz .LBB85_2540
; %bb.2539:
	s_wait_loadcnt 0x0
	global_load_u16 v12, v[10:11], off
.LBB85_2540:
	s_mov_b32 s6, 0
.LBB85_2541:
	s_delay_alu instid0(SALU_CYCLE_1)
	s_and_not1_b32 vcc_lo, exec_lo, s6
	s_cbranch_vccnz .LBB85_2561
; %bb.2542:
	s_cmp_lt_i32 s13, 2
	s_cbranch_scc1 .LBB85_2546
; %bb.2543:
	s_cmp_lt_i32 s13, 3
	s_cbranch_scc1 .LBB85_2547
; %bb.2544:
	s_cmp_gt_i32 s13, 3
	s_cbranch_scc0 .LBB85_2548
; %bb.2545:
	s_wait_loadcnt 0x0
	global_load_b64 v[12:13], v[10:11], off
	s_mov_b32 s6, 0
	s_wait_loadcnt 0x0
	v_xor_b32_e32 v5, v12, v13
	v_cls_i32_e32 v7, v13
	s_delay_alu instid0(VALU_DEP_2) | instskip(NEXT) | instid1(VALU_DEP_1)
	v_ashrrev_i32_e32 v5, 31, v5
	v_add_nc_u32_e32 v5, 32, v5
	s_delay_alu instid0(VALU_DEP_1) | instskip(NEXT) | instid1(VALU_DEP_1)
	v_add_min_u32_e64 v5, v7, -1, v5
	v_lshlrev_b64_e32 v[12:13], v5, v[12:13]
	v_sub_nc_u32_e32 v5, 32, v5
	s_delay_alu instid0(VALU_DEP_2) | instskip(NEXT) | instid1(VALU_DEP_1)
	v_min_u32_e32 v7, 1, v12
	v_or_b32_e32 v7, v13, v7
	s_delay_alu instid0(VALU_DEP_1) | instskip(NEXT) | instid1(VALU_DEP_1)
	v_cvt_f32_i32_e32 v7, v7
	v_ldexp_f32 v5, v7, v5
	s_delay_alu instid0(VALU_DEP_1)
	v_cvt_f16_f32_e32 v12, v5
	s_branch .LBB85_2549
.LBB85_2546:
	s_mov_b32 s6, -1
                                        ; implicit-def: $vgpr12
	s_branch .LBB85_2555
.LBB85_2547:
	s_mov_b32 s6, -1
                                        ; implicit-def: $vgpr12
	s_branch .LBB85_2552
.LBB85_2548:
	s_mov_b32 s6, -1
                                        ; implicit-def: $vgpr12
.LBB85_2549:
	s_delay_alu instid0(SALU_CYCLE_1)
	s_and_not1_b32 vcc_lo, exec_lo, s6
	s_cbranch_vccnz .LBB85_2551
; %bb.2550:
	global_load_b32 v5, v[10:11], off
	s_wait_loadcnt 0x0
	v_cvt_f32_i32_e32 v5, v5
	s_delay_alu instid0(VALU_DEP_1)
	v_cvt_f16_f32_e32 v12, v5
.LBB85_2551:
	s_mov_b32 s6, 0
.LBB85_2552:
	s_delay_alu instid0(SALU_CYCLE_1)
	s_and_not1_b32 vcc_lo, exec_lo, s6
	s_cbranch_vccnz .LBB85_2554
; %bb.2553:
	global_load_u16 v5, v[10:11], off
	s_wait_loadcnt 0x0
	v_cvt_f16_i16_e32 v12, v5
.LBB85_2554:
	s_mov_b32 s6, 0
.LBB85_2555:
	s_delay_alu instid0(SALU_CYCLE_1)
	s_and_not1_b32 vcc_lo, exec_lo, s6
	s_cbranch_vccnz .LBB85_2561
; %bb.2556:
	s_cmp_gt_i32 s13, 0
	s_mov_b32 s6, 0
	s_cbranch_scc0 .LBB85_2558
; %bb.2557:
	global_load_i8 v5, v[10:11], off
	s_wait_loadcnt 0x0
	v_cvt_f16_i16_e32 v12, v5
	s_branch .LBB85_2559
.LBB85_2558:
	s_mov_b32 s6, -1
                                        ; implicit-def: $vgpr12
.LBB85_2559:
	s_delay_alu instid0(SALU_CYCLE_1)
	s_and_not1_b32 vcc_lo, exec_lo, s6
	s_cbranch_vccnz .LBB85_2561
; %bb.2560:
	global_load_u8 v5, v[10:11], off
	s_wait_loadcnt 0x0
	v_cvt_f16_u16_e32 v12, v5
.LBB85_2561:
	s_mov_b32 s15, -1
.LBB85_2562:
	s_delay_alu instid0(SALU_CYCLE_1)
	s_and_not1_b32 vcc_lo, exec_lo, s15
	s_cbranch_vccnz .LBB85_2774
; %bb.2563:
	v_mov_b32_e32 v9, 0
	s_cmp_lt_i32 s14, 11
	s_delay_alu instid0(VALU_DEP_1)
	v_add_nc_u64_e32 v[8:9], s[0:1], v[8:9]
	s_cbranch_scc1 .LBB85_2570
; %bb.2564:
	s_cmp_gt_i32 s14, 25
	s_mov_b32 s1, 0
	s_cbranch_scc0 .LBB85_2571
; %bb.2565:
	s_cmp_gt_i32 s14, 28
	s_cbranch_scc0 .LBB85_2572
; %bb.2566:
	s_cmp_gt_i32 s14, 43
	;; [unrolled: 3-line block ×3, first 2 shown]
	s_cbranch_scc0 .LBB85_2575
; %bb.2568:
	s_cmp_eq_u32 s14, 46
	s_mov_b32 s7, 0
	s_cbranch_scc0 .LBB85_2576
; %bb.2569:
	global_load_b32 v5, v[8:9], off
	s_mov_b32 s0, 0
	s_mov_b32 s6, -1
	s_wait_loadcnt 0x0
	v_lshlrev_b32_e32 v5, 16, v5
	s_delay_alu instid0(VALU_DEP_1)
	v_cvt_f16_f32_e32 v5, v5
	s_branch .LBB85_2578
.LBB85_2570:
	s_mov_b32 s0, -1
	s_mov_b32 s6, 0
                                        ; implicit-def: $vgpr5
	s_branch .LBB85_2644
.LBB85_2571:
	s_mov_b32 s7, -1
	s_mov_b32 s6, 0
	s_mov_b32 s0, 0
                                        ; implicit-def: $vgpr5
	s_branch .LBB85_2607
.LBB85_2572:
	s_mov_b32 s7, -1
	s_mov_b32 s6, 0
	s_mov_b32 s0, 0
                                        ; implicit-def: $vgpr5
	s_branch .LBB85_2588
.LBB85_2573:
	s_mov_b32 s7, -1
	s_mov_b32 s6, 0
	s_mov_b32 s0, 0
                                        ; implicit-def: $vgpr5
	s_branch .LBB85_2583
.LBB85_2574:
	s_or_b32 s12, s12, exec_lo
	s_trap 2
	s_cbranch_execz .LBB85_2511
	s_branch .LBB85_2512
.LBB85_2575:
	s_mov_b32 s7, -1
	s_mov_b32 s6, 0
	s_mov_b32 s0, 0
	s_branch .LBB85_2577
.LBB85_2576:
	s_mov_b32 s0, -1
	s_mov_b32 s6, 0
.LBB85_2577:
                                        ; implicit-def: $vgpr5
.LBB85_2578:
	s_and_b32 vcc_lo, exec_lo, s7
	s_cbranch_vccz .LBB85_2582
; %bb.2579:
	s_cmp_eq_u32 s14, 44
	s_cbranch_scc0 .LBB85_2581
; %bb.2580:
	global_load_u8 v5, v[8:9], off
	s_mov_b32 s0, 0
	s_mov_b32 s6, -1
	s_wait_loadcnt 0x0
	v_lshlrev_b32_e32 v7, 23, v5
	v_cmp_ne_u32_e32 vcc_lo, 0xff, v5
	s_delay_alu instid0(VALU_DEP_2) | instskip(NEXT) | instid1(VALU_DEP_1)
	v_cvt_f16_f32_e32 v7, v7
	v_cndmask_b32_e32 v7, 0x7e00, v7, vcc_lo
	v_cmp_ne_u32_e32 vcc_lo, 0, v5
	s_delay_alu instid0(VALU_DEP_2)
	v_cndmask_b32_e32 v5, 0, v7, vcc_lo
	s_branch .LBB85_2582
.LBB85_2581:
	s_mov_b32 s0, -1
                                        ; implicit-def: $vgpr5
.LBB85_2582:
	s_mov_b32 s7, 0
.LBB85_2583:
	s_delay_alu instid0(SALU_CYCLE_1)
	s_and_b32 vcc_lo, exec_lo, s7
	s_cbranch_vccz .LBB85_2587
; %bb.2584:
	s_cmp_eq_u32 s14, 29
	s_cbranch_scc0 .LBB85_2586
; %bb.2585:
	global_load_b64 v[10:11], v[8:9], off
	s_mov_b32 s0, 0
	s_mov_b32 s6, -1
	s_mov_b32 s7, 0
	s_wait_loadcnt 0x0
	v_clz_i32_u32_e32 v5, v11
	s_delay_alu instid0(VALU_DEP_1) | instskip(NEXT) | instid1(VALU_DEP_1)
	v_min_u32_e32 v5, 32, v5
	v_lshlrev_b64_e32 v[10:11], v5, v[10:11]
	v_sub_nc_u32_e32 v5, 32, v5
	s_delay_alu instid0(VALU_DEP_2) | instskip(NEXT) | instid1(VALU_DEP_1)
	v_min_u32_e32 v7, 1, v10
	v_or_b32_e32 v7, v11, v7
	s_delay_alu instid0(VALU_DEP_1) | instskip(NEXT) | instid1(VALU_DEP_1)
	v_cvt_f32_u32_e32 v7, v7
	v_ldexp_f32 v5, v7, v5
	s_delay_alu instid0(VALU_DEP_1)
	v_cvt_f16_f32_e32 v5, v5
	s_branch .LBB85_2588
.LBB85_2586:
	s_mov_b32 s0, -1
                                        ; implicit-def: $vgpr5
.LBB85_2587:
	s_mov_b32 s7, 0
.LBB85_2588:
	s_delay_alu instid0(SALU_CYCLE_1)
	s_and_b32 vcc_lo, exec_lo, s7
	s_cbranch_vccz .LBB85_2606
; %bb.2589:
	s_cmp_lt_i32 s14, 27
	s_cbranch_scc1 .LBB85_2592
; %bb.2590:
	s_cmp_gt_i32 s14, 27
	s_cbranch_scc0 .LBB85_2593
; %bb.2591:
	global_load_b32 v5, v[8:9], off
	s_mov_b32 s6, 0
	s_wait_loadcnt 0x0
	v_cvt_f32_u32_e32 v5, v5
	s_delay_alu instid0(VALU_DEP_1)
	v_cvt_f16_f32_e32 v5, v5
	s_branch .LBB85_2594
.LBB85_2592:
	s_mov_b32 s6, -1
                                        ; implicit-def: $vgpr5
	s_branch .LBB85_2597
.LBB85_2593:
	s_mov_b32 s6, -1
                                        ; implicit-def: $vgpr5
.LBB85_2594:
	s_delay_alu instid0(SALU_CYCLE_1)
	s_and_not1_b32 vcc_lo, exec_lo, s6
	s_cbranch_vccnz .LBB85_2596
; %bb.2595:
	global_load_u16 v5, v[8:9], off
	s_wait_loadcnt 0x0
	v_cvt_f16_u16_e32 v5, v5
.LBB85_2596:
	s_mov_b32 s6, 0
.LBB85_2597:
	s_delay_alu instid0(SALU_CYCLE_1)
	s_and_not1_b32 vcc_lo, exec_lo, s6
	s_cbranch_vccnz .LBB85_2605
; %bb.2598:
	global_load_u8 v7, v[8:9], off
	s_mov_b32 s6, 0
	s_mov_b32 s7, exec_lo
	s_wait_loadcnt 0x0
	v_cmpx_lt_i16_e32 0x7f, v7
	s_xor_b32 s7, exec_lo, s7
	s_cbranch_execz .LBB85_2619
; %bb.2599:
	s_mov_b32 s6, -1
	s_mov_b32 s13, exec_lo
	v_cmpx_eq_u16_e32 0x80, v7
; %bb.2600:
	s_xor_b32 s6, exec_lo, -1
; %bb.2601:
	s_or_b32 exec_lo, exec_lo, s13
	s_delay_alu instid0(SALU_CYCLE_1)
	s_and_b32 s6, s6, exec_lo
	s_or_saveexec_b32 s7, s7
	v_mov_b32_e32 v5, 0x7e00
	s_xor_b32 exec_lo, exec_lo, s7
	s_cbranch_execnz .LBB85_2620
.LBB85_2602:
	s_or_b32 exec_lo, exec_lo, s7
	s_and_saveexec_b32 s7, s6
	s_cbranch_execz .LBB85_2604
.LBB85_2603:
	v_and_b32_e32 v5, 0xffff, v7
	s_delay_alu instid0(VALU_DEP_1) | instskip(SKIP_1) | instid1(VALU_DEP_2)
	v_and_b32_e32 v10, 7, v5
	v_bfe_u32 v14, v5, 3, 4
	v_clz_i32_u32_e32 v11, v10
	s_delay_alu instid0(VALU_DEP_2) | instskip(NEXT) | instid1(VALU_DEP_2)
	v_cmp_eq_u32_e32 vcc_lo, 0, v14
	v_min_u32_e32 v11, 32, v11
	s_delay_alu instid0(VALU_DEP_1) | instskip(NEXT) | instid1(VALU_DEP_1)
	v_subrev_nc_u32_e32 v13, 28, v11
	v_dual_lshlrev_b32 v5, v13, v5 :: v_dual_sub_nc_u32 v11, 29, v11
	s_delay_alu instid0(VALU_DEP_1) | instskip(NEXT) | instid1(VALU_DEP_1)
	v_dual_lshlrev_b32 v7, 24, v7 :: v_dual_bitop2_b32 v5, 7, v5 bitop3:0x40
	v_cndmask_b32_e32 v5, v10, v5, vcc_lo
	s_delay_alu instid0(VALU_DEP_3) | instskip(NEXT) | instid1(VALU_DEP_3)
	v_cndmask_b32_e32 v11, v14, v11, vcc_lo
	v_and_b32_e32 v7, 0x80000000, v7
	s_delay_alu instid0(VALU_DEP_3) | instskip(NEXT) | instid1(VALU_DEP_3)
	v_lshlrev_b32_e32 v5, 20, v5
	v_lshl_add_u32 v10, v11, 23, 0x3b800000
	s_delay_alu instid0(VALU_DEP_1) | instskip(NEXT) | instid1(VALU_DEP_1)
	v_or3_b32 v5, v7, v10, v5
	v_cvt_f16_f32_e32 v5, v5
.LBB85_2604:
	s_or_b32 exec_lo, exec_lo, s7
.LBB85_2605:
	s_mov_b32 s6, -1
.LBB85_2606:
	s_mov_b32 s7, 0
.LBB85_2607:
	s_delay_alu instid0(SALU_CYCLE_1)
	s_and_b32 vcc_lo, exec_lo, s7
	s_cbranch_vccz .LBB85_2640
; %bb.2608:
	s_cmp_gt_i32 s14, 22
	s_cbranch_scc0 .LBB85_2618
; %bb.2609:
	s_cmp_lt_i32 s14, 24
	s_cbranch_scc1 .LBB85_2621
; %bb.2610:
	s_cmp_gt_i32 s14, 24
	s_cbranch_scc0 .LBB85_2622
; %bb.2611:
	global_load_u8 v7, v[8:9], off
	s_mov_b32 s6, exec_lo
	s_wait_loadcnt 0x0
	v_cmpx_lt_i16_e32 0x7f, v7
	s_xor_b32 s6, exec_lo, s6
	s_cbranch_execz .LBB85_2634
; %bb.2612:
	s_mov_b32 s1, -1
	s_mov_b32 s7, exec_lo
	v_cmpx_eq_u16_e32 0x80, v7
; %bb.2613:
	s_xor_b32 s1, exec_lo, -1
; %bb.2614:
	s_or_b32 exec_lo, exec_lo, s7
	s_delay_alu instid0(SALU_CYCLE_1)
	s_and_b32 s1, s1, exec_lo
	s_or_saveexec_b32 s6, s6
	v_mov_b32_e32 v5, 0x7e00
	s_xor_b32 exec_lo, exec_lo, s6
	s_cbranch_execnz .LBB85_2635
.LBB85_2615:
	s_or_b32 exec_lo, exec_lo, s6
	s_and_saveexec_b32 s6, s1
	s_cbranch_execz .LBB85_2617
.LBB85_2616:
	v_and_b32_e32 v5, 0xffff, v7
	s_delay_alu instid0(VALU_DEP_1) | instskip(SKIP_1) | instid1(VALU_DEP_2)
	v_and_b32_e32 v10, 3, v5
	v_bfe_u32 v14, v5, 2, 5
	v_clz_i32_u32_e32 v11, v10
	s_delay_alu instid0(VALU_DEP_2) | instskip(NEXT) | instid1(VALU_DEP_2)
	v_cmp_eq_u32_e32 vcc_lo, 0, v14
	v_min_u32_e32 v11, 32, v11
	s_delay_alu instid0(VALU_DEP_1) | instskip(NEXT) | instid1(VALU_DEP_1)
	v_subrev_nc_u32_e32 v13, 29, v11
	v_dual_lshlrev_b32 v5, v13, v5 :: v_dual_sub_nc_u32 v11, 30, v11
	s_delay_alu instid0(VALU_DEP_1) | instskip(NEXT) | instid1(VALU_DEP_1)
	v_dual_lshlrev_b32 v7, 24, v7 :: v_dual_bitop2_b32 v5, 3, v5 bitop3:0x40
	v_cndmask_b32_e32 v5, v10, v5, vcc_lo
	s_delay_alu instid0(VALU_DEP_3) | instskip(NEXT) | instid1(VALU_DEP_3)
	v_cndmask_b32_e32 v11, v14, v11, vcc_lo
	v_and_b32_e32 v7, 0x80000000, v7
	s_delay_alu instid0(VALU_DEP_3) | instskip(NEXT) | instid1(VALU_DEP_3)
	v_lshlrev_b32_e32 v5, 21, v5
	v_lshl_add_u32 v10, v11, 23, 0x37800000
	s_delay_alu instid0(VALU_DEP_1) | instskip(NEXT) | instid1(VALU_DEP_1)
	v_or3_b32 v5, v7, v10, v5
	v_cvt_f16_f32_e32 v5, v5
.LBB85_2617:
	s_or_b32 exec_lo, exec_lo, s6
	s_mov_b32 s1, 0
	s_branch .LBB85_2623
.LBB85_2618:
	s_mov_b32 s1, -1
                                        ; implicit-def: $vgpr5
	s_branch .LBB85_2629
.LBB85_2619:
	s_or_saveexec_b32 s7, s7
	v_mov_b32_e32 v5, 0x7e00
	s_xor_b32 exec_lo, exec_lo, s7
	s_cbranch_execz .LBB85_2602
.LBB85_2620:
	v_cmp_ne_u16_e32 vcc_lo, 0, v7
	v_mov_b32_e32 v5, v7
	s_and_not1_b32 s6, s6, exec_lo
	s_and_b32 s13, vcc_lo, exec_lo
	s_delay_alu instid0(SALU_CYCLE_1)
	s_or_b32 s6, s6, s13
	s_or_b32 exec_lo, exec_lo, s7
	s_and_saveexec_b32 s7, s6
	s_cbranch_execnz .LBB85_2603
	s_branch .LBB85_2604
.LBB85_2621:
	s_mov_b32 s1, -1
                                        ; implicit-def: $vgpr5
	s_branch .LBB85_2626
.LBB85_2622:
	s_mov_b32 s1, -1
                                        ; implicit-def: $vgpr5
.LBB85_2623:
	s_delay_alu instid0(SALU_CYCLE_1)
	s_and_b32 vcc_lo, exec_lo, s1
	s_cbranch_vccz .LBB85_2625
; %bb.2624:
	global_load_u8 v5, v[8:9], off
	s_wait_loadcnt 0x0
	v_lshlrev_b32_e32 v5, 24, v5
	s_delay_alu instid0(VALU_DEP_1) | instskip(SKIP_1) | instid1(VALU_DEP_1)
	v_and_b32_e32 v7, 0x7f000000, v5
	s_wait_xcnt 0x1
	v_clz_i32_u32_e32 v10, v7
	v_add_nc_u32_e32 v13, 0x1000000, v7
	v_cmp_ne_u32_e32 vcc_lo, 0, v7
	s_delay_alu instid0(VALU_DEP_3) | instskip(NEXT) | instid1(VALU_DEP_1)
	v_min_u32_e32 v10, 32, v10
	v_sub_nc_u32_e64 v10, v10, 4 clamp
	s_delay_alu instid0(VALU_DEP_1) | instskip(NEXT) | instid1(VALU_DEP_1)
	v_dual_lshlrev_b32 v11, v10, v7 :: v_dual_lshlrev_b32 v10, 23, v10
	v_lshrrev_b32_e32 v11, 4, v11
	s_delay_alu instid0(VALU_DEP_1) | instskip(NEXT) | instid1(VALU_DEP_1)
	v_dual_sub_nc_u32 v10, v11, v10 :: v_dual_ashrrev_i32 v11, 8, v13
	v_add_nc_u32_e32 v10, 0x3c000000, v10
	s_delay_alu instid0(VALU_DEP_1) | instskip(NEXT) | instid1(VALU_DEP_1)
	v_and_or_b32 v10, 0x7f800000, v11, v10
	v_cndmask_b32_e32 v7, 0, v10, vcc_lo
	s_delay_alu instid0(VALU_DEP_1) | instskip(NEXT) | instid1(VALU_DEP_1)
	v_and_or_b32 v5, 0x80000000, v5, v7
	v_cvt_f16_f32_e32 v5, v5
.LBB85_2625:
	s_mov_b32 s1, 0
.LBB85_2626:
	s_delay_alu instid0(SALU_CYCLE_1)
	s_and_not1_b32 vcc_lo, exec_lo, s1
	s_cbranch_vccnz .LBB85_2628
; %bb.2627:
	global_load_u8 v5, v[8:9], off
	s_wait_loadcnt 0x0
	v_lshlrev_b32_e32 v7, 25, v5
	v_lshlrev_b16 v5, 8, v5
	s_wait_xcnt 0x1
	s_delay_alu instid0(VALU_DEP_1) | instskip(SKIP_1) | instid1(VALU_DEP_2)
	v_and_or_b32 v11, 0x7f00, v5, 0.5
	v_bfe_i32 v5, v5, 0, 16
	v_add_f32_e32 v11, -0.5, v11
	v_lshrrev_b32_e32 v10, 4, v7
	v_cmp_gt_u32_e32 vcc_lo, 0x8000000, v7
	s_delay_alu instid0(VALU_DEP_2) | instskip(NEXT) | instid1(VALU_DEP_1)
	v_or_b32_e32 v10, 0x70000000, v10
	v_mul_f32_e32 v10, 0x7800000, v10
	s_delay_alu instid0(VALU_DEP_1) | instskip(NEXT) | instid1(VALU_DEP_1)
	v_cndmask_b32_e32 v7, v10, v11, vcc_lo
	v_and_or_b32 v5, 0x80000000, v5, v7
	s_delay_alu instid0(VALU_DEP_1)
	v_cvt_f16_f32_e32 v5, v5
.LBB85_2628:
	s_mov_b32 s1, 0
	s_mov_b32 s6, -1
.LBB85_2629:
	s_and_not1_b32 vcc_lo, exec_lo, s1
	s_mov_b32 s1, 0
	s_cbranch_vccnz .LBB85_2640
; %bb.2630:
	s_cmp_gt_i32 s14, 14
	s_cbranch_scc0 .LBB85_2633
; %bb.2631:
	s_cmp_eq_u32 s14, 15
	s_cbranch_scc0 .LBB85_2636
; %bb.2632:
	global_load_u16 v5, v[8:9], off
	s_mov_b32 s0, 0
	s_mov_b32 s6, -1
	s_wait_loadcnt 0x0
	v_lshlrev_b32_e32 v5, 16, v5
	s_delay_alu instid0(VALU_DEP_1)
	v_cvt_f16_f32_e32 v5, v5
	s_branch .LBB85_2638
.LBB85_2633:
	s_mov_b32 s1, -1
	s_branch .LBB85_2637
.LBB85_2634:
	s_or_saveexec_b32 s6, s6
	v_mov_b32_e32 v5, 0x7e00
	s_xor_b32 exec_lo, exec_lo, s6
	s_cbranch_execz .LBB85_2615
.LBB85_2635:
	v_cmp_ne_u16_e32 vcc_lo, 0, v7
	v_mov_b32_e32 v5, v7
	s_and_not1_b32 s1, s1, exec_lo
	s_and_b32 s7, vcc_lo, exec_lo
	s_delay_alu instid0(SALU_CYCLE_1)
	s_or_b32 s1, s1, s7
	s_or_b32 exec_lo, exec_lo, s6
	s_and_saveexec_b32 s6, s1
	s_cbranch_execnz .LBB85_2616
	s_branch .LBB85_2617
.LBB85_2636:
	s_mov_b32 s0, -1
.LBB85_2637:
                                        ; implicit-def: $vgpr5
.LBB85_2638:
	s_and_b32 vcc_lo, exec_lo, s1
	s_mov_b32 s1, 0
	s_cbranch_vccz .LBB85_2640
; %bb.2639:
	s_cmp_lg_u32 s14, 11
	s_mov_b32 s1, -1
	s_cselect_b32 s0, -1, 0
.LBB85_2640:
	s_delay_alu instid0(SALU_CYCLE_1)
	s_and_b32 vcc_lo, exec_lo, s0
	s_cbranch_vccnz .LBB85_3176
; %bb.2641:
	s_and_not1_b32 vcc_lo, exec_lo, s1
	s_cbranch_vccnz .LBB85_2643
.LBB85_2642:
	global_load_u8 v5, v[8:9], off
	s_mov_b32 s6, -1
	s_wait_loadcnt 0x0
	v_cmp_ne_u16_e32 vcc_lo, 0, v5
	v_cndmask_b32_e64 v5, 0, 0x3c00, vcc_lo
.LBB85_2643:
	s_mov_b32 s0, 0
.LBB85_2644:
	s_delay_alu instid0(SALU_CYCLE_1)
	s_and_b32 vcc_lo, exec_lo, s0
	s_cbranch_vccz .LBB85_2693
; %bb.2645:
	s_cmp_lt_i32 s14, 5
	s_cbranch_scc1 .LBB85_2650
; %bb.2646:
	s_cmp_lt_i32 s14, 8
	s_cbranch_scc1 .LBB85_2651
	;; [unrolled: 3-line block ×3, first 2 shown]
; %bb.2648:
	s_cmp_gt_i32 s14, 9
	s_cbranch_scc0 .LBB85_2653
; %bb.2649:
	global_load_b64 v[10:11], v[8:9], off
	s_mov_b32 s0, 0
	s_wait_loadcnt 0x0
	v_and_or_b32 v5, 0x1ff, v11, v10
	v_lshrrev_b32_e32 v7, 8, v11
	v_bfe_u32 v10, v11, 20, 11
	s_delay_alu instid0(VALU_DEP_3) | instskip(NEXT) | instid1(VALU_DEP_2)
	v_cmp_ne_u32_e32 vcc_lo, 0, v5
	v_sub_nc_u32_e32 v13, 0x3f1, v10
	v_add_nc_u32_e32 v10, 0xfffffc10, v10
	v_cndmask_b32_e64 v5, 0, 1, vcc_lo
	s_delay_alu instid0(VALU_DEP_1) | instskip(NEXT) | instid1(VALU_DEP_4)
	v_and_or_b32 v5, 0xffe, v7, v5
	v_med3_i32 v7, v13, 0, 13
	s_delay_alu instid0(VALU_DEP_2) | instskip(NEXT) | instid1(VALU_DEP_1)
	v_or_b32_e32 v13, 0x1000, v5
	v_lshrrev_b32_e32 v14, v7, v13
	s_delay_alu instid0(VALU_DEP_1) | instskip(NEXT) | instid1(VALU_DEP_1)
	v_lshlrev_b32_e32 v7, v7, v14
	v_cmp_ne_u32_e32 vcc_lo, v7, v13
	v_lshl_or_b32 v13, v10, 12, v5
	v_cndmask_b32_e64 v7, 0, 1, vcc_lo
	v_cmp_gt_i32_e32 vcc_lo, 1, v10
	s_delay_alu instid0(VALU_DEP_2) | instskip(NEXT) | instid1(VALU_DEP_1)
	v_or_b32_e32 v7, v14, v7
	v_cndmask_b32_e32 v7, v13, v7, vcc_lo
	s_delay_alu instid0(VALU_DEP_1) | instskip(NEXT) | instid1(VALU_DEP_1)
	v_dual_lshrrev_b32 v7, 2, v7 :: v_dual_bitop2_b32 v13, 7, v7 bitop3:0x40
	v_cmp_lt_i32_e32 vcc_lo, 5, v13
	v_cndmask_b32_e64 v14, 0, 1, vcc_lo
	v_cmp_eq_u32_e32 vcc_lo, 3, v13
	v_cndmask_b32_e64 v13, 0, 1, vcc_lo
	v_cmp_ne_u32_e32 vcc_lo, 0, v5
	s_delay_alu instid0(VALU_DEP_2) | instskip(NEXT) | instid1(VALU_DEP_1)
	v_or_b32_e32 v13, v13, v14
	v_dual_mov_b32 v14, 0x7e00 :: v_dual_add_nc_u32 v7, v7, v13
	s_delay_alu instid0(VALU_DEP_1) | instskip(SKIP_1) | instid1(VALU_DEP_3)
	v_cndmask_b32_e32 v5, 0x7c00, v14, vcc_lo
	v_cmp_gt_i32_e32 vcc_lo, 31, v10
	v_cndmask_b32_e32 v7, 0x7c00, v7, vcc_lo
	v_cmp_eq_u32_e32 vcc_lo, 0x40f, v10
	s_delay_alu instid0(VALU_DEP_2) | instskip(NEXT) | instid1(VALU_DEP_1)
	v_dual_cndmask_b32 v5, v7, v5, vcc_lo :: v_dual_lshrrev_b32 v7, 16, v11
	v_and_or_b32 v5, 0x8000, v7, v5
	s_branch .LBB85_2654
.LBB85_2650:
	s_mov_b32 s0, -1
                                        ; implicit-def: $vgpr5
	s_branch .LBB85_2672
.LBB85_2651:
	s_mov_b32 s0, -1
                                        ; implicit-def: $vgpr5
	s_branch .LBB85_2660
.LBB85_2652:
	s_mov_b32 s0, -1
                                        ; implicit-def: $vgpr5
	s_branch .LBB85_2657
.LBB85_2653:
	s_mov_b32 s0, -1
                                        ; implicit-def: $vgpr5
.LBB85_2654:
	s_delay_alu instid0(SALU_CYCLE_1)
	s_and_not1_b32 vcc_lo, exec_lo, s0
	s_cbranch_vccnz .LBB85_2656
; %bb.2655:
	global_load_b32 v5, v[8:9], off
	s_wait_loadcnt 0x0
	v_cvt_f16_f32_e32 v5, v5
.LBB85_2656:
	s_mov_b32 s0, 0
.LBB85_2657:
	s_delay_alu instid0(SALU_CYCLE_1)
	s_and_not1_b32 vcc_lo, exec_lo, s0
	s_cbranch_vccnz .LBB85_2659
; %bb.2658:
	global_load_b32 v5, v[8:9], off
.LBB85_2659:
	s_mov_b32 s0, 0
.LBB85_2660:
	s_delay_alu instid0(SALU_CYCLE_1)
	s_and_not1_b32 vcc_lo, exec_lo, s0
	s_cbranch_vccnz .LBB85_2671
; %bb.2661:
	s_cmp_lt_i32 s14, 6
	s_cbranch_scc1 .LBB85_2664
; %bb.2662:
	s_cmp_gt_i32 s14, 6
	s_cbranch_scc0 .LBB85_2665
; %bb.2663:
	global_load_b64 v[10:11], v[8:9], off
	s_mov_b32 s0, 0
	s_wait_loadcnt 0x0
	v_and_or_b32 v5, 0x1ff, v11, v10
	v_lshrrev_b32_e32 v7, 8, v11
	v_bfe_u32 v10, v11, 20, 11
	s_delay_alu instid0(VALU_DEP_3) | instskip(NEXT) | instid1(VALU_DEP_2)
	v_cmp_ne_u32_e32 vcc_lo, 0, v5
	v_sub_nc_u32_e32 v13, 0x3f1, v10
	v_add_nc_u32_e32 v10, 0xfffffc10, v10
	v_cndmask_b32_e64 v5, 0, 1, vcc_lo
	s_delay_alu instid0(VALU_DEP_1) | instskip(NEXT) | instid1(VALU_DEP_4)
	v_and_or_b32 v5, 0xffe, v7, v5
	v_med3_i32 v7, v13, 0, 13
	s_delay_alu instid0(VALU_DEP_2) | instskip(NEXT) | instid1(VALU_DEP_1)
	v_or_b32_e32 v13, 0x1000, v5
	v_lshrrev_b32_e32 v14, v7, v13
	s_delay_alu instid0(VALU_DEP_1) | instskip(NEXT) | instid1(VALU_DEP_1)
	v_lshlrev_b32_e32 v7, v7, v14
	v_cmp_ne_u32_e32 vcc_lo, v7, v13
	v_lshl_or_b32 v13, v10, 12, v5
	v_cndmask_b32_e64 v7, 0, 1, vcc_lo
	v_cmp_gt_i32_e32 vcc_lo, 1, v10
	s_delay_alu instid0(VALU_DEP_2) | instskip(NEXT) | instid1(VALU_DEP_1)
	v_or_b32_e32 v7, v14, v7
	v_cndmask_b32_e32 v7, v13, v7, vcc_lo
	s_delay_alu instid0(VALU_DEP_1) | instskip(NEXT) | instid1(VALU_DEP_1)
	v_dual_lshrrev_b32 v7, 2, v7 :: v_dual_bitop2_b32 v13, 7, v7 bitop3:0x40
	v_cmp_lt_i32_e32 vcc_lo, 5, v13
	v_cndmask_b32_e64 v14, 0, 1, vcc_lo
	v_cmp_eq_u32_e32 vcc_lo, 3, v13
	v_cndmask_b32_e64 v13, 0, 1, vcc_lo
	v_cmp_ne_u32_e32 vcc_lo, 0, v5
	s_delay_alu instid0(VALU_DEP_2) | instskip(NEXT) | instid1(VALU_DEP_1)
	v_or_b32_e32 v13, v13, v14
	v_dual_mov_b32 v14, 0x7e00 :: v_dual_add_nc_u32 v7, v7, v13
	s_delay_alu instid0(VALU_DEP_1) | instskip(SKIP_1) | instid1(VALU_DEP_3)
	v_cndmask_b32_e32 v5, 0x7c00, v14, vcc_lo
	v_cmp_gt_i32_e32 vcc_lo, 31, v10
	v_cndmask_b32_e32 v7, 0x7c00, v7, vcc_lo
	v_cmp_eq_u32_e32 vcc_lo, 0x40f, v10
	s_delay_alu instid0(VALU_DEP_2) | instskip(NEXT) | instid1(VALU_DEP_1)
	v_dual_cndmask_b32 v5, v7, v5, vcc_lo :: v_dual_lshrrev_b32 v7, 16, v11
	v_and_or_b32 v5, 0x8000, v7, v5
	s_branch .LBB85_2666
.LBB85_2664:
	s_mov_b32 s0, -1
                                        ; implicit-def: $vgpr5
	s_branch .LBB85_2669
.LBB85_2665:
	s_mov_b32 s0, -1
                                        ; implicit-def: $vgpr5
.LBB85_2666:
	s_delay_alu instid0(SALU_CYCLE_1)
	s_and_not1_b32 vcc_lo, exec_lo, s0
	s_cbranch_vccnz .LBB85_2668
; %bb.2667:
	s_wait_loadcnt 0x0
	global_load_b32 v5, v[8:9], off
	s_wait_loadcnt 0x0
	v_cvt_f16_f32_e32 v5, v5
.LBB85_2668:
	s_mov_b32 s0, 0
.LBB85_2669:
	s_delay_alu instid0(SALU_CYCLE_1)
	s_and_not1_b32 vcc_lo, exec_lo, s0
	s_cbranch_vccnz .LBB85_2671
; %bb.2670:
	s_wait_loadcnt 0x0
	global_load_u16 v5, v[8:9], off
.LBB85_2671:
	s_mov_b32 s0, 0
.LBB85_2672:
	s_delay_alu instid0(SALU_CYCLE_1)
	s_and_not1_b32 vcc_lo, exec_lo, s0
	s_cbranch_vccnz .LBB85_2692
; %bb.2673:
	s_cmp_lt_i32 s14, 2
	s_cbranch_scc1 .LBB85_2677
; %bb.2674:
	s_cmp_lt_i32 s14, 3
	s_cbranch_scc1 .LBB85_2678
; %bb.2675:
	s_cmp_gt_i32 s14, 3
	s_cbranch_scc0 .LBB85_2679
; %bb.2676:
	global_load_b64 v[10:11], v[8:9], off
	s_mov_b32 s0, 0
	s_wait_loadcnt 0x0
	v_xor_b32_e32 v5, v10, v11
	v_cls_i32_e32 v7, v11
	s_delay_alu instid0(VALU_DEP_2) | instskip(NEXT) | instid1(VALU_DEP_1)
	v_ashrrev_i32_e32 v5, 31, v5
	v_add_nc_u32_e32 v5, 32, v5
	s_delay_alu instid0(VALU_DEP_1) | instskip(NEXT) | instid1(VALU_DEP_1)
	v_add_min_u32_e64 v5, v7, -1, v5
	v_lshlrev_b64_e32 v[10:11], v5, v[10:11]
	v_sub_nc_u32_e32 v5, 32, v5
	s_delay_alu instid0(VALU_DEP_2) | instskip(NEXT) | instid1(VALU_DEP_1)
	v_min_u32_e32 v7, 1, v10
	v_or_b32_e32 v7, v11, v7
	s_delay_alu instid0(VALU_DEP_1) | instskip(NEXT) | instid1(VALU_DEP_1)
	v_cvt_f32_i32_e32 v7, v7
	v_ldexp_f32 v5, v7, v5
	s_delay_alu instid0(VALU_DEP_1)
	v_cvt_f16_f32_e32 v5, v5
	s_branch .LBB85_2680
.LBB85_2677:
	s_mov_b32 s0, -1
                                        ; implicit-def: $vgpr5
	s_branch .LBB85_2686
.LBB85_2678:
	s_mov_b32 s0, -1
                                        ; implicit-def: $vgpr5
	s_branch .LBB85_2683
.LBB85_2679:
	s_mov_b32 s0, -1
                                        ; implicit-def: $vgpr5
.LBB85_2680:
	s_delay_alu instid0(SALU_CYCLE_1)
	s_and_not1_b32 vcc_lo, exec_lo, s0
	s_cbranch_vccnz .LBB85_2682
; %bb.2681:
	s_wait_loadcnt 0x0
	global_load_b32 v5, v[8:9], off
	s_wait_loadcnt 0x0
	v_cvt_f32_i32_e32 v5, v5
	s_delay_alu instid0(VALU_DEP_1)
	v_cvt_f16_f32_e32 v5, v5
.LBB85_2682:
	s_mov_b32 s0, 0
.LBB85_2683:
	s_delay_alu instid0(SALU_CYCLE_1)
	s_and_not1_b32 vcc_lo, exec_lo, s0
	s_cbranch_vccnz .LBB85_2685
; %bb.2684:
	s_wait_loadcnt 0x0
	global_load_u16 v5, v[8:9], off
	s_wait_loadcnt 0x0
	v_cvt_f16_i16_e32 v5, v5
.LBB85_2685:
	s_mov_b32 s0, 0
.LBB85_2686:
	s_delay_alu instid0(SALU_CYCLE_1)
	s_and_not1_b32 vcc_lo, exec_lo, s0
	s_cbranch_vccnz .LBB85_2692
; %bb.2687:
	s_cmp_gt_i32 s14, 0
	s_mov_b32 s0, 0
	s_cbranch_scc0 .LBB85_2689
; %bb.2688:
	s_wait_loadcnt 0x0
	global_load_i8 v5, v[8:9], off
	s_wait_loadcnt 0x0
	v_cvt_f16_i16_e32 v5, v5
	s_branch .LBB85_2690
.LBB85_2689:
	s_mov_b32 s0, -1
                                        ; implicit-def: $vgpr5
.LBB85_2690:
	s_delay_alu instid0(SALU_CYCLE_1)
	s_and_not1_b32 vcc_lo, exec_lo, s0
	s_cbranch_vccnz .LBB85_2692
; %bb.2691:
	s_wait_loadcnt 0x0
	global_load_u8 v5, v[8:9], off
	s_wait_loadcnt 0x0
	v_cvt_f16_u16_e32 v5, v5
.LBB85_2692:
	s_mov_b32 s6, -1
.LBB85_2693:
	s_delay_alu instid0(SALU_CYCLE_1)
	s_and_not1_b32 vcc_lo, exec_lo, s6
	s_cbranch_vccnz .LBB85_2774
; %bb.2694:
	s_wait_loadcnt 0x0
	v_cvt_f32_f16_e32 v5, v5
	s_mov_b32 s0, exec_lo
	s_delay_alu instid0(VALU_DEP_1) | instskip(SKIP_1) | instid1(VALU_DEP_1)
	v_mul_f32_e32 v5, s8, v5
	s_wait_xcnt 0x0
	v_cmpx_nlt_f32_e32 s9, v5
	s_cbranch_execz .LBB85_2696
; %bb.2695:
	v_mul_f32_e32 v7, 0x3fb8aa3b, v5
	v_cmp_ngt_f32_e32 vcc_lo, 0xc2ce8ed0, v5
	s_delay_alu instid0(VALU_DEP_2) | instskip(SKIP_1) | instid1(VALU_DEP_2)
	v_rndne_f32_e32 v8, v7
	v_fma_f32 v9, 0x3fb8aa3b, v5, -v7
	v_sub_f32_e32 v7, v7, v8
	s_delay_alu instid0(VALU_DEP_2) | instskip(SKIP_1) | instid1(VALU_DEP_2)
	v_fmamk_f32 v9, v5, 0x32a5705f, v9
	v_cvt_i32_f32_e32 v8, v8
	v_add_f32_e32 v7, v7, v9
	s_delay_alu instid0(VALU_DEP_1) | instskip(SKIP_1) | instid1(TRANS32_DEP_1)
	v_exp_f32_e32 v7, v7
	v_nop
	v_ldexp_f32 v7, v7, v8
	v_cvt_f32_f16_e32 v8, v12
	s_delay_alu instid0(VALU_DEP_2) | instskip(SKIP_1) | instid1(VALU_DEP_2)
	v_cndmask_b32_e32 v7, 0, v7, vcc_lo
	v_cmp_nlt_f32_e32 vcc_lo, 0x42b17218, v5
	v_cndmask_b32_e32 v5, 0x7f800000, v7, vcc_lo
	s_delay_alu instid0(VALU_DEP_1) | instskip(NEXT) | instid1(VALU_DEP_1)
	v_dual_mul_f32 v7, v5, v8 :: v_dual_add_f32 v5, 1.0, v5
	v_div_scale_f32 v8, null, v5, v5, v7
	s_delay_alu instid0(VALU_DEP_1) | instskip(SKIP_1) | instid1(TRANS32_DEP_1)
	v_rcp_f32_e32 v9, v8
	v_nop
	v_fma_f32 v10, -v8, v9, 1.0
	s_delay_alu instid0(VALU_DEP_1) | instskip(SKIP_1) | instid1(VALU_DEP_1)
	v_fmac_f32_e32 v9, v10, v9
	v_div_scale_f32 v10, vcc_lo, v7, v5, v7
	v_mul_f32_e32 v11, v10, v9
	s_delay_alu instid0(VALU_DEP_1) | instskip(NEXT) | instid1(VALU_DEP_1)
	v_fma_f32 v12, -v8, v11, v10
	v_fmac_f32_e32 v11, v12, v9
	s_delay_alu instid0(VALU_DEP_1) | instskip(NEXT) | instid1(VALU_DEP_1)
	v_fma_f32 v8, -v8, v11, v10
	v_div_fmas_f32 v8, v8, v9, v11
	s_delay_alu instid0(VALU_DEP_1) | instskip(NEXT) | instid1(VALU_DEP_1)
	v_div_fixup_f32 v5, v8, v5, v7
	v_cvt_f16_f32_e32 v12, v5
.LBB85_2696:
	s_or_b32 exec_lo, exec_lo, s0
	s_load_b32 s0, s[2:3], 0x1a8
	v_mov_b32_e32 v7, 0
	s_delay_alu instid0(VALU_DEP_1) | instskip(SKIP_2) | instid1(SALU_CYCLE_1)
	v_add_nc_u64_e32 v[6:7], s[4:5], v[6:7]
	s_wait_kmcnt 0x0
	s_and_b32 s1, s0, 0xff
	s_cmp_lt_i32 s1, 11
	s_cbranch_scc1 .LBB85_2819
; %bb.2697:
	s_and_b32 s2, 0xffff, s1
	s_mov_b32 s7, -1
	s_mov_b32 s3, 0
	s_cmp_gt_i32 s2, 25
	s_mov_b32 s6, 0
	s_mov_b32 s0, 0
	s_cbranch_scc0 .LBB85_2730
; %bb.2698:
	s_cmp_gt_i32 s2, 28
	s_cbranch_scc0 .LBB85_2713
; %bb.2699:
	s_cmp_gt_i32 s2, 43
	s_cbranch_scc0 .LBB85_2709
; %bb.2700:
	s_cmp_gt_i32 s2, 45
	s_cbranch_scc0 .LBB85_2703
; %bb.2701:
	s_mov_b32 s0, -1
	s_mov_b32 s7, 0
	s_cmp_eq_u32 s2, 46
	s_cbranch_scc0 .LBB85_2703
; %bb.2702:
	v_cvt_f32_f16_e32 v5, v1
	v_cmp_o_f16_e32 vcc_lo, v1, v1
	s_mov_b32 s0, 0
	s_mov_b32 s6, -1
	s_delay_alu instid0(VALU_DEP_2) | instskip(NEXT) | instid1(VALU_DEP_1)
	v_bfe_u32 v8, v5, 16, 1
	v_add3_u32 v5, v5, v8, 0x7fff
	s_delay_alu instid0(VALU_DEP_1) | instskip(NEXT) | instid1(VALU_DEP_1)
	v_lshrrev_b32_e32 v5, 16, v5
	v_cndmask_b32_e32 v5, 0x7fc0, v5, vcc_lo
	global_store_b32 v[6:7], v5, off
.LBB85_2703:
	s_and_b32 vcc_lo, exec_lo, s7
	s_cbranch_vccz .LBB85_2708
; %bb.2704:
	s_cmp_eq_u32 s2, 44
	s_mov_b32 s0, -1
	s_cbranch_scc0 .LBB85_2708
; %bb.2705:
	s_wait_xcnt 0x0
	v_cvt_f32_f16_e32 v5, v1
	v_mov_b32_e32 v8, 0xff
	s_mov_b32 s6, exec_lo
	s_delay_alu instid0(VALU_DEP_2) | instskip(NEXT) | instid1(VALU_DEP_1)
	v_bfe_u32 v9, v5, 23, 8
	v_cmpx_ne_u32_e32 0xff, v9
	s_cbranch_execz .LBB85_2707
; %bb.2706:
	v_and_b32_e32 v8, 0x400000, v5
	v_and_or_b32 v9, 0x3fffff, v5, v9
	v_lshrrev_b32_e32 v5, 23, v5
	s_delay_alu instid0(VALU_DEP_3) | instskip(NEXT) | instid1(VALU_DEP_3)
	v_cmp_ne_u32_e32 vcc_lo, 0, v8
	v_cmp_ne_u32_e64 s0, 0, v9
	s_and_b32 s0, vcc_lo, s0
	s_delay_alu instid0(SALU_CYCLE_1) | instskip(NEXT) | instid1(VALU_DEP_1)
	v_cndmask_b32_e64 v8, 0, 1, s0
	v_add_nc_u32_e32 v8, v5, v8
.LBB85_2707:
	s_or_b32 exec_lo, exec_lo, s6
	s_mov_b32 s0, 0
	s_mov_b32 s6, -1
	global_store_b8 v[6:7], v8, off
.LBB85_2708:
	s_mov_b32 s7, 0
.LBB85_2709:
	s_delay_alu instid0(SALU_CYCLE_1)
	s_and_b32 vcc_lo, exec_lo, s7
	s_cbranch_vccz .LBB85_2712
; %bb.2710:
	s_cmp_eq_u32 s2, 29
	s_mov_b32 s0, -1
	s_cbranch_scc0 .LBB85_2712
; %bb.2711:
	s_wait_xcnt 0x0
	v_cvt_f32_f16_e32 v5, v1
	v_mov_b32_e32 v9, 0
	s_mov_b32 s0, 0
	s_mov_b32 s6, -1
	s_delay_alu instid0(VALU_DEP_2)
	v_cvt_u32_f32_e32 v8, v5
	global_store_b64 v[6:7], v[8:9], off
.LBB85_2712:
	s_mov_b32 s7, 0
.LBB85_2713:
	s_delay_alu instid0(SALU_CYCLE_1)
	s_and_b32 vcc_lo, exec_lo, s7
	s_cbranch_vccz .LBB85_2729
; %bb.2714:
	s_cmp_lt_i32 s2, 27
	s_mov_b32 s6, -1
	s_cbranch_scc1 .LBB85_2720
; %bb.2715:
	s_cmp_gt_i32 s2, 27
	s_cbranch_scc0 .LBB85_2717
; %bb.2716:
	s_wait_xcnt 0x0
	v_cvt_f32_f16_e32 v5, v1
	s_mov_b32 s6, 0
	s_delay_alu instid0(VALU_DEP_1)
	v_cvt_u32_f32_e32 v5, v5
	global_store_b32 v[6:7], v5, off
.LBB85_2717:
	s_and_not1_b32 vcc_lo, exec_lo, s6
	s_cbranch_vccnz .LBB85_2719
; %bb.2718:
	s_wait_xcnt 0x0
	v_cvt_u16_f16_e32 v5, v1
	global_store_b16 v[6:7], v5, off
.LBB85_2719:
	s_mov_b32 s6, 0
.LBB85_2720:
	s_delay_alu instid0(SALU_CYCLE_1)
	s_and_not1_b32 vcc_lo, exec_lo, s6
	s_cbranch_vccnz .LBB85_2728
; %bb.2721:
	s_wait_xcnt 0x0
	v_cvt_f32_f16_e32 v5, v1
	v_mov_b32_e32 v9, 0x80
	s_mov_b32 s6, exec_lo
	s_delay_alu instid0(VALU_DEP_2) | instskip(NEXT) | instid1(VALU_DEP_1)
	v_and_b32_e32 v8, 0x7fffffff, v5
	v_cmpx_gt_u32_e32 0x43800000, v8
	s_cbranch_execz .LBB85_2727
; %bb.2722:
	v_cmp_lt_u32_e32 vcc_lo, 0x3bffffff, v8
	s_mov_b32 s7, 0
                                        ; implicit-def: $vgpr8
	s_and_saveexec_b32 s8, vcc_lo
	s_delay_alu instid0(SALU_CYCLE_1)
	s_xor_b32 s8, exec_lo, s8
	s_cbranch_execz .LBB85_3177
; %bb.2723:
	v_bfe_u32 v8, v5, 20, 1
	s_mov_b32 s7, exec_lo
	s_delay_alu instid0(VALU_DEP_1) | instskip(NEXT) | instid1(VALU_DEP_1)
	v_add3_u32 v8, v5, v8, 0x487ffff
	v_lshrrev_b32_e32 v8, 20, v8
	s_and_not1_saveexec_b32 s8, s8
	s_cbranch_execnz .LBB85_3178
.LBB85_2724:
	s_or_b32 exec_lo, exec_lo, s8
	v_mov_b32_e32 v9, 0
	s_and_saveexec_b32 s8, s7
.LBB85_2725:
	v_lshrrev_b32_e32 v5, 24, v5
	s_delay_alu instid0(VALU_DEP_1)
	v_and_or_b32 v9, 0x80, v5, v8
.LBB85_2726:
	s_or_b32 exec_lo, exec_lo, s8
.LBB85_2727:
	s_delay_alu instid0(SALU_CYCLE_1)
	s_or_b32 exec_lo, exec_lo, s6
	global_store_b8 v[6:7], v9, off
.LBB85_2728:
	s_mov_b32 s6, -1
.LBB85_2729:
	s_mov_b32 s7, 0
.LBB85_2730:
	s_delay_alu instid0(SALU_CYCLE_1)
	s_and_b32 vcc_lo, exec_lo, s7
	s_cbranch_vccz .LBB85_2770
; %bb.2731:
	s_cmp_gt_i32 s2, 22
	s_mov_b32 s3, -1
	s_cbranch_scc0 .LBB85_2763
; %bb.2732:
	s_cmp_lt_i32 s2, 24
	s_cbranch_scc1 .LBB85_2752
; %bb.2733:
	s_cmp_gt_i32 s2, 24
	s_cbranch_scc0 .LBB85_2741
; %bb.2734:
	s_wait_xcnt 0x0
	v_cvt_f32_f16_e32 v5, v1
	v_mov_b32_e32 v9, 0x80
	s_mov_b32 s3, exec_lo
	s_delay_alu instid0(VALU_DEP_2) | instskip(NEXT) | instid1(VALU_DEP_1)
	v_and_b32_e32 v8, 0x7fffffff, v5
	v_cmpx_gt_u32_e32 0x47800000, v8
	s_cbranch_execz .LBB85_2740
; %bb.2735:
	v_cmp_lt_u32_e32 vcc_lo, 0x37ffffff, v8
	s_mov_b32 s6, 0
                                        ; implicit-def: $vgpr8
	s_and_saveexec_b32 s7, vcc_lo
	s_delay_alu instid0(SALU_CYCLE_1)
	s_xor_b32 s7, exec_lo, s7
	s_cbranch_execz .LBB85_3180
; %bb.2736:
	v_bfe_u32 v8, v5, 21, 1
	s_mov_b32 s6, exec_lo
	s_delay_alu instid0(VALU_DEP_1) | instskip(NEXT) | instid1(VALU_DEP_1)
	v_add3_u32 v8, v5, v8, 0x88fffff
	v_lshrrev_b32_e32 v8, 21, v8
	s_and_not1_saveexec_b32 s7, s7
	s_cbranch_execnz .LBB85_3181
.LBB85_2737:
	s_or_b32 exec_lo, exec_lo, s7
	v_mov_b32_e32 v9, 0
	s_and_saveexec_b32 s7, s6
.LBB85_2738:
	v_lshrrev_b32_e32 v5, 24, v5
	s_delay_alu instid0(VALU_DEP_1)
	v_and_or_b32 v9, 0x80, v5, v8
.LBB85_2739:
	s_or_b32 exec_lo, exec_lo, s7
.LBB85_2740:
	s_delay_alu instid0(SALU_CYCLE_1)
	s_or_b32 exec_lo, exec_lo, s3
	s_mov_b32 s3, 0
	global_store_b8 v[6:7], v9, off
.LBB85_2741:
	s_and_b32 vcc_lo, exec_lo, s3
	s_cbranch_vccz .LBB85_2751
; %bb.2742:
	s_wait_xcnt 0x0
	v_cvt_f32_f16_e32 v5, v1
	s_mov_b32 s3, exec_lo
                                        ; implicit-def: $vgpr8
	s_delay_alu instid0(VALU_DEP_1) | instskip(NEXT) | instid1(VALU_DEP_1)
	v_and_b32_e32 v9, 0x7fffffff, v5
	v_cmpx_gt_u32_e32 0x43f00000, v9
	s_xor_b32 s3, exec_lo, s3
	s_cbranch_execz .LBB85_2748
; %bb.2743:
	s_mov_b32 s6, exec_lo
                                        ; implicit-def: $vgpr8
	v_cmpx_lt_u32_e32 0x3c7fffff, v9
	s_xor_b32 s6, exec_lo, s6
; %bb.2744:
	v_bfe_u32 v8, v5, 20, 1
	s_delay_alu instid0(VALU_DEP_1) | instskip(NEXT) | instid1(VALU_DEP_1)
	v_add3_u32 v8, v5, v8, 0x407ffff
	v_and_b32_e32 v9, 0xff00000, v8
	v_lshrrev_b32_e32 v8, 20, v8
	s_delay_alu instid0(VALU_DEP_2) | instskip(NEXT) | instid1(VALU_DEP_2)
	v_cmp_ne_u32_e32 vcc_lo, 0x7f00000, v9
	v_cndmask_b32_e32 v8, 0x7e, v8, vcc_lo
; %bb.2745:
	s_and_not1_saveexec_b32 s6, s6
; %bb.2746:
	v_add_f32_e64 v8, 0x46800000, |v5|
; %bb.2747:
	s_or_b32 exec_lo, exec_lo, s6
                                        ; implicit-def: $vgpr9
.LBB85_2748:
	s_and_not1_saveexec_b32 s3, s3
; %bb.2749:
	v_mov_b32_e32 v8, 0x7f
	v_cmp_lt_u32_e32 vcc_lo, 0x7f800000, v9
	s_delay_alu instid0(VALU_DEP_2)
	v_cndmask_b32_e32 v8, 0x7e, v8, vcc_lo
; %bb.2750:
	s_or_b32 exec_lo, exec_lo, s3
	v_lshrrev_b32_e32 v5, 24, v5
	s_delay_alu instid0(VALU_DEP_1)
	v_and_or_b32 v5, 0x80, v5, v8
	global_store_b8 v[6:7], v5, off
.LBB85_2751:
	s_mov_b32 s3, 0
.LBB85_2752:
	s_delay_alu instid0(SALU_CYCLE_1)
	s_and_not1_b32 vcc_lo, exec_lo, s3
	s_cbranch_vccnz .LBB85_2762
; %bb.2753:
	s_wait_xcnt 0x0
	v_cvt_f32_f16_e32 v5, v1
	s_mov_b32 s3, exec_lo
                                        ; implicit-def: $vgpr8
	s_delay_alu instid0(VALU_DEP_1) | instskip(NEXT) | instid1(VALU_DEP_1)
	v_and_b32_e32 v9, 0x7fffffff, v5
	v_cmpx_gt_u32_e32 0x47800000, v9
	s_xor_b32 s3, exec_lo, s3
	s_cbranch_execz .LBB85_2759
; %bb.2754:
	s_mov_b32 s6, exec_lo
                                        ; implicit-def: $vgpr8
	v_cmpx_lt_u32_e32 0x387fffff, v9
	s_xor_b32 s6, exec_lo, s6
; %bb.2755:
	v_bfe_u32 v8, v5, 21, 1
	s_delay_alu instid0(VALU_DEP_1) | instskip(NEXT) | instid1(VALU_DEP_1)
	v_add3_u32 v8, v5, v8, 0x80fffff
	v_lshrrev_b32_e32 v8, 21, v8
; %bb.2756:
	s_and_not1_saveexec_b32 s6, s6
; %bb.2757:
	v_add_f32_e64 v8, 0x43000000, |v5|
; %bb.2758:
	s_or_b32 exec_lo, exec_lo, s6
                                        ; implicit-def: $vgpr9
.LBB85_2759:
	s_and_not1_saveexec_b32 s3, s3
; %bb.2760:
	v_mov_b32_e32 v8, 0x7f
	v_cmp_lt_u32_e32 vcc_lo, 0x7f800000, v9
	s_delay_alu instid0(VALU_DEP_2)
	v_cndmask_b32_e32 v8, 0x7c, v8, vcc_lo
; %bb.2761:
	s_or_b32 exec_lo, exec_lo, s3
	v_lshrrev_b32_e32 v5, 24, v5
	s_delay_alu instid0(VALU_DEP_1)
	v_and_or_b32 v5, 0x80, v5, v8
	global_store_b8 v[6:7], v5, off
.LBB85_2762:
	s_mov_b32 s3, 0
	s_mov_b32 s6, -1
.LBB85_2763:
	s_and_not1_b32 vcc_lo, exec_lo, s3
	s_mov_b32 s3, 0
	s_cbranch_vccnz .LBB85_2770
; %bb.2764:
	s_cmp_gt_i32 s2, 14
	s_mov_b32 s3, -1
	s_cbranch_scc0 .LBB85_2768
; %bb.2765:
	s_cmp_eq_u32 s2, 15
	s_mov_b32 s0, -1
	s_cbranch_scc0 .LBB85_2767
; %bb.2766:
	s_wait_xcnt 0x0
	v_cvt_f32_f16_e32 v5, v1
	v_cmp_o_f16_e32 vcc_lo, v1, v1
	s_mov_b32 s0, 0
	s_mov_b32 s6, -1
	s_delay_alu instid0(VALU_DEP_2) | instskip(NEXT) | instid1(VALU_DEP_1)
	v_bfe_u32 v8, v5, 16, 1
	v_add3_u32 v5, v5, v8, 0x7fff
	s_delay_alu instid0(VALU_DEP_1) | instskip(NEXT) | instid1(VALU_DEP_1)
	v_lshrrev_b32_e32 v5, 16, v5
	v_cndmask_b32_e32 v5, 0x7fc0, v5, vcc_lo
	global_store_b16 v[6:7], v5, off
.LBB85_2767:
	s_mov_b32 s3, 0
.LBB85_2768:
	s_delay_alu instid0(SALU_CYCLE_1)
	s_and_b32 vcc_lo, exec_lo, s3
	s_mov_b32 s3, 0
	s_cbranch_vccz .LBB85_2770
; %bb.2769:
	s_cmp_lg_u32 s2, 11
	s_mov_b32 s3, -1
	s_cselect_b32 s0, -1, 0
.LBB85_2770:
	s_delay_alu instid0(SALU_CYCLE_1)
	s_and_b32 vcc_lo, exec_lo, s0
	s_cbranch_vccnz .LBB85_3179
; %bb.2771:
	s_and_not1_b32 vcc_lo, exec_lo, s3
	s_cbranch_vccnz .LBB85_2773
.LBB85_2772:
	s_wait_xcnt 0x0
	v_and_b32_e32 v5, 0x7fff, v1
	s_mov_b32 s6, -1
	s_delay_alu instid0(VALU_DEP_1)
	v_cmp_ne_u16_e32 vcc_lo, 0, v5
	v_cndmask_b32_e64 v5, 0, 1, vcc_lo
	global_store_b8 v[6:7], v5, off
.LBB85_2773:
	s_mov_b32 s0, 0
	s_branch .LBB85_2820
.LBB85_2774:
	s_mov_b32 s0, 0
	s_mov_b32 s3, 0
                                        ; implicit-def: $vgpr2_vgpr3
                                        ; implicit-def: $sgpr1
                                        ; implicit-def: $vgpr12
.LBB85_2775:
	s_and_not1_b32 s2, s10, exec_lo
	s_and_b32 s4, s12, exec_lo
	s_and_b32 s0, s0, exec_lo
	;; [unrolled: 1-line block ×3, first 2 shown]
	s_or_b32 s10, s2, s4
.LBB85_2776:
	s_wait_xcnt 0x0
	s_or_b32 exec_lo, exec_lo, s11
	s_and_saveexec_b32 s2, s10
	s_cbranch_execz .LBB85_2779
; %bb.2777:
	; divergent unreachable
	s_or_b32 exec_lo, exec_lo, s2
	s_and_saveexec_b32 s2, s30
	s_delay_alu instid0(SALU_CYCLE_1)
	s_xor_b32 s2, exec_lo, s2
	s_cbranch_execnz .LBB85_2780
.LBB85_2778:
	s_or_b32 exec_lo, exec_lo, s2
	s_and_saveexec_b32 s2, s0
	s_cbranch_execnz .LBB85_2781
	s_branch .LBB85_2818
.LBB85_2779:
	s_or_b32 exec_lo, exec_lo, s2
	s_and_saveexec_b32 s2, s30
	s_delay_alu instid0(SALU_CYCLE_1)
	s_xor_b32 s2, exec_lo, s2
	s_cbranch_execz .LBB85_2778
.LBB85_2780:
	s_wait_loadcnt 0x0
	v_and_b32_e32 v0, 0x7fff, v12
	s_delay_alu instid0(VALU_DEP_1)
	v_cmp_ne_u16_e32 vcc_lo, 0, v0
	v_cndmask_b32_e64 v0, 0, 1, vcc_lo
	global_store_b8 v[2:3], v0, off
	s_wait_xcnt 0x0
	s_or_b32 exec_lo, exec_lo, s2
	s_and_saveexec_b32 s2, s0
	s_cbranch_execz .LBB85_2818
.LBB85_2781:
	s_sext_i32_i16 s2, s1
	s_mov_b32 s0, -1
	s_cmp_lt_i32 s2, 5
	s_cbranch_scc1 .LBB85_2802
; %bb.2782:
	s_cmp_lt_i32 s2, 8
	s_cbranch_scc1 .LBB85_2792
; %bb.2783:
	;; [unrolled: 3-line block ×3, first 2 shown]
	s_cmp_gt_i32 s2, 9
	s_cbranch_scc0 .LBB85_2786
; %bb.2785:
	s_wait_loadcnt 0x0
	v_cvt_f32_f16_e32 v0, v12
	v_mov_b32_e32 v6, 0
	s_mov_b32 s0, 0
	s_delay_alu instid0(VALU_DEP_2) | instskip(NEXT) | instid1(VALU_DEP_2)
	v_cvt_f64_f32_e32 v[4:5], v0
	v_mov_b32_e32 v7, v6
	global_store_b128 v[2:3], v[4:7], off
.LBB85_2786:
	s_and_not1_b32 vcc_lo, exec_lo, s0
	s_cbranch_vccnz .LBB85_2788
; %bb.2787:
	s_wait_loadcnt 0x0
	v_cvt_f32_f16_e32 v0, v12
	v_mov_b32_e32 v1, 0
	global_store_b64 v[2:3], v[0:1], off
.LBB85_2788:
	s_mov_b32 s0, 0
.LBB85_2789:
	s_delay_alu instid0(SALU_CYCLE_1)
	s_and_not1_b32 vcc_lo, exec_lo, s0
	s_cbranch_vccnz .LBB85_2791
; %bb.2790:
	s_wait_loadcnt 0x0
	v_and_b32_e32 v0, 0xffff, v12
	global_store_b32 v[2:3], v0, off
.LBB85_2791:
	s_mov_b32 s0, 0
.LBB85_2792:
	s_delay_alu instid0(SALU_CYCLE_1)
	s_and_not1_b32 vcc_lo, exec_lo, s0
	s_cbranch_vccnz .LBB85_2801
; %bb.2793:
	s_sext_i32_i16 s2, s1
	s_mov_b32 s0, -1
	s_cmp_lt_i32 s2, 6
	s_cbranch_scc1 .LBB85_2799
; %bb.2794:
	s_cmp_gt_i32 s2, 6
	s_cbranch_scc0 .LBB85_2796
; %bb.2795:
	s_wait_loadcnt 0x0
	v_cvt_f32_f16_e32 v0, v12
	s_mov_b32 s0, 0
	s_delay_alu instid0(VALU_DEP_1)
	v_cvt_f64_f32_e32 v[0:1], v0
	global_store_b64 v[2:3], v[0:1], off
.LBB85_2796:
	s_and_not1_b32 vcc_lo, exec_lo, s0
	s_cbranch_vccnz .LBB85_2798
; %bb.2797:
	s_wait_loadcnt 0x0
	v_cvt_f32_f16_e32 v0, v12
	global_store_b32 v[2:3], v0, off
.LBB85_2798:
	s_mov_b32 s0, 0
.LBB85_2799:
	s_delay_alu instid0(SALU_CYCLE_1)
	s_and_not1_b32 vcc_lo, exec_lo, s0
	s_cbranch_vccnz .LBB85_2801
; %bb.2800:
	s_wait_loadcnt 0x0
	global_store_b16 v[2:3], v12, off
.LBB85_2801:
	s_mov_b32 s0, 0
.LBB85_2802:
	s_delay_alu instid0(SALU_CYCLE_1)
	s_and_not1_b32 vcc_lo, exec_lo, s0
	s_cbranch_vccnz .LBB85_2818
; %bb.2803:
	s_sext_i32_i16 s2, s1
	s_mov_b32 s0, -1
	s_cmp_lt_i32 s2, 2
	s_cbranch_scc1 .LBB85_2813
; %bb.2804:
	s_cmp_lt_i32 s2, 3
	s_cbranch_scc1 .LBB85_2810
; %bb.2805:
	s_cmp_gt_i32 s2, 3
	s_cbranch_scc0 .LBB85_2807
; %bb.2806:
	s_wait_loadcnt 0x0
	v_cvt_f32_f16_e32 v0, v12
	s_mov_b32 s0, 0
	s_delay_alu instid0(VALU_DEP_1) | instskip(NEXT) | instid1(VALU_DEP_1)
	v_cvt_i32_f32_e32 v0, v0
	v_ashrrev_i32_e32 v1, 31, v0
	global_store_b64 v[2:3], v[0:1], off
.LBB85_2807:
	s_and_not1_b32 vcc_lo, exec_lo, s0
	s_cbranch_vccnz .LBB85_2809
; %bb.2808:
	s_wait_loadcnt 0x0
	v_cvt_f32_f16_e32 v0, v12
	s_delay_alu instid0(VALU_DEP_1)
	v_cvt_i32_f32_e32 v0, v0
	global_store_b32 v[2:3], v0, off
.LBB85_2809:
	s_mov_b32 s0, 0
.LBB85_2810:
	s_delay_alu instid0(SALU_CYCLE_1)
	s_and_not1_b32 vcc_lo, exec_lo, s0
	s_cbranch_vccnz .LBB85_2812
; %bb.2811:
	s_wait_loadcnt 0x0
	v_cvt_i16_f16_e32 v0, v12
	global_store_b16 v[2:3], v0, off
.LBB85_2812:
	s_mov_b32 s0, 0
.LBB85_2813:
	s_delay_alu instid0(SALU_CYCLE_1)
	s_and_not1_b32 vcc_lo, exec_lo, s0
	s_cbranch_vccnz .LBB85_2818
; %bb.2814:
	s_sext_i32_i16 s0, s1
	s_delay_alu instid0(SALU_CYCLE_1)
	s_cmp_gt_i32 s0, 0
	s_mov_b32 s0, -1
	s_cbranch_scc0 .LBB85_2816
; %bb.2815:
	s_wait_loadcnt 0x0
	v_cvt_i16_f16_e32 v0, v12
	s_mov_b32 s0, 0
	global_store_b8 v[2:3], v0, off
.LBB85_2816:
	s_and_not1_b32 vcc_lo, exec_lo, s0
	s_cbranch_vccnz .LBB85_2818
; %bb.2817:
	s_wait_loadcnt 0x0
	v_cvt_f32_f16_e32 v0, v12
	s_delay_alu instid0(VALU_DEP_1)
	v_cvt_i32_f32_e32 v0, v0
	global_store_b8 v[2:3], v0, off
	s_endpgm
.LBB85_2818:
	s_endpgm
.LBB85_2819:
	s_mov_b32 s0, -1
	s_mov_b32 s6, 0
.LBB85_2820:
	s_and_b32 vcc_lo, exec_lo, s0
	s_cbranch_vccz .LBB85_2859
; %bb.2821:
	s_and_b32 s0, 0xffff, s1
	s_mov_b32 s2, -1
	s_cmp_lt_i32 s0, 5
	s_cbranch_scc1 .LBB85_2842
; %bb.2822:
	s_cmp_lt_i32 s0, 8
	s_cbranch_scc1 .LBB85_2832
; %bb.2823:
	;; [unrolled: 3-line block ×3, first 2 shown]
	s_cmp_gt_i32 s0, 9
	s_cbranch_scc0 .LBB85_2826
; %bb.2825:
	s_wait_xcnt 0x0
	v_cvt_f32_f16_e32 v5, v1
	v_mov_b32_e32 v10, 0
	s_mov_b32 s2, 0
	s_delay_alu instid0(VALU_DEP_2) | instskip(NEXT) | instid1(VALU_DEP_2)
	v_cvt_f64_f32_e32 v[8:9], v5
	v_mov_b32_e32 v11, v10
	global_store_b128 v[6:7], v[8:11], off
.LBB85_2826:
	s_and_not1_b32 vcc_lo, exec_lo, s2
	s_cbranch_vccnz .LBB85_2828
; %bb.2827:
	s_wait_xcnt 0x0
	v_cvt_f32_f16_e32 v8, v1
	v_mov_b32_e32 v9, 0
	global_store_b64 v[6:7], v[8:9], off
.LBB85_2828:
	s_mov_b32 s2, 0
.LBB85_2829:
	s_delay_alu instid0(SALU_CYCLE_1)
	s_and_not1_b32 vcc_lo, exec_lo, s2
	s_cbranch_vccnz .LBB85_2831
; %bb.2830:
	s_wait_xcnt 0x0
	v_and_b32_e32 v5, 0xffff, v1
	global_store_b32 v[6:7], v5, off
.LBB85_2831:
	s_mov_b32 s2, 0
.LBB85_2832:
	s_delay_alu instid0(SALU_CYCLE_1)
	s_and_not1_b32 vcc_lo, exec_lo, s2
	s_cbranch_vccnz .LBB85_2841
; %bb.2833:
	s_cmp_lt_i32 s0, 6
	s_mov_b32 s2, -1
	s_cbranch_scc1 .LBB85_2839
; %bb.2834:
	s_cmp_gt_i32 s0, 6
	s_cbranch_scc0 .LBB85_2836
; %bb.2835:
	s_wait_xcnt 0x0
	v_cvt_f32_f16_e32 v5, v1
	s_mov_b32 s2, 0
	s_delay_alu instid0(VALU_DEP_1)
	v_cvt_f64_f32_e32 v[8:9], v5
	global_store_b64 v[6:7], v[8:9], off
.LBB85_2836:
	s_and_not1_b32 vcc_lo, exec_lo, s2
	s_cbranch_vccnz .LBB85_2838
; %bb.2837:
	s_wait_xcnt 0x0
	v_cvt_f32_f16_e32 v5, v1
	global_store_b32 v[6:7], v5, off
.LBB85_2838:
	s_mov_b32 s2, 0
.LBB85_2839:
	s_delay_alu instid0(SALU_CYCLE_1)
	s_and_not1_b32 vcc_lo, exec_lo, s2
	s_cbranch_vccnz .LBB85_2841
; %bb.2840:
	global_store_b16 v[6:7], v1, off
.LBB85_2841:
	s_mov_b32 s2, 0
.LBB85_2842:
	s_delay_alu instid0(SALU_CYCLE_1)
	s_and_not1_b32 vcc_lo, exec_lo, s2
	s_cbranch_vccnz .LBB85_2858
; %bb.2843:
	s_cmp_lt_i32 s0, 2
	s_mov_b32 s2, -1
	s_cbranch_scc1 .LBB85_2853
; %bb.2844:
	s_cmp_lt_i32 s0, 3
	s_cbranch_scc1 .LBB85_2850
; %bb.2845:
	s_cmp_gt_i32 s0, 3
	s_cbranch_scc0 .LBB85_2847
; %bb.2846:
	s_wait_xcnt 0x0
	v_cvt_f32_f16_e32 v5, v1
	s_mov_b32 s2, 0
	s_delay_alu instid0(VALU_DEP_1) | instskip(NEXT) | instid1(VALU_DEP_1)
	v_cvt_i32_f32_e32 v8, v5
	v_ashrrev_i32_e32 v9, 31, v8
	global_store_b64 v[6:7], v[8:9], off
.LBB85_2847:
	s_and_not1_b32 vcc_lo, exec_lo, s2
	s_cbranch_vccnz .LBB85_2849
; %bb.2848:
	s_wait_xcnt 0x0
	v_cvt_f32_f16_e32 v5, v1
	s_delay_alu instid0(VALU_DEP_1)
	v_cvt_i32_f32_e32 v5, v5
	global_store_b32 v[6:7], v5, off
.LBB85_2849:
	s_mov_b32 s2, 0
.LBB85_2850:
	s_delay_alu instid0(SALU_CYCLE_1)
	s_and_not1_b32 vcc_lo, exec_lo, s2
	s_cbranch_vccnz .LBB85_2852
; %bb.2851:
	s_wait_xcnt 0x0
	v_cvt_i16_f16_e32 v5, v1
	global_store_b16 v[6:7], v5, off
.LBB85_2852:
	s_mov_b32 s2, 0
.LBB85_2853:
	s_delay_alu instid0(SALU_CYCLE_1)
	s_and_not1_b32 vcc_lo, exec_lo, s2
	s_cbranch_vccnz .LBB85_2858
; %bb.2854:
	s_cmp_gt_i32 s0, 0
	s_mov_b32 s0, -1
	s_cbranch_scc0 .LBB85_2856
; %bb.2855:
	s_wait_xcnt 0x0
	v_cvt_i16_f16_e32 v5, v1
	s_mov_b32 s0, 0
	global_store_b8 v[6:7], v5, off
.LBB85_2856:
	s_and_not1_b32 vcc_lo, exec_lo, s0
	s_cbranch_vccnz .LBB85_2858
; %bb.2857:
	s_wait_xcnt 0x0
	v_cvt_f32_f16_e32 v1, v1
	s_delay_alu instid0(VALU_DEP_1)
	v_cvt_i32_f32_e32 v1, v1
	global_store_b8 v[6:7], v1, off
.LBB85_2858:
	s_mov_b32 s6, -1
.LBB85_2859:
	s_delay_alu instid0(SALU_CYCLE_1)
	s_and_not1_b32 vcc_lo, exec_lo, s6
	s_cbranch_vccnz .LBB85_3174
; %bb.2860:
	s_wait_xcnt 0x0
	v_mov_b32_e32 v5, 0
	s_and_b32 s2, 0xffff, s1
	s_delay_alu instid0(SALU_CYCLE_1) | instskip(NEXT) | instid1(VALU_DEP_1)
	s_cmp_lt_i32 s2, 11
	v_add_nc_u64_e32 v[4:5], s[4:5], v[4:5]
	s_cbranch_scc1 .LBB85_2938
; %bb.2861:
	s_mov_b32 s7, -1
	s_mov_b32 s3, 0
	s_cmp_gt_i32 s2, 25
	s_mov_b32 s6, 0
	s_mov_b32 s0, 0
	s_cbranch_scc0 .LBB85_2894
; %bb.2862:
	s_cmp_gt_i32 s2, 28
	s_cbranch_scc0 .LBB85_2877
; %bb.2863:
	s_cmp_gt_i32 s2, 43
	;; [unrolled: 3-line block ×3, first 2 shown]
	s_cbranch_scc0 .LBB85_2867
; %bb.2865:
	s_mov_b32 s0, -1
	s_mov_b32 s7, 0
	s_cmp_eq_u32 s2, 46
	s_cbranch_scc0 .LBB85_2867
; %bb.2866:
	v_cvt_f32_f16_e32 v1, v3
	v_cmp_o_f16_e32 vcc_lo, v3, v3
	s_mov_b32 s0, 0
	s_mov_b32 s6, -1
	s_delay_alu instid0(VALU_DEP_2) | instskip(NEXT) | instid1(VALU_DEP_1)
	v_bfe_u32 v6, v1, 16, 1
	v_add3_u32 v1, v1, v6, 0x7fff
	s_delay_alu instid0(VALU_DEP_1) | instskip(NEXT) | instid1(VALU_DEP_1)
	v_lshrrev_b32_e32 v1, 16, v1
	v_cndmask_b32_e32 v1, 0x7fc0, v1, vcc_lo
	global_store_b32 v[4:5], v1, off
.LBB85_2867:
	s_and_b32 vcc_lo, exec_lo, s7
	s_cbranch_vccz .LBB85_2872
; %bb.2868:
	s_cmp_eq_u32 s2, 44
	s_mov_b32 s0, -1
	s_cbranch_scc0 .LBB85_2872
; %bb.2869:
	s_wait_xcnt 0x0
	v_cvt_f32_f16_e32 v1, v3
	v_mov_b32_e32 v6, 0xff
	s_mov_b32 s6, exec_lo
	s_delay_alu instid0(VALU_DEP_2) | instskip(NEXT) | instid1(VALU_DEP_1)
	v_bfe_u32 v7, v1, 23, 8
	v_cmpx_ne_u32_e32 0xff, v7
	s_cbranch_execz .LBB85_2871
; %bb.2870:
	v_and_b32_e32 v6, 0x400000, v1
	v_and_or_b32 v7, 0x3fffff, v1, v7
	v_lshrrev_b32_e32 v1, 23, v1
	s_delay_alu instid0(VALU_DEP_3) | instskip(NEXT) | instid1(VALU_DEP_3)
	v_cmp_ne_u32_e32 vcc_lo, 0, v6
	v_cmp_ne_u32_e64 s0, 0, v7
	s_and_b32 s0, vcc_lo, s0
	s_delay_alu instid0(SALU_CYCLE_1) | instskip(NEXT) | instid1(VALU_DEP_1)
	v_cndmask_b32_e64 v6, 0, 1, s0
	v_add_nc_u32_e32 v6, v1, v6
.LBB85_2871:
	s_or_b32 exec_lo, exec_lo, s6
	s_mov_b32 s0, 0
	s_mov_b32 s6, -1
	global_store_b8 v[4:5], v6, off
.LBB85_2872:
	s_mov_b32 s7, 0
.LBB85_2873:
	s_delay_alu instid0(SALU_CYCLE_1)
	s_and_b32 vcc_lo, exec_lo, s7
	s_cbranch_vccz .LBB85_2876
; %bb.2874:
	s_cmp_eq_u32 s2, 29
	s_mov_b32 s0, -1
	s_cbranch_scc0 .LBB85_2876
; %bb.2875:
	s_wait_xcnt 0x0
	v_cvt_f32_f16_e32 v1, v3
	v_mov_b32_e32 v7, 0
	s_mov_b32 s0, 0
	s_mov_b32 s6, -1
	s_delay_alu instid0(VALU_DEP_2)
	v_cvt_u32_f32_e32 v6, v1
	global_store_b64 v[4:5], v[6:7], off
.LBB85_2876:
	s_mov_b32 s7, 0
.LBB85_2877:
	s_delay_alu instid0(SALU_CYCLE_1)
	s_and_b32 vcc_lo, exec_lo, s7
	s_cbranch_vccz .LBB85_2893
; %bb.2878:
	s_cmp_lt_i32 s2, 27
	s_mov_b32 s6, -1
	s_cbranch_scc1 .LBB85_2884
; %bb.2879:
	s_cmp_gt_i32 s2, 27
	s_cbranch_scc0 .LBB85_2881
; %bb.2880:
	s_wait_xcnt 0x0
	v_cvt_f32_f16_e32 v1, v3
	s_mov_b32 s6, 0
	s_delay_alu instid0(VALU_DEP_1)
	v_cvt_u32_f32_e32 v1, v1
	global_store_b32 v[4:5], v1, off
.LBB85_2881:
	s_and_not1_b32 vcc_lo, exec_lo, s6
	s_cbranch_vccnz .LBB85_2883
; %bb.2882:
	s_wait_xcnt 0x0
	v_cvt_u16_f16_e32 v1, v3
	global_store_b16 v[4:5], v1, off
.LBB85_2883:
	s_mov_b32 s6, 0
.LBB85_2884:
	s_delay_alu instid0(SALU_CYCLE_1)
	s_and_not1_b32 vcc_lo, exec_lo, s6
	s_cbranch_vccnz .LBB85_2892
; %bb.2885:
	s_wait_xcnt 0x0
	v_cvt_f32_f16_e32 v1, v3
	v_mov_b32_e32 v7, 0x80
	s_mov_b32 s6, exec_lo
	s_delay_alu instid0(VALU_DEP_2) | instskip(NEXT) | instid1(VALU_DEP_1)
	v_and_b32_e32 v6, 0x7fffffff, v1
	v_cmpx_gt_u32_e32 0x43800000, v6
	s_cbranch_execz .LBB85_2891
; %bb.2886:
	v_cmp_lt_u32_e32 vcc_lo, 0x3bffffff, v6
	s_mov_b32 s7, 0
                                        ; implicit-def: $vgpr6
	s_and_saveexec_b32 s8, vcc_lo
	s_delay_alu instid0(SALU_CYCLE_1)
	s_xor_b32 s8, exec_lo, s8
	s_cbranch_execz .LBB85_3182
; %bb.2887:
	v_bfe_u32 v6, v1, 20, 1
	s_mov_b32 s7, exec_lo
	s_delay_alu instid0(VALU_DEP_1) | instskip(NEXT) | instid1(VALU_DEP_1)
	v_add3_u32 v6, v1, v6, 0x487ffff
	v_lshrrev_b32_e32 v6, 20, v6
	s_and_not1_saveexec_b32 s8, s8
	s_cbranch_execnz .LBB85_3183
.LBB85_2888:
	s_or_b32 exec_lo, exec_lo, s8
	v_mov_b32_e32 v7, 0
	s_and_saveexec_b32 s8, s7
.LBB85_2889:
	v_lshrrev_b32_e32 v1, 24, v1
	s_delay_alu instid0(VALU_DEP_1)
	v_and_or_b32 v7, 0x80, v1, v6
.LBB85_2890:
	s_or_b32 exec_lo, exec_lo, s8
.LBB85_2891:
	s_delay_alu instid0(SALU_CYCLE_1)
	s_or_b32 exec_lo, exec_lo, s6
	global_store_b8 v[4:5], v7, off
.LBB85_2892:
	s_mov_b32 s6, -1
.LBB85_2893:
	s_mov_b32 s7, 0
.LBB85_2894:
	s_delay_alu instid0(SALU_CYCLE_1)
	s_and_b32 vcc_lo, exec_lo, s7
	s_cbranch_vccz .LBB85_2934
; %bb.2895:
	s_cmp_gt_i32 s2, 22
	s_mov_b32 s3, -1
	s_cbranch_scc0 .LBB85_2927
; %bb.2896:
	s_cmp_lt_i32 s2, 24
	s_cbranch_scc1 .LBB85_2916
; %bb.2897:
	s_cmp_gt_i32 s2, 24
	s_cbranch_scc0 .LBB85_2905
; %bb.2898:
	s_wait_xcnt 0x0
	v_cvt_f32_f16_e32 v1, v3
	v_mov_b32_e32 v7, 0x80
	s_mov_b32 s3, exec_lo
	s_delay_alu instid0(VALU_DEP_2) | instskip(NEXT) | instid1(VALU_DEP_1)
	v_and_b32_e32 v6, 0x7fffffff, v1
	v_cmpx_gt_u32_e32 0x47800000, v6
	s_cbranch_execz .LBB85_2904
; %bb.2899:
	v_cmp_lt_u32_e32 vcc_lo, 0x37ffffff, v6
	s_mov_b32 s6, 0
                                        ; implicit-def: $vgpr6
	s_and_saveexec_b32 s7, vcc_lo
	s_delay_alu instid0(SALU_CYCLE_1)
	s_xor_b32 s7, exec_lo, s7
	s_cbranch_execz .LBB85_3185
; %bb.2900:
	v_bfe_u32 v6, v1, 21, 1
	s_mov_b32 s6, exec_lo
	s_delay_alu instid0(VALU_DEP_1) | instskip(NEXT) | instid1(VALU_DEP_1)
	v_add3_u32 v6, v1, v6, 0x88fffff
	v_lshrrev_b32_e32 v6, 21, v6
	s_and_not1_saveexec_b32 s7, s7
	s_cbranch_execnz .LBB85_3186
.LBB85_2901:
	s_or_b32 exec_lo, exec_lo, s7
	v_mov_b32_e32 v7, 0
	s_and_saveexec_b32 s7, s6
.LBB85_2902:
	v_lshrrev_b32_e32 v1, 24, v1
	s_delay_alu instid0(VALU_DEP_1)
	v_and_or_b32 v7, 0x80, v1, v6
.LBB85_2903:
	s_or_b32 exec_lo, exec_lo, s7
.LBB85_2904:
	s_delay_alu instid0(SALU_CYCLE_1)
	s_or_b32 exec_lo, exec_lo, s3
	s_mov_b32 s3, 0
	global_store_b8 v[4:5], v7, off
.LBB85_2905:
	s_and_b32 vcc_lo, exec_lo, s3
	s_cbranch_vccz .LBB85_2915
; %bb.2906:
	s_wait_xcnt 0x0
	v_cvt_f32_f16_e32 v1, v3
	s_mov_b32 s3, exec_lo
                                        ; implicit-def: $vgpr6
	s_delay_alu instid0(VALU_DEP_1) | instskip(NEXT) | instid1(VALU_DEP_1)
	v_and_b32_e32 v7, 0x7fffffff, v1
	v_cmpx_gt_u32_e32 0x43f00000, v7
	s_xor_b32 s3, exec_lo, s3
	s_cbranch_execz .LBB85_2912
; %bb.2907:
	s_mov_b32 s6, exec_lo
                                        ; implicit-def: $vgpr6
	v_cmpx_lt_u32_e32 0x3c7fffff, v7
	s_xor_b32 s6, exec_lo, s6
; %bb.2908:
	v_bfe_u32 v6, v1, 20, 1
	s_delay_alu instid0(VALU_DEP_1) | instskip(NEXT) | instid1(VALU_DEP_1)
	v_add3_u32 v6, v1, v6, 0x407ffff
	v_and_b32_e32 v7, 0xff00000, v6
	v_lshrrev_b32_e32 v6, 20, v6
	s_delay_alu instid0(VALU_DEP_2) | instskip(NEXT) | instid1(VALU_DEP_2)
	v_cmp_ne_u32_e32 vcc_lo, 0x7f00000, v7
	v_cndmask_b32_e32 v6, 0x7e, v6, vcc_lo
; %bb.2909:
	s_and_not1_saveexec_b32 s6, s6
; %bb.2910:
	v_add_f32_e64 v6, 0x46800000, |v1|
; %bb.2911:
	s_or_b32 exec_lo, exec_lo, s6
                                        ; implicit-def: $vgpr7
.LBB85_2912:
	s_and_not1_saveexec_b32 s3, s3
; %bb.2913:
	v_mov_b32_e32 v6, 0x7f
	v_cmp_lt_u32_e32 vcc_lo, 0x7f800000, v7
	s_delay_alu instid0(VALU_DEP_2)
	v_cndmask_b32_e32 v6, 0x7e, v6, vcc_lo
; %bb.2914:
	s_or_b32 exec_lo, exec_lo, s3
	v_lshrrev_b32_e32 v1, 24, v1
	s_delay_alu instid0(VALU_DEP_1)
	v_and_or_b32 v1, 0x80, v1, v6
	global_store_b8 v[4:5], v1, off
.LBB85_2915:
	s_mov_b32 s3, 0
.LBB85_2916:
	s_delay_alu instid0(SALU_CYCLE_1)
	s_and_not1_b32 vcc_lo, exec_lo, s3
	s_cbranch_vccnz .LBB85_2926
; %bb.2917:
	s_wait_xcnt 0x0
	v_cvt_f32_f16_e32 v1, v3
	s_mov_b32 s3, exec_lo
                                        ; implicit-def: $vgpr6
	s_delay_alu instid0(VALU_DEP_1) | instskip(NEXT) | instid1(VALU_DEP_1)
	v_and_b32_e32 v7, 0x7fffffff, v1
	v_cmpx_gt_u32_e32 0x47800000, v7
	s_xor_b32 s3, exec_lo, s3
	s_cbranch_execz .LBB85_2923
; %bb.2918:
	s_mov_b32 s6, exec_lo
                                        ; implicit-def: $vgpr6
	v_cmpx_lt_u32_e32 0x387fffff, v7
	s_xor_b32 s6, exec_lo, s6
; %bb.2919:
	v_bfe_u32 v6, v1, 21, 1
	s_delay_alu instid0(VALU_DEP_1) | instskip(NEXT) | instid1(VALU_DEP_1)
	v_add3_u32 v6, v1, v6, 0x80fffff
	v_lshrrev_b32_e32 v6, 21, v6
; %bb.2920:
	s_and_not1_saveexec_b32 s6, s6
; %bb.2921:
	v_add_f32_e64 v6, 0x43000000, |v1|
; %bb.2922:
	s_or_b32 exec_lo, exec_lo, s6
                                        ; implicit-def: $vgpr7
.LBB85_2923:
	s_and_not1_saveexec_b32 s3, s3
; %bb.2924:
	v_mov_b32_e32 v6, 0x7f
	v_cmp_lt_u32_e32 vcc_lo, 0x7f800000, v7
	s_delay_alu instid0(VALU_DEP_2)
	v_cndmask_b32_e32 v6, 0x7c, v6, vcc_lo
; %bb.2925:
	s_or_b32 exec_lo, exec_lo, s3
	v_lshrrev_b32_e32 v1, 24, v1
	s_delay_alu instid0(VALU_DEP_1)
	v_and_or_b32 v1, 0x80, v1, v6
	global_store_b8 v[4:5], v1, off
.LBB85_2926:
	s_mov_b32 s3, 0
	s_mov_b32 s6, -1
.LBB85_2927:
	s_and_not1_b32 vcc_lo, exec_lo, s3
	s_mov_b32 s3, 0
	s_cbranch_vccnz .LBB85_2934
; %bb.2928:
	s_cmp_gt_i32 s2, 14
	s_mov_b32 s3, -1
	s_cbranch_scc0 .LBB85_2932
; %bb.2929:
	s_cmp_eq_u32 s2, 15
	s_mov_b32 s0, -1
	s_cbranch_scc0 .LBB85_2931
; %bb.2930:
	s_wait_xcnt 0x0
	v_cvt_f32_f16_e32 v1, v3
	v_cmp_o_f16_e32 vcc_lo, v3, v3
	s_mov_b32 s0, 0
	s_mov_b32 s6, -1
	s_delay_alu instid0(VALU_DEP_2) | instskip(NEXT) | instid1(VALU_DEP_1)
	v_bfe_u32 v6, v1, 16, 1
	v_add3_u32 v1, v1, v6, 0x7fff
	s_delay_alu instid0(VALU_DEP_1) | instskip(NEXT) | instid1(VALU_DEP_1)
	v_lshrrev_b32_e32 v1, 16, v1
	v_cndmask_b32_e32 v1, 0x7fc0, v1, vcc_lo
	global_store_b16 v[4:5], v1, off
.LBB85_2931:
	s_mov_b32 s3, 0
.LBB85_2932:
	s_delay_alu instid0(SALU_CYCLE_1)
	s_and_b32 vcc_lo, exec_lo, s3
	s_mov_b32 s3, 0
	s_cbranch_vccz .LBB85_2934
; %bb.2933:
	s_cmp_lg_u32 s2, 11
	s_mov_b32 s3, -1
	s_cselect_b32 s0, -1, 0
.LBB85_2934:
	s_delay_alu instid0(SALU_CYCLE_1)
	s_and_b32 vcc_lo, exec_lo, s0
	s_cbranch_vccnz .LBB85_3184
; %bb.2935:
	s_and_not1_b32 vcc_lo, exec_lo, s3
	s_cbranch_vccnz .LBB85_2937
.LBB85_2936:
	s_wait_xcnt 0x0
	v_and_b32_e32 v1, 0x7fff, v3
	s_mov_b32 s6, -1
	s_delay_alu instid0(VALU_DEP_1)
	v_cmp_ne_u16_e32 vcc_lo, 0, v1
	v_cndmask_b32_e64 v1, 0, 1, vcc_lo
	global_store_b8 v[4:5], v1, off
.LBB85_2937:
	s_mov_b32 s0, 0
	s_branch .LBB85_2939
.LBB85_2938:
	s_mov_b32 s0, -1
	s_mov_b32 s6, 0
.LBB85_2939:
	s_and_b32 vcc_lo, exec_lo, s0
	s_cbranch_vccz .LBB85_2978
; %bb.2940:
	s_cmp_lt_i32 s2, 5
	s_mov_b32 s0, -1
	s_cbranch_scc1 .LBB85_2961
; %bb.2941:
	s_cmp_lt_i32 s2, 8
	s_cbranch_scc1 .LBB85_2951
; %bb.2942:
	s_cmp_lt_i32 s2, 9
	s_cbranch_scc1 .LBB85_2948
; %bb.2943:
	s_cmp_gt_i32 s2, 9
	s_cbranch_scc0 .LBB85_2945
; %bb.2944:
	s_wait_xcnt 0x0
	v_cvt_f32_f16_e32 v1, v3
	v_mov_b32_e32 v8, 0
	s_mov_b32 s0, 0
	s_delay_alu instid0(VALU_DEP_2) | instskip(NEXT) | instid1(VALU_DEP_2)
	v_cvt_f64_f32_e32 v[6:7], v1
	v_mov_b32_e32 v9, v8
	global_store_b128 v[4:5], v[6:9], off
.LBB85_2945:
	s_and_not1_b32 vcc_lo, exec_lo, s0
	s_cbranch_vccnz .LBB85_2947
; %bb.2946:
	s_wait_xcnt 0x0
	v_cvt_f32_f16_e32 v6, v3
	v_mov_b32_e32 v7, 0
	global_store_b64 v[4:5], v[6:7], off
.LBB85_2947:
	s_mov_b32 s0, 0
.LBB85_2948:
	s_delay_alu instid0(SALU_CYCLE_1)
	s_and_not1_b32 vcc_lo, exec_lo, s0
	s_cbranch_vccnz .LBB85_2950
; %bb.2949:
	s_wait_xcnt 0x0
	v_and_b32_e32 v1, 0xffff, v3
	global_store_b32 v[4:5], v1, off
.LBB85_2950:
	s_mov_b32 s0, 0
.LBB85_2951:
	s_delay_alu instid0(SALU_CYCLE_1)
	s_and_not1_b32 vcc_lo, exec_lo, s0
	s_cbranch_vccnz .LBB85_2960
; %bb.2952:
	s_cmp_lt_i32 s2, 6
	s_mov_b32 s0, -1
	s_cbranch_scc1 .LBB85_2958
; %bb.2953:
	s_cmp_gt_i32 s2, 6
	s_cbranch_scc0 .LBB85_2955
; %bb.2954:
	s_wait_xcnt 0x0
	v_cvt_f32_f16_e32 v1, v3
	s_mov_b32 s0, 0
	s_delay_alu instid0(VALU_DEP_1)
	v_cvt_f64_f32_e32 v[6:7], v1
	global_store_b64 v[4:5], v[6:7], off
.LBB85_2955:
	s_and_not1_b32 vcc_lo, exec_lo, s0
	s_cbranch_vccnz .LBB85_2957
; %bb.2956:
	s_wait_xcnt 0x0
	v_cvt_f32_f16_e32 v1, v3
	global_store_b32 v[4:5], v1, off
.LBB85_2957:
	s_mov_b32 s0, 0
.LBB85_2958:
	s_delay_alu instid0(SALU_CYCLE_1)
	s_and_not1_b32 vcc_lo, exec_lo, s0
	s_cbranch_vccnz .LBB85_2960
; %bb.2959:
	global_store_b16 v[4:5], v3, off
.LBB85_2960:
	s_mov_b32 s0, 0
.LBB85_2961:
	s_delay_alu instid0(SALU_CYCLE_1)
	s_and_not1_b32 vcc_lo, exec_lo, s0
	s_cbranch_vccnz .LBB85_2977
; %bb.2962:
	s_cmp_lt_i32 s2, 2
	s_mov_b32 s0, -1
	s_cbranch_scc1 .LBB85_2972
; %bb.2963:
	s_cmp_lt_i32 s2, 3
	s_cbranch_scc1 .LBB85_2969
; %bb.2964:
	s_cmp_gt_i32 s2, 3
	s_cbranch_scc0 .LBB85_2966
; %bb.2965:
	s_wait_xcnt 0x0
	v_cvt_f32_f16_e32 v1, v3
	s_mov_b32 s0, 0
	s_delay_alu instid0(VALU_DEP_1) | instskip(NEXT) | instid1(VALU_DEP_1)
	v_cvt_i32_f32_e32 v6, v1
	v_ashrrev_i32_e32 v7, 31, v6
	global_store_b64 v[4:5], v[6:7], off
.LBB85_2966:
	s_and_not1_b32 vcc_lo, exec_lo, s0
	s_cbranch_vccnz .LBB85_2968
; %bb.2967:
	s_wait_xcnt 0x0
	v_cvt_f32_f16_e32 v1, v3
	s_delay_alu instid0(VALU_DEP_1)
	v_cvt_i32_f32_e32 v1, v1
	global_store_b32 v[4:5], v1, off
.LBB85_2968:
	s_mov_b32 s0, 0
.LBB85_2969:
	s_delay_alu instid0(SALU_CYCLE_1)
	s_and_not1_b32 vcc_lo, exec_lo, s0
	s_cbranch_vccnz .LBB85_2971
; %bb.2970:
	s_wait_xcnt 0x0
	v_cvt_i16_f16_e32 v1, v3
	global_store_b16 v[4:5], v1, off
.LBB85_2971:
	s_mov_b32 s0, 0
.LBB85_2972:
	s_delay_alu instid0(SALU_CYCLE_1)
	s_and_not1_b32 vcc_lo, exec_lo, s0
	s_cbranch_vccnz .LBB85_2977
; %bb.2973:
	s_cmp_gt_i32 s2, 0
	s_mov_b32 s0, -1
	s_cbranch_scc0 .LBB85_2975
; %bb.2974:
	s_wait_xcnt 0x0
	v_cvt_i16_f16_e32 v1, v3
	s_mov_b32 s0, 0
	global_store_b8 v[4:5], v1, off
.LBB85_2975:
	s_and_not1_b32 vcc_lo, exec_lo, s0
	s_cbranch_vccnz .LBB85_2977
; %bb.2976:
	s_wait_xcnt 0x0
	v_cvt_f32_f16_e32 v1, v3
	s_delay_alu instid0(VALU_DEP_1)
	v_cvt_i32_f32_e32 v1, v1
	global_store_b8 v[4:5], v1, off
.LBB85_2977:
	s_mov_b32 s6, -1
.LBB85_2978:
	s_delay_alu instid0(SALU_CYCLE_1)
	s_and_not1_b32 vcc_lo, exec_lo, s6
	s_cbranch_vccnz .LBB85_3174
; %bb.2979:
	s_wait_xcnt 0x0
	v_mov_b32_e32 v3, 0
	s_cmp_lt_i32 s2, 11
	s_delay_alu instid0(VALU_DEP_1)
	v_add_nc_u64_e32 v[2:3], s[4:5], v[2:3]
	s_cbranch_scc1 .LBB85_3057
; %bb.2980:
	s_mov_b32 s7, -1
	s_mov_b32 s3, 0
	s_cmp_gt_i32 s2, 25
	s_mov_b32 s6, 0
	s_mov_b32 s0, 0
	s_cbranch_scc0 .LBB85_3013
; %bb.2981:
	s_cmp_gt_i32 s2, 28
	s_cbranch_scc0 .LBB85_2996
; %bb.2982:
	s_cmp_gt_i32 s2, 43
	;; [unrolled: 3-line block ×3, first 2 shown]
	s_cbranch_scc0 .LBB85_2986
; %bb.2984:
	s_mov_b32 s0, -1
	s_mov_b32 s7, 0
	s_cmp_eq_u32 s2, 46
	s_cbranch_scc0 .LBB85_2986
; %bb.2985:
	v_cvt_f32_f16_e32 v1, v16
	v_cmp_o_f16_e32 vcc_lo, v16, v16
	s_mov_b32 s0, 0
	s_mov_b32 s6, -1
	s_delay_alu instid0(VALU_DEP_2) | instskip(NEXT) | instid1(VALU_DEP_1)
	v_bfe_u32 v4, v1, 16, 1
	v_add3_u32 v1, v1, v4, 0x7fff
	s_delay_alu instid0(VALU_DEP_1) | instskip(NEXT) | instid1(VALU_DEP_1)
	v_lshrrev_b32_e32 v1, 16, v1
	v_cndmask_b32_e32 v1, 0x7fc0, v1, vcc_lo
	global_store_b32 v[2:3], v1, off
.LBB85_2986:
	s_and_b32 vcc_lo, exec_lo, s7
	s_cbranch_vccz .LBB85_2991
; %bb.2987:
	s_cmp_eq_u32 s2, 44
	s_mov_b32 s0, -1
	s_cbranch_scc0 .LBB85_2991
; %bb.2988:
	s_wait_xcnt 0x0
	v_cvt_f32_f16_e32 v1, v16
	v_mov_b32_e32 v4, 0xff
	s_mov_b32 s6, exec_lo
	s_delay_alu instid0(VALU_DEP_2) | instskip(NEXT) | instid1(VALU_DEP_1)
	v_bfe_u32 v5, v1, 23, 8
	v_cmpx_ne_u32_e32 0xff, v5
	s_cbranch_execz .LBB85_2990
; %bb.2989:
	v_and_b32_e32 v4, 0x400000, v1
	v_and_or_b32 v5, 0x3fffff, v1, v5
	v_lshrrev_b32_e32 v1, 23, v1
	s_delay_alu instid0(VALU_DEP_3) | instskip(NEXT) | instid1(VALU_DEP_3)
	v_cmp_ne_u32_e32 vcc_lo, 0, v4
	v_cmp_ne_u32_e64 s0, 0, v5
	s_and_b32 s0, vcc_lo, s0
	s_delay_alu instid0(SALU_CYCLE_1) | instskip(NEXT) | instid1(VALU_DEP_1)
	v_cndmask_b32_e64 v4, 0, 1, s0
	v_add_nc_u32_e32 v4, v1, v4
.LBB85_2990:
	s_or_b32 exec_lo, exec_lo, s6
	s_mov_b32 s0, 0
	s_mov_b32 s6, -1
	global_store_b8 v[2:3], v4, off
.LBB85_2991:
	s_mov_b32 s7, 0
.LBB85_2992:
	s_delay_alu instid0(SALU_CYCLE_1)
	s_and_b32 vcc_lo, exec_lo, s7
	s_cbranch_vccz .LBB85_2995
; %bb.2993:
	s_cmp_eq_u32 s2, 29
	s_mov_b32 s0, -1
	s_cbranch_scc0 .LBB85_2995
; %bb.2994:
	s_wait_xcnt 0x0
	v_cvt_f32_f16_e32 v1, v16
	v_mov_b32_e32 v5, 0
	s_mov_b32 s0, 0
	s_mov_b32 s6, -1
	s_delay_alu instid0(VALU_DEP_2)
	v_cvt_u32_f32_e32 v4, v1
	global_store_b64 v[2:3], v[4:5], off
.LBB85_2995:
	s_mov_b32 s7, 0
.LBB85_2996:
	s_delay_alu instid0(SALU_CYCLE_1)
	s_and_b32 vcc_lo, exec_lo, s7
	s_cbranch_vccz .LBB85_3012
; %bb.2997:
	s_cmp_lt_i32 s2, 27
	s_mov_b32 s6, -1
	s_cbranch_scc1 .LBB85_3003
; %bb.2998:
	s_cmp_gt_i32 s2, 27
	s_cbranch_scc0 .LBB85_3000
; %bb.2999:
	s_wait_xcnt 0x0
	v_cvt_f32_f16_e32 v1, v16
	s_mov_b32 s6, 0
	s_delay_alu instid0(VALU_DEP_1)
	v_cvt_u32_f32_e32 v1, v1
	global_store_b32 v[2:3], v1, off
.LBB85_3000:
	s_and_not1_b32 vcc_lo, exec_lo, s6
	s_cbranch_vccnz .LBB85_3002
; %bb.3001:
	s_wait_xcnt 0x0
	v_cvt_u16_f16_e32 v1, v16
	global_store_b16 v[2:3], v1, off
.LBB85_3002:
	s_mov_b32 s6, 0
.LBB85_3003:
	s_delay_alu instid0(SALU_CYCLE_1)
	s_and_not1_b32 vcc_lo, exec_lo, s6
	s_cbranch_vccnz .LBB85_3011
; %bb.3004:
	s_wait_xcnt 0x0
	v_cvt_f32_f16_e32 v1, v16
	v_mov_b32_e32 v5, 0x80
	s_mov_b32 s6, exec_lo
	s_delay_alu instid0(VALU_DEP_2) | instskip(NEXT) | instid1(VALU_DEP_1)
	v_and_b32_e32 v4, 0x7fffffff, v1
	v_cmpx_gt_u32_e32 0x43800000, v4
	s_cbranch_execz .LBB85_3010
; %bb.3005:
	v_cmp_lt_u32_e32 vcc_lo, 0x3bffffff, v4
	s_mov_b32 s7, 0
                                        ; implicit-def: $vgpr4
	s_and_saveexec_b32 s8, vcc_lo
	s_delay_alu instid0(SALU_CYCLE_1)
	s_xor_b32 s8, exec_lo, s8
	s_cbranch_execz .LBB85_3187
; %bb.3006:
	v_bfe_u32 v4, v1, 20, 1
	s_mov_b32 s7, exec_lo
	s_delay_alu instid0(VALU_DEP_1) | instskip(NEXT) | instid1(VALU_DEP_1)
	v_add3_u32 v4, v1, v4, 0x487ffff
	v_lshrrev_b32_e32 v4, 20, v4
	s_and_not1_saveexec_b32 s8, s8
	s_cbranch_execnz .LBB85_3188
.LBB85_3007:
	s_or_b32 exec_lo, exec_lo, s8
	v_mov_b32_e32 v5, 0
	s_and_saveexec_b32 s8, s7
.LBB85_3008:
	v_lshrrev_b32_e32 v1, 24, v1
	s_delay_alu instid0(VALU_DEP_1)
	v_and_or_b32 v5, 0x80, v1, v4
.LBB85_3009:
	s_or_b32 exec_lo, exec_lo, s8
.LBB85_3010:
	s_delay_alu instid0(SALU_CYCLE_1)
	s_or_b32 exec_lo, exec_lo, s6
	global_store_b8 v[2:3], v5, off
.LBB85_3011:
	s_mov_b32 s6, -1
.LBB85_3012:
	s_mov_b32 s7, 0
.LBB85_3013:
	s_delay_alu instid0(SALU_CYCLE_1)
	s_and_b32 vcc_lo, exec_lo, s7
	s_cbranch_vccz .LBB85_3053
; %bb.3014:
	s_cmp_gt_i32 s2, 22
	s_mov_b32 s3, -1
	s_cbranch_scc0 .LBB85_3046
; %bb.3015:
	s_cmp_lt_i32 s2, 24
	s_cbranch_scc1 .LBB85_3035
; %bb.3016:
	s_cmp_gt_i32 s2, 24
	s_cbranch_scc0 .LBB85_3024
; %bb.3017:
	s_wait_xcnt 0x0
	v_cvt_f32_f16_e32 v1, v16
	v_mov_b32_e32 v5, 0x80
	s_mov_b32 s3, exec_lo
	s_delay_alu instid0(VALU_DEP_2) | instskip(NEXT) | instid1(VALU_DEP_1)
	v_and_b32_e32 v4, 0x7fffffff, v1
	v_cmpx_gt_u32_e32 0x47800000, v4
	s_cbranch_execz .LBB85_3023
; %bb.3018:
	v_cmp_lt_u32_e32 vcc_lo, 0x37ffffff, v4
	s_mov_b32 s6, 0
                                        ; implicit-def: $vgpr4
	s_and_saveexec_b32 s7, vcc_lo
	s_delay_alu instid0(SALU_CYCLE_1)
	s_xor_b32 s7, exec_lo, s7
	s_cbranch_execz .LBB85_3190
; %bb.3019:
	v_bfe_u32 v4, v1, 21, 1
	s_mov_b32 s6, exec_lo
	s_delay_alu instid0(VALU_DEP_1) | instskip(NEXT) | instid1(VALU_DEP_1)
	v_add3_u32 v4, v1, v4, 0x88fffff
	v_lshrrev_b32_e32 v4, 21, v4
	s_and_not1_saveexec_b32 s7, s7
	s_cbranch_execnz .LBB85_3191
.LBB85_3020:
	s_or_b32 exec_lo, exec_lo, s7
	v_mov_b32_e32 v5, 0
	s_and_saveexec_b32 s7, s6
.LBB85_3021:
	v_lshrrev_b32_e32 v1, 24, v1
	s_delay_alu instid0(VALU_DEP_1)
	v_and_or_b32 v5, 0x80, v1, v4
.LBB85_3022:
	s_or_b32 exec_lo, exec_lo, s7
.LBB85_3023:
	s_delay_alu instid0(SALU_CYCLE_1)
	s_or_b32 exec_lo, exec_lo, s3
	s_mov_b32 s3, 0
	global_store_b8 v[2:3], v5, off
.LBB85_3024:
	s_and_b32 vcc_lo, exec_lo, s3
	s_cbranch_vccz .LBB85_3034
; %bb.3025:
	s_wait_xcnt 0x0
	v_cvt_f32_f16_e32 v1, v16
	s_mov_b32 s3, exec_lo
                                        ; implicit-def: $vgpr4
	s_delay_alu instid0(VALU_DEP_1) | instskip(NEXT) | instid1(VALU_DEP_1)
	v_and_b32_e32 v5, 0x7fffffff, v1
	v_cmpx_gt_u32_e32 0x43f00000, v5
	s_xor_b32 s3, exec_lo, s3
	s_cbranch_execz .LBB85_3031
; %bb.3026:
	s_mov_b32 s6, exec_lo
                                        ; implicit-def: $vgpr4
	v_cmpx_lt_u32_e32 0x3c7fffff, v5
	s_xor_b32 s6, exec_lo, s6
; %bb.3027:
	v_bfe_u32 v4, v1, 20, 1
	s_delay_alu instid0(VALU_DEP_1) | instskip(NEXT) | instid1(VALU_DEP_1)
	v_add3_u32 v4, v1, v4, 0x407ffff
	v_and_b32_e32 v5, 0xff00000, v4
	v_lshrrev_b32_e32 v4, 20, v4
	s_delay_alu instid0(VALU_DEP_2) | instskip(NEXT) | instid1(VALU_DEP_2)
	v_cmp_ne_u32_e32 vcc_lo, 0x7f00000, v5
	v_cndmask_b32_e32 v4, 0x7e, v4, vcc_lo
; %bb.3028:
	s_and_not1_saveexec_b32 s6, s6
; %bb.3029:
	v_add_f32_e64 v4, 0x46800000, |v1|
; %bb.3030:
	s_or_b32 exec_lo, exec_lo, s6
                                        ; implicit-def: $vgpr5
.LBB85_3031:
	s_and_not1_saveexec_b32 s3, s3
; %bb.3032:
	v_mov_b32_e32 v4, 0x7f
	v_cmp_lt_u32_e32 vcc_lo, 0x7f800000, v5
	s_delay_alu instid0(VALU_DEP_2)
	v_cndmask_b32_e32 v4, 0x7e, v4, vcc_lo
; %bb.3033:
	s_or_b32 exec_lo, exec_lo, s3
	v_lshrrev_b32_e32 v1, 24, v1
	s_delay_alu instid0(VALU_DEP_1)
	v_and_or_b32 v1, 0x80, v1, v4
	global_store_b8 v[2:3], v1, off
.LBB85_3034:
	s_mov_b32 s3, 0
.LBB85_3035:
	s_delay_alu instid0(SALU_CYCLE_1)
	s_and_not1_b32 vcc_lo, exec_lo, s3
	s_cbranch_vccnz .LBB85_3045
; %bb.3036:
	s_wait_xcnt 0x0
	v_cvt_f32_f16_e32 v1, v16
	s_mov_b32 s3, exec_lo
                                        ; implicit-def: $vgpr4
	s_delay_alu instid0(VALU_DEP_1) | instskip(NEXT) | instid1(VALU_DEP_1)
	v_and_b32_e32 v5, 0x7fffffff, v1
	v_cmpx_gt_u32_e32 0x47800000, v5
	s_xor_b32 s3, exec_lo, s3
	s_cbranch_execz .LBB85_3042
; %bb.3037:
	s_mov_b32 s6, exec_lo
                                        ; implicit-def: $vgpr4
	v_cmpx_lt_u32_e32 0x387fffff, v5
	s_xor_b32 s6, exec_lo, s6
; %bb.3038:
	v_bfe_u32 v4, v1, 21, 1
	s_delay_alu instid0(VALU_DEP_1) | instskip(NEXT) | instid1(VALU_DEP_1)
	v_add3_u32 v4, v1, v4, 0x80fffff
	v_lshrrev_b32_e32 v4, 21, v4
; %bb.3039:
	s_and_not1_saveexec_b32 s6, s6
; %bb.3040:
	v_add_f32_e64 v4, 0x43000000, |v1|
; %bb.3041:
	s_or_b32 exec_lo, exec_lo, s6
                                        ; implicit-def: $vgpr5
.LBB85_3042:
	s_and_not1_saveexec_b32 s3, s3
; %bb.3043:
	v_mov_b32_e32 v4, 0x7f
	v_cmp_lt_u32_e32 vcc_lo, 0x7f800000, v5
	s_delay_alu instid0(VALU_DEP_2)
	v_cndmask_b32_e32 v4, 0x7c, v4, vcc_lo
; %bb.3044:
	s_or_b32 exec_lo, exec_lo, s3
	v_lshrrev_b32_e32 v1, 24, v1
	s_delay_alu instid0(VALU_DEP_1)
	v_and_or_b32 v1, 0x80, v1, v4
	global_store_b8 v[2:3], v1, off
.LBB85_3045:
	s_mov_b32 s3, 0
	s_mov_b32 s6, -1
.LBB85_3046:
	s_and_not1_b32 vcc_lo, exec_lo, s3
	s_mov_b32 s3, 0
	s_cbranch_vccnz .LBB85_3053
; %bb.3047:
	s_cmp_gt_i32 s2, 14
	s_mov_b32 s3, -1
	s_cbranch_scc0 .LBB85_3051
; %bb.3048:
	s_cmp_eq_u32 s2, 15
	s_mov_b32 s0, -1
	s_cbranch_scc0 .LBB85_3050
; %bb.3049:
	s_wait_xcnt 0x0
	v_cvt_f32_f16_e32 v1, v16
	v_cmp_o_f16_e32 vcc_lo, v16, v16
	s_mov_b32 s0, 0
	s_mov_b32 s6, -1
	s_delay_alu instid0(VALU_DEP_2) | instskip(NEXT) | instid1(VALU_DEP_1)
	v_bfe_u32 v4, v1, 16, 1
	v_add3_u32 v1, v1, v4, 0x7fff
	s_delay_alu instid0(VALU_DEP_1) | instskip(NEXT) | instid1(VALU_DEP_1)
	v_lshrrev_b32_e32 v1, 16, v1
	v_cndmask_b32_e32 v1, 0x7fc0, v1, vcc_lo
	global_store_b16 v[2:3], v1, off
.LBB85_3050:
	s_mov_b32 s3, 0
.LBB85_3051:
	s_delay_alu instid0(SALU_CYCLE_1)
	s_and_b32 vcc_lo, exec_lo, s3
	s_mov_b32 s3, 0
	s_cbranch_vccz .LBB85_3053
; %bb.3052:
	s_cmp_lg_u32 s2, 11
	s_mov_b32 s3, -1
	s_cselect_b32 s0, -1, 0
.LBB85_3053:
	s_delay_alu instid0(SALU_CYCLE_1)
	s_and_b32 vcc_lo, exec_lo, s0
	s_cbranch_vccnz .LBB85_3189
; %bb.3054:
	s_and_not1_b32 vcc_lo, exec_lo, s3
	s_cbranch_vccnz .LBB85_3056
.LBB85_3055:
	s_wait_xcnt 0x0
	v_and_b32_e32 v1, 0x7fff, v16
	s_mov_b32 s6, -1
	s_delay_alu instid0(VALU_DEP_1)
	v_cmp_ne_u16_e32 vcc_lo, 0, v1
	v_cndmask_b32_e64 v1, 0, 1, vcc_lo
	global_store_b8 v[2:3], v1, off
.LBB85_3056:
	s_mov_b32 s0, 0
	s_branch .LBB85_3058
.LBB85_3057:
	s_mov_b32 s0, -1
	s_mov_b32 s6, 0
.LBB85_3058:
	s_and_b32 vcc_lo, exec_lo, s0
	s_cbranch_vccz .LBB85_3097
; %bb.3059:
	s_cmp_lt_i32 s2, 5
	s_mov_b32 s0, -1
	s_cbranch_scc1 .LBB85_3080
; %bb.3060:
	s_cmp_lt_i32 s2, 8
	s_cbranch_scc1 .LBB85_3070
; %bb.3061:
	s_cmp_lt_i32 s2, 9
	s_cbranch_scc1 .LBB85_3067
; %bb.3062:
	s_cmp_gt_i32 s2, 9
	s_cbranch_scc0 .LBB85_3064
; %bb.3063:
	s_wait_xcnt 0x0
	v_cvt_f32_f16_e32 v1, v16
	v_mov_b32_e32 v6, 0
	s_mov_b32 s0, 0
	s_delay_alu instid0(VALU_DEP_2) | instskip(NEXT) | instid1(VALU_DEP_2)
	v_cvt_f64_f32_e32 v[4:5], v1
	v_mov_b32_e32 v7, v6
	global_store_b128 v[2:3], v[4:7], off
.LBB85_3064:
	s_and_not1_b32 vcc_lo, exec_lo, s0
	s_cbranch_vccnz .LBB85_3066
; %bb.3065:
	s_wait_xcnt 0x0
	v_cvt_f32_f16_e32 v4, v16
	v_mov_b32_e32 v5, 0
	global_store_b64 v[2:3], v[4:5], off
.LBB85_3066:
	s_mov_b32 s0, 0
.LBB85_3067:
	s_delay_alu instid0(SALU_CYCLE_1)
	s_and_not1_b32 vcc_lo, exec_lo, s0
	s_cbranch_vccnz .LBB85_3069
; %bb.3068:
	s_wait_xcnt 0x0
	v_and_b32_e32 v1, 0xffff, v16
	global_store_b32 v[2:3], v1, off
.LBB85_3069:
	s_mov_b32 s0, 0
.LBB85_3070:
	s_delay_alu instid0(SALU_CYCLE_1)
	s_and_not1_b32 vcc_lo, exec_lo, s0
	s_cbranch_vccnz .LBB85_3079
; %bb.3071:
	s_cmp_lt_i32 s2, 6
	s_mov_b32 s0, -1
	s_cbranch_scc1 .LBB85_3077
; %bb.3072:
	s_cmp_gt_i32 s2, 6
	s_cbranch_scc0 .LBB85_3074
; %bb.3073:
	s_wait_xcnt 0x0
	v_cvt_f32_f16_e32 v1, v16
	s_mov_b32 s0, 0
	s_delay_alu instid0(VALU_DEP_1)
	v_cvt_f64_f32_e32 v[4:5], v1
	global_store_b64 v[2:3], v[4:5], off
.LBB85_3074:
	s_and_not1_b32 vcc_lo, exec_lo, s0
	s_cbranch_vccnz .LBB85_3076
; %bb.3075:
	s_wait_xcnt 0x0
	v_cvt_f32_f16_e32 v1, v16
	global_store_b32 v[2:3], v1, off
.LBB85_3076:
	s_mov_b32 s0, 0
.LBB85_3077:
	s_delay_alu instid0(SALU_CYCLE_1)
	s_and_not1_b32 vcc_lo, exec_lo, s0
	s_cbranch_vccnz .LBB85_3079
; %bb.3078:
	global_store_b16 v[2:3], v16, off
.LBB85_3079:
	s_mov_b32 s0, 0
.LBB85_3080:
	s_delay_alu instid0(SALU_CYCLE_1)
	s_and_not1_b32 vcc_lo, exec_lo, s0
	s_cbranch_vccnz .LBB85_3096
; %bb.3081:
	s_cmp_lt_i32 s2, 2
	s_mov_b32 s0, -1
	s_cbranch_scc1 .LBB85_3091
; %bb.3082:
	s_cmp_lt_i32 s2, 3
	s_cbranch_scc1 .LBB85_3088
; %bb.3083:
	s_cmp_gt_i32 s2, 3
	s_cbranch_scc0 .LBB85_3085
; %bb.3084:
	s_wait_xcnt 0x0
	v_cvt_f32_f16_e32 v1, v16
	s_mov_b32 s0, 0
	s_delay_alu instid0(VALU_DEP_1) | instskip(NEXT) | instid1(VALU_DEP_1)
	v_cvt_i32_f32_e32 v4, v1
	v_ashrrev_i32_e32 v5, 31, v4
	global_store_b64 v[2:3], v[4:5], off
.LBB85_3085:
	s_and_not1_b32 vcc_lo, exec_lo, s0
	s_cbranch_vccnz .LBB85_3087
; %bb.3086:
	s_wait_xcnt 0x0
	v_cvt_f32_f16_e32 v1, v16
	s_delay_alu instid0(VALU_DEP_1)
	v_cvt_i32_f32_e32 v1, v1
	global_store_b32 v[2:3], v1, off
.LBB85_3087:
	s_mov_b32 s0, 0
.LBB85_3088:
	s_delay_alu instid0(SALU_CYCLE_1)
	s_and_not1_b32 vcc_lo, exec_lo, s0
	s_cbranch_vccnz .LBB85_3090
; %bb.3089:
	s_wait_xcnt 0x0
	v_cvt_i16_f16_e32 v1, v16
	global_store_b16 v[2:3], v1, off
.LBB85_3090:
	s_mov_b32 s0, 0
.LBB85_3091:
	s_delay_alu instid0(SALU_CYCLE_1)
	s_and_not1_b32 vcc_lo, exec_lo, s0
	s_cbranch_vccnz .LBB85_3096
; %bb.3092:
	s_cmp_gt_i32 s2, 0
	s_mov_b32 s0, -1
	s_cbranch_scc0 .LBB85_3094
; %bb.3093:
	s_wait_xcnt 0x0
	v_cvt_i16_f16_e32 v1, v16
	s_mov_b32 s0, 0
	global_store_b8 v[2:3], v1, off
.LBB85_3094:
	s_and_not1_b32 vcc_lo, exec_lo, s0
	s_cbranch_vccnz .LBB85_3096
; %bb.3095:
	s_wait_xcnt 0x0
	v_cvt_f32_f16_e32 v1, v16
	s_delay_alu instid0(VALU_DEP_1)
	v_cvt_i32_f32_e32 v1, v1
	global_store_b8 v[2:3], v1, off
.LBB85_3096:
	s_mov_b32 s6, -1
.LBB85_3097:
	s_delay_alu instid0(SALU_CYCLE_1)
	s_and_not1_b32 vcc_lo, exec_lo, s6
	s_cbranch_vccnz .LBB85_3174
; %bb.3098:
	s_wait_xcnt 0x0
	v_mov_b32_e32 v1, 0
	s_cmp_lt_i32 s2, 11
	s_delay_alu instid0(VALU_DEP_1)
	v_add_nc_u64_e32 v[2:3], s[4:5], v[0:1]
	s_cbranch_scc1 .LBB85_3175
; %bb.3099:
	s_mov_b32 s4, -1
	s_mov_b32 s3, 0
	s_cmp_gt_i32 s2, 25
	s_mov_b32 s0, 0
	s_cbranch_scc0 .LBB85_3132
; %bb.3100:
	s_cmp_gt_i32 s2, 28
	s_cbranch_scc0 .LBB85_3116
; %bb.3101:
	s_cmp_gt_i32 s2, 43
	;; [unrolled: 3-line block ×3, first 2 shown]
	s_cbranch_scc0 .LBB85_3106
; %bb.3103:
	s_cmp_eq_u32 s2, 46
	s_mov_b32 s0, -1
	s_cbranch_scc0 .LBB85_3105
; %bb.3104:
	v_cvt_f32_f16_e32 v0, v12
	v_cmp_o_f16_e32 vcc_lo, v12, v12
	s_mov_b32 s0, 0
	s_delay_alu instid0(VALU_DEP_2) | instskip(NEXT) | instid1(VALU_DEP_1)
	v_bfe_u32 v1, v0, 16, 1
	v_add3_u32 v0, v0, v1, 0x7fff
	s_delay_alu instid0(VALU_DEP_1) | instskip(NEXT) | instid1(VALU_DEP_1)
	v_lshrrev_b32_e32 v0, 16, v0
	v_cndmask_b32_e32 v0, 0x7fc0, v0, vcc_lo
	global_store_b32 v[2:3], v0, off
.LBB85_3105:
	s_mov_b32 s4, 0
.LBB85_3106:
	s_delay_alu instid0(SALU_CYCLE_1)
	s_and_b32 vcc_lo, exec_lo, s4
	s_cbranch_vccz .LBB85_3111
; %bb.3107:
	s_cmp_eq_u32 s2, 44
	s_mov_b32 s0, -1
	s_cbranch_scc0 .LBB85_3111
; %bb.3108:
	s_wait_xcnt 0x0
	v_cvt_f32_f16_e32 v0, v12
	v_mov_b32_e32 v1, 0xff
	s_mov_b32 s4, exec_lo
	s_delay_alu instid0(VALU_DEP_2) | instskip(NEXT) | instid1(VALU_DEP_1)
	v_bfe_u32 v4, v0, 23, 8
	v_cmpx_ne_u32_e32 0xff, v4
	s_cbranch_execz .LBB85_3110
; %bb.3109:
	v_and_b32_e32 v1, 0x400000, v0
	v_and_or_b32 v4, 0x3fffff, v0, v4
	v_lshrrev_b32_e32 v0, 23, v0
	s_delay_alu instid0(VALU_DEP_3) | instskip(NEXT) | instid1(VALU_DEP_3)
	v_cmp_ne_u32_e32 vcc_lo, 0, v1
	v_cmp_ne_u32_e64 s0, 0, v4
	s_and_b32 s0, vcc_lo, s0
	s_delay_alu instid0(SALU_CYCLE_1) | instskip(NEXT) | instid1(VALU_DEP_1)
	v_cndmask_b32_e64 v1, 0, 1, s0
	v_add_nc_u32_e32 v1, v0, v1
.LBB85_3110:
	s_or_b32 exec_lo, exec_lo, s4
	s_mov_b32 s0, 0
	global_store_b8 v[2:3], v1, off
.LBB85_3111:
	s_mov_b32 s4, 0
.LBB85_3112:
	s_delay_alu instid0(SALU_CYCLE_1)
	s_and_b32 vcc_lo, exec_lo, s4
	s_cbranch_vccz .LBB85_3115
; %bb.3113:
	s_cmp_eq_u32 s2, 29
	s_mov_b32 s0, -1
	s_cbranch_scc0 .LBB85_3115
; %bb.3114:
	s_wait_xcnt 0x0
	v_cvt_f32_f16_e32 v0, v12
	v_mov_b32_e32 v1, 0
	s_mov_b32 s0, 0
	s_delay_alu instid0(VALU_DEP_2)
	v_cvt_u32_f32_e32 v0, v0
	global_store_b64 v[2:3], v[0:1], off
.LBB85_3115:
	s_mov_b32 s4, 0
.LBB85_3116:
	s_delay_alu instid0(SALU_CYCLE_1)
	s_and_b32 vcc_lo, exec_lo, s4
	s_cbranch_vccz .LBB85_3131
; %bb.3117:
	s_cmp_lt_i32 s2, 27
	s_mov_b32 s4, -1
	s_cbranch_scc1 .LBB85_3123
; %bb.3118:
	s_cmp_gt_i32 s2, 27
	s_cbranch_scc0 .LBB85_3120
; %bb.3119:
	s_wait_xcnt 0x0
	v_cvt_f32_f16_e32 v0, v12
	s_mov_b32 s4, 0
	s_delay_alu instid0(VALU_DEP_1)
	v_cvt_u32_f32_e32 v0, v0
	global_store_b32 v[2:3], v0, off
.LBB85_3120:
	s_and_not1_b32 vcc_lo, exec_lo, s4
	s_cbranch_vccnz .LBB85_3122
; %bb.3121:
	s_wait_xcnt 0x0
	v_cvt_u16_f16_e32 v0, v12
	global_store_b16 v[2:3], v0, off
.LBB85_3122:
	s_mov_b32 s4, 0
.LBB85_3123:
	s_delay_alu instid0(SALU_CYCLE_1)
	s_and_not1_b32 vcc_lo, exec_lo, s4
	s_cbranch_vccnz .LBB85_3131
; %bb.3124:
	s_wait_xcnt 0x0
	v_cvt_f32_f16_e32 v0, v12
	v_mov_b32_e32 v4, 0x80
	s_mov_b32 s4, exec_lo
	s_delay_alu instid0(VALU_DEP_2) | instskip(NEXT) | instid1(VALU_DEP_1)
	v_and_b32_e32 v1, 0x7fffffff, v0
	v_cmpx_gt_u32_e32 0x43800000, v1
	s_cbranch_execz .LBB85_3130
; %bb.3125:
	v_cmp_lt_u32_e32 vcc_lo, 0x3bffffff, v1
	s_mov_b32 s5, 0
                                        ; implicit-def: $vgpr1
	s_and_saveexec_b32 s6, vcc_lo
	s_delay_alu instid0(SALU_CYCLE_1)
	s_xor_b32 s6, exec_lo, s6
	s_cbranch_execz .LBB85_3192
; %bb.3126:
	v_bfe_u32 v1, v0, 20, 1
	s_mov_b32 s5, exec_lo
	s_delay_alu instid0(VALU_DEP_1) | instskip(NEXT) | instid1(VALU_DEP_1)
	v_add3_u32 v1, v0, v1, 0x487ffff
	v_lshrrev_b32_e32 v1, 20, v1
	s_and_not1_saveexec_b32 s6, s6
	s_cbranch_execnz .LBB85_3193
.LBB85_3127:
	s_or_b32 exec_lo, exec_lo, s6
	v_mov_b32_e32 v4, 0
	s_and_saveexec_b32 s6, s5
.LBB85_3128:
	v_lshrrev_b32_e32 v0, 24, v0
	s_delay_alu instid0(VALU_DEP_1)
	v_and_or_b32 v4, 0x80, v0, v1
.LBB85_3129:
	s_or_b32 exec_lo, exec_lo, s6
.LBB85_3130:
	s_delay_alu instid0(SALU_CYCLE_1)
	s_or_b32 exec_lo, exec_lo, s4
	global_store_b8 v[2:3], v4, off
.LBB85_3131:
	s_mov_b32 s4, 0
.LBB85_3132:
	s_delay_alu instid0(SALU_CYCLE_1)
	s_and_b32 vcc_lo, exec_lo, s4
	s_cbranch_vccz .LBB85_3172
; %bb.3133:
	s_cmp_gt_i32 s2, 22
	s_mov_b32 s3, -1
	s_cbranch_scc0 .LBB85_3165
; %bb.3134:
	s_cmp_lt_i32 s2, 24
	s_cbranch_scc1 .LBB85_3154
; %bb.3135:
	s_cmp_gt_i32 s2, 24
	s_cbranch_scc0 .LBB85_3143
; %bb.3136:
	s_wait_xcnt 0x0
	v_cvt_f32_f16_e32 v0, v12
	v_mov_b32_e32 v4, 0x80
	s_mov_b32 s3, exec_lo
	s_delay_alu instid0(VALU_DEP_2) | instskip(NEXT) | instid1(VALU_DEP_1)
	v_and_b32_e32 v1, 0x7fffffff, v0
	v_cmpx_gt_u32_e32 0x47800000, v1
	s_cbranch_execz .LBB85_3142
; %bb.3137:
	v_cmp_lt_u32_e32 vcc_lo, 0x37ffffff, v1
	s_mov_b32 s4, 0
                                        ; implicit-def: $vgpr1
	s_and_saveexec_b32 s5, vcc_lo
	s_delay_alu instid0(SALU_CYCLE_1)
	s_xor_b32 s5, exec_lo, s5
	s_cbranch_execz .LBB85_3195
; %bb.3138:
	v_bfe_u32 v1, v0, 21, 1
	s_mov_b32 s4, exec_lo
	s_delay_alu instid0(VALU_DEP_1) | instskip(NEXT) | instid1(VALU_DEP_1)
	v_add3_u32 v1, v0, v1, 0x88fffff
	v_lshrrev_b32_e32 v1, 21, v1
	s_and_not1_saveexec_b32 s5, s5
	s_cbranch_execnz .LBB85_3196
.LBB85_3139:
	s_or_b32 exec_lo, exec_lo, s5
	v_mov_b32_e32 v4, 0
	s_and_saveexec_b32 s5, s4
.LBB85_3140:
	v_lshrrev_b32_e32 v0, 24, v0
	s_delay_alu instid0(VALU_DEP_1)
	v_and_or_b32 v4, 0x80, v0, v1
.LBB85_3141:
	s_or_b32 exec_lo, exec_lo, s5
.LBB85_3142:
	s_delay_alu instid0(SALU_CYCLE_1)
	s_or_b32 exec_lo, exec_lo, s3
	s_mov_b32 s3, 0
	global_store_b8 v[2:3], v4, off
.LBB85_3143:
	s_and_b32 vcc_lo, exec_lo, s3
	s_cbranch_vccz .LBB85_3153
; %bb.3144:
	s_wait_xcnt 0x0
	v_cvt_f32_f16_e32 v0, v12
	s_mov_b32 s3, exec_lo
                                        ; implicit-def: $vgpr1
	s_delay_alu instid0(VALU_DEP_1) | instskip(NEXT) | instid1(VALU_DEP_1)
	v_and_b32_e32 v4, 0x7fffffff, v0
	v_cmpx_gt_u32_e32 0x43f00000, v4
	s_xor_b32 s3, exec_lo, s3
	s_cbranch_execz .LBB85_3150
; %bb.3145:
	s_mov_b32 s4, exec_lo
                                        ; implicit-def: $vgpr1
	v_cmpx_lt_u32_e32 0x3c7fffff, v4
	s_xor_b32 s4, exec_lo, s4
; %bb.3146:
	v_bfe_u32 v1, v0, 20, 1
	s_delay_alu instid0(VALU_DEP_1) | instskip(NEXT) | instid1(VALU_DEP_1)
	v_add3_u32 v1, v0, v1, 0x407ffff
	v_and_b32_e32 v4, 0xff00000, v1
	v_lshrrev_b32_e32 v1, 20, v1
	s_delay_alu instid0(VALU_DEP_2) | instskip(NEXT) | instid1(VALU_DEP_2)
	v_cmp_ne_u32_e32 vcc_lo, 0x7f00000, v4
	v_cndmask_b32_e32 v1, 0x7e, v1, vcc_lo
; %bb.3147:
	s_and_not1_saveexec_b32 s4, s4
; %bb.3148:
	v_add_f32_e64 v1, 0x46800000, |v0|
; %bb.3149:
	s_or_b32 exec_lo, exec_lo, s4
                                        ; implicit-def: $vgpr4
.LBB85_3150:
	s_and_not1_saveexec_b32 s3, s3
; %bb.3151:
	v_mov_b32_e32 v1, 0x7f
	v_cmp_lt_u32_e32 vcc_lo, 0x7f800000, v4
	s_delay_alu instid0(VALU_DEP_2)
	v_cndmask_b32_e32 v1, 0x7e, v1, vcc_lo
; %bb.3152:
	s_or_b32 exec_lo, exec_lo, s3
	v_lshrrev_b32_e32 v0, 24, v0
	s_delay_alu instid0(VALU_DEP_1)
	v_and_or_b32 v0, 0x80, v0, v1
	global_store_b8 v[2:3], v0, off
.LBB85_3153:
	s_mov_b32 s3, 0
.LBB85_3154:
	s_delay_alu instid0(SALU_CYCLE_1)
	s_and_not1_b32 vcc_lo, exec_lo, s3
	s_cbranch_vccnz .LBB85_3164
; %bb.3155:
	s_wait_xcnt 0x0
	v_cvt_f32_f16_e32 v0, v12
	s_mov_b32 s3, exec_lo
                                        ; implicit-def: $vgpr1
	s_delay_alu instid0(VALU_DEP_1) | instskip(NEXT) | instid1(VALU_DEP_1)
	v_and_b32_e32 v4, 0x7fffffff, v0
	v_cmpx_gt_u32_e32 0x47800000, v4
	s_xor_b32 s3, exec_lo, s3
	s_cbranch_execz .LBB85_3161
; %bb.3156:
	s_mov_b32 s4, exec_lo
                                        ; implicit-def: $vgpr1
	v_cmpx_lt_u32_e32 0x387fffff, v4
	s_xor_b32 s4, exec_lo, s4
; %bb.3157:
	v_bfe_u32 v1, v0, 21, 1
	s_delay_alu instid0(VALU_DEP_1) | instskip(NEXT) | instid1(VALU_DEP_1)
	v_add3_u32 v1, v0, v1, 0x80fffff
	v_lshrrev_b32_e32 v1, 21, v1
; %bb.3158:
	s_and_not1_saveexec_b32 s4, s4
; %bb.3159:
	v_add_f32_e64 v1, 0x43000000, |v0|
; %bb.3160:
	s_or_b32 exec_lo, exec_lo, s4
                                        ; implicit-def: $vgpr4
.LBB85_3161:
	s_and_not1_saveexec_b32 s3, s3
; %bb.3162:
	v_mov_b32_e32 v1, 0x7f
	v_cmp_lt_u32_e32 vcc_lo, 0x7f800000, v4
	s_delay_alu instid0(VALU_DEP_2)
	v_cndmask_b32_e32 v1, 0x7c, v1, vcc_lo
; %bb.3163:
	s_or_b32 exec_lo, exec_lo, s3
	v_lshrrev_b32_e32 v0, 24, v0
	s_delay_alu instid0(VALU_DEP_1)
	v_and_or_b32 v0, 0x80, v0, v1
	global_store_b8 v[2:3], v0, off
.LBB85_3164:
	s_mov_b32 s3, 0
.LBB85_3165:
	s_delay_alu instid0(SALU_CYCLE_1)
	s_and_not1_b32 vcc_lo, exec_lo, s3
	s_mov_b32 s3, 0
	s_cbranch_vccnz .LBB85_3172
; %bb.3166:
	s_cmp_gt_i32 s2, 14
	s_mov_b32 s3, -1
	s_cbranch_scc0 .LBB85_3170
; %bb.3167:
	s_cmp_eq_u32 s2, 15
	s_mov_b32 s0, -1
	s_cbranch_scc0 .LBB85_3169
; %bb.3168:
	s_wait_xcnt 0x0
	v_cvt_f32_f16_e32 v0, v12
	v_cmp_o_f16_e32 vcc_lo, v12, v12
	s_mov_b32 s0, 0
	s_delay_alu instid0(VALU_DEP_2) | instskip(NEXT) | instid1(VALU_DEP_1)
	v_bfe_u32 v1, v0, 16, 1
	v_add3_u32 v0, v0, v1, 0x7fff
	s_delay_alu instid0(VALU_DEP_1) | instskip(NEXT) | instid1(VALU_DEP_1)
	v_lshrrev_b32_e32 v0, 16, v0
	v_cndmask_b32_e32 v0, 0x7fc0, v0, vcc_lo
	global_store_b16 v[2:3], v0, off
.LBB85_3169:
	s_mov_b32 s3, 0
.LBB85_3170:
	s_delay_alu instid0(SALU_CYCLE_1)
	s_and_b32 vcc_lo, exec_lo, s3
	s_mov_b32 s3, 0
	s_cbranch_vccz .LBB85_3172
; %bb.3171:
	s_cmp_lg_u32 s2, 11
	s_mov_b32 s3, -1
	s_cselect_b32 s0, -1, 0
.LBB85_3172:
	s_delay_alu instid0(SALU_CYCLE_1)
	s_and_b32 vcc_lo, exec_lo, s0
	s_cbranch_vccnz .LBB85_3194
.LBB85_3173:
	s_mov_b32 s0, 0
	s_branch .LBB85_2775
.LBB85_3174:
	s_mov_b32 s0, 0
	s_mov_b32 s3, 0
                                        ; implicit-def: $vgpr2_vgpr3
                                        ; implicit-def: $sgpr1
	s_branch .LBB85_2775
.LBB85_3175:
	s_mov_b32 s3, 0
	s_mov_b32 s0, -1
	s_branch .LBB85_2775
.LBB85_3176:
	s_or_b32 s12, s12, exec_lo
	s_trap 2
	s_cbranch_execz .LBB85_2642
	s_branch .LBB85_2643
.LBB85_3177:
	s_and_not1_saveexec_b32 s8, s8
	s_cbranch_execz .LBB85_2724
.LBB85_3178:
	v_add_f32_e64 v8, 0x46000000, |v5|
	s_and_not1_b32 s7, s7, exec_lo
	s_delay_alu instid0(VALU_DEP_1) | instskip(NEXT) | instid1(VALU_DEP_1)
	v_and_b32_e32 v8, 0xff, v8
	v_cmp_ne_u32_e32 vcc_lo, 0, v8
	s_and_b32 s9, vcc_lo, exec_lo
	s_delay_alu instid0(SALU_CYCLE_1)
	s_or_b32 s7, s7, s9
	s_or_b32 exec_lo, exec_lo, s8
	v_mov_b32_e32 v9, 0
	s_and_saveexec_b32 s8, s7
	s_cbranch_execnz .LBB85_2725
	s_branch .LBB85_2726
.LBB85_3179:
	s_or_b32 s12, s12, exec_lo
	s_trap 2
	s_cbranch_execz .LBB85_2772
	s_branch .LBB85_2773
.LBB85_3180:
	s_and_not1_saveexec_b32 s7, s7
	s_cbranch_execz .LBB85_2737
.LBB85_3181:
	v_add_f32_e64 v8, 0x42800000, |v5|
	s_and_not1_b32 s6, s6, exec_lo
	s_delay_alu instid0(VALU_DEP_1) | instskip(NEXT) | instid1(VALU_DEP_1)
	v_and_b32_e32 v8, 0xff, v8
	v_cmp_ne_u32_e32 vcc_lo, 0, v8
	s_and_b32 s8, vcc_lo, exec_lo
	s_delay_alu instid0(SALU_CYCLE_1)
	s_or_b32 s6, s6, s8
	s_or_b32 exec_lo, exec_lo, s7
	v_mov_b32_e32 v9, 0
	s_and_saveexec_b32 s7, s6
	s_cbranch_execnz .LBB85_2738
	s_branch .LBB85_2739
.LBB85_3182:
	s_and_not1_saveexec_b32 s8, s8
	s_cbranch_execz .LBB85_2888
.LBB85_3183:
	v_add_f32_e64 v6, 0x46000000, |v1|
	s_and_not1_b32 s7, s7, exec_lo
	s_delay_alu instid0(VALU_DEP_1) | instskip(NEXT) | instid1(VALU_DEP_1)
	v_and_b32_e32 v6, 0xff, v6
	v_cmp_ne_u32_e32 vcc_lo, 0, v6
	s_and_b32 s9, vcc_lo, exec_lo
	s_delay_alu instid0(SALU_CYCLE_1)
	s_or_b32 s7, s7, s9
	s_or_b32 exec_lo, exec_lo, s8
	v_mov_b32_e32 v7, 0
	s_and_saveexec_b32 s8, s7
	s_cbranch_execnz .LBB85_2889
	s_branch .LBB85_2890
.LBB85_3184:
	s_or_b32 s12, s12, exec_lo
	s_trap 2
	s_cbranch_execz .LBB85_2936
	s_branch .LBB85_2937
.LBB85_3185:
	s_and_not1_saveexec_b32 s7, s7
	s_cbranch_execz .LBB85_2901
.LBB85_3186:
	v_add_f32_e64 v6, 0x42800000, |v1|
	s_and_not1_b32 s6, s6, exec_lo
	s_delay_alu instid0(VALU_DEP_1) | instskip(NEXT) | instid1(VALU_DEP_1)
	v_and_b32_e32 v6, 0xff, v6
	v_cmp_ne_u32_e32 vcc_lo, 0, v6
	s_and_b32 s8, vcc_lo, exec_lo
	s_delay_alu instid0(SALU_CYCLE_1)
	s_or_b32 s6, s6, s8
	s_or_b32 exec_lo, exec_lo, s7
	v_mov_b32_e32 v7, 0
	s_and_saveexec_b32 s7, s6
	s_cbranch_execnz .LBB85_2902
	s_branch .LBB85_2903
.LBB85_3187:
	s_and_not1_saveexec_b32 s8, s8
	s_cbranch_execz .LBB85_3007
.LBB85_3188:
	v_add_f32_e64 v4, 0x46000000, |v1|
	s_and_not1_b32 s7, s7, exec_lo
	s_delay_alu instid0(VALU_DEP_1) | instskip(NEXT) | instid1(VALU_DEP_1)
	v_and_b32_e32 v4, 0xff, v4
	v_cmp_ne_u32_e32 vcc_lo, 0, v4
	s_and_b32 s9, vcc_lo, exec_lo
	s_delay_alu instid0(SALU_CYCLE_1)
	s_or_b32 s7, s7, s9
	s_or_b32 exec_lo, exec_lo, s8
	v_mov_b32_e32 v5, 0
	s_and_saveexec_b32 s8, s7
	s_cbranch_execnz .LBB85_3008
	s_branch .LBB85_3009
.LBB85_3189:
	s_or_b32 s12, s12, exec_lo
	s_trap 2
	s_cbranch_execz .LBB85_3055
	s_branch .LBB85_3056
.LBB85_3190:
	s_and_not1_saveexec_b32 s7, s7
	s_cbranch_execz .LBB85_3020
.LBB85_3191:
	v_add_f32_e64 v4, 0x42800000, |v1|
	s_and_not1_b32 s6, s6, exec_lo
	s_delay_alu instid0(VALU_DEP_1) | instskip(NEXT) | instid1(VALU_DEP_1)
	v_and_b32_e32 v4, 0xff, v4
	v_cmp_ne_u32_e32 vcc_lo, 0, v4
	s_and_b32 s8, vcc_lo, exec_lo
	s_delay_alu instid0(SALU_CYCLE_1)
	s_or_b32 s6, s6, s8
	s_or_b32 exec_lo, exec_lo, s7
	v_mov_b32_e32 v5, 0
	s_and_saveexec_b32 s7, s6
	s_cbranch_execnz .LBB85_3021
	s_branch .LBB85_3022
.LBB85_3192:
	s_and_not1_saveexec_b32 s6, s6
	s_cbranch_execz .LBB85_3127
.LBB85_3193:
	v_add_f32_e64 v1, 0x46000000, |v0|
	s_and_not1_b32 s5, s5, exec_lo
	s_delay_alu instid0(VALU_DEP_1) | instskip(NEXT) | instid1(VALU_DEP_1)
	v_and_b32_e32 v1, 0xff, v1
	v_cmp_ne_u32_e32 vcc_lo, 0, v1
	s_and_b32 s7, vcc_lo, exec_lo
	s_delay_alu instid0(SALU_CYCLE_1)
	s_or_b32 s5, s5, s7
	s_or_b32 exec_lo, exec_lo, s6
	v_mov_b32_e32 v4, 0
	s_and_saveexec_b32 s6, s5
	s_cbranch_execnz .LBB85_3128
	s_branch .LBB85_3129
.LBB85_3194:
	s_mov_b32 s3, 0
	s_or_b32 s12, s12, exec_lo
	s_trap 2
	s_branch .LBB85_3173
.LBB85_3195:
	s_and_not1_saveexec_b32 s5, s5
	s_cbranch_execz .LBB85_3139
.LBB85_3196:
	v_add_f32_e64 v1, 0x42800000, |v0|
	s_and_not1_b32 s4, s4, exec_lo
	s_delay_alu instid0(VALU_DEP_1) | instskip(NEXT) | instid1(VALU_DEP_1)
	v_and_b32_e32 v1, 0xff, v1
	v_cmp_ne_u32_e32 vcc_lo, 0, v1
	s_and_b32 s6, vcc_lo, exec_lo
	s_delay_alu instid0(SALU_CYCLE_1)
	s_or_b32 s4, s4, s6
	s_or_b32 exec_lo, exec_lo, s5
	v_mov_b32_e32 v4, 0
	s_and_saveexec_b32 s5, s4
	s_cbranch_execnz .LBB85_3140
	s_branch .LBB85_3141
	.section	.rodata,"a",@progbits
	.p2align	6, 0x0
	.amdhsa_kernel _ZN2at6native32elementwise_kernel_manual_unrollILi128ELi4EZNS0_15gpu_kernel_implIZZZNS0_12_GLOBAL__N_124softplus_backward_kernelERNS_18TensorIteratorBaseERKN3c106ScalarES9_ENKUlvE_clEvENKUlvE1_clEvEUlNS6_4HalfESC_E_EEvS5_RKT_EUlibE0_EEviT1_
		.amdhsa_group_segment_fixed_size 0
		.amdhsa_private_segment_fixed_size 0
		.amdhsa_kernarg_size 440
		.amdhsa_user_sgpr_count 2
		.amdhsa_user_sgpr_dispatch_ptr 0
		.amdhsa_user_sgpr_queue_ptr 0
		.amdhsa_user_sgpr_kernarg_segment_ptr 1
		.amdhsa_user_sgpr_dispatch_id 0
		.amdhsa_user_sgpr_kernarg_preload_length 0
		.amdhsa_user_sgpr_kernarg_preload_offset 0
		.amdhsa_user_sgpr_private_segment_size 0
		.amdhsa_wavefront_size32 1
		.amdhsa_uses_dynamic_stack 0
		.amdhsa_enable_private_segment 0
		.amdhsa_system_sgpr_workgroup_id_x 1
		.amdhsa_system_sgpr_workgroup_id_y 0
		.amdhsa_system_sgpr_workgroup_id_z 0
		.amdhsa_system_sgpr_workgroup_info 0
		.amdhsa_system_vgpr_workitem_id 0
		.amdhsa_next_free_vgpr 26
		.amdhsa_next_free_sgpr 62
		.amdhsa_named_barrier_count 0
		.amdhsa_reserve_vcc 1
		.amdhsa_float_round_mode_32 0
		.amdhsa_float_round_mode_16_64 0
		.amdhsa_float_denorm_mode_32 3
		.amdhsa_float_denorm_mode_16_64 3
		.amdhsa_fp16_overflow 0
		.amdhsa_memory_ordered 1
		.amdhsa_forward_progress 1
		.amdhsa_inst_pref_size 255
		.amdhsa_round_robin_scheduling 0
		.amdhsa_exception_fp_ieee_invalid_op 0
		.amdhsa_exception_fp_denorm_src 0
		.amdhsa_exception_fp_ieee_div_zero 0
		.amdhsa_exception_fp_ieee_overflow 0
		.amdhsa_exception_fp_ieee_underflow 0
		.amdhsa_exception_fp_ieee_inexact 0
		.amdhsa_exception_int_div_zero 0
	.end_amdhsa_kernel
	.section	.text._ZN2at6native32elementwise_kernel_manual_unrollILi128ELi4EZNS0_15gpu_kernel_implIZZZNS0_12_GLOBAL__N_124softplus_backward_kernelERNS_18TensorIteratorBaseERKN3c106ScalarES9_ENKUlvE_clEvENKUlvE1_clEvEUlNS6_4HalfESC_E_EEvS5_RKT_EUlibE0_EEviT1_,"axG",@progbits,_ZN2at6native32elementwise_kernel_manual_unrollILi128ELi4EZNS0_15gpu_kernel_implIZZZNS0_12_GLOBAL__N_124softplus_backward_kernelERNS_18TensorIteratorBaseERKN3c106ScalarES9_ENKUlvE_clEvENKUlvE1_clEvEUlNS6_4HalfESC_E_EEvS5_RKT_EUlibE0_EEviT1_,comdat
.Lfunc_end85:
	.size	_ZN2at6native32elementwise_kernel_manual_unrollILi128ELi4EZNS0_15gpu_kernel_implIZZZNS0_12_GLOBAL__N_124softplus_backward_kernelERNS_18TensorIteratorBaseERKN3c106ScalarES9_ENKUlvE_clEvENKUlvE1_clEvEUlNS6_4HalfESC_E_EEvS5_RKT_EUlibE0_EEviT1_, .Lfunc_end85-_ZN2at6native32elementwise_kernel_manual_unrollILi128ELi4EZNS0_15gpu_kernel_implIZZZNS0_12_GLOBAL__N_124softplus_backward_kernelERNS_18TensorIteratorBaseERKN3c106ScalarES9_ENKUlvE_clEvENKUlvE1_clEvEUlNS6_4HalfESC_E_EEvS5_RKT_EUlibE0_EEviT1_
                                        ; -- End function
	.set _ZN2at6native32elementwise_kernel_manual_unrollILi128ELi4EZNS0_15gpu_kernel_implIZZZNS0_12_GLOBAL__N_124softplus_backward_kernelERNS_18TensorIteratorBaseERKN3c106ScalarES9_ENKUlvE_clEvENKUlvE1_clEvEUlNS6_4HalfESC_E_EEvS5_RKT_EUlibE0_EEviT1_.num_vgpr, 26
	.set _ZN2at6native32elementwise_kernel_manual_unrollILi128ELi4EZNS0_15gpu_kernel_implIZZZNS0_12_GLOBAL__N_124softplus_backward_kernelERNS_18TensorIteratorBaseERKN3c106ScalarES9_ENKUlvE_clEvENKUlvE1_clEvEUlNS6_4HalfESC_E_EEvS5_RKT_EUlibE0_EEviT1_.num_agpr, 0
	.set _ZN2at6native32elementwise_kernel_manual_unrollILi128ELi4EZNS0_15gpu_kernel_implIZZZNS0_12_GLOBAL__N_124softplus_backward_kernelERNS_18TensorIteratorBaseERKN3c106ScalarES9_ENKUlvE_clEvENKUlvE1_clEvEUlNS6_4HalfESC_E_EEvS5_RKT_EUlibE0_EEviT1_.numbered_sgpr, 62
	.set _ZN2at6native32elementwise_kernel_manual_unrollILi128ELi4EZNS0_15gpu_kernel_implIZZZNS0_12_GLOBAL__N_124softplus_backward_kernelERNS_18TensorIteratorBaseERKN3c106ScalarES9_ENKUlvE_clEvENKUlvE1_clEvEUlNS6_4HalfESC_E_EEvS5_RKT_EUlibE0_EEviT1_.num_named_barrier, 0
	.set _ZN2at6native32elementwise_kernel_manual_unrollILi128ELi4EZNS0_15gpu_kernel_implIZZZNS0_12_GLOBAL__N_124softplus_backward_kernelERNS_18TensorIteratorBaseERKN3c106ScalarES9_ENKUlvE_clEvENKUlvE1_clEvEUlNS6_4HalfESC_E_EEvS5_RKT_EUlibE0_EEviT1_.private_seg_size, 0
	.set _ZN2at6native32elementwise_kernel_manual_unrollILi128ELi4EZNS0_15gpu_kernel_implIZZZNS0_12_GLOBAL__N_124softplus_backward_kernelERNS_18TensorIteratorBaseERKN3c106ScalarES9_ENKUlvE_clEvENKUlvE1_clEvEUlNS6_4HalfESC_E_EEvS5_RKT_EUlibE0_EEviT1_.uses_vcc, 1
	.set _ZN2at6native32elementwise_kernel_manual_unrollILi128ELi4EZNS0_15gpu_kernel_implIZZZNS0_12_GLOBAL__N_124softplus_backward_kernelERNS_18TensorIteratorBaseERKN3c106ScalarES9_ENKUlvE_clEvENKUlvE1_clEvEUlNS6_4HalfESC_E_EEvS5_RKT_EUlibE0_EEviT1_.uses_flat_scratch, 0
	.set _ZN2at6native32elementwise_kernel_manual_unrollILi128ELi4EZNS0_15gpu_kernel_implIZZZNS0_12_GLOBAL__N_124softplus_backward_kernelERNS_18TensorIteratorBaseERKN3c106ScalarES9_ENKUlvE_clEvENKUlvE1_clEvEUlNS6_4HalfESC_E_EEvS5_RKT_EUlibE0_EEviT1_.has_dyn_sized_stack, 0
	.set _ZN2at6native32elementwise_kernel_manual_unrollILi128ELi4EZNS0_15gpu_kernel_implIZZZNS0_12_GLOBAL__N_124softplus_backward_kernelERNS_18TensorIteratorBaseERKN3c106ScalarES9_ENKUlvE_clEvENKUlvE1_clEvEUlNS6_4HalfESC_E_EEvS5_RKT_EUlibE0_EEviT1_.has_recursion, 0
	.set _ZN2at6native32elementwise_kernel_manual_unrollILi128ELi4EZNS0_15gpu_kernel_implIZZZNS0_12_GLOBAL__N_124softplus_backward_kernelERNS_18TensorIteratorBaseERKN3c106ScalarES9_ENKUlvE_clEvENKUlvE1_clEvEUlNS6_4HalfESC_E_EEvS5_RKT_EUlibE0_EEviT1_.has_indirect_call, 0
	.section	.AMDGPU.csdata,"",@progbits
; Kernel info:
; codeLenInByte = 71376
; TotalNumSgprs: 64
; NumVgprs: 26
; ScratchSize: 0
; MemoryBound: 0
; FloatMode: 240
; IeeeMode: 1
; LDSByteSize: 0 bytes/workgroup (compile time only)
; SGPRBlocks: 0
; VGPRBlocks: 1
; NumSGPRsForWavesPerEU: 64
; NumVGPRsForWavesPerEU: 26
; NamedBarCnt: 0
; Occupancy: 16
; WaveLimiterHint : 1
; COMPUTE_PGM_RSRC2:SCRATCH_EN: 0
; COMPUTE_PGM_RSRC2:USER_SGPR: 2
; COMPUTE_PGM_RSRC2:TRAP_HANDLER: 0
; COMPUTE_PGM_RSRC2:TGID_X_EN: 1
; COMPUTE_PGM_RSRC2:TGID_Y_EN: 0
; COMPUTE_PGM_RSRC2:TGID_Z_EN: 0
; COMPUTE_PGM_RSRC2:TIDIG_COMP_CNT: 0
	.section	.text._ZN2at6native29vectorized_elementwise_kernelILi16EZZZNS0_12_GLOBAL__N_124softplus_backward_kernelERNS_18TensorIteratorBaseERKN3c106ScalarES8_ENKUlvE_clEvENKUlvE2_clEvEUlNS5_8BFloat16ESB_E_St5arrayIPcLm3EEEEviT0_T1_,"axG",@progbits,_ZN2at6native29vectorized_elementwise_kernelILi16EZZZNS0_12_GLOBAL__N_124softplus_backward_kernelERNS_18TensorIteratorBaseERKN3c106ScalarES8_ENKUlvE_clEvENKUlvE2_clEvEUlNS5_8BFloat16ESB_E_St5arrayIPcLm3EEEEviT0_T1_,comdat
	.globl	_ZN2at6native29vectorized_elementwise_kernelILi16EZZZNS0_12_GLOBAL__N_124softplus_backward_kernelERNS_18TensorIteratorBaseERKN3c106ScalarES8_ENKUlvE_clEvENKUlvE2_clEvEUlNS5_8BFloat16ESB_E_St5arrayIPcLm3EEEEviT0_T1_ ; -- Begin function _ZN2at6native29vectorized_elementwise_kernelILi16EZZZNS0_12_GLOBAL__N_124softplus_backward_kernelERNS_18TensorIteratorBaseERKN3c106ScalarES8_ENKUlvE_clEvENKUlvE2_clEvEUlNS5_8BFloat16ESB_E_St5arrayIPcLm3EEEEviT0_T1_
	.p2align	8
	.type	_ZN2at6native29vectorized_elementwise_kernelILi16EZZZNS0_12_GLOBAL__N_124softplus_backward_kernelERNS_18TensorIteratorBaseERKN3c106ScalarES8_ENKUlvE_clEvENKUlvE2_clEvEUlNS5_8BFloat16ESB_E_St5arrayIPcLm3EEEEviT0_T1_,@function
_ZN2at6native29vectorized_elementwise_kernelILi16EZZZNS0_12_GLOBAL__N_124softplus_backward_kernelERNS_18TensorIteratorBaseERKN3c106ScalarES8_ENKUlvE_clEvENKUlvE2_clEvEUlNS5_8BFloat16ESB_E_St5arrayIPcLm3EEEEviT0_T1_: ; @_ZN2at6native29vectorized_elementwise_kernelILi16EZZZNS0_12_GLOBAL__N_124softplus_backward_kernelERNS_18TensorIteratorBaseERKN3c106ScalarES8_ENKUlvE_clEvENKUlvE2_clEvEUlNS5_8BFloat16ESB_E_St5arrayIPcLm3EEEEviT0_T1_
; %bb.0:
	s_clause 0x2
	s_load_b96 s[8:10], s[0:1], 0x0
	s_load_b128 s[4:7], s[0:1], 0x10
	s_load_b64 s[12:13], s[0:1], 0x20
	s_wait_xcnt 0x0
	s_bfe_u32 s0, ttmp6, 0x4000c
	s_and_b32 s1, ttmp6, 15
	s_add_co_i32 s0, s0, 1
	s_getreg_b32 s2, hwreg(HW_REG_IB_STS2, 6, 4)
	s_mul_i32 s0, ttmp9, s0
	s_delay_alu instid0(SALU_CYCLE_1) | instskip(SKIP_2) | instid1(SALU_CYCLE_1)
	s_add_co_i32 s1, s1, s0
	s_cmp_eq_u32 s2, 0
	s_cselect_b32 s0, ttmp9, s1
	s_lshl_b32 s2, s0, 11
	s_mov_b32 s0, -1
	s_wait_kmcnt 0x0
	s_sub_co_i32 s8, s8, s2
	s_delay_alu instid0(SALU_CYCLE_1)
	s_cmp_gt_i32 s8, 0x7ff
	s_cbranch_scc0 .LBB86_18
; %bb.1:
	s_ashr_i32 s3, s2, 31
	s_delay_alu instid0(SALU_CYCLE_1)
	s_lshl_b64 s[0:1], s[2:3], 1
	s_mov_b32 s3, exec_lo
	s_add_nc_u64 s[14:15], s[12:13], s[0:1]
	global_load_b128 v[6:9], v0, s[14:15] scale_offset
	s_wait_xcnt 0x0
	s_add_nc_u64 s[14:15], s[6:7], s[0:1]
	global_load_b128 v[2:5], v0, s[14:15] scale_offset
	s_wait_loadcnt 0x1
	v_lshlrev_b32_e32 v1, 16, v6
	s_wait_loadcnt 0x0
	s_delay_alu instid0(VALU_DEP_1) | instskip(NEXT) | instid1(VALU_DEP_1)
	v_dual_mul_f32 v10, s9, v1 :: v_dual_lshlrev_b32 v1, 16, v2
	v_cmpx_nlt_f32_e32 s10, v10
	s_cbranch_execz .LBB86_3
; %bb.2:
	v_mul_f32_e32 v11, 0x3fb8aa3b, v10
	v_cmp_ngt_f32_e32 vcc_lo, 0xc2ce8ed0, v10
	s_delay_alu instid0(VALU_DEP_2) | instskip(SKIP_1) | instid1(VALU_DEP_2)
	v_rndne_f32_e32 v12, v11
	v_fma_f32 v13, 0x3fb8aa3b, v10, -v11
	v_sub_f32_e32 v11, v11, v12
	s_delay_alu instid0(VALU_DEP_2) | instskip(SKIP_1) | instid1(VALU_DEP_2)
	v_fmamk_f32 v13, v10, 0x32a5705f, v13
	v_cvt_i32_f32_e32 v12, v12
	v_add_f32_e32 v11, v11, v13
	s_delay_alu instid0(VALU_DEP_1) | instskip(SKIP_1) | instid1(TRANS32_DEP_1)
	v_exp_f32_e32 v11, v11
	v_nop
	v_ldexp_f32 v11, v11, v12
	s_delay_alu instid0(VALU_DEP_1) | instskip(SKIP_1) | instid1(VALU_DEP_2)
	v_cndmask_b32_e32 v11, 0, v11, vcc_lo
	v_cmp_nlt_f32_e32 vcc_lo, 0x42b17218, v10
	v_cndmask_b32_e32 v10, 0x7f800000, v11, vcc_lo
	s_delay_alu instid0(VALU_DEP_1) | instskip(NEXT) | instid1(VALU_DEP_1)
	v_dual_mul_f32 v1, v10, v1 :: v_dual_add_f32 v10, 1.0, v10
	v_div_scale_f32 v11, null, v10, v10, v1
	s_delay_alu instid0(VALU_DEP_1) | instskip(SKIP_1) | instid1(TRANS32_DEP_1)
	v_rcp_f32_e32 v12, v11
	v_nop
	v_fma_f32 v13, -v11, v12, 1.0
	s_delay_alu instid0(VALU_DEP_1) | instskip(SKIP_1) | instid1(VALU_DEP_1)
	v_fmac_f32_e32 v12, v13, v12
	v_div_scale_f32 v13, vcc_lo, v1, v10, v1
	v_mul_f32_e32 v14, v13, v12
	s_delay_alu instid0(VALU_DEP_1) | instskip(NEXT) | instid1(VALU_DEP_1)
	v_fma_f32 v15, -v11, v14, v13
	v_fmac_f32_e32 v14, v15, v12
	s_delay_alu instid0(VALU_DEP_1) | instskip(NEXT) | instid1(VALU_DEP_1)
	v_fma_f32 v11, -v11, v14, v13
	v_div_fmas_f32 v11, v11, v12, v14
	s_delay_alu instid0(VALU_DEP_1)
	v_div_fixup_f32 v1, v11, v10, v1
.LBB86_3:
	s_or_b32 exec_lo, exec_lo, s3
	v_and_b32_e32 v6, 0xffff0000, v6
	v_and_b32_e32 v2, 0xffff0000, v2
	s_mov_b32 s3, exec_lo
	s_delay_alu instid0(VALU_DEP_2) | instskip(NEXT) | instid1(VALU_DEP_1)
	v_mul_f32_e32 v6, s9, v6
	v_cmpx_nlt_f32_e32 s10, v6
	s_cbranch_execz .LBB86_5
; %bb.4:
	v_mul_f32_e32 v10, 0x3fb8aa3b, v6
	v_cmp_ngt_f32_e32 vcc_lo, 0xc2ce8ed0, v6
	s_delay_alu instid0(VALU_DEP_2) | instskip(SKIP_1) | instid1(VALU_DEP_2)
	v_rndne_f32_e32 v11, v10
	v_fma_f32 v12, 0x3fb8aa3b, v6, -v10
	v_sub_f32_e32 v10, v10, v11
	s_delay_alu instid0(VALU_DEP_2) | instskip(SKIP_1) | instid1(VALU_DEP_2)
	v_fmamk_f32 v12, v6, 0x32a5705f, v12
	v_cvt_i32_f32_e32 v11, v11
	v_add_f32_e32 v10, v10, v12
	s_delay_alu instid0(VALU_DEP_1) | instskip(SKIP_1) | instid1(TRANS32_DEP_1)
	v_exp_f32_e32 v10, v10
	v_nop
	v_ldexp_f32 v10, v10, v11
	s_delay_alu instid0(VALU_DEP_1) | instskip(SKIP_1) | instid1(VALU_DEP_2)
	v_cndmask_b32_e32 v10, 0, v10, vcc_lo
	v_cmp_nlt_f32_e32 vcc_lo, 0x42b17218, v6
	v_cndmask_b32_e32 v6, 0x7f800000, v10, vcc_lo
	s_delay_alu instid0(VALU_DEP_1) | instskip(SKIP_1) | instid1(VALU_DEP_1)
	v_mul_f32_e32 v2, v6, v2
	v_add_f32_e32 v6, 1.0, v6
	v_div_scale_f32 v10, null, v6, v6, v2
	s_delay_alu instid0(VALU_DEP_1) | instskip(SKIP_1) | instid1(TRANS32_DEP_1)
	v_rcp_f32_e32 v11, v10
	v_nop
	v_fma_f32 v12, -v10, v11, 1.0
	s_delay_alu instid0(VALU_DEP_1) | instskip(SKIP_1) | instid1(VALU_DEP_1)
	v_fmac_f32_e32 v11, v12, v11
	v_div_scale_f32 v12, vcc_lo, v2, v6, v2
	v_mul_f32_e32 v13, v12, v11
	s_delay_alu instid0(VALU_DEP_1) | instskip(NEXT) | instid1(VALU_DEP_1)
	v_fma_f32 v14, -v10, v13, v12
	v_fmac_f32_e32 v13, v14, v11
	s_delay_alu instid0(VALU_DEP_1) | instskip(NEXT) | instid1(VALU_DEP_1)
	v_fma_f32 v10, -v10, v13, v12
	v_div_fmas_f32 v10, v10, v11, v13
	s_delay_alu instid0(VALU_DEP_1)
	v_div_fixup_f32 v2, v10, v6, v2
.LBB86_5:
	s_or_b32 exec_lo, exec_lo, s3
	v_lshlrev_b32_e32 v6, 16, v7
	s_mov_b32 s3, exec_lo
	s_delay_alu instid0(VALU_DEP_1) | instskip(NEXT) | instid1(VALU_DEP_1)
	v_dual_mul_f32 v10, s9, v6 :: v_dual_lshlrev_b32 v6, 16, v3
	v_cmpx_nlt_f32_e32 s10, v10
	s_cbranch_execz .LBB86_7
; %bb.6:
	v_mul_f32_e32 v11, 0x3fb8aa3b, v10
	v_cmp_ngt_f32_e32 vcc_lo, 0xc2ce8ed0, v10
	s_delay_alu instid0(VALU_DEP_2) | instskip(SKIP_1) | instid1(VALU_DEP_2)
	v_rndne_f32_e32 v12, v11
	v_fma_f32 v13, 0x3fb8aa3b, v10, -v11
	v_sub_f32_e32 v11, v11, v12
	s_delay_alu instid0(VALU_DEP_2) | instskip(SKIP_1) | instid1(VALU_DEP_2)
	v_fmamk_f32 v13, v10, 0x32a5705f, v13
	v_cvt_i32_f32_e32 v12, v12
	v_add_f32_e32 v11, v11, v13
	s_delay_alu instid0(VALU_DEP_1) | instskip(SKIP_1) | instid1(TRANS32_DEP_1)
	v_exp_f32_e32 v11, v11
	v_nop
	v_ldexp_f32 v11, v11, v12
	s_delay_alu instid0(VALU_DEP_1) | instskip(SKIP_1) | instid1(VALU_DEP_2)
	v_cndmask_b32_e32 v11, 0, v11, vcc_lo
	v_cmp_nlt_f32_e32 vcc_lo, 0x42b17218, v10
	v_cndmask_b32_e32 v10, 0x7f800000, v11, vcc_lo
	s_delay_alu instid0(VALU_DEP_1) | instskip(SKIP_1) | instid1(VALU_DEP_1)
	v_mul_f32_e32 v6, v10, v6
	v_add_f32_e32 v10, 1.0, v10
	v_div_scale_f32 v11, null, v10, v10, v6
	s_delay_alu instid0(VALU_DEP_1) | instskip(SKIP_1) | instid1(TRANS32_DEP_1)
	v_rcp_f32_e32 v12, v11
	v_nop
	v_fma_f32 v13, -v11, v12, 1.0
	s_delay_alu instid0(VALU_DEP_1) | instskip(SKIP_1) | instid1(VALU_DEP_1)
	v_fmac_f32_e32 v12, v13, v12
	v_div_scale_f32 v13, vcc_lo, v6, v10, v6
	v_mul_f32_e32 v14, v13, v12
	s_delay_alu instid0(VALU_DEP_1) | instskip(NEXT) | instid1(VALU_DEP_1)
	v_fma_f32 v15, -v11, v14, v13
	v_fmac_f32_e32 v14, v15, v12
	s_delay_alu instid0(VALU_DEP_1) | instskip(NEXT) | instid1(VALU_DEP_1)
	v_fma_f32 v11, -v11, v14, v13
	v_div_fmas_f32 v11, v11, v12, v14
	s_delay_alu instid0(VALU_DEP_1)
	v_div_fixup_f32 v6, v11, v10, v6
.LBB86_7:
	s_or_b32 exec_lo, exec_lo, s3
	v_and_b32_e32 v7, 0xffff0000, v7
	v_and_b32_e32 v3, 0xffff0000, v3
	s_mov_b32 s3, exec_lo
	s_delay_alu instid0(VALU_DEP_2) | instskip(NEXT) | instid1(VALU_DEP_1)
	v_mul_f32_e32 v7, s9, v7
	v_cmpx_nlt_f32_e32 s10, v7
	s_cbranch_execz .LBB86_9
; %bb.8:
	v_mul_f32_e32 v10, 0x3fb8aa3b, v7
	v_cmp_ngt_f32_e32 vcc_lo, 0xc2ce8ed0, v7
	s_delay_alu instid0(VALU_DEP_2) | instskip(SKIP_1) | instid1(VALU_DEP_2)
	v_rndne_f32_e32 v11, v10
	v_fma_f32 v12, 0x3fb8aa3b, v7, -v10
	v_sub_f32_e32 v10, v10, v11
	s_delay_alu instid0(VALU_DEP_2) | instskip(SKIP_1) | instid1(VALU_DEP_2)
	v_fmamk_f32 v12, v7, 0x32a5705f, v12
	v_cvt_i32_f32_e32 v11, v11
	v_add_f32_e32 v10, v10, v12
	s_delay_alu instid0(VALU_DEP_1) | instskip(SKIP_1) | instid1(TRANS32_DEP_1)
	v_exp_f32_e32 v10, v10
	v_nop
	v_ldexp_f32 v10, v10, v11
	s_delay_alu instid0(VALU_DEP_1) | instskip(SKIP_1) | instid1(VALU_DEP_2)
	v_cndmask_b32_e32 v10, 0, v10, vcc_lo
	v_cmp_nlt_f32_e32 vcc_lo, 0x42b17218, v7
	v_cndmask_b32_e32 v7, 0x7f800000, v10, vcc_lo
	s_delay_alu instid0(VALU_DEP_1) | instskip(SKIP_1) | instid1(VALU_DEP_1)
	v_mul_f32_e32 v3, v7, v3
	v_add_f32_e32 v7, 1.0, v7
	v_div_scale_f32 v10, null, v7, v7, v3
	s_delay_alu instid0(VALU_DEP_1) | instskip(SKIP_1) | instid1(TRANS32_DEP_1)
	v_rcp_f32_e32 v11, v10
	v_nop
	v_fma_f32 v12, -v10, v11, 1.0
	s_delay_alu instid0(VALU_DEP_1) | instskip(SKIP_1) | instid1(VALU_DEP_1)
	v_fmac_f32_e32 v11, v12, v11
	v_div_scale_f32 v12, vcc_lo, v3, v7, v3
	v_mul_f32_e32 v13, v12, v11
	s_delay_alu instid0(VALU_DEP_1) | instskip(NEXT) | instid1(VALU_DEP_1)
	v_fma_f32 v14, -v10, v13, v12
	v_fmac_f32_e32 v13, v14, v11
	s_delay_alu instid0(VALU_DEP_1) | instskip(NEXT) | instid1(VALU_DEP_1)
	v_fma_f32 v10, -v10, v13, v12
	v_div_fmas_f32 v10, v10, v11, v13
	s_delay_alu instid0(VALU_DEP_1)
	v_div_fixup_f32 v3, v10, v7, v3
.LBB86_9:
	s_or_b32 exec_lo, exec_lo, s3
	v_lshlrev_b32_e32 v7, 16, v8
	s_mov_b32 s3, exec_lo
	s_delay_alu instid0(VALU_DEP_1) | instskip(NEXT) | instid1(VALU_DEP_1)
	v_dual_mul_f32 v10, s9, v7 :: v_dual_lshlrev_b32 v7, 16, v4
	v_cmpx_nlt_f32_e32 s10, v10
	s_cbranch_execz .LBB86_11
; %bb.10:
	v_mul_f32_e32 v11, 0x3fb8aa3b, v10
	v_cmp_ngt_f32_e32 vcc_lo, 0xc2ce8ed0, v10
	s_delay_alu instid0(VALU_DEP_2) | instskip(SKIP_1) | instid1(VALU_DEP_2)
	v_rndne_f32_e32 v12, v11
	v_fma_f32 v13, 0x3fb8aa3b, v10, -v11
	v_sub_f32_e32 v11, v11, v12
	s_delay_alu instid0(VALU_DEP_2) | instskip(SKIP_1) | instid1(VALU_DEP_2)
	v_fmamk_f32 v13, v10, 0x32a5705f, v13
	v_cvt_i32_f32_e32 v12, v12
	v_add_f32_e32 v11, v11, v13
	s_delay_alu instid0(VALU_DEP_1) | instskip(SKIP_1) | instid1(TRANS32_DEP_1)
	v_exp_f32_e32 v11, v11
	v_nop
	v_ldexp_f32 v11, v11, v12
	s_delay_alu instid0(VALU_DEP_1) | instskip(SKIP_1) | instid1(VALU_DEP_2)
	v_cndmask_b32_e32 v11, 0, v11, vcc_lo
	v_cmp_nlt_f32_e32 vcc_lo, 0x42b17218, v10
	v_cndmask_b32_e32 v10, 0x7f800000, v11, vcc_lo
	s_delay_alu instid0(VALU_DEP_1) | instskip(NEXT) | instid1(VALU_DEP_1)
	v_dual_mul_f32 v7, v10, v7 :: v_dual_add_f32 v10, 1.0, v10
	v_div_scale_f32 v11, null, v10, v10, v7
	s_delay_alu instid0(VALU_DEP_1) | instskip(SKIP_1) | instid1(TRANS32_DEP_1)
	v_rcp_f32_e32 v12, v11
	v_nop
	v_fma_f32 v13, -v11, v12, 1.0
	s_delay_alu instid0(VALU_DEP_1) | instskip(SKIP_1) | instid1(VALU_DEP_1)
	v_fmac_f32_e32 v12, v13, v12
	v_div_scale_f32 v13, vcc_lo, v7, v10, v7
	v_mul_f32_e32 v14, v13, v12
	s_delay_alu instid0(VALU_DEP_1) | instskip(NEXT) | instid1(VALU_DEP_1)
	v_fma_f32 v15, -v11, v14, v13
	v_fmac_f32_e32 v14, v15, v12
	s_delay_alu instid0(VALU_DEP_1) | instskip(NEXT) | instid1(VALU_DEP_1)
	v_fma_f32 v11, -v11, v14, v13
	v_div_fmas_f32 v11, v11, v12, v14
	s_delay_alu instid0(VALU_DEP_1)
	v_div_fixup_f32 v7, v11, v10, v7
.LBB86_11:
	s_or_b32 exec_lo, exec_lo, s3
	v_and_b32_e32 v8, 0xffff0000, v8
	v_and_b32_e32 v4, 0xffff0000, v4
	s_mov_b32 s3, exec_lo
	s_delay_alu instid0(VALU_DEP_2) | instskip(NEXT) | instid1(VALU_DEP_1)
	v_mul_f32_e32 v8, s9, v8
	v_cmpx_nlt_f32_e32 s10, v8
	s_cbranch_execz .LBB86_13
; %bb.12:
	v_mul_f32_e32 v10, 0x3fb8aa3b, v8
	v_cmp_ngt_f32_e32 vcc_lo, 0xc2ce8ed0, v8
	s_delay_alu instid0(VALU_DEP_2) | instskip(SKIP_1) | instid1(VALU_DEP_2)
	v_rndne_f32_e32 v11, v10
	v_fma_f32 v12, 0x3fb8aa3b, v8, -v10
	v_sub_f32_e32 v10, v10, v11
	s_delay_alu instid0(VALU_DEP_2) | instskip(SKIP_1) | instid1(VALU_DEP_2)
	v_fmamk_f32 v12, v8, 0x32a5705f, v12
	v_cvt_i32_f32_e32 v11, v11
	v_add_f32_e32 v10, v10, v12
	s_delay_alu instid0(VALU_DEP_1) | instskip(SKIP_1) | instid1(TRANS32_DEP_1)
	v_exp_f32_e32 v10, v10
	v_nop
	v_ldexp_f32 v10, v10, v11
	s_delay_alu instid0(VALU_DEP_1) | instskip(SKIP_1) | instid1(VALU_DEP_2)
	v_cndmask_b32_e32 v10, 0, v10, vcc_lo
	v_cmp_nlt_f32_e32 vcc_lo, 0x42b17218, v8
	v_cndmask_b32_e32 v8, 0x7f800000, v10, vcc_lo
	s_delay_alu instid0(VALU_DEP_1) | instskip(SKIP_1) | instid1(VALU_DEP_1)
	v_mul_f32_e32 v4, v8, v4
	v_add_f32_e32 v8, 1.0, v8
	v_div_scale_f32 v10, null, v8, v8, v4
	s_delay_alu instid0(VALU_DEP_1) | instskip(SKIP_1) | instid1(TRANS32_DEP_1)
	v_rcp_f32_e32 v11, v10
	v_nop
	v_fma_f32 v12, -v10, v11, 1.0
	s_delay_alu instid0(VALU_DEP_1) | instskip(SKIP_1) | instid1(VALU_DEP_1)
	v_fmac_f32_e32 v11, v12, v11
	v_div_scale_f32 v12, vcc_lo, v4, v8, v4
	v_mul_f32_e32 v13, v12, v11
	s_delay_alu instid0(VALU_DEP_1) | instskip(NEXT) | instid1(VALU_DEP_1)
	v_fma_f32 v14, -v10, v13, v12
	v_fmac_f32_e32 v13, v14, v11
	s_delay_alu instid0(VALU_DEP_1) | instskip(NEXT) | instid1(VALU_DEP_1)
	v_fma_f32 v10, -v10, v13, v12
	v_div_fmas_f32 v10, v10, v11, v13
	s_delay_alu instid0(VALU_DEP_1)
	v_div_fixup_f32 v4, v10, v8, v4
.LBB86_13:
	s_or_b32 exec_lo, exec_lo, s3
	v_lshlrev_b32_e32 v8, 16, v9
	s_mov_b32 s3, exec_lo
	s_delay_alu instid0(VALU_DEP_1) | instskip(NEXT) | instid1(VALU_DEP_1)
	v_dual_mul_f32 v10, s9, v8 :: v_dual_lshlrev_b32 v8, 16, v5
	v_cmpx_nlt_f32_e32 s10, v10
	s_cbranch_execz .LBB86_15
; %bb.14:
	v_mul_f32_e32 v11, 0x3fb8aa3b, v10
	v_cmp_ngt_f32_e32 vcc_lo, 0xc2ce8ed0, v10
	s_delay_alu instid0(VALU_DEP_2) | instskip(SKIP_1) | instid1(VALU_DEP_2)
	v_rndne_f32_e32 v12, v11
	v_fma_f32 v13, 0x3fb8aa3b, v10, -v11
	v_sub_f32_e32 v11, v11, v12
	s_delay_alu instid0(VALU_DEP_2) | instskip(SKIP_1) | instid1(VALU_DEP_2)
	v_fmamk_f32 v13, v10, 0x32a5705f, v13
	v_cvt_i32_f32_e32 v12, v12
	v_add_f32_e32 v11, v11, v13
	s_delay_alu instid0(VALU_DEP_1) | instskip(SKIP_1) | instid1(TRANS32_DEP_1)
	v_exp_f32_e32 v11, v11
	v_nop
	v_ldexp_f32 v11, v11, v12
	s_delay_alu instid0(VALU_DEP_1) | instskip(SKIP_1) | instid1(VALU_DEP_2)
	v_cndmask_b32_e32 v11, 0, v11, vcc_lo
	v_cmp_nlt_f32_e32 vcc_lo, 0x42b17218, v10
	v_cndmask_b32_e32 v10, 0x7f800000, v11, vcc_lo
	s_delay_alu instid0(VALU_DEP_1) | instskip(NEXT) | instid1(VALU_DEP_1)
	v_dual_mul_f32 v8, v10, v8 :: v_dual_add_f32 v10, 1.0, v10
	v_div_scale_f32 v11, null, v10, v10, v8
	s_delay_alu instid0(VALU_DEP_1) | instskip(SKIP_1) | instid1(TRANS32_DEP_1)
	v_rcp_f32_e32 v12, v11
	v_nop
	v_fma_f32 v13, -v11, v12, 1.0
	s_delay_alu instid0(VALU_DEP_1) | instskip(SKIP_1) | instid1(VALU_DEP_1)
	v_fmac_f32_e32 v12, v13, v12
	v_div_scale_f32 v13, vcc_lo, v8, v10, v8
	v_mul_f32_e32 v14, v13, v12
	s_delay_alu instid0(VALU_DEP_1) | instskip(NEXT) | instid1(VALU_DEP_1)
	v_fma_f32 v15, -v11, v14, v13
	v_fmac_f32_e32 v14, v15, v12
	s_delay_alu instid0(VALU_DEP_1) | instskip(NEXT) | instid1(VALU_DEP_1)
	v_fma_f32 v11, -v11, v14, v13
	v_div_fmas_f32 v11, v11, v12, v14
	s_delay_alu instid0(VALU_DEP_1)
	v_div_fixup_f32 v8, v11, v10, v8
.LBB86_15:
	s_or_b32 exec_lo, exec_lo, s3
	v_and_b32_e32 v9, 0xffff0000, v9
	v_and_b32_e32 v5, 0xffff0000, v5
	s_mov_b32 s3, exec_lo
	s_delay_alu instid0(VALU_DEP_2) | instskip(NEXT) | instid1(VALU_DEP_1)
	v_mul_f32_e32 v9, s9, v9
	v_cmpx_nlt_f32_e32 s10, v9
	s_cbranch_execz .LBB86_17
; %bb.16:
	v_mul_f32_e32 v10, 0x3fb8aa3b, v9
	v_cmp_ngt_f32_e32 vcc_lo, 0xc2ce8ed0, v9
	s_delay_alu instid0(VALU_DEP_2) | instskip(SKIP_1) | instid1(VALU_DEP_2)
	v_rndne_f32_e32 v11, v10
	v_fma_f32 v12, 0x3fb8aa3b, v9, -v10
	v_sub_f32_e32 v10, v10, v11
	s_delay_alu instid0(VALU_DEP_2) | instskip(SKIP_1) | instid1(VALU_DEP_2)
	v_fmamk_f32 v12, v9, 0x32a5705f, v12
	v_cvt_i32_f32_e32 v11, v11
	v_add_f32_e32 v10, v10, v12
	s_delay_alu instid0(VALU_DEP_1) | instskip(SKIP_1) | instid1(TRANS32_DEP_1)
	v_exp_f32_e32 v10, v10
	v_nop
	v_ldexp_f32 v10, v10, v11
	s_delay_alu instid0(VALU_DEP_1) | instskip(SKIP_1) | instid1(VALU_DEP_2)
	v_cndmask_b32_e32 v10, 0, v10, vcc_lo
	v_cmp_nlt_f32_e32 vcc_lo, 0x42b17218, v9
	v_cndmask_b32_e32 v9, 0x7f800000, v10, vcc_lo
	s_delay_alu instid0(VALU_DEP_1) | instskip(SKIP_1) | instid1(VALU_DEP_1)
	v_mul_f32_e32 v5, v9, v5
	v_add_f32_e32 v9, 1.0, v9
	v_div_scale_f32 v10, null, v9, v9, v5
	s_delay_alu instid0(VALU_DEP_1) | instskip(SKIP_1) | instid1(TRANS32_DEP_1)
	v_rcp_f32_e32 v11, v10
	v_nop
	v_fma_f32 v12, -v10, v11, 1.0
	s_delay_alu instid0(VALU_DEP_1) | instskip(SKIP_1) | instid1(VALU_DEP_1)
	v_fmac_f32_e32 v11, v12, v11
	v_div_scale_f32 v12, vcc_lo, v5, v9, v5
	v_mul_f32_e32 v13, v12, v11
	s_delay_alu instid0(VALU_DEP_1) | instskip(NEXT) | instid1(VALU_DEP_1)
	v_fma_f32 v14, -v10, v13, v12
	v_fmac_f32_e32 v13, v14, v11
	s_delay_alu instid0(VALU_DEP_1) | instskip(NEXT) | instid1(VALU_DEP_1)
	v_fma_f32 v10, -v10, v13, v12
	v_div_fmas_f32 v10, v10, v11, v13
	s_delay_alu instid0(VALU_DEP_1)
	v_div_fixup_f32 v5, v10, v9, v5
.LBB86_17:
	s_or_b32 exec_lo, exec_lo, s3
	v_bfe_u32 v9, v1, 16, 1
	v_bfe_u32 v10, v2, 16, 1
	;; [unrolled: 1-line block ×4, first 2 shown]
	v_cmp_o_f32_e32 vcc_lo, v1, v1
	v_add3_u32 v9, v1, v9, 0x7fff
	v_add3_u32 v10, v2, v10, 0x7fff
	;; [unrolled: 1-line block ×3, first 2 shown]
	v_bfe_u32 v13, v7, 16, 1
	v_add3_u32 v12, v3, v12, 0x7fff
	s_delay_alu instid0(VALU_DEP_4) | instskip(NEXT) | instid1(VALU_DEP_4)
	v_dual_lshrrev_b32 v9, 16, v9 :: v_dual_lshrrev_b32 v10, 16, v10
	v_lshrrev_b32_e32 v11, 16, v11
	v_bfe_u32 v14, v5, 16, 1
	s_delay_alu instid0(VALU_DEP_3)
	v_dual_cndmask_b32 v1, 0x7fc0, v9 :: v_dual_lshrrev_b32 v12, 16, v12
	v_bfe_u32 v9, v4, 16, 1
	v_cmp_o_f32_e32 vcc_lo, v6, v6
	v_bfe_u32 v15, v8, 16, 1
	v_add3_u32 v13, v7, v13, 0x7fff
	s_add_nc_u64 s[14:15], s[4:5], s[0:1]
	v_add3_u32 v9, v4, v9, 0x7fff
	v_cndmask_b32_e32 v6, 0x7fc0, v11, vcc_lo
	v_cmp_o_f32_e32 vcc_lo, v3, v3
	v_add3_u32 v11, v5, v14, 0x7fff
	v_add3_u32 v14, v8, v15, 0x7fff
	v_lshrrev_b32_e32 v9, 16, v9
	s_mov_b32 s0, 0
	v_dual_cndmask_b32 v3, 0x7fc0, v12 :: v_dual_lshrrev_b32 v12, 16, v13
	v_cmp_o_f32_e32 vcc_lo, v7, v7
	v_dual_lshrrev_b32 v13, 16, v14 :: v_dual_lshrrev_b32 v11, 16, v11
	s_delay_alu instid0(VALU_DEP_3) | instskip(NEXT) | instid1(VALU_DEP_4)
	v_perm_b32 v3, v3, v6, 0x5040100
	v_cndmask_b32_e32 v7, 0x7fc0, v12, vcc_lo
	v_cmp_o_f32_e32 vcc_lo, v8, v8
	s_delay_alu instid0(VALU_DEP_4) | instskip(SKIP_3) | instid1(VALU_DEP_2)
	v_cndmask_b32_e32 v8, 0x7fc0, v13, vcc_lo
	v_cmp_o_f32_e32 vcc_lo, v5, v5
	v_cndmask_b32_e32 v5, 0x7fc0, v11, vcc_lo
	v_cmp_o_f32_e32 vcc_lo, v4, v4
	v_perm_b32 v5, v5, v8, 0x5040100
	v_cndmask_b32_e32 v4, 0x7fc0, v9, vcc_lo
	v_cmp_o_f32_e32 vcc_lo, v2, v2
	s_delay_alu instid0(VALU_DEP_2) | instskip(SKIP_1) | instid1(VALU_DEP_1)
	v_perm_b32 v4, v4, v7, 0x5040100
	v_cndmask_b32_e32 v2, 0x7fc0, v10, vcc_lo
	v_perm_b32 v2, v2, v1, 0x5040100
	global_store_b128 v0, v[2:5], s[14:15] scale_offset
.LBB86_18:
	s_and_b32 vcc_lo, exec_lo, s0
	s_cbranch_vccz .LBB86_75
; %bb.19:
	v_cmp_gt_i32_e64 s0, s8, v0
	v_dual_mov_b32 v12, 0 :: v_dual_bitop2_b32 v1, s2, v0 bitop3:0x54
	s_wait_xcnt 0x0
	v_or_b32_e32 v2, 0x100, v0
	v_dual_mov_b32 v5, v0 :: v_dual_mov_b32 v19, 0
	v_mov_b32_e32 v10, 0
	s_and_saveexec_b32 s1, s0
	s_cbranch_execz .LBB86_21
; %bb.20:
	s_clause 0x1
	global_load_u16 v3, v1, s[12:13] scale_offset
	global_load_u16 v4, v1, s[6:7] scale_offset
	v_or_b32_e32 v5, 0x100, v0
	s_wait_loadcnt 0x0
	v_dual_lshlrev_b32 v19, 16, v3 :: v_dual_lshlrev_b32 v10, 16, v4
.LBB86_21:
	s_wait_xcnt 0x0
	s_or_b32 exec_lo, exec_lo, s1
	v_mov_b32_e32 v18, 0
	s_mov_b32 s1, exec_lo
	v_cmpx_gt_i32_e64 s8, v5
	s_cbranch_execz .LBB86_23
; %bb.22:
	v_add_nc_u32_e32 v3, s2, v5
	v_add_nc_u32_e32 v5, 0x100, v5
	s_clause 0x1
	global_load_u16 v4, v3, s[12:13] scale_offset
	global_load_u16 v6, v3, s[6:7] scale_offset
	s_wait_loadcnt 0x0
	v_dual_lshlrev_b32 v12, 16, v4 :: v_dual_lshlrev_b32 v18, 16, v6
.LBB86_23:
	s_wait_xcnt 0x0
	s_or_b32 exec_lo, exec_lo, s1
	v_dual_mov_b32 v15, 0 :: v_dual_mov_b32 v17, 0
	v_mov_b32_e32 v16, 0
	s_mov_b32 s1, exec_lo
	v_cmpx_gt_i32_e64 s8, v5
	s_cbranch_execz .LBB86_25
; %bb.24:
	v_add_nc_u32_e32 v3, s2, v5
	v_add_nc_u32_e32 v5, 0x100, v5
	s_clause 0x1
	global_load_u16 v4, v3, s[12:13] scale_offset
	global_load_u16 v6, v3, s[6:7] scale_offset
	s_wait_loadcnt 0x0
	v_dual_lshlrev_b32 v17, 16, v4 :: v_dual_lshlrev_b32 v16, 16, v6
.LBB86_25:
	s_wait_xcnt 0x0
	s_or_b32 exec_lo, exec_lo, s1
	v_mov_b32_e32 v14, 0
	s_mov_b32 s1, exec_lo
	v_cmpx_gt_i32_e64 s8, v5
	s_cbranch_execz .LBB86_27
; %bb.26:
	v_add_nc_u32_e32 v3, s2, v5
	v_add_nc_u32_e32 v5, 0x100, v5
	s_clause 0x1
	global_load_u16 v4, v3, s[12:13] scale_offset
	global_load_u16 v6, v3, s[6:7] scale_offset
	s_wait_loadcnt 0x0
	v_dual_lshlrev_b32 v15, 16, v4 :: v_dual_lshlrev_b32 v14, 16, v6
.LBB86_27:
	s_wait_xcnt 0x0
	s_or_b32 exec_lo, exec_lo, s1
	v_dual_mov_b32 v9, 0 :: v_dual_mov_b32 v13, 0
	v_mov_b32_e32 v11, 0
	s_mov_b32 s1, exec_lo
	v_cmpx_gt_i32_e64 s8, v5
	s_cbranch_execz .LBB86_29
; %bb.28:
	v_add_nc_u32_e32 v3, s2, v5
	v_add_nc_u32_e32 v5, 0x100, v5
	s_clause 0x1
	global_load_u16 v4, v3, s[12:13] scale_offset
	global_load_u16 v6, v3, s[6:7] scale_offset
	s_wait_loadcnt 0x0
	v_dual_lshlrev_b32 v13, 16, v4 :: v_dual_lshlrev_b32 v11, 16, v6
.LBB86_29:
	;; [unrolled: 31-line block ×3, first 2 shown]
	s_wait_xcnt 0x0
	s_or_b32 exec_lo, exec_lo, s1
	v_mov_b32_e32 v3, 0
	s_mov_b32 s1, exec_lo
	v_cmpx_gt_i32_e64 s8, v5
	s_cbranch_execz .LBB86_35
; %bb.34:
	v_add_nc_u32_e32 v3, s2, v5
	s_clause 0x1
	global_load_u16 v4, v3, s[12:13] scale_offset
	global_load_u16 v5, v3, s[6:7] scale_offset
	s_wait_loadcnt 0x0
	v_dual_lshlrev_b32 v4, 16, v4 :: v_dual_lshlrev_b32 v3, 16, v5
	s_or_b32 exec_lo, exec_lo, s1
                                        ; implicit-def: $vgpr5
	s_and_saveexec_b32 s1, s0
	s_cbranch_execz .LBB86_39
	s_branch .LBB86_36
.LBB86_35:
	s_or_b32 exec_lo, exec_lo, s1
                                        ; implicit-def: $vgpr5
	s_and_saveexec_b32 s1, s0
	s_cbranch_execz .LBB86_39
.LBB86_36:
	v_mul_f32_e32 v5, s9, v19
	s_mov_b32 s3, exec_lo
	s_delay_alu instid0(VALU_DEP_1)
	v_cmpx_nlt_f32_e32 s10, v5
	s_cbranch_execz .LBB86_38
; %bb.37:
	v_mul_f32_e32 v19, 0x3fb8aa3b, v5
	v_cmp_ngt_f32_e32 vcc_lo, 0xc2ce8ed0, v5
	s_delay_alu instid0(VALU_DEP_2) | instskip(SKIP_1) | instid1(VALU_DEP_2)
	v_rndne_f32_e32 v20, v19
	v_fma_f32 v21, 0x3fb8aa3b, v5, -v19
	v_sub_f32_e32 v19, v19, v20
	s_delay_alu instid0(VALU_DEP_2) | instskip(SKIP_1) | instid1(VALU_DEP_2)
	v_fmamk_f32 v21, v5, 0x32a5705f, v21
	v_cvt_i32_f32_e32 v20, v20
	v_add_f32_e32 v19, v19, v21
	s_delay_alu instid0(VALU_DEP_1) | instskip(SKIP_1) | instid1(TRANS32_DEP_1)
	v_exp_f32_e32 v19, v19
	v_nop
	v_ldexp_f32 v19, v19, v20
	s_delay_alu instid0(VALU_DEP_1) | instskip(SKIP_1) | instid1(VALU_DEP_2)
	v_cndmask_b32_e32 v19, 0, v19, vcc_lo
	v_cmp_nlt_f32_e32 vcc_lo, 0x42b17218, v5
	v_cndmask_b32_e32 v5, 0x7f800000, v19, vcc_lo
	s_delay_alu instid0(VALU_DEP_1) | instskip(NEXT) | instid1(VALU_DEP_1)
	v_dual_mul_f32 v10, v10, v5 :: v_dual_add_f32 v5, 1.0, v5
	v_div_scale_f32 v19, null, v5, v5, v10
	s_delay_alu instid0(VALU_DEP_1) | instskip(SKIP_1) | instid1(TRANS32_DEP_1)
	v_rcp_f32_e32 v20, v19
	v_nop
	v_fma_f32 v21, -v19, v20, 1.0
	s_delay_alu instid0(VALU_DEP_1) | instskip(SKIP_1) | instid1(VALU_DEP_1)
	v_fmac_f32_e32 v20, v21, v20
	v_div_scale_f32 v21, vcc_lo, v10, v5, v10
	v_mul_f32_e32 v22, v21, v20
	s_delay_alu instid0(VALU_DEP_1) | instskip(NEXT) | instid1(VALU_DEP_1)
	v_fma_f32 v23, -v19, v22, v21
	v_fmac_f32_e32 v22, v23, v20
	s_delay_alu instid0(VALU_DEP_1) | instskip(NEXT) | instid1(VALU_DEP_1)
	v_fma_f32 v19, -v19, v22, v21
	v_div_fmas_f32 v19, v19, v20, v22
	s_delay_alu instid0(VALU_DEP_1)
	v_div_fixup_f32 v10, v19, v5, v10
.LBB86_38:
	s_or_b32 exec_lo, exec_lo, s3
	s_delay_alu instid0(VALU_DEP_1) | instskip(SKIP_1) | instid1(VALU_DEP_2)
	v_bfe_u32 v5, v10, 16, 1
	v_cmp_o_f32_e32 vcc_lo, v10, v10
	v_add3_u32 v5, v10, v5, 0x7fff
	s_delay_alu instid0(VALU_DEP_1) | instskip(NEXT) | instid1(VALU_DEP_1)
	v_lshrrev_b32_e32 v5, 16, v5
	v_cndmask_b32_e32 v5, 0x7fc0, v5, vcc_lo
.LBB86_39:
	s_or_b32 exec_lo, exec_lo, s1
	s_delay_alu instid0(SALU_CYCLE_1)
	s_mov_b32 s1, exec_lo
                                        ; implicit-def: $vgpr10
	v_cmpx_gt_i32_e64 s8, v2
	s_cbranch_execz .LBB86_43
; %bb.40:
	v_mul_f32_e32 v10, s9, v12
	s_mov_b32 s3, exec_lo
	s_delay_alu instid0(VALU_DEP_1)
	v_cmpx_nlt_f32_e32 s10, v10
	s_cbranch_execz .LBB86_42
; %bb.41:
	v_mul_f32_e32 v12, 0x3fb8aa3b, v10
	v_cmp_ngt_f32_e32 vcc_lo, 0xc2ce8ed0, v10
	s_delay_alu instid0(VALU_DEP_2) | instskip(SKIP_1) | instid1(VALU_DEP_2)
	v_rndne_f32_e32 v19, v12
	v_fma_f32 v20, 0x3fb8aa3b, v10, -v12
	v_sub_f32_e32 v12, v12, v19
	s_delay_alu instid0(VALU_DEP_2) | instskip(SKIP_1) | instid1(VALU_DEP_2)
	v_fmamk_f32 v20, v10, 0x32a5705f, v20
	v_cvt_i32_f32_e32 v19, v19
	v_add_f32_e32 v12, v12, v20
	s_delay_alu instid0(VALU_DEP_1) | instskip(SKIP_1) | instid1(TRANS32_DEP_1)
	v_exp_f32_e32 v12, v12
	v_nop
	v_ldexp_f32 v12, v12, v19
	s_delay_alu instid0(VALU_DEP_1) | instskip(SKIP_1) | instid1(VALU_DEP_2)
	v_cndmask_b32_e32 v12, 0, v12, vcc_lo
	v_cmp_nlt_f32_e32 vcc_lo, 0x42b17218, v10
	v_cndmask_b32_e32 v10, 0x7f800000, v12, vcc_lo
	s_delay_alu instid0(VALU_DEP_1) | instskip(NEXT) | instid1(VALU_DEP_1)
	v_dual_mul_f32 v12, v18, v10 :: v_dual_add_f32 v10, 1.0, v10
	v_div_scale_f32 v18, null, v10, v10, v12
	s_delay_alu instid0(VALU_DEP_1) | instskip(SKIP_1) | instid1(TRANS32_DEP_1)
	v_rcp_f32_e32 v19, v18
	v_nop
	v_fma_f32 v20, -v18, v19, 1.0
	s_delay_alu instid0(VALU_DEP_1) | instskip(SKIP_1) | instid1(VALU_DEP_1)
	v_fmac_f32_e32 v19, v20, v19
	v_div_scale_f32 v20, vcc_lo, v12, v10, v12
	v_mul_f32_e32 v21, v20, v19
	s_delay_alu instid0(VALU_DEP_1) | instskip(NEXT) | instid1(VALU_DEP_1)
	v_fma_f32 v22, -v18, v21, v20
	v_fmac_f32_e32 v21, v22, v19
	s_delay_alu instid0(VALU_DEP_1) | instskip(NEXT) | instid1(VALU_DEP_1)
	v_fma_f32 v18, -v18, v21, v20
	v_div_fmas_f32 v18, v18, v19, v21
	s_delay_alu instid0(VALU_DEP_1)
	v_div_fixup_f32 v18, v18, v10, v12
.LBB86_42:
	s_or_b32 exec_lo, exec_lo, s3
	s_delay_alu instid0(VALU_DEP_1) | instskip(SKIP_1) | instid1(VALU_DEP_2)
	v_bfe_u32 v10, v18, 16, 1
	v_cmp_o_f32_e32 vcc_lo, v18, v18
	v_add3_u32 v10, v18, v10, 0x7fff
	s_delay_alu instid0(VALU_DEP_1) | instskip(NEXT) | instid1(VALU_DEP_1)
	v_lshrrev_b32_e32 v10, 16, v10
	v_cndmask_b32_e32 v10, 0x7fc0, v10, vcc_lo
.LBB86_43:
	s_or_b32 exec_lo, exec_lo, s1
	v_or_b32_e32 v12, 0x200, v0
	s_delay_alu instid0(VALU_DEP_1)
	v_cmp_gt_i32_e32 vcc_lo, s8, v12
                                        ; implicit-def: $vgpr12
	s_and_saveexec_b32 s1, vcc_lo
	s_cbranch_execz .LBB86_47
; %bb.44:
	v_mul_f32_e32 v12, s9, v17
	s_mov_b32 s3, exec_lo
	s_delay_alu instid0(VALU_DEP_1)
	v_cmpx_nlt_f32_e32 s10, v12
	s_cbranch_execz .LBB86_46
; %bb.45:
	v_mul_f32_e32 v17, 0x3fb8aa3b, v12
	v_cmp_ngt_f32_e32 vcc_lo, 0xc2ce8ed0, v12
	s_delay_alu instid0(VALU_DEP_2) | instskip(SKIP_1) | instid1(VALU_DEP_2)
	v_rndne_f32_e32 v18, v17
	v_fma_f32 v19, 0x3fb8aa3b, v12, -v17
	v_sub_f32_e32 v17, v17, v18
	s_delay_alu instid0(VALU_DEP_2) | instskip(SKIP_1) | instid1(VALU_DEP_2)
	v_fmamk_f32 v19, v12, 0x32a5705f, v19
	v_cvt_i32_f32_e32 v18, v18
	v_add_f32_e32 v17, v17, v19
	s_delay_alu instid0(VALU_DEP_1) | instskip(SKIP_1) | instid1(TRANS32_DEP_1)
	v_exp_f32_e32 v17, v17
	v_nop
	v_ldexp_f32 v17, v17, v18
	s_delay_alu instid0(VALU_DEP_1) | instskip(SKIP_1) | instid1(VALU_DEP_2)
	v_cndmask_b32_e32 v17, 0, v17, vcc_lo
	v_cmp_nlt_f32_e32 vcc_lo, 0x42b17218, v12
	v_cndmask_b32_e32 v12, 0x7f800000, v17, vcc_lo
	s_delay_alu instid0(VALU_DEP_1) | instskip(NEXT) | instid1(VALU_DEP_1)
	v_dual_mul_f32 v16, v16, v12 :: v_dual_add_f32 v12, 1.0, v12
	v_div_scale_f32 v17, null, v12, v12, v16
	s_delay_alu instid0(VALU_DEP_1) | instskip(SKIP_1) | instid1(TRANS32_DEP_1)
	v_rcp_f32_e32 v18, v17
	v_nop
	v_fma_f32 v19, -v17, v18, 1.0
	s_delay_alu instid0(VALU_DEP_1) | instskip(SKIP_1) | instid1(VALU_DEP_1)
	v_fmac_f32_e32 v18, v19, v18
	v_div_scale_f32 v19, vcc_lo, v16, v12, v16
	v_mul_f32_e32 v20, v19, v18
	s_delay_alu instid0(VALU_DEP_1) | instskip(NEXT) | instid1(VALU_DEP_1)
	v_fma_f32 v21, -v17, v20, v19
	v_fmac_f32_e32 v20, v21, v18
	s_delay_alu instid0(VALU_DEP_1) | instskip(NEXT) | instid1(VALU_DEP_1)
	v_fma_f32 v17, -v17, v20, v19
	v_div_fmas_f32 v17, v17, v18, v20
	s_delay_alu instid0(VALU_DEP_1)
	v_div_fixup_f32 v16, v17, v12, v16
.LBB86_46:
	s_or_b32 exec_lo, exec_lo, s3
	s_delay_alu instid0(VALU_DEP_1) | instskip(SKIP_1) | instid1(VALU_DEP_2)
	v_bfe_u32 v12, v16, 16, 1
	v_cmp_o_f32_e32 vcc_lo, v16, v16
	v_add3_u32 v12, v16, v12, 0x7fff
	s_delay_alu instid0(VALU_DEP_1) | instskip(NEXT) | instid1(VALU_DEP_1)
	v_lshrrev_b32_e32 v12, 16, v12
	v_cndmask_b32_e32 v12, 0x7fc0, v12, vcc_lo
.LBB86_47:
	s_or_b32 exec_lo, exec_lo, s1
	v_or_b32_e32 v16, 0x300, v0
	s_delay_alu instid0(VALU_DEP_1)
	v_cmp_gt_i32_e32 vcc_lo, s8, v16
                                        ; implicit-def: $vgpr16
	s_and_saveexec_b32 s1, vcc_lo
	s_cbranch_execz .LBB86_51
; %bb.48:
	v_mul_f32_e32 v15, s9, v15
	s_mov_b32 s3, exec_lo
	s_delay_alu instid0(VALU_DEP_1)
	v_cmpx_nlt_f32_e32 s10, v15
	s_cbranch_execz .LBB86_50
; %bb.49:
	v_mul_f32_e32 v16, 0x3fb8aa3b, v15
	v_cmp_ngt_f32_e32 vcc_lo, 0xc2ce8ed0, v15
	s_delay_alu instid0(VALU_DEP_2) | instskip(SKIP_1) | instid1(VALU_DEP_2)
	v_rndne_f32_e32 v17, v16
	v_fma_f32 v18, 0x3fb8aa3b, v15, -v16
	v_sub_f32_e32 v16, v16, v17
	s_delay_alu instid0(VALU_DEP_2) | instskip(SKIP_1) | instid1(VALU_DEP_2)
	v_fmamk_f32 v18, v15, 0x32a5705f, v18
	v_cvt_i32_f32_e32 v17, v17
	v_add_f32_e32 v16, v16, v18
	s_delay_alu instid0(VALU_DEP_1) | instskip(SKIP_1) | instid1(TRANS32_DEP_1)
	v_exp_f32_e32 v16, v16
	v_nop
	v_ldexp_f32 v16, v16, v17
	s_delay_alu instid0(VALU_DEP_1) | instskip(SKIP_1) | instid1(VALU_DEP_2)
	v_cndmask_b32_e32 v16, 0, v16, vcc_lo
	v_cmp_nlt_f32_e32 vcc_lo, 0x42b17218, v15
	v_cndmask_b32_e32 v15, 0x7f800000, v16, vcc_lo
	s_delay_alu instid0(VALU_DEP_1) | instskip(NEXT) | instid1(VALU_DEP_1)
	v_dual_mul_f32 v14, v14, v15 :: v_dual_add_f32 v15, 1.0, v15
	v_div_scale_f32 v16, null, v15, v15, v14
	s_delay_alu instid0(VALU_DEP_1) | instskip(SKIP_1) | instid1(TRANS32_DEP_1)
	v_rcp_f32_e32 v17, v16
	v_nop
	v_fma_f32 v18, -v16, v17, 1.0
	s_delay_alu instid0(VALU_DEP_1) | instskip(SKIP_1) | instid1(VALU_DEP_1)
	v_fmac_f32_e32 v17, v18, v17
	v_div_scale_f32 v18, vcc_lo, v14, v15, v14
	v_mul_f32_e32 v19, v18, v17
	s_delay_alu instid0(VALU_DEP_1) | instskip(NEXT) | instid1(VALU_DEP_1)
	v_fma_f32 v20, -v16, v19, v18
	v_fmac_f32_e32 v19, v20, v17
	s_delay_alu instid0(VALU_DEP_1) | instskip(NEXT) | instid1(VALU_DEP_1)
	v_fma_f32 v16, -v16, v19, v18
	v_div_fmas_f32 v16, v16, v17, v19
	s_delay_alu instid0(VALU_DEP_1)
	v_div_fixup_f32 v14, v16, v15, v14
.LBB86_50:
	s_or_b32 exec_lo, exec_lo, s3
	s_delay_alu instid0(VALU_DEP_1) | instskip(SKIP_1) | instid1(VALU_DEP_2)
	v_bfe_u32 v15, v14, 16, 1
	v_cmp_o_f32_e32 vcc_lo, v14, v14
	v_add3_u32 v15, v14, v15, 0x7fff
	s_delay_alu instid0(VALU_DEP_1) | instskip(NEXT) | instid1(VALU_DEP_1)
	v_lshrrev_b32_e32 v15, 16, v15
	v_cndmask_b32_e32 v16, 0x7fc0, v15, vcc_lo
.LBB86_51:
	s_or_b32 exec_lo, exec_lo, s1
	v_or_b32_e32 v14, 0x400, v0
	s_delay_alu instid0(VALU_DEP_1)
	v_cmp_gt_i32_e32 vcc_lo, s8, v14
                                        ; implicit-def: $vgpr14
	s_and_saveexec_b32 s1, vcc_lo
	s_cbranch_execz .LBB86_55
; %bb.52:
	v_mul_f32_e32 v13, s9, v13
	s_mov_b32 s3, exec_lo
	s_delay_alu instid0(VALU_DEP_1)
	v_cmpx_nlt_f32_e32 s10, v13
	s_cbranch_execz .LBB86_54
; %bb.53:
	v_mul_f32_e32 v14, 0x3fb8aa3b, v13
	v_cmp_ngt_f32_e32 vcc_lo, 0xc2ce8ed0, v13
	s_delay_alu instid0(VALU_DEP_2) | instskip(SKIP_1) | instid1(VALU_DEP_1)
	v_rndne_f32_e32 v15, v14
	v_fma_f32 v17, 0x3fb8aa3b, v13, -v14
	v_dual_sub_f32 v14, v14, v15 :: v_dual_fmamk_f32 v17, v13, 0x32a5705f, v17
	v_cvt_i32_f32_e32 v15, v15
	s_delay_alu instid0(VALU_DEP_2) | instskip(NEXT) | instid1(VALU_DEP_1)
	v_add_f32_e32 v14, v14, v17
	v_exp_f32_e32 v14, v14
	v_nop
	s_delay_alu instid0(TRANS32_DEP_1) | instskip(NEXT) | instid1(VALU_DEP_1)
	v_ldexp_f32 v14, v14, v15
	v_cndmask_b32_e32 v14, 0, v14, vcc_lo
	v_cmp_nlt_f32_e32 vcc_lo, 0x42b17218, v13
	s_delay_alu instid0(VALU_DEP_2) | instskip(NEXT) | instid1(VALU_DEP_1)
	v_cndmask_b32_e32 v13, 0x7f800000, v14, vcc_lo
	v_dual_mul_f32 v11, v11, v13 :: v_dual_add_f32 v13, 1.0, v13
	s_delay_alu instid0(VALU_DEP_1) | instskip(NEXT) | instid1(VALU_DEP_1)
	v_div_scale_f32 v14, null, v13, v13, v11
	v_rcp_f32_e32 v15, v14
	v_nop
	s_delay_alu instid0(TRANS32_DEP_1) | instskip(NEXT) | instid1(VALU_DEP_1)
	v_fma_f32 v17, -v14, v15, 1.0
	v_fmac_f32_e32 v15, v17, v15
	v_div_scale_f32 v17, vcc_lo, v11, v13, v11
	s_delay_alu instid0(VALU_DEP_1) | instskip(NEXT) | instid1(VALU_DEP_1)
	v_mul_f32_e32 v18, v17, v15
	v_fma_f32 v19, -v14, v18, v17
	s_delay_alu instid0(VALU_DEP_1) | instskip(NEXT) | instid1(VALU_DEP_1)
	v_fmac_f32_e32 v18, v19, v15
	v_fma_f32 v14, -v14, v18, v17
	s_delay_alu instid0(VALU_DEP_1) | instskip(NEXT) | instid1(VALU_DEP_1)
	v_div_fmas_f32 v14, v14, v15, v18
	v_div_fixup_f32 v11, v14, v13, v11
.LBB86_54:
	s_or_b32 exec_lo, exec_lo, s3
	s_delay_alu instid0(VALU_DEP_1) | instskip(SKIP_1) | instid1(VALU_DEP_2)
	v_bfe_u32 v13, v11, 16, 1
	v_cmp_o_f32_e32 vcc_lo, v11, v11
	v_add3_u32 v13, v11, v13, 0x7fff
	s_delay_alu instid0(VALU_DEP_1) | instskip(NEXT) | instid1(VALU_DEP_1)
	v_lshrrev_b32_e32 v13, 16, v13
	v_cndmask_b32_e32 v14, 0x7fc0, v13, vcc_lo
.LBB86_55:
	s_or_b32 exec_lo, exec_lo, s1
	v_or_b32_e32 v11, 0x500, v0
	s_delay_alu instid0(VALU_DEP_1)
	v_cmp_gt_i32_e32 vcc_lo, s8, v11
                                        ; implicit-def: $vgpr11
	s_and_saveexec_b32 s1, vcc_lo
	s_cbranch_execz .LBB86_59
; %bb.56:
	v_mul_f32_e32 v9, s9, v9
	s_mov_b32 s3, exec_lo
	s_delay_alu instid0(VALU_DEP_1)
	v_cmpx_nlt_f32_e32 s10, v9
	s_cbranch_execz .LBB86_58
; %bb.57:
	v_mul_f32_e32 v11, 0x3fb8aa3b, v9
	v_cmp_ngt_f32_e32 vcc_lo, 0xc2ce8ed0, v9
	s_delay_alu instid0(VALU_DEP_2) | instskip(SKIP_1) | instid1(VALU_DEP_2)
	v_rndne_f32_e32 v13, v11
	v_fma_f32 v15, 0x3fb8aa3b, v9, -v11
	v_sub_f32_e32 v11, v11, v13
	s_delay_alu instid0(VALU_DEP_2) | instskip(SKIP_1) | instid1(VALU_DEP_2)
	v_fmamk_f32 v15, v9, 0x32a5705f, v15
	v_cvt_i32_f32_e32 v13, v13
	v_add_f32_e32 v11, v11, v15
	s_delay_alu instid0(VALU_DEP_1) | instskip(SKIP_1) | instid1(TRANS32_DEP_1)
	v_exp_f32_e32 v11, v11
	v_nop
	v_ldexp_f32 v11, v11, v13
	s_delay_alu instid0(VALU_DEP_1) | instskip(SKIP_1) | instid1(VALU_DEP_2)
	v_cndmask_b32_e32 v11, 0, v11, vcc_lo
	v_cmp_nlt_f32_e32 vcc_lo, 0x42b17218, v9
	v_cndmask_b32_e32 v9, 0x7f800000, v11, vcc_lo
	s_delay_alu instid0(VALU_DEP_1) | instskip(NEXT) | instid1(VALU_DEP_1)
	v_dual_mul_f32 v8, v8, v9 :: v_dual_add_f32 v9, 1.0, v9
	v_div_scale_f32 v11, null, v9, v9, v8
	s_delay_alu instid0(VALU_DEP_1) | instskip(SKIP_1) | instid1(TRANS32_DEP_1)
	v_rcp_f32_e32 v13, v11
	v_nop
	v_fma_f32 v15, -v11, v13, 1.0
	s_delay_alu instid0(VALU_DEP_1) | instskip(SKIP_1) | instid1(VALU_DEP_1)
	v_fmac_f32_e32 v13, v15, v13
	v_div_scale_f32 v15, vcc_lo, v8, v9, v8
	v_mul_f32_e32 v17, v15, v13
	s_delay_alu instid0(VALU_DEP_1) | instskip(NEXT) | instid1(VALU_DEP_1)
	v_fma_f32 v18, -v11, v17, v15
	v_fmac_f32_e32 v17, v18, v13
	s_delay_alu instid0(VALU_DEP_1) | instskip(NEXT) | instid1(VALU_DEP_1)
	v_fma_f32 v11, -v11, v17, v15
	v_div_fmas_f32 v11, v11, v13, v17
	s_delay_alu instid0(VALU_DEP_1)
	v_div_fixup_f32 v8, v11, v9, v8
.LBB86_58:
	s_or_b32 exec_lo, exec_lo, s3
	s_delay_alu instid0(VALU_DEP_1) | instskip(SKIP_1) | instid1(VALU_DEP_2)
	v_bfe_u32 v9, v8, 16, 1
	v_cmp_o_f32_e32 vcc_lo, v8, v8
	v_add3_u32 v9, v8, v9, 0x7fff
	s_delay_alu instid0(VALU_DEP_1) | instskip(NEXT) | instid1(VALU_DEP_1)
	v_lshrrev_b32_e32 v9, 16, v9
	v_cndmask_b32_e32 v11, 0x7fc0, v9, vcc_lo
.LBB86_59:
	s_or_b32 exec_lo, exec_lo, s1
	v_or_b32_e32 v8, 0x600, v0
	s_delay_alu instid0(VALU_DEP_1)
	v_cmp_gt_i32_e32 vcc_lo, s8, v8
                                        ; implicit-def: $vgpr8
	s_and_saveexec_b32 s1, vcc_lo
	s_cbranch_execz .LBB86_63
; %bb.60:
	v_mul_f32_e32 v7, s9, v7
	s_mov_b32 s3, exec_lo
	s_delay_alu instid0(VALU_DEP_1)
	v_cmpx_nlt_f32_e32 s10, v7
	s_cbranch_execz .LBB86_62
; %bb.61:
	v_mul_f32_e32 v8, 0x3fb8aa3b, v7
	v_cmp_ngt_f32_e32 vcc_lo, 0xc2ce8ed0, v7
	s_delay_alu instid0(VALU_DEP_2) | instskip(SKIP_1) | instid1(VALU_DEP_1)
	v_rndne_f32_e32 v9, v8
	v_fma_f32 v13, 0x3fb8aa3b, v7, -v8
	v_dual_sub_f32 v8, v8, v9 :: v_dual_fmamk_f32 v13, v7, 0x32a5705f, v13
	v_cvt_i32_f32_e32 v9, v9
	s_delay_alu instid0(VALU_DEP_2) | instskip(NEXT) | instid1(VALU_DEP_1)
	v_add_f32_e32 v8, v8, v13
	v_exp_f32_e32 v8, v8
	v_nop
	s_delay_alu instid0(TRANS32_DEP_1) | instskip(NEXT) | instid1(VALU_DEP_1)
	v_ldexp_f32 v8, v8, v9
	v_cndmask_b32_e32 v8, 0, v8, vcc_lo
	v_cmp_nlt_f32_e32 vcc_lo, 0x42b17218, v7
	s_delay_alu instid0(VALU_DEP_2) | instskip(NEXT) | instid1(VALU_DEP_1)
	v_cndmask_b32_e32 v7, 0x7f800000, v8, vcc_lo
	v_dual_mul_f32 v6, v6, v7 :: v_dual_add_f32 v7, 1.0, v7
	s_delay_alu instid0(VALU_DEP_1) | instskip(NEXT) | instid1(VALU_DEP_1)
	v_div_scale_f32 v8, null, v7, v7, v6
	v_rcp_f32_e32 v9, v8
	v_nop
	s_delay_alu instid0(TRANS32_DEP_1) | instskip(NEXT) | instid1(VALU_DEP_1)
	v_fma_f32 v13, -v8, v9, 1.0
	v_fmac_f32_e32 v9, v13, v9
	v_div_scale_f32 v13, vcc_lo, v6, v7, v6
	s_delay_alu instid0(VALU_DEP_1) | instskip(NEXT) | instid1(VALU_DEP_1)
	v_mul_f32_e32 v15, v13, v9
	v_fma_f32 v17, -v8, v15, v13
	s_delay_alu instid0(VALU_DEP_1) | instskip(NEXT) | instid1(VALU_DEP_1)
	v_fmac_f32_e32 v15, v17, v9
	v_fma_f32 v8, -v8, v15, v13
	s_delay_alu instid0(VALU_DEP_1) | instskip(NEXT) | instid1(VALU_DEP_1)
	v_div_fmas_f32 v8, v8, v9, v15
	v_div_fixup_f32 v6, v8, v7, v6
.LBB86_62:
	s_or_b32 exec_lo, exec_lo, s3
	s_delay_alu instid0(VALU_DEP_1) | instskip(SKIP_1) | instid1(VALU_DEP_2)
	v_bfe_u32 v7, v6, 16, 1
	v_cmp_o_f32_e32 vcc_lo, v6, v6
	v_add3_u32 v7, v6, v7, 0x7fff
	s_delay_alu instid0(VALU_DEP_1) | instskip(NEXT) | instid1(VALU_DEP_1)
	v_lshrrev_b32_e32 v7, 16, v7
	v_cndmask_b32_e32 v8, 0x7fc0, v7, vcc_lo
.LBB86_63:
	s_or_b32 exec_lo, exec_lo, s1
	v_or_b32_e32 v6, 0x700, v0
	s_delay_alu instid0(VALU_DEP_1)
	v_cmp_gt_i32_e32 vcc_lo, s8, v6
                                        ; implicit-def: $vgpr6
	s_and_saveexec_b32 s1, vcc_lo
	s_cbranch_execz .LBB86_76
; %bb.64:
	v_mul_f32_e32 v4, s9, v4
	s_mov_b32 s3, exec_lo
	s_delay_alu instid0(VALU_DEP_1)
	v_cmpx_nlt_f32_e32 s10, v4
	s_cbranch_execz .LBB86_66
; %bb.65:
	v_mul_f32_e32 v6, 0x3fb8aa3b, v4
	v_cmp_ngt_f32_e32 vcc_lo, 0xc2ce8ed0, v4
	s_delay_alu instid0(VALU_DEP_2) | instskip(SKIP_1) | instid1(VALU_DEP_1)
	v_rndne_f32_e32 v7, v6
	v_fma_f32 v9, 0x3fb8aa3b, v4, -v6
	v_dual_sub_f32 v6, v6, v7 :: v_dual_fmamk_f32 v9, v4, 0x32a5705f, v9
	v_cvt_i32_f32_e32 v7, v7
	s_delay_alu instid0(VALU_DEP_2) | instskip(NEXT) | instid1(VALU_DEP_1)
	v_add_f32_e32 v6, v6, v9
	v_exp_f32_e32 v6, v6
	v_nop
	s_delay_alu instid0(TRANS32_DEP_1) | instskip(NEXT) | instid1(VALU_DEP_1)
	v_ldexp_f32 v6, v6, v7
	v_cndmask_b32_e32 v6, 0, v6, vcc_lo
	v_cmp_nlt_f32_e32 vcc_lo, 0x42b17218, v4
	s_delay_alu instid0(VALU_DEP_2) | instskip(NEXT) | instid1(VALU_DEP_1)
	v_cndmask_b32_e32 v4, 0x7f800000, v6, vcc_lo
	v_dual_mul_f32 v3, v3, v4 :: v_dual_add_f32 v4, 1.0, v4
	s_delay_alu instid0(VALU_DEP_1) | instskip(NEXT) | instid1(VALU_DEP_1)
	v_div_scale_f32 v6, null, v4, v4, v3
	v_rcp_f32_e32 v7, v6
	v_nop
	s_delay_alu instid0(TRANS32_DEP_1) | instskip(NEXT) | instid1(VALU_DEP_1)
	v_fma_f32 v9, -v6, v7, 1.0
	v_fmac_f32_e32 v7, v9, v7
	v_div_scale_f32 v9, vcc_lo, v3, v4, v3
	s_delay_alu instid0(VALU_DEP_1) | instskip(NEXT) | instid1(VALU_DEP_1)
	v_mul_f32_e32 v13, v9, v7
	v_fma_f32 v15, -v6, v13, v9
	s_delay_alu instid0(VALU_DEP_1) | instskip(NEXT) | instid1(VALU_DEP_1)
	v_fmac_f32_e32 v13, v15, v7
	v_fma_f32 v6, -v6, v13, v9
	s_delay_alu instid0(VALU_DEP_1) | instskip(NEXT) | instid1(VALU_DEP_1)
	v_div_fmas_f32 v6, v6, v7, v13
	v_div_fixup_f32 v3, v6, v4, v3
.LBB86_66:
	s_or_b32 exec_lo, exec_lo, s3
	s_delay_alu instid0(VALU_DEP_1) | instskip(SKIP_1) | instid1(VALU_DEP_2)
	v_bfe_u32 v4, v3, 16, 1
	v_cmp_o_f32_e32 vcc_lo, v3, v3
	v_add3_u32 v4, v3, v4, 0x7fff
	s_delay_alu instid0(VALU_DEP_1) | instskip(NEXT) | instid1(VALU_DEP_1)
	v_lshrrev_b32_e32 v4, 16, v4
	v_cndmask_b32_e32 v6, 0x7fc0, v4, vcc_lo
	s_or_b32 exec_lo, exec_lo, s1
	s_and_saveexec_b32 s1, s0
	s_delay_alu instid0(SALU_CYCLE_1)
	s_xor_b32 s0, exec_lo, s1
	s_cbranch_execnz .LBB86_77
.LBB86_67:
	s_or_b32 exec_lo, exec_lo, s0
	s_delay_alu instid0(SALU_CYCLE_1)
	s_mov_b32 s0, exec_lo
	v_cmpx_gt_i32_e64 s8, v0
	s_cbranch_execz .LBB86_78
.LBB86_68:
	v_add_nc_u32_e32 v1, s2, v0
	v_add_nc_u32_e32 v0, 0x100, v0
	global_store_b16 v1, v10, s[4:5] scale_offset
	s_wait_xcnt 0x0
	s_or_b32 exec_lo, exec_lo, s0
	s_delay_alu instid0(SALU_CYCLE_1)
	s_mov_b32 s0, exec_lo
	v_cmpx_gt_i32_e64 s8, v0
	s_cbranch_execnz .LBB86_79
.LBB86_69:
	s_or_b32 exec_lo, exec_lo, s0
	s_delay_alu instid0(SALU_CYCLE_1)
	s_mov_b32 s0, exec_lo
	v_cmpx_gt_i32_e64 s8, v0
	s_cbranch_execz .LBB86_80
.LBB86_70:
	v_add_nc_u32_e32 v1, s2, v0
	v_add_nc_u32_e32 v0, 0x100, v0
	global_store_b16 v1, v16, s[4:5] scale_offset
	s_wait_xcnt 0x0
	s_or_b32 exec_lo, exec_lo, s0
	s_delay_alu instid0(SALU_CYCLE_1)
	s_mov_b32 s0, exec_lo
	v_cmpx_gt_i32_e64 s8, v0
	s_cbranch_execnz .LBB86_81
.LBB86_71:
	s_or_b32 exec_lo, exec_lo, s0
	s_delay_alu instid0(SALU_CYCLE_1)
	s_mov_b32 s0, exec_lo
	v_cmpx_gt_i32_e64 s8, v0
	s_cbranch_execz .LBB86_82
.LBB86_72:
	v_add_nc_u32_e32 v1, s2, v0
	v_add_nc_u32_e32 v0, 0x100, v0
	global_store_b16 v1, v11, s[4:5] scale_offset
	s_wait_xcnt 0x0
	s_or_b32 exec_lo, exec_lo, s0
	s_delay_alu instid0(SALU_CYCLE_1)
	s_mov_b32 s0, exec_lo
	v_cmpx_gt_i32_e64 s8, v0
	s_cbranch_execnz .LBB86_83
.LBB86_73:
	s_or_b32 exec_lo, exec_lo, s0
	s_delay_alu instid0(SALU_CYCLE_1)
	s_mov_b32 s0, exec_lo
	v_cmpx_gt_i32_e64 s8, v0
	s_cbranch_execz .LBB86_75
.LBB86_74:
	v_add_nc_u32_e32 v0, s2, v0
	global_store_b16 v0, v6, s[4:5] scale_offset
.LBB86_75:
	s_endpgm
.LBB86_76:
	s_or_b32 exec_lo, exec_lo, s1
	s_and_saveexec_b32 s1, s0
	s_delay_alu instid0(SALU_CYCLE_1)
	s_xor_b32 s0, exec_lo, s1
	s_cbranch_execz .LBB86_67
.LBB86_77:
	v_mov_b32_e32 v0, v2
	global_store_b16 v1, v5, s[4:5] scale_offset
	s_wait_xcnt 0x0
	s_or_b32 exec_lo, exec_lo, s0
	s_delay_alu instid0(SALU_CYCLE_1)
	s_mov_b32 s0, exec_lo
	v_cmpx_gt_i32_e64 s8, v0
	s_cbranch_execnz .LBB86_68
.LBB86_78:
	s_or_b32 exec_lo, exec_lo, s0
	s_delay_alu instid0(SALU_CYCLE_1)
	s_mov_b32 s0, exec_lo
	v_cmpx_gt_i32_e64 s8, v0
	s_cbranch_execz .LBB86_69
.LBB86_79:
	v_add_nc_u32_e32 v1, s2, v0
	v_add_nc_u32_e32 v0, 0x100, v0
	global_store_b16 v1, v12, s[4:5] scale_offset
	s_wait_xcnt 0x0
	s_or_b32 exec_lo, exec_lo, s0
	s_delay_alu instid0(SALU_CYCLE_1)
	s_mov_b32 s0, exec_lo
	v_cmpx_gt_i32_e64 s8, v0
	s_cbranch_execnz .LBB86_70
.LBB86_80:
	s_or_b32 exec_lo, exec_lo, s0
	s_delay_alu instid0(SALU_CYCLE_1)
	s_mov_b32 s0, exec_lo
	v_cmpx_gt_i32_e64 s8, v0
	s_cbranch_execz .LBB86_71
.LBB86_81:
	v_add_nc_u32_e32 v1, s2, v0
	v_add_nc_u32_e32 v0, 0x100, v0
	global_store_b16 v1, v14, s[4:5] scale_offset
	s_wait_xcnt 0x0
	s_or_b32 exec_lo, exec_lo, s0
	s_delay_alu instid0(SALU_CYCLE_1)
	s_mov_b32 s0, exec_lo
	v_cmpx_gt_i32_e64 s8, v0
	s_cbranch_execnz .LBB86_72
.LBB86_82:
	s_or_b32 exec_lo, exec_lo, s0
	s_delay_alu instid0(SALU_CYCLE_1)
	s_mov_b32 s0, exec_lo
	v_cmpx_gt_i32_e64 s8, v0
	s_cbranch_execz .LBB86_73
.LBB86_83:
	v_add_nc_u32_e32 v1, s2, v0
	v_add_nc_u32_e32 v0, 0x100, v0
	global_store_b16 v1, v8, s[4:5] scale_offset
	s_wait_xcnt 0x0
	s_or_b32 exec_lo, exec_lo, s0
	s_delay_alu instid0(SALU_CYCLE_1)
	s_mov_b32 s0, exec_lo
	v_cmpx_gt_i32_e64 s8, v0
	s_cbranch_execnz .LBB86_74
	s_branch .LBB86_75
	.section	.rodata,"a",@progbits
	.p2align	6, 0x0
	.amdhsa_kernel _ZN2at6native29vectorized_elementwise_kernelILi16EZZZNS0_12_GLOBAL__N_124softplus_backward_kernelERNS_18TensorIteratorBaseERKN3c106ScalarES8_ENKUlvE_clEvENKUlvE2_clEvEUlNS5_8BFloat16ESB_E_St5arrayIPcLm3EEEEviT0_T1_
		.amdhsa_group_segment_fixed_size 0
		.amdhsa_private_segment_fixed_size 0
		.amdhsa_kernarg_size 40
		.amdhsa_user_sgpr_count 2
		.amdhsa_user_sgpr_dispatch_ptr 0
		.amdhsa_user_sgpr_queue_ptr 0
		.amdhsa_user_sgpr_kernarg_segment_ptr 1
		.amdhsa_user_sgpr_dispatch_id 0
		.amdhsa_user_sgpr_kernarg_preload_length 0
		.amdhsa_user_sgpr_kernarg_preload_offset 0
		.amdhsa_user_sgpr_private_segment_size 0
		.amdhsa_wavefront_size32 1
		.amdhsa_uses_dynamic_stack 0
		.amdhsa_enable_private_segment 0
		.amdhsa_system_sgpr_workgroup_id_x 1
		.amdhsa_system_sgpr_workgroup_id_y 0
		.amdhsa_system_sgpr_workgroup_id_z 0
		.amdhsa_system_sgpr_workgroup_info 0
		.amdhsa_system_vgpr_workitem_id 0
		.amdhsa_next_free_vgpr 24
		.amdhsa_next_free_sgpr 16
		.amdhsa_named_barrier_count 0
		.amdhsa_reserve_vcc 1
		.amdhsa_float_round_mode_32 0
		.amdhsa_float_round_mode_16_64 0
		.amdhsa_float_denorm_mode_32 3
		.amdhsa_float_denorm_mode_16_64 3
		.amdhsa_fp16_overflow 0
		.amdhsa_memory_ordered 1
		.amdhsa_forward_progress 1
		.amdhsa_inst_pref_size 50
		.amdhsa_round_robin_scheduling 0
		.amdhsa_exception_fp_ieee_invalid_op 0
		.amdhsa_exception_fp_denorm_src 0
		.amdhsa_exception_fp_ieee_div_zero 0
		.amdhsa_exception_fp_ieee_overflow 0
		.amdhsa_exception_fp_ieee_underflow 0
		.amdhsa_exception_fp_ieee_inexact 0
		.amdhsa_exception_int_div_zero 0
	.end_amdhsa_kernel
	.section	.text._ZN2at6native29vectorized_elementwise_kernelILi16EZZZNS0_12_GLOBAL__N_124softplus_backward_kernelERNS_18TensorIteratorBaseERKN3c106ScalarES8_ENKUlvE_clEvENKUlvE2_clEvEUlNS5_8BFloat16ESB_E_St5arrayIPcLm3EEEEviT0_T1_,"axG",@progbits,_ZN2at6native29vectorized_elementwise_kernelILi16EZZZNS0_12_GLOBAL__N_124softplus_backward_kernelERNS_18TensorIteratorBaseERKN3c106ScalarES8_ENKUlvE_clEvENKUlvE2_clEvEUlNS5_8BFloat16ESB_E_St5arrayIPcLm3EEEEviT0_T1_,comdat
.Lfunc_end86:
	.size	_ZN2at6native29vectorized_elementwise_kernelILi16EZZZNS0_12_GLOBAL__N_124softplus_backward_kernelERNS_18TensorIteratorBaseERKN3c106ScalarES8_ENKUlvE_clEvENKUlvE2_clEvEUlNS5_8BFloat16ESB_E_St5arrayIPcLm3EEEEviT0_T1_, .Lfunc_end86-_ZN2at6native29vectorized_elementwise_kernelILi16EZZZNS0_12_GLOBAL__N_124softplus_backward_kernelERNS_18TensorIteratorBaseERKN3c106ScalarES8_ENKUlvE_clEvENKUlvE2_clEvEUlNS5_8BFloat16ESB_E_St5arrayIPcLm3EEEEviT0_T1_
                                        ; -- End function
	.set _ZN2at6native29vectorized_elementwise_kernelILi16EZZZNS0_12_GLOBAL__N_124softplus_backward_kernelERNS_18TensorIteratorBaseERKN3c106ScalarES8_ENKUlvE_clEvENKUlvE2_clEvEUlNS5_8BFloat16ESB_E_St5arrayIPcLm3EEEEviT0_T1_.num_vgpr, 24
	.set _ZN2at6native29vectorized_elementwise_kernelILi16EZZZNS0_12_GLOBAL__N_124softplus_backward_kernelERNS_18TensorIteratorBaseERKN3c106ScalarES8_ENKUlvE_clEvENKUlvE2_clEvEUlNS5_8BFloat16ESB_E_St5arrayIPcLm3EEEEviT0_T1_.num_agpr, 0
	.set _ZN2at6native29vectorized_elementwise_kernelILi16EZZZNS0_12_GLOBAL__N_124softplus_backward_kernelERNS_18TensorIteratorBaseERKN3c106ScalarES8_ENKUlvE_clEvENKUlvE2_clEvEUlNS5_8BFloat16ESB_E_St5arrayIPcLm3EEEEviT0_T1_.numbered_sgpr, 16
	.set _ZN2at6native29vectorized_elementwise_kernelILi16EZZZNS0_12_GLOBAL__N_124softplus_backward_kernelERNS_18TensorIteratorBaseERKN3c106ScalarES8_ENKUlvE_clEvENKUlvE2_clEvEUlNS5_8BFloat16ESB_E_St5arrayIPcLm3EEEEviT0_T1_.num_named_barrier, 0
	.set _ZN2at6native29vectorized_elementwise_kernelILi16EZZZNS0_12_GLOBAL__N_124softplus_backward_kernelERNS_18TensorIteratorBaseERKN3c106ScalarES8_ENKUlvE_clEvENKUlvE2_clEvEUlNS5_8BFloat16ESB_E_St5arrayIPcLm3EEEEviT0_T1_.private_seg_size, 0
	.set _ZN2at6native29vectorized_elementwise_kernelILi16EZZZNS0_12_GLOBAL__N_124softplus_backward_kernelERNS_18TensorIteratorBaseERKN3c106ScalarES8_ENKUlvE_clEvENKUlvE2_clEvEUlNS5_8BFloat16ESB_E_St5arrayIPcLm3EEEEviT0_T1_.uses_vcc, 1
	.set _ZN2at6native29vectorized_elementwise_kernelILi16EZZZNS0_12_GLOBAL__N_124softplus_backward_kernelERNS_18TensorIteratorBaseERKN3c106ScalarES8_ENKUlvE_clEvENKUlvE2_clEvEUlNS5_8BFloat16ESB_E_St5arrayIPcLm3EEEEviT0_T1_.uses_flat_scratch, 0
	.set _ZN2at6native29vectorized_elementwise_kernelILi16EZZZNS0_12_GLOBAL__N_124softplus_backward_kernelERNS_18TensorIteratorBaseERKN3c106ScalarES8_ENKUlvE_clEvENKUlvE2_clEvEUlNS5_8BFloat16ESB_E_St5arrayIPcLm3EEEEviT0_T1_.has_dyn_sized_stack, 0
	.set _ZN2at6native29vectorized_elementwise_kernelILi16EZZZNS0_12_GLOBAL__N_124softplus_backward_kernelERNS_18TensorIteratorBaseERKN3c106ScalarES8_ENKUlvE_clEvENKUlvE2_clEvEUlNS5_8BFloat16ESB_E_St5arrayIPcLm3EEEEviT0_T1_.has_recursion, 0
	.set _ZN2at6native29vectorized_elementwise_kernelILi16EZZZNS0_12_GLOBAL__N_124softplus_backward_kernelERNS_18TensorIteratorBaseERKN3c106ScalarES8_ENKUlvE_clEvENKUlvE2_clEvEUlNS5_8BFloat16ESB_E_St5arrayIPcLm3EEEEviT0_T1_.has_indirect_call, 0
	.section	.AMDGPU.csdata,"",@progbits
; Kernel info:
; codeLenInByte = 6316
; TotalNumSgprs: 18
; NumVgprs: 24
; ScratchSize: 0
; MemoryBound: 0
; FloatMode: 240
; IeeeMode: 1
; LDSByteSize: 0 bytes/workgroup (compile time only)
; SGPRBlocks: 0
; VGPRBlocks: 1
; NumSGPRsForWavesPerEU: 18
; NumVGPRsForWavesPerEU: 24
; NamedBarCnt: 0
; Occupancy: 16
; WaveLimiterHint : 0
; COMPUTE_PGM_RSRC2:SCRATCH_EN: 0
; COMPUTE_PGM_RSRC2:USER_SGPR: 2
; COMPUTE_PGM_RSRC2:TRAP_HANDLER: 0
; COMPUTE_PGM_RSRC2:TGID_X_EN: 1
; COMPUTE_PGM_RSRC2:TGID_Y_EN: 0
; COMPUTE_PGM_RSRC2:TGID_Z_EN: 0
; COMPUTE_PGM_RSRC2:TIDIG_COMP_CNT: 0
	.section	.text._ZN2at6native29vectorized_elementwise_kernelILi8EZZZNS0_12_GLOBAL__N_124softplus_backward_kernelERNS_18TensorIteratorBaseERKN3c106ScalarES8_ENKUlvE_clEvENKUlvE2_clEvEUlNS5_8BFloat16ESB_E_St5arrayIPcLm3EEEEviT0_T1_,"axG",@progbits,_ZN2at6native29vectorized_elementwise_kernelILi8EZZZNS0_12_GLOBAL__N_124softplus_backward_kernelERNS_18TensorIteratorBaseERKN3c106ScalarES8_ENKUlvE_clEvENKUlvE2_clEvEUlNS5_8BFloat16ESB_E_St5arrayIPcLm3EEEEviT0_T1_,comdat
	.globl	_ZN2at6native29vectorized_elementwise_kernelILi8EZZZNS0_12_GLOBAL__N_124softplus_backward_kernelERNS_18TensorIteratorBaseERKN3c106ScalarES8_ENKUlvE_clEvENKUlvE2_clEvEUlNS5_8BFloat16ESB_E_St5arrayIPcLm3EEEEviT0_T1_ ; -- Begin function _ZN2at6native29vectorized_elementwise_kernelILi8EZZZNS0_12_GLOBAL__N_124softplus_backward_kernelERNS_18TensorIteratorBaseERKN3c106ScalarES8_ENKUlvE_clEvENKUlvE2_clEvEUlNS5_8BFloat16ESB_E_St5arrayIPcLm3EEEEviT0_T1_
	.p2align	8
	.type	_ZN2at6native29vectorized_elementwise_kernelILi8EZZZNS0_12_GLOBAL__N_124softplus_backward_kernelERNS_18TensorIteratorBaseERKN3c106ScalarES8_ENKUlvE_clEvENKUlvE2_clEvEUlNS5_8BFloat16ESB_E_St5arrayIPcLm3EEEEviT0_T1_,@function
_ZN2at6native29vectorized_elementwise_kernelILi8EZZZNS0_12_GLOBAL__N_124softplus_backward_kernelERNS_18TensorIteratorBaseERKN3c106ScalarES8_ENKUlvE_clEvENKUlvE2_clEvEUlNS5_8BFloat16ESB_E_St5arrayIPcLm3EEEEviT0_T1_: ; @_ZN2at6native29vectorized_elementwise_kernelILi8EZZZNS0_12_GLOBAL__N_124softplus_backward_kernelERNS_18TensorIteratorBaseERKN3c106ScalarES8_ENKUlvE_clEvENKUlvE2_clEvEUlNS5_8BFloat16ESB_E_St5arrayIPcLm3EEEEviT0_T1_
; %bb.0:
	s_clause 0x2
	s_load_b96 s[8:10], s[0:1], 0x0
	s_load_b128 s[4:7], s[0:1], 0x10
	s_load_b64 s[12:13], s[0:1], 0x20
	s_wait_xcnt 0x0
	s_bfe_u32 s0, ttmp6, 0x4000c
	s_and_b32 s1, ttmp6, 15
	s_add_co_i32 s0, s0, 1
	s_getreg_b32 s2, hwreg(HW_REG_IB_STS2, 6, 4)
	s_mul_i32 s0, ttmp9, s0
	s_delay_alu instid0(SALU_CYCLE_1) | instskip(SKIP_2) | instid1(SALU_CYCLE_1)
	s_add_co_i32 s1, s1, s0
	s_cmp_eq_u32 s2, 0
	s_cselect_b32 s0, ttmp9, s1
	s_lshl_b32 s2, s0, 11
	s_mov_b32 s0, -1
	s_wait_kmcnt 0x0
	s_sub_co_i32 s8, s8, s2
	s_delay_alu instid0(SALU_CYCLE_1)
	s_cmp_gt_i32 s8, 0x7ff
	s_cbranch_scc0 .LBB87_18
; %bb.1:
	s_ashr_i32 s3, s2, 31
	s_delay_alu instid0(SALU_CYCLE_1)
	s_lshl_b64 s[0:1], s[2:3], 1
	s_mov_b32 s3, exec_lo
	s_add_nc_u64 s[14:15], s[12:13], s[0:1]
	global_load_b128 v[6:9], v0, s[14:15] scale_offset
	s_wait_xcnt 0x0
	s_add_nc_u64 s[14:15], s[6:7], s[0:1]
	global_load_b128 v[2:5], v0, s[14:15] scale_offset
	s_wait_loadcnt 0x1
	v_lshlrev_b32_e32 v1, 16, v6
	s_wait_loadcnt 0x0
	s_delay_alu instid0(VALU_DEP_1) | instskip(NEXT) | instid1(VALU_DEP_1)
	v_dual_mul_f32 v10, s9, v1 :: v_dual_lshlrev_b32 v1, 16, v2
	v_cmpx_nlt_f32_e32 s10, v10
	s_cbranch_execz .LBB87_3
; %bb.2:
	v_mul_f32_e32 v11, 0x3fb8aa3b, v10
	v_cmp_ngt_f32_e32 vcc_lo, 0xc2ce8ed0, v10
	s_delay_alu instid0(VALU_DEP_2) | instskip(SKIP_1) | instid1(VALU_DEP_2)
	v_rndne_f32_e32 v12, v11
	v_fma_f32 v13, 0x3fb8aa3b, v10, -v11
	v_sub_f32_e32 v11, v11, v12
	s_delay_alu instid0(VALU_DEP_2) | instskip(SKIP_1) | instid1(VALU_DEP_2)
	v_fmamk_f32 v13, v10, 0x32a5705f, v13
	v_cvt_i32_f32_e32 v12, v12
	v_add_f32_e32 v11, v11, v13
	s_delay_alu instid0(VALU_DEP_1) | instskip(SKIP_1) | instid1(TRANS32_DEP_1)
	v_exp_f32_e32 v11, v11
	v_nop
	v_ldexp_f32 v11, v11, v12
	s_delay_alu instid0(VALU_DEP_1) | instskip(SKIP_1) | instid1(VALU_DEP_2)
	v_cndmask_b32_e32 v11, 0, v11, vcc_lo
	v_cmp_nlt_f32_e32 vcc_lo, 0x42b17218, v10
	v_cndmask_b32_e32 v10, 0x7f800000, v11, vcc_lo
	s_delay_alu instid0(VALU_DEP_1) | instskip(NEXT) | instid1(VALU_DEP_1)
	v_dual_mul_f32 v1, v10, v1 :: v_dual_add_f32 v10, 1.0, v10
	v_div_scale_f32 v11, null, v10, v10, v1
	s_delay_alu instid0(VALU_DEP_1) | instskip(SKIP_1) | instid1(TRANS32_DEP_1)
	v_rcp_f32_e32 v12, v11
	v_nop
	v_fma_f32 v13, -v11, v12, 1.0
	s_delay_alu instid0(VALU_DEP_1) | instskip(SKIP_1) | instid1(VALU_DEP_1)
	v_fmac_f32_e32 v12, v13, v12
	v_div_scale_f32 v13, vcc_lo, v1, v10, v1
	v_mul_f32_e32 v14, v13, v12
	s_delay_alu instid0(VALU_DEP_1) | instskip(NEXT) | instid1(VALU_DEP_1)
	v_fma_f32 v15, -v11, v14, v13
	v_fmac_f32_e32 v14, v15, v12
	s_delay_alu instid0(VALU_DEP_1) | instskip(NEXT) | instid1(VALU_DEP_1)
	v_fma_f32 v11, -v11, v14, v13
	v_div_fmas_f32 v11, v11, v12, v14
	s_delay_alu instid0(VALU_DEP_1)
	v_div_fixup_f32 v1, v11, v10, v1
.LBB87_3:
	s_or_b32 exec_lo, exec_lo, s3
	v_and_b32_e32 v6, 0xffff0000, v6
	v_and_b32_e32 v2, 0xffff0000, v2
	s_mov_b32 s3, exec_lo
	s_delay_alu instid0(VALU_DEP_2) | instskip(NEXT) | instid1(VALU_DEP_1)
	v_mul_f32_e32 v6, s9, v6
	v_cmpx_nlt_f32_e32 s10, v6
	s_cbranch_execz .LBB87_5
; %bb.4:
	v_mul_f32_e32 v10, 0x3fb8aa3b, v6
	v_cmp_ngt_f32_e32 vcc_lo, 0xc2ce8ed0, v6
	s_delay_alu instid0(VALU_DEP_2) | instskip(SKIP_1) | instid1(VALU_DEP_2)
	v_rndne_f32_e32 v11, v10
	v_fma_f32 v12, 0x3fb8aa3b, v6, -v10
	v_sub_f32_e32 v10, v10, v11
	s_delay_alu instid0(VALU_DEP_2) | instskip(SKIP_1) | instid1(VALU_DEP_2)
	v_fmamk_f32 v12, v6, 0x32a5705f, v12
	v_cvt_i32_f32_e32 v11, v11
	v_add_f32_e32 v10, v10, v12
	s_delay_alu instid0(VALU_DEP_1) | instskip(SKIP_1) | instid1(TRANS32_DEP_1)
	v_exp_f32_e32 v10, v10
	v_nop
	v_ldexp_f32 v10, v10, v11
	s_delay_alu instid0(VALU_DEP_1) | instskip(SKIP_1) | instid1(VALU_DEP_2)
	v_cndmask_b32_e32 v10, 0, v10, vcc_lo
	v_cmp_nlt_f32_e32 vcc_lo, 0x42b17218, v6
	v_cndmask_b32_e32 v6, 0x7f800000, v10, vcc_lo
	s_delay_alu instid0(VALU_DEP_1) | instskip(SKIP_1) | instid1(VALU_DEP_1)
	v_mul_f32_e32 v2, v6, v2
	v_add_f32_e32 v6, 1.0, v6
	v_div_scale_f32 v10, null, v6, v6, v2
	s_delay_alu instid0(VALU_DEP_1) | instskip(SKIP_1) | instid1(TRANS32_DEP_1)
	v_rcp_f32_e32 v11, v10
	v_nop
	v_fma_f32 v12, -v10, v11, 1.0
	s_delay_alu instid0(VALU_DEP_1) | instskip(SKIP_1) | instid1(VALU_DEP_1)
	v_fmac_f32_e32 v11, v12, v11
	v_div_scale_f32 v12, vcc_lo, v2, v6, v2
	v_mul_f32_e32 v13, v12, v11
	s_delay_alu instid0(VALU_DEP_1) | instskip(NEXT) | instid1(VALU_DEP_1)
	v_fma_f32 v14, -v10, v13, v12
	v_fmac_f32_e32 v13, v14, v11
	s_delay_alu instid0(VALU_DEP_1) | instskip(NEXT) | instid1(VALU_DEP_1)
	v_fma_f32 v10, -v10, v13, v12
	v_div_fmas_f32 v10, v10, v11, v13
	s_delay_alu instid0(VALU_DEP_1)
	v_div_fixup_f32 v2, v10, v6, v2
.LBB87_5:
	s_or_b32 exec_lo, exec_lo, s3
	v_lshlrev_b32_e32 v6, 16, v7
	s_mov_b32 s3, exec_lo
	s_delay_alu instid0(VALU_DEP_1) | instskip(NEXT) | instid1(VALU_DEP_1)
	v_dual_mul_f32 v10, s9, v6 :: v_dual_lshlrev_b32 v6, 16, v3
	v_cmpx_nlt_f32_e32 s10, v10
	s_cbranch_execz .LBB87_7
; %bb.6:
	v_mul_f32_e32 v11, 0x3fb8aa3b, v10
	v_cmp_ngt_f32_e32 vcc_lo, 0xc2ce8ed0, v10
	s_delay_alu instid0(VALU_DEP_2) | instskip(SKIP_1) | instid1(VALU_DEP_2)
	v_rndne_f32_e32 v12, v11
	v_fma_f32 v13, 0x3fb8aa3b, v10, -v11
	v_sub_f32_e32 v11, v11, v12
	s_delay_alu instid0(VALU_DEP_2) | instskip(SKIP_1) | instid1(VALU_DEP_2)
	v_fmamk_f32 v13, v10, 0x32a5705f, v13
	v_cvt_i32_f32_e32 v12, v12
	v_add_f32_e32 v11, v11, v13
	s_delay_alu instid0(VALU_DEP_1) | instskip(SKIP_1) | instid1(TRANS32_DEP_1)
	v_exp_f32_e32 v11, v11
	v_nop
	v_ldexp_f32 v11, v11, v12
	s_delay_alu instid0(VALU_DEP_1) | instskip(SKIP_1) | instid1(VALU_DEP_2)
	v_cndmask_b32_e32 v11, 0, v11, vcc_lo
	v_cmp_nlt_f32_e32 vcc_lo, 0x42b17218, v10
	v_cndmask_b32_e32 v10, 0x7f800000, v11, vcc_lo
	s_delay_alu instid0(VALU_DEP_1) | instskip(SKIP_1) | instid1(VALU_DEP_1)
	v_mul_f32_e32 v6, v10, v6
	v_add_f32_e32 v10, 1.0, v10
	v_div_scale_f32 v11, null, v10, v10, v6
	s_delay_alu instid0(VALU_DEP_1) | instskip(SKIP_1) | instid1(TRANS32_DEP_1)
	v_rcp_f32_e32 v12, v11
	v_nop
	v_fma_f32 v13, -v11, v12, 1.0
	s_delay_alu instid0(VALU_DEP_1) | instskip(SKIP_1) | instid1(VALU_DEP_1)
	v_fmac_f32_e32 v12, v13, v12
	v_div_scale_f32 v13, vcc_lo, v6, v10, v6
	v_mul_f32_e32 v14, v13, v12
	s_delay_alu instid0(VALU_DEP_1) | instskip(NEXT) | instid1(VALU_DEP_1)
	v_fma_f32 v15, -v11, v14, v13
	v_fmac_f32_e32 v14, v15, v12
	s_delay_alu instid0(VALU_DEP_1) | instskip(NEXT) | instid1(VALU_DEP_1)
	v_fma_f32 v11, -v11, v14, v13
	v_div_fmas_f32 v11, v11, v12, v14
	s_delay_alu instid0(VALU_DEP_1)
	v_div_fixup_f32 v6, v11, v10, v6
.LBB87_7:
	s_or_b32 exec_lo, exec_lo, s3
	v_and_b32_e32 v7, 0xffff0000, v7
	v_and_b32_e32 v3, 0xffff0000, v3
	s_mov_b32 s3, exec_lo
	s_delay_alu instid0(VALU_DEP_2) | instskip(NEXT) | instid1(VALU_DEP_1)
	v_mul_f32_e32 v7, s9, v7
	v_cmpx_nlt_f32_e32 s10, v7
	s_cbranch_execz .LBB87_9
; %bb.8:
	v_mul_f32_e32 v10, 0x3fb8aa3b, v7
	v_cmp_ngt_f32_e32 vcc_lo, 0xc2ce8ed0, v7
	s_delay_alu instid0(VALU_DEP_2) | instskip(SKIP_1) | instid1(VALU_DEP_2)
	v_rndne_f32_e32 v11, v10
	v_fma_f32 v12, 0x3fb8aa3b, v7, -v10
	v_sub_f32_e32 v10, v10, v11
	s_delay_alu instid0(VALU_DEP_2) | instskip(SKIP_1) | instid1(VALU_DEP_2)
	v_fmamk_f32 v12, v7, 0x32a5705f, v12
	v_cvt_i32_f32_e32 v11, v11
	v_add_f32_e32 v10, v10, v12
	s_delay_alu instid0(VALU_DEP_1) | instskip(SKIP_1) | instid1(TRANS32_DEP_1)
	v_exp_f32_e32 v10, v10
	v_nop
	v_ldexp_f32 v10, v10, v11
	s_delay_alu instid0(VALU_DEP_1) | instskip(SKIP_1) | instid1(VALU_DEP_2)
	v_cndmask_b32_e32 v10, 0, v10, vcc_lo
	v_cmp_nlt_f32_e32 vcc_lo, 0x42b17218, v7
	v_cndmask_b32_e32 v7, 0x7f800000, v10, vcc_lo
	s_delay_alu instid0(VALU_DEP_1) | instskip(SKIP_1) | instid1(VALU_DEP_1)
	v_mul_f32_e32 v3, v7, v3
	v_add_f32_e32 v7, 1.0, v7
	v_div_scale_f32 v10, null, v7, v7, v3
	s_delay_alu instid0(VALU_DEP_1) | instskip(SKIP_1) | instid1(TRANS32_DEP_1)
	v_rcp_f32_e32 v11, v10
	v_nop
	v_fma_f32 v12, -v10, v11, 1.0
	s_delay_alu instid0(VALU_DEP_1) | instskip(SKIP_1) | instid1(VALU_DEP_1)
	v_fmac_f32_e32 v11, v12, v11
	v_div_scale_f32 v12, vcc_lo, v3, v7, v3
	v_mul_f32_e32 v13, v12, v11
	s_delay_alu instid0(VALU_DEP_1) | instskip(NEXT) | instid1(VALU_DEP_1)
	v_fma_f32 v14, -v10, v13, v12
	v_fmac_f32_e32 v13, v14, v11
	s_delay_alu instid0(VALU_DEP_1) | instskip(NEXT) | instid1(VALU_DEP_1)
	v_fma_f32 v10, -v10, v13, v12
	v_div_fmas_f32 v10, v10, v11, v13
	s_delay_alu instid0(VALU_DEP_1)
	v_div_fixup_f32 v3, v10, v7, v3
.LBB87_9:
	s_or_b32 exec_lo, exec_lo, s3
	v_lshlrev_b32_e32 v7, 16, v8
	s_mov_b32 s3, exec_lo
	s_delay_alu instid0(VALU_DEP_1) | instskip(NEXT) | instid1(VALU_DEP_1)
	v_dual_mul_f32 v10, s9, v7 :: v_dual_lshlrev_b32 v7, 16, v4
	v_cmpx_nlt_f32_e32 s10, v10
	s_cbranch_execz .LBB87_11
; %bb.10:
	v_mul_f32_e32 v11, 0x3fb8aa3b, v10
	v_cmp_ngt_f32_e32 vcc_lo, 0xc2ce8ed0, v10
	s_delay_alu instid0(VALU_DEP_2) | instskip(SKIP_1) | instid1(VALU_DEP_2)
	v_rndne_f32_e32 v12, v11
	v_fma_f32 v13, 0x3fb8aa3b, v10, -v11
	v_sub_f32_e32 v11, v11, v12
	s_delay_alu instid0(VALU_DEP_2) | instskip(SKIP_1) | instid1(VALU_DEP_2)
	v_fmamk_f32 v13, v10, 0x32a5705f, v13
	v_cvt_i32_f32_e32 v12, v12
	v_add_f32_e32 v11, v11, v13
	s_delay_alu instid0(VALU_DEP_1) | instskip(SKIP_1) | instid1(TRANS32_DEP_1)
	v_exp_f32_e32 v11, v11
	v_nop
	v_ldexp_f32 v11, v11, v12
	s_delay_alu instid0(VALU_DEP_1) | instskip(SKIP_1) | instid1(VALU_DEP_2)
	v_cndmask_b32_e32 v11, 0, v11, vcc_lo
	v_cmp_nlt_f32_e32 vcc_lo, 0x42b17218, v10
	v_cndmask_b32_e32 v10, 0x7f800000, v11, vcc_lo
	s_delay_alu instid0(VALU_DEP_1) | instskip(NEXT) | instid1(VALU_DEP_1)
	v_dual_mul_f32 v7, v10, v7 :: v_dual_add_f32 v10, 1.0, v10
	v_div_scale_f32 v11, null, v10, v10, v7
	s_delay_alu instid0(VALU_DEP_1) | instskip(SKIP_1) | instid1(TRANS32_DEP_1)
	v_rcp_f32_e32 v12, v11
	v_nop
	v_fma_f32 v13, -v11, v12, 1.0
	s_delay_alu instid0(VALU_DEP_1) | instskip(SKIP_1) | instid1(VALU_DEP_1)
	v_fmac_f32_e32 v12, v13, v12
	v_div_scale_f32 v13, vcc_lo, v7, v10, v7
	v_mul_f32_e32 v14, v13, v12
	s_delay_alu instid0(VALU_DEP_1) | instskip(NEXT) | instid1(VALU_DEP_1)
	v_fma_f32 v15, -v11, v14, v13
	v_fmac_f32_e32 v14, v15, v12
	s_delay_alu instid0(VALU_DEP_1) | instskip(NEXT) | instid1(VALU_DEP_1)
	v_fma_f32 v11, -v11, v14, v13
	v_div_fmas_f32 v11, v11, v12, v14
	s_delay_alu instid0(VALU_DEP_1)
	v_div_fixup_f32 v7, v11, v10, v7
.LBB87_11:
	s_or_b32 exec_lo, exec_lo, s3
	v_and_b32_e32 v8, 0xffff0000, v8
	v_and_b32_e32 v4, 0xffff0000, v4
	s_mov_b32 s3, exec_lo
	s_delay_alu instid0(VALU_DEP_2) | instskip(NEXT) | instid1(VALU_DEP_1)
	v_mul_f32_e32 v8, s9, v8
	v_cmpx_nlt_f32_e32 s10, v8
	s_cbranch_execz .LBB87_13
; %bb.12:
	v_mul_f32_e32 v10, 0x3fb8aa3b, v8
	v_cmp_ngt_f32_e32 vcc_lo, 0xc2ce8ed0, v8
	s_delay_alu instid0(VALU_DEP_2) | instskip(SKIP_1) | instid1(VALU_DEP_2)
	v_rndne_f32_e32 v11, v10
	v_fma_f32 v12, 0x3fb8aa3b, v8, -v10
	v_sub_f32_e32 v10, v10, v11
	s_delay_alu instid0(VALU_DEP_2) | instskip(SKIP_1) | instid1(VALU_DEP_2)
	v_fmamk_f32 v12, v8, 0x32a5705f, v12
	v_cvt_i32_f32_e32 v11, v11
	v_add_f32_e32 v10, v10, v12
	s_delay_alu instid0(VALU_DEP_1) | instskip(SKIP_1) | instid1(TRANS32_DEP_1)
	v_exp_f32_e32 v10, v10
	v_nop
	v_ldexp_f32 v10, v10, v11
	s_delay_alu instid0(VALU_DEP_1) | instskip(SKIP_1) | instid1(VALU_DEP_2)
	v_cndmask_b32_e32 v10, 0, v10, vcc_lo
	v_cmp_nlt_f32_e32 vcc_lo, 0x42b17218, v8
	v_cndmask_b32_e32 v8, 0x7f800000, v10, vcc_lo
	s_delay_alu instid0(VALU_DEP_1) | instskip(SKIP_1) | instid1(VALU_DEP_1)
	v_mul_f32_e32 v4, v8, v4
	v_add_f32_e32 v8, 1.0, v8
	v_div_scale_f32 v10, null, v8, v8, v4
	s_delay_alu instid0(VALU_DEP_1) | instskip(SKIP_1) | instid1(TRANS32_DEP_1)
	v_rcp_f32_e32 v11, v10
	v_nop
	v_fma_f32 v12, -v10, v11, 1.0
	s_delay_alu instid0(VALU_DEP_1) | instskip(SKIP_1) | instid1(VALU_DEP_1)
	v_fmac_f32_e32 v11, v12, v11
	v_div_scale_f32 v12, vcc_lo, v4, v8, v4
	v_mul_f32_e32 v13, v12, v11
	s_delay_alu instid0(VALU_DEP_1) | instskip(NEXT) | instid1(VALU_DEP_1)
	v_fma_f32 v14, -v10, v13, v12
	v_fmac_f32_e32 v13, v14, v11
	s_delay_alu instid0(VALU_DEP_1) | instskip(NEXT) | instid1(VALU_DEP_1)
	v_fma_f32 v10, -v10, v13, v12
	v_div_fmas_f32 v10, v10, v11, v13
	s_delay_alu instid0(VALU_DEP_1)
	v_div_fixup_f32 v4, v10, v8, v4
.LBB87_13:
	s_or_b32 exec_lo, exec_lo, s3
	v_lshlrev_b32_e32 v8, 16, v9
	s_mov_b32 s3, exec_lo
	s_delay_alu instid0(VALU_DEP_1) | instskip(NEXT) | instid1(VALU_DEP_1)
	v_dual_mul_f32 v10, s9, v8 :: v_dual_lshlrev_b32 v8, 16, v5
	v_cmpx_nlt_f32_e32 s10, v10
	s_cbranch_execz .LBB87_15
; %bb.14:
	v_mul_f32_e32 v11, 0x3fb8aa3b, v10
	v_cmp_ngt_f32_e32 vcc_lo, 0xc2ce8ed0, v10
	s_delay_alu instid0(VALU_DEP_2) | instskip(SKIP_1) | instid1(VALU_DEP_2)
	v_rndne_f32_e32 v12, v11
	v_fma_f32 v13, 0x3fb8aa3b, v10, -v11
	v_sub_f32_e32 v11, v11, v12
	s_delay_alu instid0(VALU_DEP_2) | instskip(SKIP_1) | instid1(VALU_DEP_2)
	v_fmamk_f32 v13, v10, 0x32a5705f, v13
	v_cvt_i32_f32_e32 v12, v12
	v_add_f32_e32 v11, v11, v13
	s_delay_alu instid0(VALU_DEP_1) | instskip(SKIP_1) | instid1(TRANS32_DEP_1)
	v_exp_f32_e32 v11, v11
	v_nop
	v_ldexp_f32 v11, v11, v12
	s_delay_alu instid0(VALU_DEP_1) | instskip(SKIP_1) | instid1(VALU_DEP_2)
	v_cndmask_b32_e32 v11, 0, v11, vcc_lo
	v_cmp_nlt_f32_e32 vcc_lo, 0x42b17218, v10
	v_cndmask_b32_e32 v10, 0x7f800000, v11, vcc_lo
	s_delay_alu instid0(VALU_DEP_1) | instskip(NEXT) | instid1(VALU_DEP_1)
	v_dual_mul_f32 v8, v10, v8 :: v_dual_add_f32 v10, 1.0, v10
	v_div_scale_f32 v11, null, v10, v10, v8
	s_delay_alu instid0(VALU_DEP_1) | instskip(SKIP_1) | instid1(TRANS32_DEP_1)
	v_rcp_f32_e32 v12, v11
	v_nop
	v_fma_f32 v13, -v11, v12, 1.0
	s_delay_alu instid0(VALU_DEP_1) | instskip(SKIP_1) | instid1(VALU_DEP_1)
	v_fmac_f32_e32 v12, v13, v12
	v_div_scale_f32 v13, vcc_lo, v8, v10, v8
	v_mul_f32_e32 v14, v13, v12
	s_delay_alu instid0(VALU_DEP_1) | instskip(NEXT) | instid1(VALU_DEP_1)
	v_fma_f32 v15, -v11, v14, v13
	v_fmac_f32_e32 v14, v15, v12
	s_delay_alu instid0(VALU_DEP_1) | instskip(NEXT) | instid1(VALU_DEP_1)
	v_fma_f32 v11, -v11, v14, v13
	v_div_fmas_f32 v11, v11, v12, v14
	s_delay_alu instid0(VALU_DEP_1)
	v_div_fixup_f32 v8, v11, v10, v8
.LBB87_15:
	s_or_b32 exec_lo, exec_lo, s3
	v_and_b32_e32 v9, 0xffff0000, v9
	v_and_b32_e32 v5, 0xffff0000, v5
	s_mov_b32 s3, exec_lo
	s_delay_alu instid0(VALU_DEP_2) | instskip(NEXT) | instid1(VALU_DEP_1)
	v_mul_f32_e32 v9, s9, v9
	v_cmpx_nlt_f32_e32 s10, v9
	s_cbranch_execz .LBB87_17
; %bb.16:
	v_mul_f32_e32 v10, 0x3fb8aa3b, v9
	v_cmp_ngt_f32_e32 vcc_lo, 0xc2ce8ed0, v9
	s_delay_alu instid0(VALU_DEP_2) | instskip(SKIP_1) | instid1(VALU_DEP_2)
	v_rndne_f32_e32 v11, v10
	v_fma_f32 v12, 0x3fb8aa3b, v9, -v10
	v_sub_f32_e32 v10, v10, v11
	s_delay_alu instid0(VALU_DEP_2) | instskip(SKIP_1) | instid1(VALU_DEP_2)
	v_fmamk_f32 v12, v9, 0x32a5705f, v12
	v_cvt_i32_f32_e32 v11, v11
	v_add_f32_e32 v10, v10, v12
	s_delay_alu instid0(VALU_DEP_1) | instskip(SKIP_1) | instid1(TRANS32_DEP_1)
	v_exp_f32_e32 v10, v10
	v_nop
	v_ldexp_f32 v10, v10, v11
	s_delay_alu instid0(VALU_DEP_1) | instskip(SKIP_1) | instid1(VALU_DEP_2)
	v_cndmask_b32_e32 v10, 0, v10, vcc_lo
	v_cmp_nlt_f32_e32 vcc_lo, 0x42b17218, v9
	v_cndmask_b32_e32 v9, 0x7f800000, v10, vcc_lo
	s_delay_alu instid0(VALU_DEP_1) | instskip(SKIP_1) | instid1(VALU_DEP_1)
	v_mul_f32_e32 v5, v9, v5
	v_add_f32_e32 v9, 1.0, v9
	v_div_scale_f32 v10, null, v9, v9, v5
	s_delay_alu instid0(VALU_DEP_1) | instskip(SKIP_1) | instid1(TRANS32_DEP_1)
	v_rcp_f32_e32 v11, v10
	v_nop
	v_fma_f32 v12, -v10, v11, 1.0
	s_delay_alu instid0(VALU_DEP_1) | instskip(SKIP_1) | instid1(VALU_DEP_1)
	v_fmac_f32_e32 v11, v12, v11
	v_div_scale_f32 v12, vcc_lo, v5, v9, v5
	v_mul_f32_e32 v13, v12, v11
	s_delay_alu instid0(VALU_DEP_1) | instskip(NEXT) | instid1(VALU_DEP_1)
	v_fma_f32 v14, -v10, v13, v12
	v_fmac_f32_e32 v13, v14, v11
	s_delay_alu instid0(VALU_DEP_1) | instskip(NEXT) | instid1(VALU_DEP_1)
	v_fma_f32 v10, -v10, v13, v12
	v_div_fmas_f32 v10, v10, v11, v13
	s_delay_alu instid0(VALU_DEP_1)
	v_div_fixup_f32 v5, v10, v9, v5
.LBB87_17:
	s_or_b32 exec_lo, exec_lo, s3
	v_bfe_u32 v9, v1, 16, 1
	v_bfe_u32 v10, v2, 16, 1
	v_bfe_u32 v11, v6, 16, 1
	v_bfe_u32 v12, v3, 16, 1
	v_cmp_o_f32_e32 vcc_lo, v1, v1
	v_add3_u32 v9, v1, v9, 0x7fff
	v_add3_u32 v10, v2, v10, 0x7fff
	;; [unrolled: 1-line block ×3, first 2 shown]
	v_bfe_u32 v13, v7, 16, 1
	v_add3_u32 v12, v3, v12, 0x7fff
	s_delay_alu instid0(VALU_DEP_4) | instskip(NEXT) | instid1(VALU_DEP_4)
	v_dual_lshrrev_b32 v9, 16, v9 :: v_dual_lshrrev_b32 v10, 16, v10
	v_lshrrev_b32_e32 v11, 16, v11
	v_bfe_u32 v14, v5, 16, 1
	s_delay_alu instid0(VALU_DEP_3)
	v_dual_cndmask_b32 v1, 0x7fc0, v9 :: v_dual_lshrrev_b32 v12, 16, v12
	v_bfe_u32 v9, v4, 16, 1
	v_cmp_o_f32_e32 vcc_lo, v6, v6
	v_bfe_u32 v15, v8, 16, 1
	v_add3_u32 v13, v7, v13, 0x7fff
	s_add_nc_u64 s[14:15], s[4:5], s[0:1]
	v_add3_u32 v9, v4, v9, 0x7fff
	v_cndmask_b32_e32 v6, 0x7fc0, v11, vcc_lo
	v_cmp_o_f32_e32 vcc_lo, v3, v3
	v_add3_u32 v11, v5, v14, 0x7fff
	v_add3_u32 v14, v8, v15, 0x7fff
	v_lshrrev_b32_e32 v9, 16, v9
	s_mov_b32 s0, 0
	v_dual_cndmask_b32 v3, 0x7fc0, v12 :: v_dual_lshrrev_b32 v12, 16, v13
	v_cmp_o_f32_e32 vcc_lo, v7, v7
	v_dual_lshrrev_b32 v13, 16, v14 :: v_dual_lshrrev_b32 v11, 16, v11
	s_delay_alu instid0(VALU_DEP_3) | instskip(NEXT) | instid1(VALU_DEP_4)
	v_perm_b32 v3, v3, v6, 0x5040100
	v_cndmask_b32_e32 v7, 0x7fc0, v12, vcc_lo
	v_cmp_o_f32_e32 vcc_lo, v8, v8
	s_delay_alu instid0(VALU_DEP_4) | instskip(SKIP_3) | instid1(VALU_DEP_2)
	v_cndmask_b32_e32 v8, 0x7fc0, v13, vcc_lo
	v_cmp_o_f32_e32 vcc_lo, v5, v5
	v_cndmask_b32_e32 v5, 0x7fc0, v11, vcc_lo
	v_cmp_o_f32_e32 vcc_lo, v4, v4
	v_perm_b32 v5, v5, v8, 0x5040100
	v_cndmask_b32_e32 v4, 0x7fc0, v9, vcc_lo
	v_cmp_o_f32_e32 vcc_lo, v2, v2
	s_delay_alu instid0(VALU_DEP_2) | instskip(SKIP_1) | instid1(VALU_DEP_1)
	v_perm_b32 v4, v4, v7, 0x5040100
	v_cndmask_b32_e32 v2, 0x7fc0, v10, vcc_lo
	v_perm_b32 v2, v2, v1, 0x5040100
	global_store_b128 v0, v[2:5], s[14:15] scale_offset
.LBB87_18:
	s_and_b32 vcc_lo, exec_lo, s0
	s_cbranch_vccz .LBB87_75
; %bb.19:
	v_cmp_gt_i32_e64 s0, s8, v0
	v_dual_mov_b32 v12, 0 :: v_dual_bitop2_b32 v1, s2, v0 bitop3:0x54
	s_wait_xcnt 0x0
	v_or_b32_e32 v2, 0x100, v0
	v_dual_mov_b32 v5, v0 :: v_dual_mov_b32 v19, 0
	v_mov_b32_e32 v10, 0
	s_and_saveexec_b32 s1, s0
	s_cbranch_execz .LBB87_21
; %bb.20:
	s_clause 0x1
	global_load_u16 v3, v1, s[12:13] scale_offset
	global_load_u16 v4, v1, s[6:7] scale_offset
	v_or_b32_e32 v5, 0x100, v0
	s_wait_loadcnt 0x0
	v_dual_lshlrev_b32 v19, 16, v3 :: v_dual_lshlrev_b32 v10, 16, v4
.LBB87_21:
	s_wait_xcnt 0x0
	s_or_b32 exec_lo, exec_lo, s1
	v_mov_b32_e32 v18, 0
	s_mov_b32 s1, exec_lo
	v_cmpx_gt_i32_e64 s8, v5
	s_cbranch_execz .LBB87_23
; %bb.22:
	v_add_nc_u32_e32 v3, s2, v5
	v_add_nc_u32_e32 v5, 0x100, v5
	s_clause 0x1
	global_load_u16 v4, v3, s[12:13] scale_offset
	global_load_u16 v6, v3, s[6:7] scale_offset
	s_wait_loadcnt 0x0
	v_dual_lshlrev_b32 v12, 16, v4 :: v_dual_lshlrev_b32 v18, 16, v6
.LBB87_23:
	s_wait_xcnt 0x0
	s_or_b32 exec_lo, exec_lo, s1
	v_dual_mov_b32 v15, 0 :: v_dual_mov_b32 v17, 0
	v_mov_b32_e32 v16, 0
	s_mov_b32 s1, exec_lo
	v_cmpx_gt_i32_e64 s8, v5
	s_cbranch_execz .LBB87_25
; %bb.24:
	v_add_nc_u32_e32 v3, s2, v5
	v_add_nc_u32_e32 v5, 0x100, v5
	s_clause 0x1
	global_load_u16 v4, v3, s[12:13] scale_offset
	global_load_u16 v6, v3, s[6:7] scale_offset
	s_wait_loadcnt 0x0
	v_dual_lshlrev_b32 v17, 16, v4 :: v_dual_lshlrev_b32 v16, 16, v6
.LBB87_25:
	s_wait_xcnt 0x0
	s_or_b32 exec_lo, exec_lo, s1
	v_mov_b32_e32 v14, 0
	s_mov_b32 s1, exec_lo
	v_cmpx_gt_i32_e64 s8, v5
	s_cbranch_execz .LBB87_27
; %bb.26:
	v_add_nc_u32_e32 v3, s2, v5
	v_add_nc_u32_e32 v5, 0x100, v5
	s_clause 0x1
	global_load_u16 v4, v3, s[12:13] scale_offset
	global_load_u16 v6, v3, s[6:7] scale_offset
	s_wait_loadcnt 0x0
	v_dual_lshlrev_b32 v15, 16, v4 :: v_dual_lshlrev_b32 v14, 16, v6
.LBB87_27:
	s_wait_xcnt 0x0
	s_or_b32 exec_lo, exec_lo, s1
	v_dual_mov_b32 v9, 0 :: v_dual_mov_b32 v13, 0
	v_mov_b32_e32 v11, 0
	s_mov_b32 s1, exec_lo
	v_cmpx_gt_i32_e64 s8, v5
	s_cbranch_execz .LBB87_29
; %bb.28:
	v_add_nc_u32_e32 v3, s2, v5
	v_add_nc_u32_e32 v5, 0x100, v5
	s_clause 0x1
	global_load_u16 v4, v3, s[12:13] scale_offset
	global_load_u16 v6, v3, s[6:7] scale_offset
	s_wait_loadcnt 0x0
	v_dual_lshlrev_b32 v13, 16, v4 :: v_dual_lshlrev_b32 v11, 16, v6
.LBB87_29:
	;; [unrolled: 31-line block ×3, first 2 shown]
	s_wait_xcnt 0x0
	s_or_b32 exec_lo, exec_lo, s1
	v_mov_b32_e32 v3, 0
	s_mov_b32 s1, exec_lo
	v_cmpx_gt_i32_e64 s8, v5
	s_cbranch_execz .LBB87_35
; %bb.34:
	v_add_nc_u32_e32 v3, s2, v5
	s_clause 0x1
	global_load_u16 v4, v3, s[12:13] scale_offset
	global_load_u16 v5, v3, s[6:7] scale_offset
	s_wait_loadcnt 0x0
	v_dual_lshlrev_b32 v4, 16, v4 :: v_dual_lshlrev_b32 v3, 16, v5
	s_or_b32 exec_lo, exec_lo, s1
                                        ; implicit-def: $vgpr5
	s_and_saveexec_b32 s1, s0
	s_cbranch_execz .LBB87_39
	s_branch .LBB87_36
.LBB87_35:
	s_or_b32 exec_lo, exec_lo, s1
                                        ; implicit-def: $vgpr5
	s_and_saveexec_b32 s1, s0
	s_cbranch_execz .LBB87_39
.LBB87_36:
	v_mul_f32_e32 v5, s9, v19
	s_mov_b32 s3, exec_lo
	s_delay_alu instid0(VALU_DEP_1)
	v_cmpx_nlt_f32_e32 s10, v5
	s_cbranch_execz .LBB87_38
; %bb.37:
	v_mul_f32_e32 v19, 0x3fb8aa3b, v5
	v_cmp_ngt_f32_e32 vcc_lo, 0xc2ce8ed0, v5
	s_delay_alu instid0(VALU_DEP_2) | instskip(SKIP_1) | instid1(VALU_DEP_2)
	v_rndne_f32_e32 v20, v19
	v_fma_f32 v21, 0x3fb8aa3b, v5, -v19
	v_sub_f32_e32 v19, v19, v20
	s_delay_alu instid0(VALU_DEP_2) | instskip(SKIP_1) | instid1(VALU_DEP_2)
	v_fmamk_f32 v21, v5, 0x32a5705f, v21
	v_cvt_i32_f32_e32 v20, v20
	v_add_f32_e32 v19, v19, v21
	s_delay_alu instid0(VALU_DEP_1) | instskip(SKIP_1) | instid1(TRANS32_DEP_1)
	v_exp_f32_e32 v19, v19
	v_nop
	v_ldexp_f32 v19, v19, v20
	s_delay_alu instid0(VALU_DEP_1) | instskip(SKIP_1) | instid1(VALU_DEP_2)
	v_cndmask_b32_e32 v19, 0, v19, vcc_lo
	v_cmp_nlt_f32_e32 vcc_lo, 0x42b17218, v5
	v_cndmask_b32_e32 v5, 0x7f800000, v19, vcc_lo
	s_delay_alu instid0(VALU_DEP_1) | instskip(NEXT) | instid1(VALU_DEP_1)
	v_dual_mul_f32 v10, v10, v5 :: v_dual_add_f32 v5, 1.0, v5
	v_div_scale_f32 v19, null, v5, v5, v10
	s_delay_alu instid0(VALU_DEP_1) | instskip(SKIP_1) | instid1(TRANS32_DEP_1)
	v_rcp_f32_e32 v20, v19
	v_nop
	v_fma_f32 v21, -v19, v20, 1.0
	s_delay_alu instid0(VALU_DEP_1) | instskip(SKIP_1) | instid1(VALU_DEP_1)
	v_fmac_f32_e32 v20, v21, v20
	v_div_scale_f32 v21, vcc_lo, v10, v5, v10
	v_mul_f32_e32 v22, v21, v20
	s_delay_alu instid0(VALU_DEP_1) | instskip(NEXT) | instid1(VALU_DEP_1)
	v_fma_f32 v23, -v19, v22, v21
	v_fmac_f32_e32 v22, v23, v20
	s_delay_alu instid0(VALU_DEP_1) | instskip(NEXT) | instid1(VALU_DEP_1)
	v_fma_f32 v19, -v19, v22, v21
	v_div_fmas_f32 v19, v19, v20, v22
	s_delay_alu instid0(VALU_DEP_1)
	v_div_fixup_f32 v10, v19, v5, v10
.LBB87_38:
	s_or_b32 exec_lo, exec_lo, s3
	s_delay_alu instid0(VALU_DEP_1) | instskip(SKIP_1) | instid1(VALU_DEP_2)
	v_bfe_u32 v5, v10, 16, 1
	v_cmp_o_f32_e32 vcc_lo, v10, v10
	v_add3_u32 v5, v10, v5, 0x7fff
	s_delay_alu instid0(VALU_DEP_1) | instskip(NEXT) | instid1(VALU_DEP_1)
	v_lshrrev_b32_e32 v5, 16, v5
	v_cndmask_b32_e32 v5, 0x7fc0, v5, vcc_lo
.LBB87_39:
	s_or_b32 exec_lo, exec_lo, s1
	s_delay_alu instid0(SALU_CYCLE_1)
	s_mov_b32 s1, exec_lo
                                        ; implicit-def: $vgpr10
	v_cmpx_gt_i32_e64 s8, v2
	s_cbranch_execz .LBB87_43
; %bb.40:
	v_mul_f32_e32 v10, s9, v12
	s_mov_b32 s3, exec_lo
	s_delay_alu instid0(VALU_DEP_1)
	v_cmpx_nlt_f32_e32 s10, v10
	s_cbranch_execz .LBB87_42
; %bb.41:
	v_mul_f32_e32 v12, 0x3fb8aa3b, v10
	v_cmp_ngt_f32_e32 vcc_lo, 0xc2ce8ed0, v10
	s_delay_alu instid0(VALU_DEP_2) | instskip(SKIP_1) | instid1(VALU_DEP_2)
	v_rndne_f32_e32 v19, v12
	v_fma_f32 v20, 0x3fb8aa3b, v10, -v12
	v_sub_f32_e32 v12, v12, v19
	s_delay_alu instid0(VALU_DEP_2) | instskip(SKIP_1) | instid1(VALU_DEP_2)
	v_fmamk_f32 v20, v10, 0x32a5705f, v20
	v_cvt_i32_f32_e32 v19, v19
	v_add_f32_e32 v12, v12, v20
	s_delay_alu instid0(VALU_DEP_1) | instskip(SKIP_1) | instid1(TRANS32_DEP_1)
	v_exp_f32_e32 v12, v12
	v_nop
	v_ldexp_f32 v12, v12, v19
	s_delay_alu instid0(VALU_DEP_1) | instskip(SKIP_1) | instid1(VALU_DEP_2)
	v_cndmask_b32_e32 v12, 0, v12, vcc_lo
	v_cmp_nlt_f32_e32 vcc_lo, 0x42b17218, v10
	v_cndmask_b32_e32 v10, 0x7f800000, v12, vcc_lo
	s_delay_alu instid0(VALU_DEP_1) | instskip(NEXT) | instid1(VALU_DEP_1)
	v_dual_mul_f32 v12, v18, v10 :: v_dual_add_f32 v10, 1.0, v10
	v_div_scale_f32 v18, null, v10, v10, v12
	s_delay_alu instid0(VALU_DEP_1) | instskip(SKIP_1) | instid1(TRANS32_DEP_1)
	v_rcp_f32_e32 v19, v18
	v_nop
	v_fma_f32 v20, -v18, v19, 1.0
	s_delay_alu instid0(VALU_DEP_1) | instskip(SKIP_1) | instid1(VALU_DEP_1)
	v_fmac_f32_e32 v19, v20, v19
	v_div_scale_f32 v20, vcc_lo, v12, v10, v12
	v_mul_f32_e32 v21, v20, v19
	s_delay_alu instid0(VALU_DEP_1) | instskip(NEXT) | instid1(VALU_DEP_1)
	v_fma_f32 v22, -v18, v21, v20
	v_fmac_f32_e32 v21, v22, v19
	s_delay_alu instid0(VALU_DEP_1) | instskip(NEXT) | instid1(VALU_DEP_1)
	v_fma_f32 v18, -v18, v21, v20
	v_div_fmas_f32 v18, v18, v19, v21
	s_delay_alu instid0(VALU_DEP_1)
	v_div_fixup_f32 v18, v18, v10, v12
.LBB87_42:
	s_or_b32 exec_lo, exec_lo, s3
	s_delay_alu instid0(VALU_DEP_1) | instskip(SKIP_1) | instid1(VALU_DEP_2)
	v_bfe_u32 v10, v18, 16, 1
	v_cmp_o_f32_e32 vcc_lo, v18, v18
	v_add3_u32 v10, v18, v10, 0x7fff
	s_delay_alu instid0(VALU_DEP_1) | instskip(NEXT) | instid1(VALU_DEP_1)
	v_lshrrev_b32_e32 v10, 16, v10
	v_cndmask_b32_e32 v10, 0x7fc0, v10, vcc_lo
.LBB87_43:
	s_or_b32 exec_lo, exec_lo, s1
	v_or_b32_e32 v12, 0x200, v0
	s_delay_alu instid0(VALU_DEP_1)
	v_cmp_gt_i32_e32 vcc_lo, s8, v12
                                        ; implicit-def: $vgpr12
	s_and_saveexec_b32 s1, vcc_lo
	s_cbranch_execz .LBB87_47
; %bb.44:
	v_mul_f32_e32 v12, s9, v17
	s_mov_b32 s3, exec_lo
	s_delay_alu instid0(VALU_DEP_1)
	v_cmpx_nlt_f32_e32 s10, v12
	s_cbranch_execz .LBB87_46
; %bb.45:
	v_mul_f32_e32 v17, 0x3fb8aa3b, v12
	v_cmp_ngt_f32_e32 vcc_lo, 0xc2ce8ed0, v12
	s_delay_alu instid0(VALU_DEP_2) | instskip(SKIP_1) | instid1(VALU_DEP_2)
	v_rndne_f32_e32 v18, v17
	v_fma_f32 v19, 0x3fb8aa3b, v12, -v17
	v_sub_f32_e32 v17, v17, v18
	s_delay_alu instid0(VALU_DEP_2) | instskip(SKIP_1) | instid1(VALU_DEP_2)
	v_fmamk_f32 v19, v12, 0x32a5705f, v19
	v_cvt_i32_f32_e32 v18, v18
	v_add_f32_e32 v17, v17, v19
	s_delay_alu instid0(VALU_DEP_1) | instskip(SKIP_1) | instid1(TRANS32_DEP_1)
	v_exp_f32_e32 v17, v17
	v_nop
	v_ldexp_f32 v17, v17, v18
	s_delay_alu instid0(VALU_DEP_1) | instskip(SKIP_1) | instid1(VALU_DEP_2)
	v_cndmask_b32_e32 v17, 0, v17, vcc_lo
	v_cmp_nlt_f32_e32 vcc_lo, 0x42b17218, v12
	v_cndmask_b32_e32 v12, 0x7f800000, v17, vcc_lo
	s_delay_alu instid0(VALU_DEP_1) | instskip(NEXT) | instid1(VALU_DEP_1)
	v_dual_mul_f32 v16, v16, v12 :: v_dual_add_f32 v12, 1.0, v12
	v_div_scale_f32 v17, null, v12, v12, v16
	s_delay_alu instid0(VALU_DEP_1) | instskip(SKIP_1) | instid1(TRANS32_DEP_1)
	v_rcp_f32_e32 v18, v17
	v_nop
	v_fma_f32 v19, -v17, v18, 1.0
	s_delay_alu instid0(VALU_DEP_1) | instskip(SKIP_1) | instid1(VALU_DEP_1)
	v_fmac_f32_e32 v18, v19, v18
	v_div_scale_f32 v19, vcc_lo, v16, v12, v16
	v_mul_f32_e32 v20, v19, v18
	s_delay_alu instid0(VALU_DEP_1) | instskip(NEXT) | instid1(VALU_DEP_1)
	v_fma_f32 v21, -v17, v20, v19
	v_fmac_f32_e32 v20, v21, v18
	s_delay_alu instid0(VALU_DEP_1) | instskip(NEXT) | instid1(VALU_DEP_1)
	v_fma_f32 v17, -v17, v20, v19
	v_div_fmas_f32 v17, v17, v18, v20
	s_delay_alu instid0(VALU_DEP_1)
	v_div_fixup_f32 v16, v17, v12, v16
.LBB87_46:
	s_or_b32 exec_lo, exec_lo, s3
	s_delay_alu instid0(VALU_DEP_1) | instskip(SKIP_1) | instid1(VALU_DEP_2)
	v_bfe_u32 v12, v16, 16, 1
	v_cmp_o_f32_e32 vcc_lo, v16, v16
	v_add3_u32 v12, v16, v12, 0x7fff
	s_delay_alu instid0(VALU_DEP_1) | instskip(NEXT) | instid1(VALU_DEP_1)
	v_lshrrev_b32_e32 v12, 16, v12
	v_cndmask_b32_e32 v12, 0x7fc0, v12, vcc_lo
.LBB87_47:
	s_or_b32 exec_lo, exec_lo, s1
	v_or_b32_e32 v16, 0x300, v0
	s_delay_alu instid0(VALU_DEP_1)
	v_cmp_gt_i32_e32 vcc_lo, s8, v16
                                        ; implicit-def: $vgpr16
	s_and_saveexec_b32 s1, vcc_lo
	s_cbranch_execz .LBB87_51
; %bb.48:
	v_mul_f32_e32 v15, s9, v15
	s_mov_b32 s3, exec_lo
	s_delay_alu instid0(VALU_DEP_1)
	v_cmpx_nlt_f32_e32 s10, v15
	s_cbranch_execz .LBB87_50
; %bb.49:
	v_mul_f32_e32 v16, 0x3fb8aa3b, v15
	v_cmp_ngt_f32_e32 vcc_lo, 0xc2ce8ed0, v15
	s_delay_alu instid0(VALU_DEP_2) | instskip(SKIP_1) | instid1(VALU_DEP_2)
	v_rndne_f32_e32 v17, v16
	v_fma_f32 v18, 0x3fb8aa3b, v15, -v16
	v_sub_f32_e32 v16, v16, v17
	s_delay_alu instid0(VALU_DEP_2) | instskip(SKIP_1) | instid1(VALU_DEP_2)
	v_fmamk_f32 v18, v15, 0x32a5705f, v18
	v_cvt_i32_f32_e32 v17, v17
	v_add_f32_e32 v16, v16, v18
	s_delay_alu instid0(VALU_DEP_1) | instskip(SKIP_1) | instid1(TRANS32_DEP_1)
	v_exp_f32_e32 v16, v16
	v_nop
	v_ldexp_f32 v16, v16, v17
	s_delay_alu instid0(VALU_DEP_1) | instskip(SKIP_1) | instid1(VALU_DEP_2)
	v_cndmask_b32_e32 v16, 0, v16, vcc_lo
	v_cmp_nlt_f32_e32 vcc_lo, 0x42b17218, v15
	v_cndmask_b32_e32 v15, 0x7f800000, v16, vcc_lo
	s_delay_alu instid0(VALU_DEP_1) | instskip(NEXT) | instid1(VALU_DEP_1)
	v_dual_mul_f32 v14, v14, v15 :: v_dual_add_f32 v15, 1.0, v15
	v_div_scale_f32 v16, null, v15, v15, v14
	s_delay_alu instid0(VALU_DEP_1) | instskip(SKIP_1) | instid1(TRANS32_DEP_1)
	v_rcp_f32_e32 v17, v16
	v_nop
	v_fma_f32 v18, -v16, v17, 1.0
	s_delay_alu instid0(VALU_DEP_1) | instskip(SKIP_1) | instid1(VALU_DEP_1)
	v_fmac_f32_e32 v17, v18, v17
	v_div_scale_f32 v18, vcc_lo, v14, v15, v14
	v_mul_f32_e32 v19, v18, v17
	s_delay_alu instid0(VALU_DEP_1) | instskip(NEXT) | instid1(VALU_DEP_1)
	v_fma_f32 v20, -v16, v19, v18
	v_fmac_f32_e32 v19, v20, v17
	s_delay_alu instid0(VALU_DEP_1) | instskip(NEXT) | instid1(VALU_DEP_1)
	v_fma_f32 v16, -v16, v19, v18
	v_div_fmas_f32 v16, v16, v17, v19
	s_delay_alu instid0(VALU_DEP_1)
	v_div_fixup_f32 v14, v16, v15, v14
.LBB87_50:
	s_or_b32 exec_lo, exec_lo, s3
	s_delay_alu instid0(VALU_DEP_1) | instskip(SKIP_1) | instid1(VALU_DEP_2)
	v_bfe_u32 v15, v14, 16, 1
	v_cmp_o_f32_e32 vcc_lo, v14, v14
	v_add3_u32 v15, v14, v15, 0x7fff
	s_delay_alu instid0(VALU_DEP_1) | instskip(NEXT) | instid1(VALU_DEP_1)
	v_lshrrev_b32_e32 v15, 16, v15
	v_cndmask_b32_e32 v16, 0x7fc0, v15, vcc_lo
.LBB87_51:
	s_or_b32 exec_lo, exec_lo, s1
	v_or_b32_e32 v14, 0x400, v0
	s_delay_alu instid0(VALU_DEP_1)
	v_cmp_gt_i32_e32 vcc_lo, s8, v14
                                        ; implicit-def: $vgpr14
	s_and_saveexec_b32 s1, vcc_lo
	s_cbranch_execz .LBB87_55
; %bb.52:
	v_mul_f32_e32 v13, s9, v13
	s_mov_b32 s3, exec_lo
	s_delay_alu instid0(VALU_DEP_1)
	v_cmpx_nlt_f32_e32 s10, v13
	s_cbranch_execz .LBB87_54
; %bb.53:
	v_mul_f32_e32 v14, 0x3fb8aa3b, v13
	v_cmp_ngt_f32_e32 vcc_lo, 0xc2ce8ed0, v13
	s_delay_alu instid0(VALU_DEP_2) | instskip(SKIP_1) | instid1(VALU_DEP_1)
	v_rndne_f32_e32 v15, v14
	v_fma_f32 v17, 0x3fb8aa3b, v13, -v14
	v_dual_sub_f32 v14, v14, v15 :: v_dual_fmamk_f32 v17, v13, 0x32a5705f, v17
	v_cvt_i32_f32_e32 v15, v15
	s_delay_alu instid0(VALU_DEP_2) | instskip(NEXT) | instid1(VALU_DEP_1)
	v_add_f32_e32 v14, v14, v17
	v_exp_f32_e32 v14, v14
	v_nop
	s_delay_alu instid0(TRANS32_DEP_1) | instskip(NEXT) | instid1(VALU_DEP_1)
	v_ldexp_f32 v14, v14, v15
	v_cndmask_b32_e32 v14, 0, v14, vcc_lo
	v_cmp_nlt_f32_e32 vcc_lo, 0x42b17218, v13
	s_delay_alu instid0(VALU_DEP_2) | instskip(NEXT) | instid1(VALU_DEP_1)
	v_cndmask_b32_e32 v13, 0x7f800000, v14, vcc_lo
	v_dual_mul_f32 v11, v11, v13 :: v_dual_add_f32 v13, 1.0, v13
	s_delay_alu instid0(VALU_DEP_1) | instskip(NEXT) | instid1(VALU_DEP_1)
	v_div_scale_f32 v14, null, v13, v13, v11
	v_rcp_f32_e32 v15, v14
	v_nop
	s_delay_alu instid0(TRANS32_DEP_1) | instskip(NEXT) | instid1(VALU_DEP_1)
	v_fma_f32 v17, -v14, v15, 1.0
	v_fmac_f32_e32 v15, v17, v15
	v_div_scale_f32 v17, vcc_lo, v11, v13, v11
	s_delay_alu instid0(VALU_DEP_1) | instskip(NEXT) | instid1(VALU_DEP_1)
	v_mul_f32_e32 v18, v17, v15
	v_fma_f32 v19, -v14, v18, v17
	s_delay_alu instid0(VALU_DEP_1) | instskip(NEXT) | instid1(VALU_DEP_1)
	v_fmac_f32_e32 v18, v19, v15
	v_fma_f32 v14, -v14, v18, v17
	s_delay_alu instid0(VALU_DEP_1) | instskip(NEXT) | instid1(VALU_DEP_1)
	v_div_fmas_f32 v14, v14, v15, v18
	v_div_fixup_f32 v11, v14, v13, v11
.LBB87_54:
	s_or_b32 exec_lo, exec_lo, s3
	s_delay_alu instid0(VALU_DEP_1) | instskip(SKIP_1) | instid1(VALU_DEP_2)
	v_bfe_u32 v13, v11, 16, 1
	v_cmp_o_f32_e32 vcc_lo, v11, v11
	v_add3_u32 v13, v11, v13, 0x7fff
	s_delay_alu instid0(VALU_DEP_1) | instskip(NEXT) | instid1(VALU_DEP_1)
	v_lshrrev_b32_e32 v13, 16, v13
	v_cndmask_b32_e32 v14, 0x7fc0, v13, vcc_lo
.LBB87_55:
	s_or_b32 exec_lo, exec_lo, s1
	v_or_b32_e32 v11, 0x500, v0
	s_delay_alu instid0(VALU_DEP_1)
	v_cmp_gt_i32_e32 vcc_lo, s8, v11
                                        ; implicit-def: $vgpr11
	s_and_saveexec_b32 s1, vcc_lo
	s_cbranch_execz .LBB87_59
; %bb.56:
	v_mul_f32_e32 v9, s9, v9
	s_mov_b32 s3, exec_lo
	s_delay_alu instid0(VALU_DEP_1)
	v_cmpx_nlt_f32_e32 s10, v9
	s_cbranch_execz .LBB87_58
; %bb.57:
	v_mul_f32_e32 v11, 0x3fb8aa3b, v9
	v_cmp_ngt_f32_e32 vcc_lo, 0xc2ce8ed0, v9
	s_delay_alu instid0(VALU_DEP_2) | instskip(SKIP_1) | instid1(VALU_DEP_2)
	v_rndne_f32_e32 v13, v11
	v_fma_f32 v15, 0x3fb8aa3b, v9, -v11
	v_sub_f32_e32 v11, v11, v13
	s_delay_alu instid0(VALU_DEP_2) | instskip(SKIP_1) | instid1(VALU_DEP_2)
	v_fmamk_f32 v15, v9, 0x32a5705f, v15
	v_cvt_i32_f32_e32 v13, v13
	v_add_f32_e32 v11, v11, v15
	s_delay_alu instid0(VALU_DEP_1) | instskip(SKIP_1) | instid1(TRANS32_DEP_1)
	v_exp_f32_e32 v11, v11
	v_nop
	v_ldexp_f32 v11, v11, v13
	s_delay_alu instid0(VALU_DEP_1) | instskip(SKIP_1) | instid1(VALU_DEP_2)
	v_cndmask_b32_e32 v11, 0, v11, vcc_lo
	v_cmp_nlt_f32_e32 vcc_lo, 0x42b17218, v9
	v_cndmask_b32_e32 v9, 0x7f800000, v11, vcc_lo
	s_delay_alu instid0(VALU_DEP_1) | instskip(NEXT) | instid1(VALU_DEP_1)
	v_dual_mul_f32 v8, v8, v9 :: v_dual_add_f32 v9, 1.0, v9
	v_div_scale_f32 v11, null, v9, v9, v8
	s_delay_alu instid0(VALU_DEP_1) | instskip(SKIP_1) | instid1(TRANS32_DEP_1)
	v_rcp_f32_e32 v13, v11
	v_nop
	v_fma_f32 v15, -v11, v13, 1.0
	s_delay_alu instid0(VALU_DEP_1) | instskip(SKIP_1) | instid1(VALU_DEP_1)
	v_fmac_f32_e32 v13, v15, v13
	v_div_scale_f32 v15, vcc_lo, v8, v9, v8
	v_mul_f32_e32 v17, v15, v13
	s_delay_alu instid0(VALU_DEP_1) | instskip(NEXT) | instid1(VALU_DEP_1)
	v_fma_f32 v18, -v11, v17, v15
	v_fmac_f32_e32 v17, v18, v13
	s_delay_alu instid0(VALU_DEP_1) | instskip(NEXT) | instid1(VALU_DEP_1)
	v_fma_f32 v11, -v11, v17, v15
	v_div_fmas_f32 v11, v11, v13, v17
	s_delay_alu instid0(VALU_DEP_1)
	v_div_fixup_f32 v8, v11, v9, v8
.LBB87_58:
	s_or_b32 exec_lo, exec_lo, s3
	s_delay_alu instid0(VALU_DEP_1) | instskip(SKIP_1) | instid1(VALU_DEP_2)
	v_bfe_u32 v9, v8, 16, 1
	v_cmp_o_f32_e32 vcc_lo, v8, v8
	v_add3_u32 v9, v8, v9, 0x7fff
	s_delay_alu instid0(VALU_DEP_1) | instskip(NEXT) | instid1(VALU_DEP_1)
	v_lshrrev_b32_e32 v9, 16, v9
	v_cndmask_b32_e32 v11, 0x7fc0, v9, vcc_lo
.LBB87_59:
	s_or_b32 exec_lo, exec_lo, s1
	v_or_b32_e32 v8, 0x600, v0
	s_delay_alu instid0(VALU_DEP_1)
	v_cmp_gt_i32_e32 vcc_lo, s8, v8
                                        ; implicit-def: $vgpr8
	s_and_saveexec_b32 s1, vcc_lo
	s_cbranch_execz .LBB87_63
; %bb.60:
	v_mul_f32_e32 v7, s9, v7
	s_mov_b32 s3, exec_lo
	s_delay_alu instid0(VALU_DEP_1)
	v_cmpx_nlt_f32_e32 s10, v7
	s_cbranch_execz .LBB87_62
; %bb.61:
	v_mul_f32_e32 v8, 0x3fb8aa3b, v7
	v_cmp_ngt_f32_e32 vcc_lo, 0xc2ce8ed0, v7
	s_delay_alu instid0(VALU_DEP_2) | instskip(SKIP_1) | instid1(VALU_DEP_1)
	v_rndne_f32_e32 v9, v8
	v_fma_f32 v13, 0x3fb8aa3b, v7, -v8
	v_dual_sub_f32 v8, v8, v9 :: v_dual_fmamk_f32 v13, v7, 0x32a5705f, v13
	v_cvt_i32_f32_e32 v9, v9
	s_delay_alu instid0(VALU_DEP_2) | instskip(NEXT) | instid1(VALU_DEP_1)
	v_add_f32_e32 v8, v8, v13
	v_exp_f32_e32 v8, v8
	v_nop
	s_delay_alu instid0(TRANS32_DEP_1) | instskip(NEXT) | instid1(VALU_DEP_1)
	v_ldexp_f32 v8, v8, v9
	v_cndmask_b32_e32 v8, 0, v8, vcc_lo
	v_cmp_nlt_f32_e32 vcc_lo, 0x42b17218, v7
	s_delay_alu instid0(VALU_DEP_2) | instskip(NEXT) | instid1(VALU_DEP_1)
	v_cndmask_b32_e32 v7, 0x7f800000, v8, vcc_lo
	v_dual_mul_f32 v6, v6, v7 :: v_dual_add_f32 v7, 1.0, v7
	s_delay_alu instid0(VALU_DEP_1) | instskip(NEXT) | instid1(VALU_DEP_1)
	v_div_scale_f32 v8, null, v7, v7, v6
	v_rcp_f32_e32 v9, v8
	v_nop
	s_delay_alu instid0(TRANS32_DEP_1) | instskip(NEXT) | instid1(VALU_DEP_1)
	v_fma_f32 v13, -v8, v9, 1.0
	v_fmac_f32_e32 v9, v13, v9
	v_div_scale_f32 v13, vcc_lo, v6, v7, v6
	s_delay_alu instid0(VALU_DEP_1) | instskip(NEXT) | instid1(VALU_DEP_1)
	v_mul_f32_e32 v15, v13, v9
	v_fma_f32 v17, -v8, v15, v13
	s_delay_alu instid0(VALU_DEP_1) | instskip(NEXT) | instid1(VALU_DEP_1)
	v_fmac_f32_e32 v15, v17, v9
	v_fma_f32 v8, -v8, v15, v13
	s_delay_alu instid0(VALU_DEP_1) | instskip(NEXT) | instid1(VALU_DEP_1)
	v_div_fmas_f32 v8, v8, v9, v15
	v_div_fixup_f32 v6, v8, v7, v6
.LBB87_62:
	s_or_b32 exec_lo, exec_lo, s3
	s_delay_alu instid0(VALU_DEP_1) | instskip(SKIP_1) | instid1(VALU_DEP_2)
	v_bfe_u32 v7, v6, 16, 1
	v_cmp_o_f32_e32 vcc_lo, v6, v6
	v_add3_u32 v7, v6, v7, 0x7fff
	s_delay_alu instid0(VALU_DEP_1) | instskip(NEXT) | instid1(VALU_DEP_1)
	v_lshrrev_b32_e32 v7, 16, v7
	v_cndmask_b32_e32 v8, 0x7fc0, v7, vcc_lo
.LBB87_63:
	s_or_b32 exec_lo, exec_lo, s1
	v_or_b32_e32 v6, 0x700, v0
	s_delay_alu instid0(VALU_DEP_1)
	v_cmp_gt_i32_e32 vcc_lo, s8, v6
                                        ; implicit-def: $vgpr6
	s_and_saveexec_b32 s1, vcc_lo
	s_cbranch_execz .LBB87_76
; %bb.64:
	v_mul_f32_e32 v4, s9, v4
	s_mov_b32 s3, exec_lo
	s_delay_alu instid0(VALU_DEP_1)
	v_cmpx_nlt_f32_e32 s10, v4
	s_cbranch_execz .LBB87_66
; %bb.65:
	v_mul_f32_e32 v6, 0x3fb8aa3b, v4
	v_cmp_ngt_f32_e32 vcc_lo, 0xc2ce8ed0, v4
	s_delay_alu instid0(VALU_DEP_2) | instskip(SKIP_1) | instid1(VALU_DEP_1)
	v_rndne_f32_e32 v7, v6
	v_fma_f32 v9, 0x3fb8aa3b, v4, -v6
	v_dual_sub_f32 v6, v6, v7 :: v_dual_fmamk_f32 v9, v4, 0x32a5705f, v9
	v_cvt_i32_f32_e32 v7, v7
	s_delay_alu instid0(VALU_DEP_2) | instskip(NEXT) | instid1(VALU_DEP_1)
	v_add_f32_e32 v6, v6, v9
	v_exp_f32_e32 v6, v6
	v_nop
	s_delay_alu instid0(TRANS32_DEP_1) | instskip(NEXT) | instid1(VALU_DEP_1)
	v_ldexp_f32 v6, v6, v7
	v_cndmask_b32_e32 v6, 0, v6, vcc_lo
	v_cmp_nlt_f32_e32 vcc_lo, 0x42b17218, v4
	s_delay_alu instid0(VALU_DEP_2) | instskip(NEXT) | instid1(VALU_DEP_1)
	v_cndmask_b32_e32 v4, 0x7f800000, v6, vcc_lo
	v_dual_mul_f32 v3, v3, v4 :: v_dual_add_f32 v4, 1.0, v4
	s_delay_alu instid0(VALU_DEP_1) | instskip(NEXT) | instid1(VALU_DEP_1)
	v_div_scale_f32 v6, null, v4, v4, v3
	v_rcp_f32_e32 v7, v6
	v_nop
	s_delay_alu instid0(TRANS32_DEP_1) | instskip(NEXT) | instid1(VALU_DEP_1)
	v_fma_f32 v9, -v6, v7, 1.0
	v_fmac_f32_e32 v7, v9, v7
	v_div_scale_f32 v9, vcc_lo, v3, v4, v3
	s_delay_alu instid0(VALU_DEP_1) | instskip(NEXT) | instid1(VALU_DEP_1)
	v_mul_f32_e32 v13, v9, v7
	v_fma_f32 v15, -v6, v13, v9
	s_delay_alu instid0(VALU_DEP_1) | instskip(NEXT) | instid1(VALU_DEP_1)
	v_fmac_f32_e32 v13, v15, v7
	v_fma_f32 v6, -v6, v13, v9
	s_delay_alu instid0(VALU_DEP_1) | instskip(NEXT) | instid1(VALU_DEP_1)
	v_div_fmas_f32 v6, v6, v7, v13
	v_div_fixup_f32 v3, v6, v4, v3
.LBB87_66:
	s_or_b32 exec_lo, exec_lo, s3
	s_delay_alu instid0(VALU_DEP_1) | instskip(SKIP_1) | instid1(VALU_DEP_2)
	v_bfe_u32 v4, v3, 16, 1
	v_cmp_o_f32_e32 vcc_lo, v3, v3
	v_add3_u32 v4, v3, v4, 0x7fff
	s_delay_alu instid0(VALU_DEP_1) | instskip(NEXT) | instid1(VALU_DEP_1)
	v_lshrrev_b32_e32 v4, 16, v4
	v_cndmask_b32_e32 v6, 0x7fc0, v4, vcc_lo
	s_or_b32 exec_lo, exec_lo, s1
	s_and_saveexec_b32 s1, s0
	s_delay_alu instid0(SALU_CYCLE_1)
	s_xor_b32 s0, exec_lo, s1
	s_cbranch_execnz .LBB87_77
.LBB87_67:
	s_or_b32 exec_lo, exec_lo, s0
	s_delay_alu instid0(SALU_CYCLE_1)
	s_mov_b32 s0, exec_lo
	v_cmpx_gt_i32_e64 s8, v0
	s_cbranch_execz .LBB87_78
.LBB87_68:
	v_add_nc_u32_e32 v1, s2, v0
	v_add_nc_u32_e32 v0, 0x100, v0
	global_store_b16 v1, v10, s[4:5] scale_offset
	s_wait_xcnt 0x0
	s_or_b32 exec_lo, exec_lo, s0
	s_delay_alu instid0(SALU_CYCLE_1)
	s_mov_b32 s0, exec_lo
	v_cmpx_gt_i32_e64 s8, v0
	s_cbranch_execnz .LBB87_79
.LBB87_69:
	s_or_b32 exec_lo, exec_lo, s0
	s_delay_alu instid0(SALU_CYCLE_1)
	s_mov_b32 s0, exec_lo
	v_cmpx_gt_i32_e64 s8, v0
	s_cbranch_execz .LBB87_80
.LBB87_70:
	v_add_nc_u32_e32 v1, s2, v0
	v_add_nc_u32_e32 v0, 0x100, v0
	global_store_b16 v1, v16, s[4:5] scale_offset
	s_wait_xcnt 0x0
	s_or_b32 exec_lo, exec_lo, s0
	s_delay_alu instid0(SALU_CYCLE_1)
	s_mov_b32 s0, exec_lo
	v_cmpx_gt_i32_e64 s8, v0
	s_cbranch_execnz .LBB87_81
.LBB87_71:
	s_or_b32 exec_lo, exec_lo, s0
	s_delay_alu instid0(SALU_CYCLE_1)
	s_mov_b32 s0, exec_lo
	v_cmpx_gt_i32_e64 s8, v0
	s_cbranch_execz .LBB87_82
.LBB87_72:
	v_add_nc_u32_e32 v1, s2, v0
	v_add_nc_u32_e32 v0, 0x100, v0
	global_store_b16 v1, v11, s[4:5] scale_offset
	s_wait_xcnt 0x0
	s_or_b32 exec_lo, exec_lo, s0
	s_delay_alu instid0(SALU_CYCLE_1)
	s_mov_b32 s0, exec_lo
	v_cmpx_gt_i32_e64 s8, v0
	s_cbranch_execnz .LBB87_83
.LBB87_73:
	s_or_b32 exec_lo, exec_lo, s0
	s_delay_alu instid0(SALU_CYCLE_1)
	s_mov_b32 s0, exec_lo
	v_cmpx_gt_i32_e64 s8, v0
	s_cbranch_execz .LBB87_75
.LBB87_74:
	v_add_nc_u32_e32 v0, s2, v0
	global_store_b16 v0, v6, s[4:5] scale_offset
.LBB87_75:
	s_endpgm
.LBB87_76:
	s_or_b32 exec_lo, exec_lo, s1
	s_and_saveexec_b32 s1, s0
	s_delay_alu instid0(SALU_CYCLE_1)
	s_xor_b32 s0, exec_lo, s1
	s_cbranch_execz .LBB87_67
.LBB87_77:
	v_mov_b32_e32 v0, v2
	global_store_b16 v1, v5, s[4:5] scale_offset
	s_wait_xcnt 0x0
	s_or_b32 exec_lo, exec_lo, s0
	s_delay_alu instid0(SALU_CYCLE_1)
	s_mov_b32 s0, exec_lo
	v_cmpx_gt_i32_e64 s8, v0
	s_cbranch_execnz .LBB87_68
.LBB87_78:
	s_or_b32 exec_lo, exec_lo, s0
	s_delay_alu instid0(SALU_CYCLE_1)
	s_mov_b32 s0, exec_lo
	v_cmpx_gt_i32_e64 s8, v0
	s_cbranch_execz .LBB87_69
.LBB87_79:
	v_add_nc_u32_e32 v1, s2, v0
	v_add_nc_u32_e32 v0, 0x100, v0
	global_store_b16 v1, v12, s[4:5] scale_offset
	s_wait_xcnt 0x0
	s_or_b32 exec_lo, exec_lo, s0
	s_delay_alu instid0(SALU_CYCLE_1)
	s_mov_b32 s0, exec_lo
	v_cmpx_gt_i32_e64 s8, v0
	s_cbranch_execnz .LBB87_70
.LBB87_80:
	s_or_b32 exec_lo, exec_lo, s0
	s_delay_alu instid0(SALU_CYCLE_1)
	s_mov_b32 s0, exec_lo
	v_cmpx_gt_i32_e64 s8, v0
	s_cbranch_execz .LBB87_71
.LBB87_81:
	v_add_nc_u32_e32 v1, s2, v0
	v_add_nc_u32_e32 v0, 0x100, v0
	global_store_b16 v1, v14, s[4:5] scale_offset
	s_wait_xcnt 0x0
	s_or_b32 exec_lo, exec_lo, s0
	s_delay_alu instid0(SALU_CYCLE_1)
	s_mov_b32 s0, exec_lo
	v_cmpx_gt_i32_e64 s8, v0
	s_cbranch_execnz .LBB87_72
.LBB87_82:
	s_or_b32 exec_lo, exec_lo, s0
	s_delay_alu instid0(SALU_CYCLE_1)
	s_mov_b32 s0, exec_lo
	v_cmpx_gt_i32_e64 s8, v0
	s_cbranch_execz .LBB87_73
.LBB87_83:
	v_add_nc_u32_e32 v1, s2, v0
	v_add_nc_u32_e32 v0, 0x100, v0
	global_store_b16 v1, v8, s[4:5] scale_offset
	s_wait_xcnt 0x0
	s_or_b32 exec_lo, exec_lo, s0
	s_delay_alu instid0(SALU_CYCLE_1)
	s_mov_b32 s0, exec_lo
	v_cmpx_gt_i32_e64 s8, v0
	s_cbranch_execnz .LBB87_74
	s_branch .LBB87_75
	.section	.rodata,"a",@progbits
	.p2align	6, 0x0
	.amdhsa_kernel _ZN2at6native29vectorized_elementwise_kernelILi8EZZZNS0_12_GLOBAL__N_124softplus_backward_kernelERNS_18TensorIteratorBaseERKN3c106ScalarES8_ENKUlvE_clEvENKUlvE2_clEvEUlNS5_8BFloat16ESB_E_St5arrayIPcLm3EEEEviT0_T1_
		.amdhsa_group_segment_fixed_size 0
		.amdhsa_private_segment_fixed_size 0
		.amdhsa_kernarg_size 40
		.amdhsa_user_sgpr_count 2
		.amdhsa_user_sgpr_dispatch_ptr 0
		.amdhsa_user_sgpr_queue_ptr 0
		.amdhsa_user_sgpr_kernarg_segment_ptr 1
		.amdhsa_user_sgpr_dispatch_id 0
		.amdhsa_user_sgpr_kernarg_preload_length 0
		.amdhsa_user_sgpr_kernarg_preload_offset 0
		.amdhsa_user_sgpr_private_segment_size 0
		.amdhsa_wavefront_size32 1
		.amdhsa_uses_dynamic_stack 0
		.amdhsa_enable_private_segment 0
		.amdhsa_system_sgpr_workgroup_id_x 1
		.amdhsa_system_sgpr_workgroup_id_y 0
		.amdhsa_system_sgpr_workgroup_id_z 0
		.amdhsa_system_sgpr_workgroup_info 0
		.amdhsa_system_vgpr_workitem_id 0
		.amdhsa_next_free_vgpr 24
		.amdhsa_next_free_sgpr 16
		.amdhsa_named_barrier_count 0
		.amdhsa_reserve_vcc 1
		.amdhsa_float_round_mode_32 0
		.amdhsa_float_round_mode_16_64 0
		.amdhsa_float_denorm_mode_32 3
		.amdhsa_float_denorm_mode_16_64 3
		.amdhsa_fp16_overflow 0
		.amdhsa_memory_ordered 1
		.amdhsa_forward_progress 1
		.amdhsa_inst_pref_size 50
		.amdhsa_round_robin_scheduling 0
		.amdhsa_exception_fp_ieee_invalid_op 0
		.amdhsa_exception_fp_denorm_src 0
		.amdhsa_exception_fp_ieee_div_zero 0
		.amdhsa_exception_fp_ieee_overflow 0
		.amdhsa_exception_fp_ieee_underflow 0
		.amdhsa_exception_fp_ieee_inexact 0
		.amdhsa_exception_int_div_zero 0
	.end_amdhsa_kernel
	.section	.text._ZN2at6native29vectorized_elementwise_kernelILi8EZZZNS0_12_GLOBAL__N_124softplus_backward_kernelERNS_18TensorIteratorBaseERKN3c106ScalarES8_ENKUlvE_clEvENKUlvE2_clEvEUlNS5_8BFloat16ESB_E_St5arrayIPcLm3EEEEviT0_T1_,"axG",@progbits,_ZN2at6native29vectorized_elementwise_kernelILi8EZZZNS0_12_GLOBAL__N_124softplus_backward_kernelERNS_18TensorIteratorBaseERKN3c106ScalarES8_ENKUlvE_clEvENKUlvE2_clEvEUlNS5_8BFloat16ESB_E_St5arrayIPcLm3EEEEviT0_T1_,comdat
.Lfunc_end87:
	.size	_ZN2at6native29vectorized_elementwise_kernelILi8EZZZNS0_12_GLOBAL__N_124softplus_backward_kernelERNS_18TensorIteratorBaseERKN3c106ScalarES8_ENKUlvE_clEvENKUlvE2_clEvEUlNS5_8BFloat16ESB_E_St5arrayIPcLm3EEEEviT0_T1_, .Lfunc_end87-_ZN2at6native29vectorized_elementwise_kernelILi8EZZZNS0_12_GLOBAL__N_124softplus_backward_kernelERNS_18TensorIteratorBaseERKN3c106ScalarES8_ENKUlvE_clEvENKUlvE2_clEvEUlNS5_8BFloat16ESB_E_St5arrayIPcLm3EEEEviT0_T1_
                                        ; -- End function
	.set _ZN2at6native29vectorized_elementwise_kernelILi8EZZZNS0_12_GLOBAL__N_124softplus_backward_kernelERNS_18TensorIteratorBaseERKN3c106ScalarES8_ENKUlvE_clEvENKUlvE2_clEvEUlNS5_8BFloat16ESB_E_St5arrayIPcLm3EEEEviT0_T1_.num_vgpr, 24
	.set _ZN2at6native29vectorized_elementwise_kernelILi8EZZZNS0_12_GLOBAL__N_124softplus_backward_kernelERNS_18TensorIteratorBaseERKN3c106ScalarES8_ENKUlvE_clEvENKUlvE2_clEvEUlNS5_8BFloat16ESB_E_St5arrayIPcLm3EEEEviT0_T1_.num_agpr, 0
	.set _ZN2at6native29vectorized_elementwise_kernelILi8EZZZNS0_12_GLOBAL__N_124softplus_backward_kernelERNS_18TensorIteratorBaseERKN3c106ScalarES8_ENKUlvE_clEvENKUlvE2_clEvEUlNS5_8BFloat16ESB_E_St5arrayIPcLm3EEEEviT0_T1_.numbered_sgpr, 16
	.set _ZN2at6native29vectorized_elementwise_kernelILi8EZZZNS0_12_GLOBAL__N_124softplus_backward_kernelERNS_18TensorIteratorBaseERKN3c106ScalarES8_ENKUlvE_clEvENKUlvE2_clEvEUlNS5_8BFloat16ESB_E_St5arrayIPcLm3EEEEviT0_T1_.num_named_barrier, 0
	.set _ZN2at6native29vectorized_elementwise_kernelILi8EZZZNS0_12_GLOBAL__N_124softplus_backward_kernelERNS_18TensorIteratorBaseERKN3c106ScalarES8_ENKUlvE_clEvENKUlvE2_clEvEUlNS5_8BFloat16ESB_E_St5arrayIPcLm3EEEEviT0_T1_.private_seg_size, 0
	.set _ZN2at6native29vectorized_elementwise_kernelILi8EZZZNS0_12_GLOBAL__N_124softplus_backward_kernelERNS_18TensorIteratorBaseERKN3c106ScalarES8_ENKUlvE_clEvENKUlvE2_clEvEUlNS5_8BFloat16ESB_E_St5arrayIPcLm3EEEEviT0_T1_.uses_vcc, 1
	.set _ZN2at6native29vectorized_elementwise_kernelILi8EZZZNS0_12_GLOBAL__N_124softplus_backward_kernelERNS_18TensorIteratorBaseERKN3c106ScalarES8_ENKUlvE_clEvENKUlvE2_clEvEUlNS5_8BFloat16ESB_E_St5arrayIPcLm3EEEEviT0_T1_.uses_flat_scratch, 0
	.set _ZN2at6native29vectorized_elementwise_kernelILi8EZZZNS0_12_GLOBAL__N_124softplus_backward_kernelERNS_18TensorIteratorBaseERKN3c106ScalarES8_ENKUlvE_clEvENKUlvE2_clEvEUlNS5_8BFloat16ESB_E_St5arrayIPcLm3EEEEviT0_T1_.has_dyn_sized_stack, 0
	.set _ZN2at6native29vectorized_elementwise_kernelILi8EZZZNS0_12_GLOBAL__N_124softplus_backward_kernelERNS_18TensorIteratorBaseERKN3c106ScalarES8_ENKUlvE_clEvENKUlvE2_clEvEUlNS5_8BFloat16ESB_E_St5arrayIPcLm3EEEEviT0_T1_.has_recursion, 0
	.set _ZN2at6native29vectorized_elementwise_kernelILi8EZZZNS0_12_GLOBAL__N_124softplus_backward_kernelERNS_18TensorIteratorBaseERKN3c106ScalarES8_ENKUlvE_clEvENKUlvE2_clEvEUlNS5_8BFloat16ESB_E_St5arrayIPcLm3EEEEviT0_T1_.has_indirect_call, 0
	.section	.AMDGPU.csdata,"",@progbits
; Kernel info:
; codeLenInByte = 6316
; TotalNumSgprs: 18
; NumVgprs: 24
; ScratchSize: 0
; MemoryBound: 0
; FloatMode: 240
; IeeeMode: 1
; LDSByteSize: 0 bytes/workgroup (compile time only)
; SGPRBlocks: 0
; VGPRBlocks: 1
; NumSGPRsForWavesPerEU: 18
; NumVGPRsForWavesPerEU: 24
; NamedBarCnt: 0
; Occupancy: 16
; WaveLimiterHint : 0
; COMPUTE_PGM_RSRC2:SCRATCH_EN: 0
; COMPUTE_PGM_RSRC2:USER_SGPR: 2
; COMPUTE_PGM_RSRC2:TRAP_HANDLER: 0
; COMPUTE_PGM_RSRC2:TGID_X_EN: 1
; COMPUTE_PGM_RSRC2:TGID_Y_EN: 0
; COMPUTE_PGM_RSRC2:TGID_Z_EN: 0
; COMPUTE_PGM_RSRC2:TIDIG_COMP_CNT: 0
	.section	.text._ZN2at6native29vectorized_elementwise_kernelILi4EZZZNS0_12_GLOBAL__N_124softplus_backward_kernelERNS_18TensorIteratorBaseERKN3c106ScalarES8_ENKUlvE_clEvENKUlvE2_clEvEUlNS5_8BFloat16ESB_E_St5arrayIPcLm3EEEEviT0_T1_,"axG",@progbits,_ZN2at6native29vectorized_elementwise_kernelILi4EZZZNS0_12_GLOBAL__N_124softplus_backward_kernelERNS_18TensorIteratorBaseERKN3c106ScalarES8_ENKUlvE_clEvENKUlvE2_clEvEUlNS5_8BFloat16ESB_E_St5arrayIPcLm3EEEEviT0_T1_,comdat
	.globl	_ZN2at6native29vectorized_elementwise_kernelILi4EZZZNS0_12_GLOBAL__N_124softplus_backward_kernelERNS_18TensorIteratorBaseERKN3c106ScalarES8_ENKUlvE_clEvENKUlvE2_clEvEUlNS5_8BFloat16ESB_E_St5arrayIPcLm3EEEEviT0_T1_ ; -- Begin function _ZN2at6native29vectorized_elementwise_kernelILi4EZZZNS0_12_GLOBAL__N_124softplus_backward_kernelERNS_18TensorIteratorBaseERKN3c106ScalarES8_ENKUlvE_clEvENKUlvE2_clEvEUlNS5_8BFloat16ESB_E_St5arrayIPcLm3EEEEviT0_T1_
	.p2align	8
	.type	_ZN2at6native29vectorized_elementwise_kernelILi4EZZZNS0_12_GLOBAL__N_124softplus_backward_kernelERNS_18TensorIteratorBaseERKN3c106ScalarES8_ENKUlvE_clEvENKUlvE2_clEvEUlNS5_8BFloat16ESB_E_St5arrayIPcLm3EEEEviT0_T1_,@function
_ZN2at6native29vectorized_elementwise_kernelILi4EZZZNS0_12_GLOBAL__N_124softplus_backward_kernelERNS_18TensorIteratorBaseERKN3c106ScalarES8_ENKUlvE_clEvENKUlvE2_clEvEUlNS5_8BFloat16ESB_E_St5arrayIPcLm3EEEEviT0_T1_: ; @_ZN2at6native29vectorized_elementwise_kernelILi4EZZZNS0_12_GLOBAL__N_124softplus_backward_kernelERNS_18TensorIteratorBaseERKN3c106ScalarES8_ENKUlvE_clEvENKUlvE2_clEvEUlNS5_8BFloat16ESB_E_St5arrayIPcLm3EEEEviT0_T1_
; %bb.0:
	s_clause 0x2
	s_load_b96 s[8:10], s[0:1], 0x0
	s_load_b128 s[4:7], s[0:1], 0x10
	s_load_b64 s[12:13], s[0:1], 0x20
	s_wait_xcnt 0x0
	s_bfe_u32 s0, ttmp6, 0x4000c
	s_and_b32 s1, ttmp6, 15
	s_add_co_i32 s0, s0, 1
	s_getreg_b32 s2, hwreg(HW_REG_IB_STS2, 6, 4)
	s_mul_i32 s0, ttmp9, s0
	s_delay_alu instid0(SALU_CYCLE_1) | instskip(SKIP_2) | instid1(SALU_CYCLE_1)
	s_add_co_i32 s1, s1, s0
	s_cmp_eq_u32 s2, 0
	s_cselect_b32 s0, ttmp9, s1
	s_lshl_b32 s2, s0, 11
	s_mov_b32 s0, -1
	s_wait_kmcnt 0x0
	s_sub_co_i32 s8, s8, s2
	s_delay_alu instid0(SALU_CYCLE_1)
	s_cmp_gt_i32 s8, 0x7ff
	s_cbranch_scc0 .LBB88_18
; %bb.1:
	s_ashr_i32 s3, s2, 31
	s_delay_alu instid0(SALU_CYCLE_1)
	s_lshl_b64 s[0:1], s[2:3], 1
	s_mov_b32 s3, exec_lo
	s_add_nc_u64 s[14:15], s[12:13], s[0:1]
	s_add_nc_u64 s[16:17], s[6:7], s[0:1]
	s_clause 0x3
	global_load_b64 v[8:9], v0, s[14:15] scale_offset
	global_load_b64 v[6:7], v0, s[16:17] scale_offset
	global_load_b64 v[2:3], v0, s[16:17] offset:2048 scale_offset
	global_load_b64 v[4:5], v0, s[14:15] offset:2048 scale_offset
	s_wait_loadcnt 0x3
	v_lshlrev_b32_e32 v1, 16, v8
	s_wait_loadcnt 0x2
	s_delay_alu instid0(VALU_DEP_1) | instskip(SKIP_1) | instid1(VALU_DEP_1)
	v_dual_mul_f32 v10, s9, v1 :: v_dual_lshlrev_b32 v1, 16, v6
	s_wait_xcnt 0x0
	v_cmpx_nlt_f32_e32 s10, v10
	s_cbranch_execz .LBB88_3
; %bb.2:
	v_mul_f32_e32 v11, 0x3fb8aa3b, v10
	v_cmp_ngt_f32_e32 vcc_lo, 0xc2ce8ed0, v10
	s_delay_alu instid0(VALU_DEP_2) | instskip(SKIP_1) | instid1(VALU_DEP_2)
	v_rndne_f32_e32 v12, v11
	v_fma_f32 v13, 0x3fb8aa3b, v10, -v11
	v_sub_f32_e32 v11, v11, v12
	s_delay_alu instid0(VALU_DEP_2) | instskip(SKIP_1) | instid1(VALU_DEP_2)
	v_fmamk_f32 v13, v10, 0x32a5705f, v13
	v_cvt_i32_f32_e32 v12, v12
	v_add_f32_e32 v11, v11, v13
	s_delay_alu instid0(VALU_DEP_1) | instskip(SKIP_1) | instid1(TRANS32_DEP_1)
	v_exp_f32_e32 v11, v11
	v_nop
	v_ldexp_f32 v11, v11, v12
	s_delay_alu instid0(VALU_DEP_1) | instskip(SKIP_1) | instid1(VALU_DEP_2)
	v_cndmask_b32_e32 v11, 0, v11, vcc_lo
	v_cmp_nlt_f32_e32 vcc_lo, 0x42b17218, v10
	v_cndmask_b32_e32 v10, 0x7f800000, v11, vcc_lo
	s_delay_alu instid0(VALU_DEP_1) | instskip(NEXT) | instid1(VALU_DEP_1)
	v_dual_mul_f32 v1, v10, v1 :: v_dual_add_f32 v10, 1.0, v10
	v_div_scale_f32 v11, null, v10, v10, v1
	s_delay_alu instid0(VALU_DEP_1) | instskip(SKIP_1) | instid1(TRANS32_DEP_1)
	v_rcp_f32_e32 v12, v11
	v_nop
	v_fma_f32 v13, -v11, v12, 1.0
	s_delay_alu instid0(VALU_DEP_1) | instskip(SKIP_1) | instid1(VALU_DEP_1)
	v_fmac_f32_e32 v12, v13, v12
	v_div_scale_f32 v13, vcc_lo, v1, v10, v1
	v_mul_f32_e32 v14, v13, v12
	s_delay_alu instid0(VALU_DEP_1) | instskip(NEXT) | instid1(VALU_DEP_1)
	v_fma_f32 v15, -v11, v14, v13
	v_fmac_f32_e32 v14, v15, v12
	s_delay_alu instid0(VALU_DEP_1) | instskip(NEXT) | instid1(VALU_DEP_1)
	v_fma_f32 v11, -v11, v14, v13
	v_div_fmas_f32 v11, v11, v12, v14
	s_delay_alu instid0(VALU_DEP_1)
	v_div_fixup_f32 v1, v11, v10, v1
.LBB88_3:
	s_or_b32 exec_lo, exec_lo, s3
	v_and_b32_e32 v8, 0xffff0000, v8
	v_and_b32_e32 v6, 0xffff0000, v6
	s_mov_b32 s3, exec_lo
	s_delay_alu instid0(VALU_DEP_2) | instskip(NEXT) | instid1(VALU_DEP_1)
	v_mul_f32_e32 v8, s9, v8
	v_cmpx_nlt_f32_e32 s10, v8
	s_cbranch_execz .LBB88_5
; %bb.4:
	v_mul_f32_e32 v10, 0x3fb8aa3b, v8
	v_cmp_ngt_f32_e32 vcc_lo, 0xc2ce8ed0, v8
	s_delay_alu instid0(VALU_DEP_2) | instskip(SKIP_1) | instid1(VALU_DEP_2)
	v_rndne_f32_e32 v11, v10
	v_fma_f32 v12, 0x3fb8aa3b, v8, -v10
	v_sub_f32_e32 v10, v10, v11
	s_delay_alu instid0(VALU_DEP_2) | instskip(SKIP_1) | instid1(VALU_DEP_2)
	v_fmamk_f32 v12, v8, 0x32a5705f, v12
	v_cvt_i32_f32_e32 v11, v11
	v_add_f32_e32 v10, v10, v12
	s_delay_alu instid0(VALU_DEP_1) | instskip(SKIP_1) | instid1(TRANS32_DEP_1)
	v_exp_f32_e32 v10, v10
	v_nop
	v_ldexp_f32 v10, v10, v11
	s_delay_alu instid0(VALU_DEP_1) | instskip(SKIP_1) | instid1(VALU_DEP_2)
	v_cndmask_b32_e32 v10, 0, v10, vcc_lo
	v_cmp_nlt_f32_e32 vcc_lo, 0x42b17218, v8
	v_cndmask_b32_e32 v8, 0x7f800000, v10, vcc_lo
	s_delay_alu instid0(VALU_DEP_1) | instskip(NEXT) | instid1(VALU_DEP_1)
	v_dual_mul_f32 v6, v8, v6 :: v_dual_add_f32 v8, 1.0, v8
	v_div_scale_f32 v10, null, v8, v8, v6
	s_delay_alu instid0(VALU_DEP_1) | instskip(SKIP_1) | instid1(TRANS32_DEP_1)
	v_rcp_f32_e32 v11, v10
	v_nop
	v_fma_f32 v12, -v10, v11, 1.0
	s_delay_alu instid0(VALU_DEP_1) | instskip(SKIP_1) | instid1(VALU_DEP_1)
	v_fmac_f32_e32 v11, v12, v11
	v_div_scale_f32 v12, vcc_lo, v6, v8, v6
	v_mul_f32_e32 v13, v12, v11
	s_delay_alu instid0(VALU_DEP_1) | instskip(NEXT) | instid1(VALU_DEP_1)
	v_fma_f32 v14, -v10, v13, v12
	v_fmac_f32_e32 v13, v14, v11
	s_delay_alu instid0(VALU_DEP_1) | instskip(NEXT) | instid1(VALU_DEP_1)
	v_fma_f32 v10, -v10, v13, v12
	v_div_fmas_f32 v10, v10, v11, v13
	s_delay_alu instid0(VALU_DEP_1)
	v_div_fixup_f32 v6, v10, v8, v6
.LBB88_5:
	s_or_b32 exec_lo, exec_lo, s3
	v_lshlrev_b32_e32 v8, 16, v9
	s_mov_b32 s3, exec_lo
	s_delay_alu instid0(VALU_DEP_1) | instskip(NEXT) | instid1(VALU_DEP_1)
	v_dual_mul_f32 v10, s9, v8 :: v_dual_lshlrev_b32 v8, 16, v7
	v_cmpx_nlt_f32_e32 s10, v10
	s_cbranch_execz .LBB88_7
; %bb.6:
	v_mul_f32_e32 v11, 0x3fb8aa3b, v10
	v_cmp_ngt_f32_e32 vcc_lo, 0xc2ce8ed0, v10
	s_delay_alu instid0(VALU_DEP_2) | instskip(SKIP_1) | instid1(VALU_DEP_2)
	v_rndne_f32_e32 v12, v11
	v_fma_f32 v13, 0x3fb8aa3b, v10, -v11
	v_sub_f32_e32 v11, v11, v12
	s_delay_alu instid0(VALU_DEP_2) | instskip(SKIP_1) | instid1(VALU_DEP_2)
	v_fmamk_f32 v13, v10, 0x32a5705f, v13
	v_cvt_i32_f32_e32 v12, v12
	v_add_f32_e32 v11, v11, v13
	s_delay_alu instid0(VALU_DEP_1) | instskip(SKIP_1) | instid1(TRANS32_DEP_1)
	v_exp_f32_e32 v11, v11
	v_nop
	v_ldexp_f32 v11, v11, v12
	s_delay_alu instid0(VALU_DEP_1) | instskip(SKIP_1) | instid1(VALU_DEP_2)
	v_cndmask_b32_e32 v11, 0, v11, vcc_lo
	v_cmp_nlt_f32_e32 vcc_lo, 0x42b17218, v10
	v_cndmask_b32_e32 v10, 0x7f800000, v11, vcc_lo
	s_delay_alu instid0(VALU_DEP_1) | instskip(NEXT) | instid1(VALU_DEP_1)
	v_dual_mul_f32 v8, v10, v8 :: v_dual_add_f32 v10, 1.0, v10
	v_div_scale_f32 v11, null, v10, v10, v8
	s_delay_alu instid0(VALU_DEP_1) | instskip(SKIP_1) | instid1(TRANS32_DEP_1)
	v_rcp_f32_e32 v12, v11
	v_nop
	v_fma_f32 v13, -v11, v12, 1.0
	s_delay_alu instid0(VALU_DEP_1) | instskip(SKIP_1) | instid1(VALU_DEP_1)
	v_fmac_f32_e32 v12, v13, v12
	v_div_scale_f32 v13, vcc_lo, v8, v10, v8
	v_mul_f32_e32 v14, v13, v12
	s_delay_alu instid0(VALU_DEP_1) | instskip(NEXT) | instid1(VALU_DEP_1)
	v_fma_f32 v15, -v11, v14, v13
	v_fmac_f32_e32 v14, v15, v12
	s_delay_alu instid0(VALU_DEP_1) | instskip(NEXT) | instid1(VALU_DEP_1)
	v_fma_f32 v11, -v11, v14, v13
	v_div_fmas_f32 v11, v11, v12, v14
	s_delay_alu instid0(VALU_DEP_1)
	v_div_fixup_f32 v8, v11, v10, v8
.LBB88_7:
	s_or_b32 exec_lo, exec_lo, s3
	v_and_b32_e32 v9, 0xffff0000, v9
	v_and_b32_e32 v7, 0xffff0000, v7
	s_mov_b32 s3, exec_lo
	s_delay_alu instid0(VALU_DEP_2) | instskip(NEXT) | instid1(VALU_DEP_1)
	v_mul_f32_e32 v9, s9, v9
	v_cmpx_nlt_f32_e32 s10, v9
	s_cbranch_execz .LBB88_9
; %bb.8:
	v_mul_f32_e32 v10, 0x3fb8aa3b, v9
	v_cmp_ngt_f32_e32 vcc_lo, 0xc2ce8ed0, v9
	s_delay_alu instid0(VALU_DEP_2) | instskip(SKIP_1) | instid1(VALU_DEP_2)
	v_rndne_f32_e32 v11, v10
	v_fma_f32 v12, 0x3fb8aa3b, v9, -v10
	v_sub_f32_e32 v10, v10, v11
	s_delay_alu instid0(VALU_DEP_2) | instskip(SKIP_1) | instid1(VALU_DEP_2)
	v_fmamk_f32 v12, v9, 0x32a5705f, v12
	v_cvt_i32_f32_e32 v11, v11
	v_add_f32_e32 v10, v10, v12
	s_delay_alu instid0(VALU_DEP_1) | instskip(SKIP_1) | instid1(TRANS32_DEP_1)
	v_exp_f32_e32 v10, v10
	v_nop
	v_ldexp_f32 v10, v10, v11
	s_delay_alu instid0(VALU_DEP_1) | instskip(SKIP_1) | instid1(VALU_DEP_2)
	v_cndmask_b32_e32 v10, 0, v10, vcc_lo
	v_cmp_nlt_f32_e32 vcc_lo, 0x42b17218, v9
	v_cndmask_b32_e32 v9, 0x7f800000, v10, vcc_lo
	s_delay_alu instid0(VALU_DEP_1) | instskip(NEXT) | instid1(VALU_DEP_1)
	v_dual_mul_f32 v7, v9, v7 :: v_dual_add_f32 v9, 1.0, v9
	v_div_scale_f32 v10, null, v9, v9, v7
	s_delay_alu instid0(VALU_DEP_1) | instskip(SKIP_1) | instid1(TRANS32_DEP_1)
	v_rcp_f32_e32 v11, v10
	v_nop
	v_fma_f32 v12, -v10, v11, 1.0
	s_delay_alu instid0(VALU_DEP_1) | instskip(SKIP_1) | instid1(VALU_DEP_1)
	v_fmac_f32_e32 v11, v12, v11
	v_div_scale_f32 v12, vcc_lo, v7, v9, v7
	v_mul_f32_e32 v13, v12, v11
	s_delay_alu instid0(VALU_DEP_1) | instskip(NEXT) | instid1(VALU_DEP_1)
	v_fma_f32 v14, -v10, v13, v12
	v_fmac_f32_e32 v13, v14, v11
	s_delay_alu instid0(VALU_DEP_1) | instskip(NEXT) | instid1(VALU_DEP_1)
	v_fma_f32 v10, -v10, v13, v12
	v_div_fmas_f32 v10, v10, v11, v13
	s_delay_alu instid0(VALU_DEP_1)
	v_div_fixup_f32 v7, v10, v9, v7
.LBB88_9:
	s_or_b32 exec_lo, exec_lo, s3
	s_wait_loadcnt 0x0
	v_lshlrev_b32_e32 v9, 16, v4
	s_mov_b32 s3, exec_lo
	s_delay_alu instid0(VALU_DEP_1) | instskip(NEXT) | instid1(VALU_DEP_1)
	v_dual_mul_f32 v10, s9, v9 :: v_dual_lshlrev_b32 v9, 16, v2
	v_cmpx_nlt_f32_e32 s10, v10
	s_cbranch_execz .LBB88_11
; %bb.10:
	v_mul_f32_e32 v11, 0x3fb8aa3b, v10
	v_cmp_ngt_f32_e32 vcc_lo, 0xc2ce8ed0, v10
	s_delay_alu instid0(VALU_DEP_2) | instskip(SKIP_1) | instid1(VALU_DEP_2)
	v_rndne_f32_e32 v12, v11
	v_fma_f32 v13, 0x3fb8aa3b, v10, -v11
	v_sub_f32_e32 v11, v11, v12
	s_delay_alu instid0(VALU_DEP_2) | instskip(SKIP_1) | instid1(VALU_DEP_2)
	v_fmamk_f32 v13, v10, 0x32a5705f, v13
	v_cvt_i32_f32_e32 v12, v12
	v_add_f32_e32 v11, v11, v13
	s_delay_alu instid0(VALU_DEP_1) | instskip(SKIP_1) | instid1(TRANS32_DEP_1)
	v_exp_f32_e32 v11, v11
	v_nop
	v_ldexp_f32 v11, v11, v12
	s_delay_alu instid0(VALU_DEP_1) | instskip(SKIP_1) | instid1(VALU_DEP_2)
	v_cndmask_b32_e32 v11, 0, v11, vcc_lo
	v_cmp_nlt_f32_e32 vcc_lo, 0x42b17218, v10
	v_cndmask_b32_e32 v10, 0x7f800000, v11, vcc_lo
	s_delay_alu instid0(VALU_DEP_1) | instskip(NEXT) | instid1(VALU_DEP_1)
	v_dual_mul_f32 v9, v10, v9 :: v_dual_add_f32 v10, 1.0, v10
	v_div_scale_f32 v11, null, v10, v10, v9
	s_delay_alu instid0(VALU_DEP_1) | instskip(SKIP_1) | instid1(TRANS32_DEP_1)
	v_rcp_f32_e32 v12, v11
	v_nop
	v_fma_f32 v13, -v11, v12, 1.0
	s_delay_alu instid0(VALU_DEP_1) | instskip(SKIP_1) | instid1(VALU_DEP_1)
	v_fmac_f32_e32 v12, v13, v12
	v_div_scale_f32 v13, vcc_lo, v9, v10, v9
	v_mul_f32_e32 v14, v13, v12
	s_delay_alu instid0(VALU_DEP_1) | instskip(NEXT) | instid1(VALU_DEP_1)
	v_fma_f32 v15, -v11, v14, v13
	v_fmac_f32_e32 v14, v15, v12
	s_delay_alu instid0(VALU_DEP_1) | instskip(NEXT) | instid1(VALU_DEP_1)
	v_fma_f32 v11, -v11, v14, v13
	v_div_fmas_f32 v11, v11, v12, v14
	s_delay_alu instid0(VALU_DEP_1)
	v_div_fixup_f32 v9, v11, v10, v9
.LBB88_11:
	s_or_b32 exec_lo, exec_lo, s3
	v_and_b32_e32 v4, 0xffff0000, v4
	v_and_b32_e32 v2, 0xffff0000, v2
	s_mov_b32 s3, exec_lo
	s_delay_alu instid0(VALU_DEP_2) | instskip(NEXT) | instid1(VALU_DEP_1)
	v_mul_f32_e32 v4, s9, v4
	v_cmpx_nlt_f32_e32 s10, v4
	s_cbranch_execz .LBB88_13
; %bb.12:
	v_mul_f32_e32 v10, 0x3fb8aa3b, v4
	v_cmp_ngt_f32_e32 vcc_lo, 0xc2ce8ed0, v4
	s_delay_alu instid0(VALU_DEP_2) | instskip(SKIP_1) | instid1(VALU_DEP_2)
	v_rndne_f32_e32 v11, v10
	v_fma_f32 v12, 0x3fb8aa3b, v4, -v10
	v_sub_f32_e32 v10, v10, v11
	s_delay_alu instid0(VALU_DEP_2) | instskip(SKIP_1) | instid1(VALU_DEP_2)
	v_fmamk_f32 v12, v4, 0x32a5705f, v12
	v_cvt_i32_f32_e32 v11, v11
	v_add_f32_e32 v10, v10, v12
	s_delay_alu instid0(VALU_DEP_1) | instskip(SKIP_1) | instid1(TRANS32_DEP_1)
	v_exp_f32_e32 v10, v10
	v_nop
	v_ldexp_f32 v10, v10, v11
	s_delay_alu instid0(VALU_DEP_1) | instskip(SKIP_1) | instid1(VALU_DEP_2)
	v_cndmask_b32_e32 v10, 0, v10, vcc_lo
	v_cmp_nlt_f32_e32 vcc_lo, 0x42b17218, v4
	v_cndmask_b32_e32 v4, 0x7f800000, v10, vcc_lo
	s_delay_alu instid0(VALU_DEP_1) | instskip(NEXT) | instid1(VALU_DEP_1)
	v_dual_mul_f32 v2, v4, v2 :: v_dual_add_f32 v4, 1.0, v4
	v_div_scale_f32 v10, null, v4, v4, v2
	s_delay_alu instid0(VALU_DEP_1) | instskip(SKIP_1) | instid1(TRANS32_DEP_1)
	v_rcp_f32_e32 v11, v10
	v_nop
	v_fma_f32 v12, -v10, v11, 1.0
	s_delay_alu instid0(VALU_DEP_1) | instskip(SKIP_1) | instid1(VALU_DEP_1)
	v_fmac_f32_e32 v11, v12, v11
	v_div_scale_f32 v12, vcc_lo, v2, v4, v2
	v_mul_f32_e32 v13, v12, v11
	s_delay_alu instid0(VALU_DEP_1) | instskip(NEXT) | instid1(VALU_DEP_1)
	v_fma_f32 v14, -v10, v13, v12
	v_fmac_f32_e32 v13, v14, v11
	s_delay_alu instid0(VALU_DEP_1) | instskip(NEXT) | instid1(VALU_DEP_1)
	v_fma_f32 v10, -v10, v13, v12
	v_div_fmas_f32 v10, v10, v11, v13
	s_delay_alu instid0(VALU_DEP_1)
	v_div_fixup_f32 v2, v10, v4, v2
.LBB88_13:
	s_or_b32 exec_lo, exec_lo, s3
	v_lshlrev_b32_e32 v4, 16, v5
	s_mov_b32 s3, exec_lo
	s_delay_alu instid0(VALU_DEP_1) | instskip(NEXT) | instid1(VALU_DEP_1)
	v_dual_mul_f32 v10, s9, v4 :: v_dual_lshlrev_b32 v4, 16, v3
	v_cmpx_nlt_f32_e32 s10, v10
	s_cbranch_execz .LBB88_15
; %bb.14:
	v_mul_f32_e32 v11, 0x3fb8aa3b, v10
	v_cmp_ngt_f32_e32 vcc_lo, 0xc2ce8ed0, v10
	s_delay_alu instid0(VALU_DEP_2) | instskip(SKIP_1) | instid1(VALU_DEP_2)
	v_rndne_f32_e32 v12, v11
	v_fma_f32 v13, 0x3fb8aa3b, v10, -v11
	v_sub_f32_e32 v11, v11, v12
	s_delay_alu instid0(VALU_DEP_2) | instskip(SKIP_1) | instid1(VALU_DEP_2)
	v_fmamk_f32 v13, v10, 0x32a5705f, v13
	v_cvt_i32_f32_e32 v12, v12
	v_add_f32_e32 v11, v11, v13
	s_delay_alu instid0(VALU_DEP_1) | instskip(SKIP_1) | instid1(TRANS32_DEP_1)
	v_exp_f32_e32 v11, v11
	v_nop
	v_ldexp_f32 v11, v11, v12
	s_delay_alu instid0(VALU_DEP_1) | instskip(SKIP_1) | instid1(VALU_DEP_2)
	v_cndmask_b32_e32 v11, 0, v11, vcc_lo
	v_cmp_nlt_f32_e32 vcc_lo, 0x42b17218, v10
	v_cndmask_b32_e32 v10, 0x7f800000, v11, vcc_lo
	s_delay_alu instid0(VALU_DEP_1) | instskip(NEXT) | instid1(VALU_DEP_1)
	v_dual_mul_f32 v4, v10, v4 :: v_dual_add_f32 v10, 1.0, v10
	v_div_scale_f32 v11, null, v10, v10, v4
	s_delay_alu instid0(VALU_DEP_1) | instskip(SKIP_1) | instid1(TRANS32_DEP_1)
	v_rcp_f32_e32 v12, v11
	v_nop
	v_fma_f32 v13, -v11, v12, 1.0
	s_delay_alu instid0(VALU_DEP_1) | instskip(SKIP_1) | instid1(VALU_DEP_1)
	v_fmac_f32_e32 v12, v13, v12
	v_div_scale_f32 v13, vcc_lo, v4, v10, v4
	v_mul_f32_e32 v14, v13, v12
	s_delay_alu instid0(VALU_DEP_1) | instskip(NEXT) | instid1(VALU_DEP_1)
	v_fma_f32 v15, -v11, v14, v13
	v_fmac_f32_e32 v14, v15, v12
	s_delay_alu instid0(VALU_DEP_1) | instskip(NEXT) | instid1(VALU_DEP_1)
	v_fma_f32 v11, -v11, v14, v13
	v_div_fmas_f32 v11, v11, v12, v14
	s_delay_alu instid0(VALU_DEP_1)
	v_div_fixup_f32 v4, v11, v10, v4
.LBB88_15:
	s_or_b32 exec_lo, exec_lo, s3
	v_and_b32_e32 v5, 0xffff0000, v5
	v_and_b32_e32 v3, 0xffff0000, v3
	s_mov_b32 s3, exec_lo
	s_delay_alu instid0(VALU_DEP_2) | instskip(NEXT) | instid1(VALU_DEP_1)
	v_mul_f32_e32 v5, s9, v5
	v_cmpx_nlt_f32_e32 s10, v5
	s_cbranch_execz .LBB88_17
; %bb.16:
	v_mul_f32_e32 v10, 0x3fb8aa3b, v5
	v_cmp_ngt_f32_e32 vcc_lo, 0xc2ce8ed0, v5
	s_delay_alu instid0(VALU_DEP_2) | instskip(SKIP_1) | instid1(VALU_DEP_2)
	v_rndne_f32_e32 v11, v10
	v_fma_f32 v12, 0x3fb8aa3b, v5, -v10
	v_sub_f32_e32 v10, v10, v11
	s_delay_alu instid0(VALU_DEP_2) | instskip(SKIP_1) | instid1(VALU_DEP_2)
	v_fmamk_f32 v12, v5, 0x32a5705f, v12
	v_cvt_i32_f32_e32 v11, v11
	v_add_f32_e32 v10, v10, v12
	s_delay_alu instid0(VALU_DEP_1) | instskip(SKIP_1) | instid1(TRANS32_DEP_1)
	v_exp_f32_e32 v10, v10
	v_nop
	v_ldexp_f32 v10, v10, v11
	s_delay_alu instid0(VALU_DEP_1) | instskip(SKIP_1) | instid1(VALU_DEP_2)
	v_cndmask_b32_e32 v10, 0, v10, vcc_lo
	v_cmp_nlt_f32_e32 vcc_lo, 0x42b17218, v5
	v_cndmask_b32_e32 v5, 0x7f800000, v10, vcc_lo
	s_delay_alu instid0(VALU_DEP_1) | instskip(NEXT) | instid1(VALU_DEP_1)
	v_dual_mul_f32 v3, v5, v3 :: v_dual_add_f32 v5, 1.0, v5
	v_div_scale_f32 v10, null, v5, v5, v3
	s_delay_alu instid0(VALU_DEP_1) | instskip(SKIP_1) | instid1(TRANS32_DEP_1)
	v_rcp_f32_e32 v11, v10
	v_nop
	v_fma_f32 v12, -v10, v11, 1.0
	s_delay_alu instid0(VALU_DEP_1) | instskip(SKIP_1) | instid1(VALU_DEP_1)
	v_fmac_f32_e32 v11, v12, v11
	v_div_scale_f32 v12, vcc_lo, v3, v5, v3
	v_mul_f32_e32 v13, v12, v11
	s_delay_alu instid0(VALU_DEP_1) | instskip(NEXT) | instid1(VALU_DEP_1)
	v_fma_f32 v14, -v10, v13, v12
	v_fmac_f32_e32 v13, v14, v11
	s_delay_alu instid0(VALU_DEP_1) | instskip(NEXT) | instid1(VALU_DEP_1)
	v_fma_f32 v10, -v10, v13, v12
	v_div_fmas_f32 v10, v10, v11, v13
	s_delay_alu instid0(VALU_DEP_1)
	v_div_fixup_f32 v3, v10, v5, v3
.LBB88_17:
	s_or_b32 exec_lo, exec_lo, s3
	v_bfe_u32 v5, v9, 16, 1
	v_bfe_u32 v10, v2, 16, 1
	v_bfe_u32 v11, v1, 16, 1
	v_cmp_o_f32_e32 vcc_lo, v9, v9
	v_bfe_u32 v12, v4, 16, 1
	v_add3_u32 v5, v9, v5, 0x7fff
	v_add3_u32 v10, v2, v10, 0x7fff
	;; [unrolled: 1-line block ×3, first 2 shown]
	v_bfe_u32 v13, v6, 16, 1
	v_add3_u32 v12, v4, v12, 0x7fff
	v_lshrrev_b32_e32 v5, 16, v5
	v_and_b32_e32 v10, 0xffff0000, v10
	v_lshrrev_b32_e32 v11, 16, v11
	v_add3_u32 v13, v6, v13, 0x7fff
	s_add_nc_u64 s[14:15], s[4:5], s[0:1]
	v_cndmask_b32_e32 v5, 0x7fc0, v5, vcc_lo
	v_cmp_o_f32_e32 vcc_lo, v2, v2
	s_mov_b32 s0, 0
	v_lshrrev_b32_e32 v9, 16, v12
	v_bfe_u32 v12, v7, 16, 1
	v_cndmask_b32_e32 v2, 0x7fc00000, v10, vcc_lo
	v_cmp_o_f32_e32 vcc_lo, v1, v1
	v_and_b32_e32 v10, 0xffff0000, v13
	v_bfe_u32 v13, v3, 16, 1
	v_cndmask_b32_e32 v1, 0x7fc0, v11, vcc_lo
	v_bfe_u32 v11, v8, 16, 1
	v_cmp_o_f32_e32 vcc_lo, v6, v6
	v_cndmask_b32_e32 v6, 0x7fc00000, v10, vcc_lo
	s_delay_alu instid0(VALU_DEP_3) | instskip(SKIP_3) | instid1(VALU_DEP_4)
	v_add3_u32 v10, v8, v11, 0x7fff
	v_cmp_o_f32_e32 vcc_lo, v4, v4
	v_add3_u32 v11, v7, v12, 0x7fff
	v_add3_u32 v12, v3, v13, 0x7fff
	v_dual_cndmask_b32 v4, 0x7fc0, v9 :: v_dual_lshrrev_b32 v9, 16, v10
	v_cmp_o_f32_e32 vcc_lo, v8, v8
	v_or_b32_e32 v1, v6, v1
	v_and_b32_e32 v6, 0xffff0000, v11
	v_and_b32_e32 v10, 0xffff0000, v12
	v_cndmask_b32_e32 v8, 0x7fc0, v9, vcc_lo
	v_cmp_o_f32_e32 vcc_lo, v7, v7
	v_or_b32_e32 v9, v2, v5
	v_or3_b32 v2, v1, 0, 0
	v_cndmask_b32_e32 v6, 0x7fc00000, v6, vcc_lo
	v_cmp_o_f32_e32 vcc_lo, v3, v3
	s_delay_alu instid0(VALU_DEP_2) | instskip(SKIP_1) | instid1(VALU_DEP_1)
	v_or3_b32 v3, 0, v8, v6
	v_cndmask_b32_e32 v7, 0x7fc00000, v10, vcc_lo
	v_or3_b32 v5, 0, v4, v7
	v_or3_b32 v4, v9, 0, 0
	s_clause 0x1
	global_store_b64 v0, v[2:3], s[14:15] scale_offset
	global_store_b64 v0, v[4:5], s[14:15] offset:2048 scale_offset
.LBB88_18:
	s_and_b32 vcc_lo, exec_lo, s0
	s_cbranch_vccz .LBB88_75
; %bb.19:
	v_cmp_gt_i32_e64 s0, s8, v0
	v_dual_mov_b32 v12, 0 :: v_dual_bitop2_b32 v1, s2, v0 bitop3:0x54
	s_wait_xcnt 0x1
	v_or_b32_e32 v2, 0x100, v0
	s_wait_xcnt 0x0
	v_dual_mov_b32 v5, v0 :: v_dual_mov_b32 v19, 0
	v_mov_b32_e32 v10, 0
	s_and_saveexec_b32 s1, s0
	s_cbranch_execz .LBB88_21
; %bb.20:
	s_clause 0x1
	global_load_u16 v3, v1, s[12:13] scale_offset
	global_load_u16 v4, v1, s[6:7] scale_offset
	v_or_b32_e32 v5, 0x100, v0
	s_wait_loadcnt 0x0
	v_dual_lshlrev_b32 v19, 16, v3 :: v_dual_lshlrev_b32 v10, 16, v4
.LBB88_21:
	s_wait_xcnt 0x0
	s_or_b32 exec_lo, exec_lo, s1
	v_mov_b32_e32 v18, 0
	s_mov_b32 s1, exec_lo
	v_cmpx_gt_i32_e64 s8, v5
	s_cbranch_execz .LBB88_23
; %bb.22:
	v_add_nc_u32_e32 v3, s2, v5
	v_add_nc_u32_e32 v5, 0x100, v5
	s_clause 0x1
	global_load_u16 v4, v3, s[12:13] scale_offset
	global_load_u16 v6, v3, s[6:7] scale_offset
	s_wait_loadcnt 0x0
	v_dual_lshlrev_b32 v12, 16, v4 :: v_dual_lshlrev_b32 v18, 16, v6
.LBB88_23:
	s_wait_xcnt 0x0
	s_or_b32 exec_lo, exec_lo, s1
	v_dual_mov_b32 v15, 0 :: v_dual_mov_b32 v17, 0
	v_mov_b32_e32 v16, 0
	s_mov_b32 s1, exec_lo
	v_cmpx_gt_i32_e64 s8, v5
	s_cbranch_execz .LBB88_25
; %bb.24:
	v_add_nc_u32_e32 v3, s2, v5
	v_add_nc_u32_e32 v5, 0x100, v5
	s_clause 0x1
	global_load_u16 v4, v3, s[12:13] scale_offset
	global_load_u16 v6, v3, s[6:7] scale_offset
	s_wait_loadcnt 0x0
	v_dual_lshlrev_b32 v17, 16, v4 :: v_dual_lshlrev_b32 v16, 16, v6
.LBB88_25:
	s_wait_xcnt 0x0
	s_or_b32 exec_lo, exec_lo, s1
	v_mov_b32_e32 v14, 0
	s_mov_b32 s1, exec_lo
	v_cmpx_gt_i32_e64 s8, v5
	s_cbranch_execz .LBB88_27
; %bb.26:
	v_add_nc_u32_e32 v3, s2, v5
	v_add_nc_u32_e32 v5, 0x100, v5
	s_clause 0x1
	global_load_u16 v4, v3, s[12:13] scale_offset
	global_load_u16 v6, v3, s[6:7] scale_offset
	s_wait_loadcnt 0x0
	v_dual_lshlrev_b32 v15, 16, v4 :: v_dual_lshlrev_b32 v14, 16, v6
.LBB88_27:
	s_wait_xcnt 0x0
	s_or_b32 exec_lo, exec_lo, s1
	v_dual_mov_b32 v9, 0 :: v_dual_mov_b32 v13, 0
	v_mov_b32_e32 v11, 0
	s_mov_b32 s1, exec_lo
	v_cmpx_gt_i32_e64 s8, v5
	s_cbranch_execz .LBB88_29
; %bb.28:
	v_add_nc_u32_e32 v3, s2, v5
	v_add_nc_u32_e32 v5, 0x100, v5
	s_clause 0x1
	global_load_u16 v4, v3, s[12:13] scale_offset
	global_load_u16 v6, v3, s[6:7] scale_offset
	s_wait_loadcnt 0x0
	v_dual_lshlrev_b32 v13, 16, v4 :: v_dual_lshlrev_b32 v11, 16, v6
.LBB88_29:
	s_wait_xcnt 0x0
	s_or_b32 exec_lo, exec_lo, s1
	v_mov_b32_e32 v8, 0
	s_mov_b32 s1, exec_lo
	v_cmpx_gt_i32_e64 s8, v5
	s_cbranch_execz .LBB88_31
; %bb.30:
	v_add_nc_u32_e32 v3, s2, v5
	v_add_nc_u32_e32 v5, 0x100, v5
	s_clause 0x1
	global_load_u16 v4, v3, s[12:13] scale_offset
	global_load_u16 v6, v3, s[6:7] scale_offset
	s_wait_loadcnt 0x0
	v_dual_lshlrev_b32 v9, 16, v4 :: v_dual_lshlrev_b32 v8, 16, v6
.LBB88_31:
	s_wait_xcnt 0x0
	s_or_b32 exec_lo, exec_lo, s1
	v_dual_mov_b32 v4, 0 :: v_dual_mov_b32 v7, 0
	v_mov_b32_e32 v6, 0
	s_mov_b32 s1, exec_lo
	v_cmpx_gt_i32_e64 s8, v5
	s_cbranch_execz .LBB88_33
; %bb.32:
	v_add_nc_u32_e32 v3, s2, v5
	v_add_nc_u32_e32 v5, 0x100, v5
	s_clause 0x1
	global_load_u16 v6, v3, s[12:13] scale_offset
	global_load_u16 v20, v3, s[6:7] scale_offset
	s_wait_loadcnt 0x0
	v_dual_lshlrev_b32 v7, 16, v6 :: v_dual_lshlrev_b32 v6, 16, v20
.LBB88_33:
	s_wait_xcnt 0x0
	s_or_b32 exec_lo, exec_lo, s1
	v_mov_b32_e32 v3, 0
	s_mov_b32 s1, exec_lo
	v_cmpx_gt_i32_e64 s8, v5
	s_cbranch_execz .LBB88_35
; %bb.34:
	v_add_nc_u32_e32 v3, s2, v5
	s_clause 0x1
	global_load_u16 v4, v3, s[12:13] scale_offset
	global_load_u16 v5, v3, s[6:7] scale_offset
	s_wait_loadcnt 0x0
	v_dual_lshlrev_b32 v4, 16, v4 :: v_dual_lshlrev_b32 v3, 16, v5
	s_or_b32 exec_lo, exec_lo, s1
                                        ; implicit-def: $vgpr5
	s_and_saveexec_b32 s1, s0
	s_cbranch_execz .LBB88_39
	s_branch .LBB88_36
.LBB88_35:
	s_or_b32 exec_lo, exec_lo, s1
                                        ; implicit-def: $vgpr5
	s_and_saveexec_b32 s1, s0
	s_cbranch_execz .LBB88_39
.LBB88_36:
	v_mul_f32_e32 v5, s9, v19
	s_mov_b32 s3, exec_lo
	s_delay_alu instid0(VALU_DEP_1)
	v_cmpx_nlt_f32_e32 s10, v5
	s_cbranch_execz .LBB88_38
; %bb.37:
	v_mul_f32_e32 v19, 0x3fb8aa3b, v5
	v_cmp_ngt_f32_e32 vcc_lo, 0xc2ce8ed0, v5
	s_delay_alu instid0(VALU_DEP_2) | instskip(SKIP_1) | instid1(VALU_DEP_2)
	v_rndne_f32_e32 v20, v19
	v_fma_f32 v21, 0x3fb8aa3b, v5, -v19
	v_sub_f32_e32 v19, v19, v20
	s_delay_alu instid0(VALU_DEP_2) | instskip(SKIP_1) | instid1(VALU_DEP_2)
	v_fmamk_f32 v21, v5, 0x32a5705f, v21
	v_cvt_i32_f32_e32 v20, v20
	v_add_f32_e32 v19, v19, v21
	s_delay_alu instid0(VALU_DEP_1) | instskip(SKIP_1) | instid1(TRANS32_DEP_1)
	v_exp_f32_e32 v19, v19
	v_nop
	v_ldexp_f32 v19, v19, v20
	s_delay_alu instid0(VALU_DEP_1) | instskip(SKIP_1) | instid1(VALU_DEP_2)
	v_cndmask_b32_e32 v19, 0, v19, vcc_lo
	v_cmp_nlt_f32_e32 vcc_lo, 0x42b17218, v5
	v_cndmask_b32_e32 v5, 0x7f800000, v19, vcc_lo
	s_delay_alu instid0(VALU_DEP_1) | instskip(NEXT) | instid1(VALU_DEP_1)
	v_dual_mul_f32 v10, v10, v5 :: v_dual_add_f32 v5, 1.0, v5
	v_div_scale_f32 v19, null, v5, v5, v10
	s_delay_alu instid0(VALU_DEP_1) | instskip(SKIP_1) | instid1(TRANS32_DEP_1)
	v_rcp_f32_e32 v20, v19
	v_nop
	v_fma_f32 v21, -v19, v20, 1.0
	s_delay_alu instid0(VALU_DEP_1) | instskip(SKIP_1) | instid1(VALU_DEP_1)
	v_fmac_f32_e32 v20, v21, v20
	v_div_scale_f32 v21, vcc_lo, v10, v5, v10
	v_mul_f32_e32 v22, v21, v20
	s_delay_alu instid0(VALU_DEP_1) | instskip(NEXT) | instid1(VALU_DEP_1)
	v_fma_f32 v23, -v19, v22, v21
	v_fmac_f32_e32 v22, v23, v20
	s_delay_alu instid0(VALU_DEP_1) | instskip(NEXT) | instid1(VALU_DEP_1)
	v_fma_f32 v19, -v19, v22, v21
	v_div_fmas_f32 v19, v19, v20, v22
	s_delay_alu instid0(VALU_DEP_1)
	v_div_fixup_f32 v10, v19, v5, v10
.LBB88_38:
	s_or_b32 exec_lo, exec_lo, s3
	s_delay_alu instid0(VALU_DEP_1) | instskip(SKIP_1) | instid1(VALU_DEP_2)
	v_bfe_u32 v5, v10, 16, 1
	v_cmp_o_f32_e32 vcc_lo, v10, v10
	v_add3_u32 v5, v10, v5, 0x7fff
	s_delay_alu instid0(VALU_DEP_1) | instskip(NEXT) | instid1(VALU_DEP_1)
	v_lshrrev_b32_e32 v5, 16, v5
	v_cndmask_b32_e32 v5, 0x7fc0, v5, vcc_lo
.LBB88_39:
	s_or_b32 exec_lo, exec_lo, s1
	s_delay_alu instid0(SALU_CYCLE_1)
	s_mov_b32 s1, exec_lo
                                        ; implicit-def: $vgpr10
	v_cmpx_gt_i32_e64 s8, v2
	s_cbranch_execz .LBB88_43
; %bb.40:
	v_mul_f32_e32 v10, s9, v12
	s_mov_b32 s3, exec_lo
	s_delay_alu instid0(VALU_DEP_1)
	v_cmpx_nlt_f32_e32 s10, v10
	s_cbranch_execz .LBB88_42
; %bb.41:
	v_mul_f32_e32 v12, 0x3fb8aa3b, v10
	v_cmp_ngt_f32_e32 vcc_lo, 0xc2ce8ed0, v10
	s_delay_alu instid0(VALU_DEP_2) | instskip(SKIP_1) | instid1(VALU_DEP_2)
	v_rndne_f32_e32 v19, v12
	v_fma_f32 v20, 0x3fb8aa3b, v10, -v12
	v_sub_f32_e32 v12, v12, v19
	s_delay_alu instid0(VALU_DEP_2) | instskip(SKIP_1) | instid1(VALU_DEP_2)
	v_fmamk_f32 v20, v10, 0x32a5705f, v20
	v_cvt_i32_f32_e32 v19, v19
	v_add_f32_e32 v12, v12, v20
	s_delay_alu instid0(VALU_DEP_1) | instskip(SKIP_1) | instid1(TRANS32_DEP_1)
	v_exp_f32_e32 v12, v12
	v_nop
	v_ldexp_f32 v12, v12, v19
	s_delay_alu instid0(VALU_DEP_1) | instskip(SKIP_1) | instid1(VALU_DEP_2)
	v_cndmask_b32_e32 v12, 0, v12, vcc_lo
	v_cmp_nlt_f32_e32 vcc_lo, 0x42b17218, v10
	v_cndmask_b32_e32 v10, 0x7f800000, v12, vcc_lo
	s_delay_alu instid0(VALU_DEP_1) | instskip(NEXT) | instid1(VALU_DEP_1)
	v_dual_mul_f32 v12, v18, v10 :: v_dual_add_f32 v10, 1.0, v10
	v_div_scale_f32 v18, null, v10, v10, v12
	s_delay_alu instid0(VALU_DEP_1) | instskip(SKIP_1) | instid1(TRANS32_DEP_1)
	v_rcp_f32_e32 v19, v18
	v_nop
	v_fma_f32 v20, -v18, v19, 1.0
	s_delay_alu instid0(VALU_DEP_1) | instskip(SKIP_1) | instid1(VALU_DEP_1)
	v_fmac_f32_e32 v19, v20, v19
	v_div_scale_f32 v20, vcc_lo, v12, v10, v12
	v_mul_f32_e32 v21, v20, v19
	s_delay_alu instid0(VALU_DEP_1) | instskip(NEXT) | instid1(VALU_DEP_1)
	v_fma_f32 v22, -v18, v21, v20
	v_fmac_f32_e32 v21, v22, v19
	s_delay_alu instid0(VALU_DEP_1) | instskip(NEXT) | instid1(VALU_DEP_1)
	v_fma_f32 v18, -v18, v21, v20
	v_div_fmas_f32 v18, v18, v19, v21
	s_delay_alu instid0(VALU_DEP_1)
	v_div_fixup_f32 v18, v18, v10, v12
.LBB88_42:
	s_or_b32 exec_lo, exec_lo, s3
	s_delay_alu instid0(VALU_DEP_1) | instskip(SKIP_1) | instid1(VALU_DEP_2)
	v_bfe_u32 v10, v18, 16, 1
	v_cmp_o_f32_e32 vcc_lo, v18, v18
	v_add3_u32 v10, v18, v10, 0x7fff
	s_delay_alu instid0(VALU_DEP_1) | instskip(NEXT) | instid1(VALU_DEP_1)
	v_lshrrev_b32_e32 v10, 16, v10
	v_cndmask_b32_e32 v10, 0x7fc0, v10, vcc_lo
.LBB88_43:
	s_or_b32 exec_lo, exec_lo, s1
	v_or_b32_e32 v12, 0x200, v0
	s_delay_alu instid0(VALU_DEP_1)
	v_cmp_gt_i32_e32 vcc_lo, s8, v12
                                        ; implicit-def: $vgpr12
	s_and_saveexec_b32 s1, vcc_lo
	s_cbranch_execz .LBB88_47
; %bb.44:
	v_mul_f32_e32 v12, s9, v17
	s_mov_b32 s3, exec_lo
	s_delay_alu instid0(VALU_DEP_1)
	v_cmpx_nlt_f32_e32 s10, v12
	s_cbranch_execz .LBB88_46
; %bb.45:
	v_mul_f32_e32 v17, 0x3fb8aa3b, v12
	v_cmp_ngt_f32_e32 vcc_lo, 0xc2ce8ed0, v12
	s_delay_alu instid0(VALU_DEP_2) | instskip(SKIP_1) | instid1(VALU_DEP_2)
	v_rndne_f32_e32 v18, v17
	v_fma_f32 v19, 0x3fb8aa3b, v12, -v17
	v_sub_f32_e32 v17, v17, v18
	s_delay_alu instid0(VALU_DEP_2) | instskip(SKIP_1) | instid1(VALU_DEP_2)
	v_fmamk_f32 v19, v12, 0x32a5705f, v19
	v_cvt_i32_f32_e32 v18, v18
	v_add_f32_e32 v17, v17, v19
	s_delay_alu instid0(VALU_DEP_1) | instskip(SKIP_1) | instid1(TRANS32_DEP_1)
	v_exp_f32_e32 v17, v17
	v_nop
	v_ldexp_f32 v17, v17, v18
	s_delay_alu instid0(VALU_DEP_1) | instskip(SKIP_1) | instid1(VALU_DEP_2)
	v_cndmask_b32_e32 v17, 0, v17, vcc_lo
	v_cmp_nlt_f32_e32 vcc_lo, 0x42b17218, v12
	v_cndmask_b32_e32 v12, 0x7f800000, v17, vcc_lo
	s_delay_alu instid0(VALU_DEP_1) | instskip(NEXT) | instid1(VALU_DEP_1)
	v_dual_mul_f32 v16, v16, v12 :: v_dual_add_f32 v12, 1.0, v12
	v_div_scale_f32 v17, null, v12, v12, v16
	s_delay_alu instid0(VALU_DEP_1) | instskip(SKIP_1) | instid1(TRANS32_DEP_1)
	v_rcp_f32_e32 v18, v17
	v_nop
	v_fma_f32 v19, -v17, v18, 1.0
	s_delay_alu instid0(VALU_DEP_1) | instskip(SKIP_1) | instid1(VALU_DEP_1)
	v_fmac_f32_e32 v18, v19, v18
	v_div_scale_f32 v19, vcc_lo, v16, v12, v16
	v_mul_f32_e32 v20, v19, v18
	s_delay_alu instid0(VALU_DEP_1) | instskip(NEXT) | instid1(VALU_DEP_1)
	v_fma_f32 v21, -v17, v20, v19
	v_fmac_f32_e32 v20, v21, v18
	s_delay_alu instid0(VALU_DEP_1) | instskip(NEXT) | instid1(VALU_DEP_1)
	v_fma_f32 v17, -v17, v20, v19
	v_div_fmas_f32 v17, v17, v18, v20
	s_delay_alu instid0(VALU_DEP_1)
	v_div_fixup_f32 v16, v17, v12, v16
.LBB88_46:
	s_or_b32 exec_lo, exec_lo, s3
	s_delay_alu instid0(VALU_DEP_1) | instskip(SKIP_1) | instid1(VALU_DEP_2)
	v_bfe_u32 v12, v16, 16, 1
	v_cmp_o_f32_e32 vcc_lo, v16, v16
	v_add3_u32 v12, v16, v12, 0x7fff
	s_delay_alu instid0(VALU_DEP_1) | instskip(NEXT) | instid1(VALU_DEP_1)
	v_lshrrev_b32_e32 v12, 16, v12
	v_cndmask_b32_e32 v12, 0x7fc0, v12, vcc_lo
.LBB88_47:
	s_or_b32 exec_lo, exec_lo, s1
	v_or_b32_e32 v16, 0x300, v0
	s_delay_alu instid0(VALU_DEP_1)
	v_cmp_gt_i32_e32 vcc_lo, s8, v16
                                        ; implicit-def: $vgpr16
	s_and_saveexec_b32 s1, vcc_lo
	s_cbranch_execz .LBB88_51
; %bb.48:
	v_mul_f32_e32 v15, s9, v15
	s_mov_b32 s3, exec_lo
	s_delay_alu instid0(VALU_DEP_1)
	v_cmpx_nlt_f32_e32 s10, v15
	s_cbranch_execz .LBB88_50
; %bb.49:
	v_mul_f32_e32 v16, 0x3fb8aa3b, v15
	v_cmp_ngt_f32_e32 vcc_lo, 0xc2ce8ed0, v15
	s_delay_alu instid0(VALU_DEP_2) | instskip(SKIP_1) | instid1(VALU_DEP_2)
	v_rndne_f32_e32 v17, v16
	v_fma_f32 v18, 0x3fb8aa3b, v15, -v16
	v_sub_f32_e32 v16, v16, v17
	s_delay_alu instid0(VALU_DEP_2) | instskip(SKIP_1) | instid1(VALU_DEP_2)
	v_fmamk_f32 v18, v15, 0x32a5705f, v18
	v_cvt_i32_f32_e32 v17, v17
	v_add_f32_e32 v16, v16, v18
	s_delay_alu instid0(VALU_DEP_1) | instskip(SKIP_1) | instid1(TRANS32_DEP_1)
	v_exp_f32_e32 v16, v16
	v_nop
	v_ldexp_f32 v16, v16, v17
	s_delay_alu instid0(VALU_DEP_1) | instskip(SKIP_1) | instid1(VALU_DEP_2)
	v_cndmask_b32_e32 v16, 0, v16, vcc_lo
	v_cmp_nlt_f32_e32 vcc_lo, 0x42b17218, v15
	v_cndmask_b32_e32 v15, 0x7f800000, v16, vcc_lo
	s_delay_alu instid0(VALU_DEP_1) | instskip(NEXT) | instid1(VALU_DEP_1)
	v_dual_mul_f32 v14, v14, v15 :: v_dual_add_f32 v15, 1.0, v15
	v_div_scale_f32 v16, null, v15, v15, v14
	s_delay_alu instid0(VALU_DEP_1) | instskip(SKIP_1) | instid1(TRANS32_DEP_1)
	v_rcp_f32_e32 v17, v16
	v_nop
	v_fma_f32 v18, -v16, v17, 1.0
	s_delay_alu instid0(VALU_DEP_1) | instskip(SKIP_1) | instid1(VALU_DEP_1)
	v_fmac_f32_e32 v17, v18, v17
	v_div_scale_f32 v18, vcc_lo, v14, v15, v14
	v_mul_f32_e32 v19, v18, v17
	s_delay_alu instid0(VALU_DEP_1) | instskip(NEXT) | instid1(VALU_DEP_1)
	v_fma_f32 v20, -v16, v19, v18
	v_fmac_f32_e32 v19, v20, v17
	s_delay_alu instid0(VALU_DEP_1) | instskip(NEXT) | instid1(VALU_DEP_1)
	v_fma_f32 v16, -v16, v19, v18
	v_div_fmas_f32 v16, v16, v17, v19
	s_delay_alu instid0(VALU_DEP_1)
	v_div_fixup_f32 v14, v16, v15, v14
.LBB88_50:
	s_or_b32 exec_lo, exec_lo, s3
	s_delay_alu instid0(VALU_DEP_1) | instskip(SKIP_1) | instid1(VALU_DEP_2)
	v_bfe_u32 v15, v14, 16, 1
	v_cmp_o_f32_e32 vcc_lo, v14, v14
	v_add3_u32 v15, v14, v15, 0x7fff
	s_delay_alu instid0(VALU_DEP_1) | instskip(NEXT) | instid1(VALU_DEP_1)
	v_lshrrev_b32_e32 v15, 16, v15
	v_cndmask_b32_e32 v16, 0x7fc0, v15, vcc_lo
.LBB88_51:
	s_or_b32 exec_lo, exec_lo, s1
	v_or_b32_e32 v14, 0x400, v0
	s_delay_alu instid0(VALU_DEP_1)
	v_cmp_gt_i32_e32 vcc_lo, s8, v14
                                        ; implicit-def: $vgpr14
	s_and_saveexec_b32 s1, vcc_lo
	s_cbranch_execz .LBB88_55
; %bb.52:
	v_mul_f32_e32 v13, s9, v13
	s_mov_b32 s3, exec_lo
	s_delay_alu instid0(VALU_DEP_1)
	v_cmpx_nlt_f32_e32 s10, v13
	s_cbranch_execz .LBB88_54
; %bb.53:
	v_mul_f32_e32 v14, 0x3fb8aa3b, v13
	v_cmp_ngt_f32_e32 vcc_lo, 0xc2ce8ed0, v13
	s_delay_alu instid0(VALU_DEP_2) | instskip(SKIP_1) | instid1(VALU_DEP_1)
	v_rndne_f32_e32 v15, v14
	v_fma_f32 v17, 0x3fb8aa3b, v13, -v14
	v_dual_sub_f32 v14, v14, v15 :: v_dual_fmamk_f32 v17, v13, 0x32a5705f, v17
	v_cvt_i32_f32_e32 v15, v15
	s_delay_alu instid0(VALU_DEP_2) | instskip(NEXT) | instid1(VALU_DEP_1)
	v_add_f32_e32 v14, v14, v17
	v_exp_f32_e32 v14, v14
	v_nop
	s_delay_alu instid0(TRANS32_DEP_1) | instskip(NEXT) | instid1(VALU_DEP_1)
	v_ldexp_f32 v14, v14, v15
	v_cndmask_b32_e32 v14, 0, v14, vcc_lo
	v_cmp_nlt_f32_e32 vcc_lo, 0x42b17218, v13
	s_delay_alu instid0(VALU_DEP_2) | instskip(NEXT) | instid1(VALU_DEP_1)
	v_cndmask_b32_e32 v13, 0x7f800000, v14, vcc_lo
	v_dual_mul_f32 v11, v11, v13 :: v_dual_add_f32 v13, 1.0, v13
	s_delay_alu instid0(VALU_DEP_1) | instskip(NEXT) | instid1(VALU_DEP_1)
	v_div_scale_f32 v14, null, v13, v13, v11
	v_rcp_f32_e32 v15, v14
	v_nop
	s_delay_alu instid0(TRANS32_DEP_1) | instskip(NEXT) | instid1(VALU_DEP_1)
	v_fma_f32 v17, -v14, v15, 1.0
	v_fmac_f32_e32 v15, v17, v15
	v_div_scale_f32 v17, vcc_lo, v11, v13, v11
	s_delay_alu instid0(VALU_DEP_1) | instskip(NEXT) | instid1(VALU_DEP_1)
	v_mul_f32_e32 v18, v17, v15
	v_fma_f32 v19, -v14, v18, v17
	s_delay_alu instid0(VALU_DEP_1) | instskip(NEXT) | instid1(VALU_DEP_1)
	v_fmac_f32_e32 v18, v19, v15
	v_fma_f32 v14, -v14, v18, v17
	s_delay_alu instid0(VALU_DEP_1) | instskip(NEXT) | instid1(VALU_DEP_1)
	v_div_fmas_f32 v14, v14, v15, v18
	v_div_fixup_f32 v11, v14, v13, v11
.LBB88_54:
	s_or_b32 exec_lo, exec_lo, s3
	s_delay_alu instid0(VALU_DEP_1) | instskip(SKIP_1) | instid1(VALU_DEP_2)
	v_bfe_u32 v13, v11, 16, 1
	v_cmp_o_f32_e32 vcc_lo, v11, v11
	v_add3_u32 v13, v11, v13, 0x7fff
	s_delay_alu instid0(VALU_DEP_1) | instskip(NEXT) | instid1(VALU_DEP_1)
	v_lshrrev_b32_e32 v13, 16, v13
	v_cndmask_b32_e32 v14, 0x7fc0, v13, vcc_lo
.LBB88_55:
	s_or_b32 exec_lo, exec_lo, s1
	v_or_b32_e32 v11, 0x500, v0
	s_delay_alu instid0(VALU_DEP_1)
	v_cmp_gt_i32_e32 vcc_lo, s8, v11
                                        ; implicit-def: $vgpr11
	s_and_saveexec_b32 s1, vcc_lo
	s_cbranch_execz .LBB88_59
; %bb.56:
	v_mul_f32_e32 v9, s9, v9
	s_mov_b32 s3, exec_lo
	s_delay_alu instid0(VALU_DEP_1)
	v_cmpx_nlt_f32_e32 s10, v9
	s_cbranch_execz .LBB88_58
; %bb.57:
	v_mul_f32_e32 v11, 0x3fb8aa3b, v9
	v_cmp_ngt_f32_e32 vcc_lo, 0xc2ce8ed0, v9
	s_delay_alu instid0(VALU_DEP_2) | instskip(SKIP_1) | instid1(VALU_DEP_2)
	v_rndne_f32_e32 v13, v11
	v_fma_f32 v15, 0x3fb8aa3b, v9, -v11
	v_sub_f32_e32 v11, v11, v13
	s_delay_alu instid0(VALU_DEP_2) | instskip(SKIP_1) | instid1(VALU_DEP_2)
	v_fmamk_f32 v15, v9, 0x32a5705f, v15
	v_cvt_i32_f32_e32 v13, v13
	v_add_f32_e32 v11, v11, v15
	s_delay_alu instid0(VALU_DEP_1) | instskip(SKIP_1) | instid1(TRANS32_DEP_1)
	v_exp_f32_e32 v11, v11
	v_nop
	v_ldexp_f32 v11, v11, v13
	s_delay_alu instid0(VALU_DEP_1) | instskip(SKIP_1) | instid1(VALU_DEP_2)
	v_cndmask_b32_e32 v11, 0, v11, vcc_lo
	v_cmp_nlt_f32_e32 vcc_lo, 0x42b17218, v9
	v_cndmask_b32_e32 v9, 0x7f800000, v11, vcc_lo
	s_delay_alu instid0(VALU_DEP_1) | instskip(NEXT) | instid1(VALU_DEP_1)
	v_dual_mul_f32 v8, v8, v9 :: v_dual_add_f32 v9, 1.0, v9
	v_div_scale_f32 v11, null, v9, v9, v8
	s_delay_alu instid0(VALU_DEP_1) | instskip(SKIP_1) | instid1(TRANS32_DEP_1)
	v_rcp_f32_e32 v13, v11
	v_nop
	v_fma_f32 v15, -v11, v13, 1.0
	s_delay_alu instid0(VALU_DEP_1) | instskip(SKIP_1) | instid1(VALU_DEP_1)
	v_fmac_f32_e32 v13, v15, v13
	v_div_scale_f32 v15, vcc_lo, v8, v9, v8
	v_mul_f32_e32 v17, v15, v13
	s_delay_alu instid0(VALU_DEP_1) | instskip(NEXT) | instid1(VALU_DEP_1)
	v_fma_f32 v18, -v11, v17, v15
	v_fmac_f32_e32 v17, v18, v13
	s_delay_alu instid0(VALU_DEP_1) | instskip(NEXT) | instid1(VALU_DEP_1)
	v_fma_f32 v11, -v11, v17, v15
	v_div_fmas_f32 v11, v11, v13, v17
	s_delay_alu instid0(VALU_DEP_1)
	v_div_fixup_f32 v8, v11, v9, v8
.LBB88_58:
	s_or_b32 exec_lo, exec_lo, s3
	s_delay_alu instid0(VALU_DEP_1) | instskip(SKIP_1) | instid1(VALU_DEP_2)
	v_bfe_u32 v9, v8, 16, 1
	v_cmp_o_f32_e32 vcc_lo, v8, v8
	v_add3_u32 v9, v8, v9, 0x7fff
	s_delay_alu instid0(VALU_DEP_1) | instskip(NEXT) | instid1(VALU_DEP_1)
	v_lshrrev_b32_e32 v9, 16, v9
	v_cndmask_b32_e32 v11, 0x7fc0, v9, vcc_lo
.LBB88_59:
	s_or_b32 exec_lo, exec_lo, s1
	v_or_b32_e32 v8, 0x600, v0
	s_delay_alu instid0(VALU_DEP_1)
	v_cmp_gt_i32_e32 vcc_lo, s8, v8
                                        ; implicit-def: $vgpr8
	s_and_saveexec_b32 s1, vcc_lo
	s_cbranch_execz .LBB88_63
; %bb.60:
	v_mul_f32_e32 v7, s9, v7
	s_mov_b32 s3, exec_lo
	s_delay_alu instid0(VALU_DEP_1)
	v_cmpx_nlt_f32_e32 s10, v7
	s_cbranch_execz .LBB88_62
; %bb.61:
	v_mul_f32_e32 v8, 0x3fb8aa3b, v7
	v_cmp_ngt_f32_e32 vcc_lo, 0xc2ce8ed0, v7
	s_delay_alu instid0(VALU_DEP_2) | instskip(SKIP_1) | instid1(VALU_DEP_1)
	v_rndne_f32_e32 v9, v8
	v_fma_f32 v13, 0x3fb8aa3b, v7, -v8
	v_dual_sub_f32 v8, v8, v9 :: v_dual_fmamk_f32 v13, v7, 0x32a5705f, v13
	v_cvt_i32_f32_e32 v9, v9
	s_delay_alu instid0(VALU_DEP_2) | instskip(NEXT) | instid1(VALU_DEP_1)
	v_add_f32_e32 v8, v8, v13
	v_exp_f32_e32 v8, v8
	v_nop
	s_delay_alu instid0(TRANS32_DEP_1) | instskip(NEXT) | instid1(VALU_DEP_1)
	v_ldexp_f32 v8, v8, v9
	v_cndmask_b32_e32 v8, 0, v8, vcc_lo
	v_cmp_nlt_f32_e32 vcc_lo, 0x42b17218, v7
	s_delay_alu instid0(VALU_DEP_2) | instskip(NEXT) | instid1(VALU_DEP_1)
	v_cndmask_b32_e32 v7, 0x7f800000, v8, vcc_lo
	v_dual_mul_f32 v6, v6, v7 :: v_dual_add_f32 v7, 1.0, v7
	s_delay_alu instid0(VALU_DEP_1) | instskip(NEXT) | instid1(VALU_DEP_1)
	v_div_scale_f32 v8, null, v7, v7, v6
	v_rcp_f32_e32 v9, v8
	v_nop
	s_delay_alu instid0(TRANS32_DEP_1) | instskip(NEXT) | instid1(VALU_DEP_1)
	v_fma_f32 v13, -v8, v9, 1.0
	v_fmac_f32_e32 v9, v13, v9
	v_div_scale_f32 v13, vcc_lo, v6, v7, v6
	s_delay_alu instid0(VALU_DEP_1) | instskip(NEXT) | instid1(VALU_DEP_1)
	v_mul_f32_e32 v15, v13, v9
	v_fma_f32 v17, -v8, v15, v13
	s_delay_alu instid0(VALU_DEP_1) | instskip(NEXT) | instid1(VALU_DEP_1)
	v_fmac_f32_e32 v15, v17, v9
	v_fma_f32 v8, -v8, v15, v13
	s_delay_alu instid0(VALU_DEP_1) | instskip(NEXT) | instid1(VALU_DEP_1)
	v_div_fmas_f32 v8, v8, v9, v15
	v_div_fixup_f32 v6, v8, v7, v6
.LBB88_62:
	s_or_b32 exec_lo, exec_lo, s3
	s_delay_alu instid0(VALU_DEP_1) | instskip(SKIP_1) | instid1(VALU_DEP_2)
	v_bfe_u32 v7, v6, 16, 1
	v_cmp_o_f32_e32 vcc_lo, v6, v6
	v_add3_u32 v7, v6, v7, 0x7fff
	s_delay_alu instid0(VALU_DEP_1) | instskip(NEXT) | instid1(VALU_DEP_1)
	v_lshrrev_b32_e32 v7, 16, v7
	v_cndmask_b32_e32 v8, 0x7fc0, v7, vcc_lo
.LBB88_63:
	s_or_b32 exec_lo, exec_lo, s1
	v_or_b32_e32 v6, 0x700, v0
	s_delay_alu instid0(VALU_DEP_1)
	v_cmp_gt_i32_e32 vcc_lo, s8, v6
                                        ; implicit-def: $vgpr6
	s_and_saveexec_b32 s1, vcc_lo
	s_cbranch_execz .LBB88_76
; %bb.64:
	v_mul_f32_e32 v4, s9, v4
	s_mov_b32 s3, exec_lo
	s_delay_alu instid0(VALU_DEP_1)
	v_cmpx_nlt_f32_e32 s10, v4
	s_cbranch_execz .LBB88_66
; %bb.65:
	v_mul_f32_e32 v6, 0x3fb8aa3b, v4
	v_cmp_ngt_f32_e32 vcc_lo, 0xc2ce8ed0, v4
	s_delay_alu instid0(VALU_DEP_2) | instskip(SKIP_1) | instid1(VALU_DEP_1)
	v_rndne_f32_e32 v7, v6
	v_fma_f32 v9, 0x3fb8aa3b, v4, -v6
	v_dual_sub_f32 v6, v6, v7 :: v_dual_fmamk_f32 v9, v4, 0x32a5705f, v9
	v_cvt_i32_f32_e32 v7, v7
	s_delay_alu instid0(VALU_DEP_2) | instskip(NEXT) | instid1(VALU_DEP_1)
	v_add_f32_e32 v6, v6, v9
	v_exp_f32_e32 v6, v6
	v_nop
	s_delay_alu instid0(TRANS32_DEP_1) | instskip(NEXT) | instid1(VALU_DEP_1)
	v_ldexp_f32 v6, v6, v7
	v_cndmask_b32_e32 v6, 0, v6, vcc_lo
	v_cmp_nlt_f32_e32 vcc_lo, 0x42b17218, v4
	s_delay_alu instid0(VALU_DEP_2) | instskip(NEXT) | instid1(VALU_DEP_1)
	v_cndmask_b32_e32 v4, 0x7f800000, v6, vcc_lo
	v_dual_mul_f32 v3, v3, v4 :: v_dual_add_f32 v4, 1.0, v4
	s_delay_alu instid0(VALU_DEP_1) | instskip(NEXT) | instid1(VALU_DEP_1)
	v_div_scale_f32 v6, null, v4, v4, v3
	v_rcp_f32_e32 v7, v6
	v_nop
	s_delay_alu instid0(TRANS32_DEP_1) | instskip(NEXT) | instid1(VALU_DEP_1)
	v_fma_f32 v9, -v6, v7, 1.0
	v_fmac_f32_e32 v7, v9, v7
	v_div_scale_f32 v9, vcc_lo, v3, v4, v3
	s_delay_alu instid0(VALU_DEP_1) | instskip(NEXT) | instid1(VALU_DEP_1)
	v_mul_f32_e32 v13, v9, v7
	v_fma_f32 v15, -v6, v13, v9
	s_delay_alu instid0(VALU_DEP_1) | instskip(NEXT) | instid1(VALU_DEP_1)
	v_fmac_f32_e32 v13, v15, v7
	v_fma_f32 v6, -v6, v13, v9
	s_delay_alu instid0(VALU_DEP_1) | instskip(NEXT) | instid1(VALU_DEP_1)
	v_div_fmas_f32 v6, v6, v7, v13
	v_div_fixup_f32 v3, v6, v4, v3
.LBB88_66:
	s_or_b32 exec_lo, exec_lo, s3
	s_delay_alu instid0(VALU_DEP_1) | instskip(SKIP_1) | instid1(VALU_DEP_2)
	v_bfe_u32 v4, v3, 16, 1
	v_cmp_o_f32_e32 vcc_lo, v3, v3
	v_add3_u32 v4, v3, v4, 0x7fff
	s_delay_alu instid0(VALU_DEP_1) | instskip(NEXT) | instid1(VALU_DEP_1)
	v_lshrrev_b32_e32 v4, 16, v4
	v_cndmask_b32_e32 v6, 0x7fc0, v4, vcc_lo
	s_or_b32 exec_lo, exec_lo, s1
	s_and_saveexec_b32 s1, s0
	s_delay_alu instid0(SALU_CYCLE_1)
	s_xor_b32 s0, exec_lo, s1
	s_cbranch_execnz .LBB88_77
.LBB88_67:
	s_or_b32 exec_lo, exec_lo, s0
	s_delay_alu instid0(SALU_CYCLE_1)
	s_mov_b32 s0, exec_lo
	v_cmpx_gt_i32_e64 s8, v0
	s_cbranch_execz .LBB88_78
.LBB88_68:
	v_add_nc_u32_e32 v1, s2, v0
	v_add_nc_u32_e32 v0, 0x100, v0
	global_store_b16 v1, v10, s[4:5] scale_offset
	s_wait_xcnt 0x0
	s_or_b32 exec_lo, exec_lo, s0
	s_delay_alu instid0(SALU_CYCLE_1)
	s_mov_b32 s0, exec_lo
	v_cmpx_gt_i32_e64 s8, v0
	s_cbranch_execnz .LBB88_79
.LBB88_69:
	s_or_b32 exec_lo, exec_lo, s0
	s_delay_alu instid0(SALU_CYCLE_1)
	s_mov_b32 s0, exec_lo
	v_cmpx_gt_i32_e64 s8, v0
	s_cbranch_execz .LBB88_80
.LBB88_70:
	v_add_nc_u32_e32 v1, s2, v0
	v_add_nc_u32_e32 v0, 0x100, v0
	global_store_b16 v1, v16, s[4:5] scale_offset
	s_wait_xcnt 0x0
	s_or_b32 exec_lo, exec_lo, s0
	s_delay_alu instid0(SALU_CYCLE_1)
	s_mov_b32 s0, exec_lo
	v_cmpx_gt_i32_e64 s8, v0
	s_cbranch_execnz .LBB88_81
.LBB88_71:
	s_or_b32 exec_lo, exec_lo, s0
	s_delay_alu instid0(SALU_CYCLE_1)
	s_mov_b32 s0, exec_lo
	v_cmpx_gt_i32_e64 s8, v0
	s_cbranch_execz .LBB88_82
.LBB88_72:
	v_add_nc_u32_e32 v1, s2, v0
	v_add_nc_u32_e32 v0, 0x100, v0
	global_store_b16 v1, v11, s[4:5] scale_offset
	s_wait_xcnt 0x0
	s_or_b32 exec_lo, exec_lo, s0
	s_delay_alu instid0(SALU_CYCLE_1)
	s_mov_b32 s0, exec_lo
	v_cmpx_gt_i32_e64 s8, v0
	s_cbranch_execnz .LBB88_83
.LBB88_73:
	s_or_b32 exec_lo, exec_lo, s0
	s_delay_alu instid0(SALU_CYCLE_1)
	s_mov_b32 s0, exec_lo
	v_cmpx_gt_i32_e64 s8, v0
	s_cbranch_execz .LBB88_75
.LBB88_74:
	v_add_nc_u32_e32 v0, s2, v0
	global_store_b16 v0, v6, s[4:5] scale_offset
.LBB88_75:
	s_endpgm
.LBB88_76:
	s_or_b32 exec_lo, exec_lo, s1
	s_and_saveexec_b32 s1, s0
	s_delay_alu instid0(SALU_CYCLE_1)
	s_xor_b32 s0, exec_lo, s1
	s_cbranch_execz .LBB88_67
.LBB88_77:
	v_mov_b32_e32 v0, v2
	global_store_b16 v1, v5, s[4:5] scale_offset
	s_wait_xcnt 0x0
	s_or_b32 exec_lo, exec_lo, s0
	s_delay_alu instid0(SALU_CYCLE_1)
	s_mov_b32 s0, exec_lo
	v_cmpx_gt_i32_e64 s8, v0
	s_cbranch_execnz .LBB88_68
.LBB88_78:
	s_or_b32 exec_lo, exec_lo, s0
	s_delay_alu instid0(SALU_CYCLE_1)
	s_mov_b32 s0, exec_lo
	v_cmpx_gt_i32_e64 s8, v0
	s_cbranch_execz .LBB88_69
.LBB88_79:
	v_add_nc_u32_e32 v1, s2, v0
	v_add_nc_u32_e32 v0, 0x100, v0
	global_store_b16 v1, v12, s[4:5] scale_offset
	s_wait_xcnt 0x0
	s_or_b32 exec_lo, exec_lo, s0
	s_delay_alu instid0(SALU_CYCLE_1)
	s_mov_b32 s0, exec_lo
	v_cmpx_gt_i32_e64 s8, v0
	s_cbranch_execnz .LBB88_70
.LBB88_80:
	s_or_b32 exec_lo, exec_lo, s0
	s_delay_alu instid0(SALU_CYCLE_1)
	s_mov_b32 s0, exec_lo
	v_cmpx_gt_i32_e64 s8, v0
	s_cbranch_execz .LBB88_71
.LBB88_81:
	v_add_nc_u32_e32 v1, s2, v0
	v_add_nc_u32_e32 v0, 0x100, v0
	global_store_b16 v1, v14, s[4:5] scale_offset
	s_wait_xcnt 0x0
	s_or_b32 exec_lo, exec_lo, s0
	s_delay_alu instid0(SALU_CYCLE_1)
	s_mov_b32 s0, exec_lo
	v_cmpx_gt_i32_e64 s8, v0
	s_cbranch_execnz .LBB88_72
.LBB88_82:
	s_or_b32 exec_lo, exec_lo, s0
	s_delay_alu instid0(SALU_CYCLE_1)
	s_mov_b32 s0, exec_lo
	v_cmpx_gt_i32_e64 s8, v0
	s_cbranch_execz .LBB88_73
.LBB88_83:
	v_add_nc_u32_e32 v1, s2, v0
	v_add_nc_u32_e32 v0, 0x100, v0
	global_store_b16 v1, v8, s[4:5] scale_offset
	s_wait_xcnt 0x0
	s_or_b32 exec_lo, exec_lo, s0
	s_delay_alu instid0(SALU_CYCLE_1)
	s_mov_b32 s0, exec_lo
	v_cmpx_gt_i32_e64 s8, v0
	s_cbranch_execnz .LBB88_74
	s_branch .LBB88_75
	.section	.rodata,"a",@progbits
	.p2align	6, 0x0
	.amdhsa_kernel _ZN2at6native29vectorized_elementwise_kernelILi4EZZZNS0_12_GLOBAL__N_124softplus_backward_kernelERNS_18TensorIteratorBaseERKN3c106ScalarES8_ENKUlvE_clEvENKUlvE2_clEvEUlNS5_8BFloat16ESB_E_St5arrayIPcLm3EEEEviT0_T1_
		.amdhsa_group_segment_fixed_size 0
		.amdhsa_private_segment_fixed_size 0
		.amdhsa_kernarg_size 40
		.amdhsa_user_sgpr_count 2
		.amdhsa_user_sgpr_dispatch_ptr 0
		.amdhsa_user_sgpr_queue_ptr 0
		.amdhsa_user_sgpr_kernarg_segment_ptr 1
		.amdhsa_user_sgpr_dispatch_id 0
		.amdhsa_user_sgpr_kernarg_preload_length 0
		.amdhsa_user_sgpr_kernarg_preload_offset 0
		.amdhsa_user_sgpr_private_segment_size 0
		.amdhsa_wavefront_size32 1
		.amdhsa_uses_dynamic_stack 0
		.amdhsa_enable_private_segment 0
		.amdhsa_system_sgpr_workgroup_id_x 1
		.amdhsa_system_sgpr_workgroup_id_y 0
		.amdhsa_system_sgpr_workgroup_id_z 0
		.amdhsa_system_sgpr_workgroup_info 0
		.amdhsa_system_vgpr_workitem_id 0
		.amdhsa_next_free_vgpr 24
		.amdhsa_next_free_sgpr 18
		.amdhsa_named_barrier_count 0
		.amdhsa_reserve_vcc 1
		.amdhsa_float_round_mode_32 0
		.amdhsa_float_round_mode_16_64 0
		.amdhsa_float_denorm_mode_32 3
		.amdhsa_float_denorm_mode_16_64 3
		.amdhsa_fp16_overflow 0
		.amdhsa_memory_ordered 1
		.amdhsa_forward_progress 1
		.amdhsa_inst_pref_size 50
		.amdhsa_round_robin_scheduling 0
		.amdhsa_exception_fp_ieee_invalid_op 0
		.amdhsa_exception_fp_denorm_src 0
		.amdhsa_exception_fp_ieee_div_zero 0
		.amdhsa_exception_fp_ieee_overflow 0
		.amdhsa_exception_fp_ieee_underflow 0
		.amdhsa_exception_fp_ieee_inexact 0
		.amdhsa_exception_int_div_zero 0
	.end_amdhsa_kernel
	.section	.text._ZN2at6native29vectorized_elementwise_kernelILi4EZZZNS0_12_GLOBAL__N_124softplus_backward_kernelERNS_18TensorIteratorBaseERKN3c106ScalarES8_ENKUlvE_clEvENKUlvE2_clEvEUlNS5_8BFloat16ESB_E_St5arrayIPcLm3EEEEviT0_T1_,"axG",@progbits,_ZN2at6native29vectorized_elementwise_kernelILi4EZZZNS0_12_GLOBAL__N_124softplus_backward_kernelERNS_18TensorIteratorBaseERKN3c106ScalarES8_ENKUlvE_clEvENKUlvE2_clEvEUlNS5_8BFloat16ESB_E_St5arrayIPcLm3EEEEviT0_T1_,comdat
.Lfunc_end88:
	.size	_ZN2at6native29vectorized_elementwise_kernelILi4EZZZNS0_12_GLOBAL__N_124softplus_backward_kernelERNS_18TensorIteratorBaseERKN3c106ScalarES8_ENKUlvE_clEvENKUlvE2_clEvEUlNS5_8BFloat16ESB_E_St5arrayIPcLm3EEEEviT0_T1_, .Lfunc_end88-_ZN2at6native29vectorized_elementwise_kernelILi4EZZZNS0_12_GLOBAL__N_124softplus_backward_kernelERNS_18TensorIteratorBaseERKN3c106ScalarES8_ENKUlvE_clEvENKUlvE2_clEvEUlNS5_8BFloat16ESB_E_St5arrayIPcLm3EEEEviT0_T1_
                                        ; -- End function
	.set _ZN2at6native29vectorized_elementwise_kernelILi4EZZZNS0_12_GLOBAL__N_124softplus_backward_kernelERNS_18TensorIteratorBaseERKN3c106ScalarES8_ENKUlvE_clEvENKUlvE2_clEvEUlNS5_8BFloat16ESB_E_St5arrayIPcLm3EEEEviT0_T1_.num_vgpr, 24
	.set _ZN2at6native29vectorized_elementwise_kernelILi4EZZZNS0_12_GLOBAL__N_124softplus_backward_kernelERNS_18TensorIteratorBaseERKN3c106ScalarES8_ENKUlvE_clEvENKUlvE2_clEvEUlNS5_8BFloat16ESB_E_St5arrayIPcLm3EEEEviT0_T1_.num_agpr, 0
	.set _ZN2at6native29vectorized_elementwise_kernelILi4EZZZNS0_12_GLOBAL__N_124softplus_backward_kernelERNS_18TensorIteratorBaseERKN3c106ScalarES8_ENKUlvE_clEvENKUlvE2_clEvEUlNS5_8BFloat16ESB_E_St5arrayIPcLm3EEEEviT0_T1_.numbered_sgpr, 18
	.set _ZN2at6native29vectorized_elementwise_kernelILi4EZZZNS0_12_GLOBAL__N_124softplus_backward_kernelERNS_18TensorIteratorBaseERKN3c106ScalarES8_ENKUlvE_clEvENKUlvE2_clEvEUlNS5_8BFloat16ESB_E_St5arrayIPcLm3EEEEviT0_T1_.num_named_barrier, 0
	.set _ZN2at6native29vectorized_elementwise_kernelILi4EZZZNS0_12_GLOBAL__N_124softplus_backward_kernelERNS_18TensorIteratorBaseERKN3c106ScalarES8_ENKUlvE_clEvENKUlvE2_clEvEUlNS5_8BFloat16ESB_E_St5arrayIPcLm3EEEEviT0_T1_.private_seg_size, 0
	.set _ZN2at6native29vectorized_elementwise_kernelILi4EZZZNS0_12_GLOBAL__N_124softplus_backward_kernelERNS_18TensorIteratorBaseERKN3c106ScalarES8_ENKUlvE_clEvENKUlvE2_clEvEUlNS5_8BFloat16ESB_E_St5arrayIPcLm3EEEEviT0_T1_.uses_vcc, 1
	.set _ZN2at6native29vectorized_elementwise_kernelILi4EZZZNS0_12_GLOBAL__N_124softplus_backward_kernelERNS_18TensorIteratorBaseERKN3c106ScalarES8_ENKUlvE_clEvENKUlvE2_clEvEUlNS5_8BFloat16ESB_E_St5arrayIPcLm3EEEEviT0_T1_.uses_flat_scratch, 0
	.set _ZN2at6native29vectorized_elementwise_kernelILi4EZZZNS0_12_GLOBAL__N_124softplus_backward_kernelERNS_18TensorIteratorBaseERKN3c106ScalarES8_ENKUlvE_clEvENKUlvE2_clEvEUlNS5_8BFloat16ESB_E_St5arrayIPcLm3EEEEviT0_T1_.has_dyn_sized_stack, 0
	.set _ZN2at6native29vectorized_elementwise_kernelILi4EZZZNS0_12_GLOBAL__N_124softplus_backward_kernelERNS_18TensorIteratorBaseERKN3c106ScalarES8_ENKUlvE_clEvENKUlvE2_clEvEUlNS5_8BFloat16ESB_E_St5arrayIPcLm3EEEEviT0_T1_.has_recursion, 0
	.set _ZN2at6native29vectorized_elementwise_kernelILi4EZZZNS0_12_GLOBAL__N_124softplus_backward_kernelERNS_18TensorIteratorBaseERKN3c106ScalarES8_ENKUlvE_clEvENKUlvE2_clEvEUlNS5_8BFloat16ESB_E_St5arrayIPcLm3EEEEviT0_T1_.has_indirect_call, 0
	.section	.AMDGPU.csdata,"",@progbits
; Kernel info:
; codeLenInByte = 6376
; TotalNumSgprs: 20
; NumVgprs: 24
; ScratchSize: 0
; MemoryBound: 0
; FloatMode: 240
; IeeeMode: 1
; LDSByteSize: 0 bytes/workgroup (compile time only)
; SGPRBlocks: 0
; VGPRBlocks: 1
; NumSGPRsForWavesPerEU: 20
; NumVGPRsForWavesPerEU: 24
; NamedBarCnt: 0
; Occupancy: 16
; WaveLimiterHint : 1
; COMPUTE_PGM_RSRC2:SCRATCH_EN: 0
; COMPUTE_PGM_RSRC2:USER_SGPR: 2
; COMPUTE_PGM_RSRC2:TRAP_HANDLER: 0
; COMPUTE_PGM_RSRC2:TGID_X_EN: 1
; COMPUTE_PGM_RSRC2:TGID_Y_EN: 0
; COMPUTE_PGM_RSRC2:TGID_Z_EN: 0
; COMPUTE_PGM_RSRC2:TIDIG_COMP_CNT: 0
	.section	.text._ZN2at6native29vectorized_elementwise_kernelILi2EZZZNS0_12_GLOBAL__N_124softplus_backward_kernelERNS_18TensorIteratorBaseERKN3c106ScalarES8_ENKUlvE_clEvENKUlvE2_clEvEUlNS5_8BFloat16ESB_E_St5arrayIPcLm3EEEEviT0_T1_,"axG",@progbits,_ZN2at6native29vectorized_elementwise_kernelILi2EZZZNS0_12_GLOBAL__N_124softplus_backward_kernelERNS_18TensorIteratorBaseERKN3c106ScalarES8_ENKUlvE_clEvENKUlvE2_clEvEUlNS5_8BFloat16ESB_E_St5arrayIPcLm3EEEEviT0_T1_,comdat
	.globl	_ZN2at6native29vectorized_elementwise_kernelILi2EZZZNS0_12_GLOBAL__N_124softplus_backward_kernelERNS_18TensorIteratorBaseERKN3c106ScalarES8_ENKUlvE_clEvENKUlvE2_clEvEUlNS5_8BFloat16ESB_E_St5arrayIPcLm3EEEEviT0_T1_ ; -- Begin function _ZN2at6native29vectorized_elementwise_kernelILi2EZZZNS0_12_GLOBAL__N_124softplus_backward_kernelERNS_18TensorIteratorBaseERKN3c106ScalarES8_ENKUlvE_clEvENKUlvE2_clEvEUlNS5_8BFloat16ESB_E_St5arrayIPcLm3EEEEviT0_T1_
	.p2align	8
	.type	_ZN2at6native29vectorized_elementwise_kernelILi2EZZZNS0_12_GLOBAL__N_124softplus_backward_kernelERNS_18TensorIteratorBaseERKN3c106ScalarES8_ENKUlvE_clEvENKUlvE2_clEvEUlNS5_8BFloat16ESB_E_St5arrayIPcLm3EEEEviT0_T1_,@function
_ZN2at6native29vectorized_elementwise_kernelILi2EZZZNS0_12_GLOBAL__N_124softplus_backward_kernelERNS_18TensorIteratorBaseERKN3c106ScalarES8_ENKUlvE_clEvENKUlvE2_clEvEUlNS5_8BFloat16ESB_E_St5arrayIPcLm3EEEEviT0_T1_: ; @_ZN2at6native29vectorized_elementwise_kernelILi2EZZZNS0_12_GLOBAL__N_124softplus_backward_kernelERNS_18TensorIteratorBaseERKN3c106ScalarES8_ENKUlvE_clEvENKUlvE2_clEvEUlNS5_8BFloat16ESB_E_St5arrayIPcLm3EEEEviT0_T1_
; %bb.0:
	s_clause 0x2
	s_load_b96 s[8:10], s[0:1], 0x0
	s_load_b128 s[4:7], s[0:1], 0x10
	s_load_b64 s[12:13], s[0:1], 0x20
	s_wait_xcnt 0x0
	s_bfe_u32 s0, ttmp6, 0x4000c
	s_and_b32 s1, ttmp6, 15
	s_add_co_i32 s0, s0, 1
	s_getreg_b32 s2, hwreg(HW_REG_IB_STS2, 6, 4)
	s_mul_i32 s0, ttmp9, s0
	s_delay_alu instid0(SALU_CYCLE_1) | instskip(SKIP_2) | instid1(SALU_CYCLE_1)
	s_add_co_i32 s1, s1, s0
	s_cmp_eq_u32 s2, 0
	s_cselect_b32 s0, ttmp9, s1
	s_lshl_b32 s2, s0, 11
	s_mov_b32 s0, -1
	s_wait_kmcnt 0x0
	s_sub_co_i32 s8, s8, s2
	s_delay_alu instid0(SALU_CYCLE_1)
	s_cmp_gt_i32 s8, 0x7ff
	s_cbranch_scc0 .LBB89_18
; %bb.1:
	s_ashr_i32 s3, s2, 31
	s_delay_alu instid0(SALU_CYCLE_1)
	s_lshl_b64 s[0:1], s[2:3], 1
	s_mov_b32 s3, exec_lo
	s_add_nc_u64 s[14:15], s[12:13], s[0:1]
	s_add_nc_u64 s[16:17], s[6:7], s[0:1]
	s_clause 0x7
	global_load_b32 v5, v0, s[14:15] scale_offset
	global_load_b32 v2, v0, s[16:17] scale_offset
	global_load_b32 v6, v0, s[16:17] offset:1024 scale_offset
	global_load_b32 v7, v0, s[16:17] offset:2048 scale_offset
	;; [unrolled: 1-line block ×6, first 2 shown]
	s_wait_loadcnt 0x7
	v_lshlrev_b32_e32 v1, 16, v5
	s_wait_loadcnt 0x6
	s_delay_alu instid0(VALU_DEP_1) | instskip(SKIP_1) | instid1(VALU_DEP_1)
	v_dual_mul_f32 v10, s9, v1 :: v_dual_lshlrev_b32 v1, 16, v2
	s_wait_xcnt 0x0
	v_cmpx_nlt_f32_e32 s10, v10
	s_cbranch_execz .LBB89_3
; %bb.2:
	v_mul_f32_e32 v11, 0x3fb8aa3b, v10
	v_cmp_ngt_f32_e32 vcc_lo, 0xc2ce8ed0, v10
	s_delay_alu instid0(VALU_DEP_2) | instskip(SKIP_1) | instid1(VALU_DEP_2)
	v_rndne_f32_e32 v12, v11
	v_fma_f32 v13, 0x3fb8aa3b, v10, -v11
	v_sub_f32_e32 v11, v11, v12
	s_delay_alu instid0(VALU_DEP_2) | instskip(SKIP_1) | instid1(VALU_DEP_2)
	v_fmamk_f32 v13, v10, 0x32a5705f, v13
	v_cvt_i32_f32_e32 v12, v12
	v_add_f32_e32 v11, v11, v13
	s_delay_alu instid0(VALU_DEP_1) | instskip(SKIP_1) | instid1(TRANS32_DEP_1)
	v_exp_f32_e32 v11, v11
	v_nop
	v_ldexp_f32 v11, v11, v12
	s_delay_alu instid0(VALU_DEP_1) | instskip(SKIP_1) | instid1(VALU_DEP_2)
	v_cndmask_b32_e32 v11, 0, v11, vcc_lo
	v_cmp_nlt_f32_e32 vcc_lo, 0x42b17218, v10
	v_cndmask_b32_e32 v10, 0x7f800000, v11, vcc_lo
	s_delay_alu instid0(VALU_DEP_1) | instskip(NEXT) | instid1(VALU_DEP_1)
	v_dual_mul_f32 v1, v10, v1 :: v_dual_add_f32 v10, 1.0, v10
	v_div_scale_f32 v11, null, v10, v10, v1
	s_delay_alu instid0(VALU_DEP_1) | instskip(SKIP_1) | instid1(TRANS32_DEP_1)
	v_rcp_f32_e32 v12, v11
	v_nop
	v_fma_f32 v13, -v11, v12, 1.0
	s_delay_alu instid0(VALU_DEP_1) | instskip(SKIP_1) | instid1(VALU_DEP_1)
	v_fmac_f32_e32 v12, v13, v12
	v_div_scale_f32 v13, vcc_lo, v1, v10, v1
	v_mul_f32_e32 v14, v13, v12
	s_delay_alu instid0(VALU_DEP_1) | instskip(NEXT) | instid1(VALU_DEP_1)
	v_fma_f32 v15, -v11, v14, v13
	v_fmac_f32_e32 v14, v15, v12
	s_delay_alu instid0(VALU_DEP_1) | instskip(NEXT) | instid1(VALU_DEP_1)
	v_fma_f32 v11, -v11, v14, v13
	v_div_fmas_f32 v11, v11, v12, v14
	s_delay_alu instid0(VALU_DEP_1)
	v_div_fixup_f32 v1, v11, v10, v1
.LBB89_3:
	s_or_b32 exec_lo, exec_lo, s3
	v_and_b32_e32 v5, 0xffff0000, v5
	v_and_b32_e32 v2, 0xffff0000, v2
	s_mov_b32 s3, exec_lo
	s_delay_alu instid0(VALU_DEP_2) | instskip(NEXT) | instid1(VALU_DEP_1)
	v_mul_f32_e32 v5, s9, v5
	v_cmpx_nlt_f32_e32 s10, v5
	s_cbranch_execz .LBB89_5
; %bb.4:
	v_mul_f32_e32 v10, 0x3fb8aa3b, v5
	v_cmp_ngt_f32_e32 vcc_lo, 0xc2ce8ed0, v5
	s_delay_alu instid0(VALU_DEP_2) | instskip(SKIP_1) | instid1(VALU_DEP_2)
	v_rndne_f32_e32 v11, v10
	v_fma_f32 v12, 0x3fb8aa3b, v5, -v10
	v_sub_f32_e32 v10, v10, v11
	s_delay_alu instid0(VALU_DEP_2) | instskip(SKIP_1) | instid1(VALU_DEP_2)
	v_fmamk_f32 v12, v5, 0x32a5705f, v12
	v_cvt_i32_f32_e32 v11, v11
	v_add_f32_e32 v10, v10, v12
	s_delay_alu instid0(VALU_DEP_1) | instskip(SKIP_1) | instid1(TRANS32_DEP_1)
	v_exp_f32_e32 v10, v10
	v_nop
	v_ldexp_f32 v10, v10, v11
	s_delay_alu instid0(VALU_DEP_1) | instskip(SKIP_1) | instid1(VALU_DEP_2)
	v_cndmask_b32_e32 v10, 0, v10, vcc_lo
	v_cmp_nlt_f32_e32 vcc_lo, 0x42b17218, v5
	v_cndmask_b32_e32 v5, 0x7f800000, v10, vcc_lo
	s_delay_alu instid0(VALU_DEP_1) | instskip(NEXT) | instid1(VALU_DEP_1)
	v_dual_mul_f32 v2, v5, v2 :: v_dual_add_f32 v5, 1.0, v5
	v_div_scale_f32 v10, null, v5, v5, v2
	s_delay_alu instid0(VALU_DEP_1) | instskip(SKIP_1) | instid1(TRANS32_DEP_1)
	v_rcp_f32_e32 v11, v10
	v_nop
	v_fma_f32 v12, -v10, v11, 1.0
	s_delay_alu instid0(VALU_DEP_1) | instskip(SKIP_1) | instid1(VALU_DEP_1)
	v_fmac_f32_e32 v11, v12, v11
	v_div_scale_f32 v12, vcc_lo, v2, v5, v2
	v_mul_f32_e32 v13, v12, v11
	s_delay_alu instid0(VALU_DEP_1) | instskip(NEXT) | instid1(VALU_DEP_1)
	v_fma_f32 v14, -v10, v13, v12
	v_fmac_f32_e32 v13, v14, v11
	s_delay_alu instid0(VALU_DEP_1) | instskip(NEXT) | instid1(VALU_DEP_1)
	v_fma_f32 v10, -v10, v13, v12
	v_div_fmas_f32 v10, v10, v11, v13
	s_delay_alu instid0(VALU_DEP_1)
	v_div_fixup_f32 v2, v10, v5, v2
.LBB89_5:
	s_or_b32 exec_lo, exec_lo, s3
	s_wait_loadcnt 0x2
	v_lshlrev_b32_e32 v5, 16, v9
	s_mov_b32 s3, exec_lo
	s_delay_alu instid0(VALU_DEP_1) | instskip(NEXT) | instid1(VALU_DEP_1)
	v_dual_mul_f32 v10, s9, v5 :: v_dual_lshlrev_b32 v5, 16, v6
	v_cmpx_nlt_f32_e32 s10, v10
	s_cbranch_execz .LBB89_7
; %bb.6:
	v_mul_f32_e32 v11, 0x3fb8aa3b, v10
	v_cmp_ngt_f32_e32 vcc_lo, 0xc2ce8ed0, v10
	s_delay_alu instid0(VALU_DEP_2) | instskip(SKIP_1) | instid1(VALU_DEP_2)
	v_rndne_f32_e32 v12, v11
	v_fma_f32 v13, 0x3fb8aa3b, v10, -v11
	v_sub_f32_e32 v11, v11, v12
	s_delay_alu instid0(VALU_DEP_2) | instskip(SKIP_1) | instid1(VALU_DEP_2)
	v_fmamk_f32 v13, v10, 0x32a5705f, v13
	v_cvt_i32_f32_e32 v12, v12
	v_add_f32_e32 v11, v11, v13
	s_delay_alu instid0(VALU_DEP_1) | instskip(SKIP_1) | instid1(TRANS32_DEP_1)
	v_exp_f32_e32 v11, v11
	v_nop
	v_ldexp_f32 v11, v11, v12
	s_delay_alu instid0(VALU_DEP_1) | instskip(SKIP_1) | instid1(VALU_DEP_2)
	v_cndmask_b32_e32 v11, 0, v11, vcc_lo
	v_cmp_nlt_f32_e32 vcc_lo, 0x42b17218, v10
	v_cndmask_b32_e32 v10, 0x7f800000, v11, vcc_lo
	s_delay_alu instid0(VALU_DEP_1) | instskip(NEXT) | instid1(VALU_DEP_1)
	v_dual_mul_f32 v5, v10, v5 :: v_dual_add_f32 v10, 1.0, v10
	v_div_scale_f32 v11, null, v10, v10, v5
	s_delay_alu instid0(VALU_DEP_1) | instskip(SKIP_1) | instid1(TRANS32_DEP_1)
	v_rcp_f32_e32 v12, v11
	v_nop
	v_fma_f32 v13, -v11, v12, 1.0
	s_delay_alu instid0(VALU_DEP_1) | instskip(SKIP_1) | instid1(VALU_DEP_1)
	v_fmac_f32_e32 v12, v13, v12
	v_div_scale_f32 v13, vcc_lo, v5, v10, v5
	v_mul_f32_e32 v14, v13, v12
	s_delay_alu instid0(VALU_DEP_1) | instskip(NEXT) | instid1(VALU_DEP_1)
	v_fma_f32 v15, -v11, v14, v13
	v_fmac_f32_e32 v14, v15, v12
	s_delay_alu instid0(VALU_DEP_1) | instskip(NEXT) | instid1(VALU_DEP_1)
	v_fma_f32 v11, -v11, v14, v13
	v_div_fmas_f32 v11, v11, v12, v14
	s_delay_alu instid0(VALU_DEP_1)
	v_div_fixup_f32 v5, v11, v10, v5
.LBB89_7:
	s_or_b32 exec_lo, exec_lo, s3
	v_and_b32_e32 v9, 0xffff0000, v9
	v_and_b32_e32 v6, 0xffff0000, v6
	s_mov_b32 s3, exec_lo
	s_delay_alu instid0(VALU_DEP_2) | instskip(NEXT) | instid1(VALU_DEP_1)
	v_mul_f32_e32 v9, s9, v9
	v_cmpx_nlt_f32_e32 s10, v9
	s_cbranch_execz .LBB89_9
; %bb.8:
	v_mul_f32_e32 v10, 0x3fb8aa3b, v9
	v_cmp_ngt_f32_e32 vcc_lo, 0xc2ce8ed0, v9
	s_delay_alu instid0(VALU_DEP_2) | instskip(SKIP_1) | instid1(VALU_DEP_2)
	v_rndne_f32_e32 v11, v10
	v_fma_f32 v12, 0x3fb8aa3b, v9, -v10
	v_sub_f32_e32 v10, v10, v11
	s_delay_alu instid0(VALU_DEP_2) | instskip(SKIP_1) | instid1(VALU_DEP_2)
	v_fmamk_f32 v12, v9, 0x32a5705f, v12
	v_cvt_i32_f32_e32 v11, v11
	v_add_f32_e32 v10, v10, v12
	s_delay_alu instid0(VALU_DEP_1) | instskip(SKIP_1) | instid1(TRANS32_DEP_1)
	v_exp_f32_e32 v10, v10
	v_nop
	v_ldexp_f32 v10, v10, v11
	s_delay_alu instid0(VALU_DEP_1) | instskip(SKIP_1) | instid1(VALU_DEP_2)
	v_cndmask_b32_e32 v10, 0, v10, vcc_lo
	v_cmp_nlt_f32_e32 vcc_lo, 0x42b17218, v9
	v_cndmask_b32_e32 v9, 0x7f800000, v10, vcc_lo
	s_delay_alu instid0(VALU_DEP_1) | instskip(NEXT) | instid1(VALU_DEP_1)
	v_dual_mul_f32 v6, v9, v6 :: v_dual_add_f32 v9, 1.0, v9
	v_div_scale_f32 v10, null, v9, v9, v6
	s_delay_alu instid0(VALU_DEP_1) | instskip(SKIP_1) | instid1(TRANS32_DEP_1)
	v_rcp_f32_e32 v11, v10
	v_nop
	v_fma_f32 v12, -v10, v11, 1.0
	s_delay_alu instid0(VALU_DEP_1) | instskip(SKIP_1) | instid1(VALU_DEP_1)
	v_fmac_f32_e32 v11, v12, v11
	v_div_scale_f32 v12, vcc_lo, v6, v9, v6
	v_mul_f32_e32 v13, v12, v11
	s_delay_alu instid0(VALU_DEP_1) | instskip(NEXT) | instid1(VALU_DEP_1)
	v_fma_f32 v14, -v10, v13, v12
	v_fmac_f32_e32 v13, v14, v11
	s_delay_alu instid0(VALU_DEP_1) | instskip(NEXT) | instid1(VALU_DEP_1)
	v_fma_f32 v10, -v10, v13, v12
	v_div_fmas_f32 v10, v10, v11, v13
	s_delay_alu instid0(VALU_DEP_1)
	v_div_fixup_f32 v6, v10, v9, v6
.LBB89_9:
	s_or_b32 exec_lo, exec_lo, s3
	s_wait_loadcnt 0x1
	v_lshlrev_b32_e32 v9, 16, v8
	s_mov_b32 s3, exec_lo
	s_delay_alu instid0(VALU_DEP_1) | instskip(NEXT) | instid1(VALU_DEP_1)
	v_dual_mul_f32 v10, s9, v9 :: v_dual_lshlrev_b32 v9, 16, v7
	v_cmpx_nlt_f32_e32 s10, v10
	s_cbranch_execz .LBB89_11
; %bb.10:
	v_mul_f32_e32 v11, 0x3fb8aa3b, v10
	v_cmp_ngt_f32_e32 vcc_lo, 0xc2ce8ed0, v10
	s_delay_alu instid0(VALU_DEP_2) | instskip(SKIP_1) | instid1(VALU_DEP_2)
	v_rndne_f32_e32 v12, v11
	v_fma_f32 v13, 0x3fb8aa3b, v10, -v11
	v_sub_f32_e32 v11, v11, v12
	s_delay_alu instid0(VALU_DEP_2) | instskip(SKIP_1) | instid1(VALU_DEP_2)
	v_fmamk_f32 v13, v10, 0x32a5705f, v13
	v_cvt_i32_f32_e32 v12, v12
	v_add_f32_e32 v11, v11, v13
	s_delay_alu instid0(VALU_DEP_1) | instskip(SKIP_1) | instid1(TRANS32_DEP_1)
	v_exp_f32_e32 v11, v11
	v_nop
	v_ldexp_f32 v11, v11, v12
	s_delay_alu instid0(VALU_DEP_1) | instskip(SKIP_1) | instid1(VALU_DEP_2)
	v_cndmask_b32_e32 v11, 0, v11, vcc_lo
	v_cmp_nlt_f32_e32 vcc_lo, 0x42b17218, v10
	v_cndmask_b32_e32 v10, 0x7f800000, v11, vcc_lo
	s_delay_alu instid0(VALU_DEP_1) | instskip(NEXT) | instid1(VALU_DEP_1)
	v_dual_mul_f32 v9, v10, v9 :: v_dual_add_f32 v10, 1.0, v10
	v_div_scale_f32 v11, null, v10, v10, v9
	s_delay_alu instid0(VALU_DEP_1) | instskip(SKIP_1) | instid1(TRANS32_DEP_1)
	v_rcp_f32_e32 v12, v11
	v_nop
	v_fma_f32 v13, -v11, v12, 1.0
	s_delay_alu instid0(VALU_DEP_1) | instskip(SKIP_1) | instid1(VALU_DEP_1)
	v_fmac_f32_e32 v12, v13, v12
	v_div_scale_f32 v13, vcc_lo, v9, v10, v9
	v_mul_f32_e32 v14, v13, v12
	s_delay_alu instid0(VALU_DEP_1) | instskip(NEXT) | instid1(VALU_DEP_1)
	v_fma_f32 v15, -v11, v14, v13
	v_fmac_f32_e32 v14, v15, v12
	s_delay_alu instid0(VALU_DEP_1) | instskip(NEXT) | instid1(VALU_DEP_1)
	v_fma_f32 v11, -v11, v14, v13
	v_div_fmas_f32 v11, v11, v12, v14
	s_delay_alu instid0(VALU_DEP_1)
	v_div_fixup_f32 v9, v11, v10, v9
.LBB89_11:
	s_or_b32 exec_lo, exec_lo, s3
	v_and_b32_e32 v8, 0xffff0000, v8
	v_and_b32_e32 v7, 0xffff0000, v7
	s_mov_b32 s3, exec_lo
	s_delay_alu instid0(VALU_DEP_2) | instskip(NEXT) | instid1(VALU_DEP_1)
	v_mul_f32_e32 v8, s9, v8
	v_cmpx_nlt_f32_e32 s10, v8
	s_cbranch_execz .LBB89_13
; %bb.12:
	v_mul_f32_e32 v10, 0x3fb8aa3b, v8
	v_cmp_ngt_f32_e32 vcc_lo, 0xc2ce8ed0, v8
	s_delay_alu instid0(VALU_DEP_2) | instskip(SKIP_1) | instid1(VALU_DEP_2)
	v_rndne_f32_e32 v11, v10
	v_fma_f32 v12, 0x3fb8aa3b, v8, -v10
	v_sub_f32_e32 v10, v10, v11
	s_delay_alu instid0(VALU_DEP_2) | instskip(SKIP_1) | instid1(VALU_DEP_2)
	v_fmamk_f32 v12, v8, 0x32a5705f, v12
	v_cvt_i32_f32_e32 v11, v11
	v_add_f32_e32 v10, v10, v12
	s_delay_alu instid0(VALU_DEP_1) | instskip(SKIP_1) | instid1(TRANS32_DEP_1)
	v_exp_f32_e32 v10, v10
	v_nop
	v_ldexp_f32 v10, v10, v11
	s_delay_alu instid0(VALU_DEP_1) | instskip(SKIP_1) | instid1(VALU_DEP_2)
	v_cndmask_b32_e32 v10, 0, v10, vcc_lo
	v_cmp_nlt_f32_e32 vcc_lo, 0x42b17218, v8
	v_cndmask_b32_e32 v8, 0x7f800000, v10, vcc_lo
	s_delay_alu instid0(VALU_DEP_1) | instskip(NEXT) | instid1(VALU_DEP_1)
	v_dual_mul_f32 v7, v8, v7 :: v_dual_add_f32 v8, 1.0, v8
	v_div_scale_f32 v10, null, v8, v8, v7
	s_delay_alu instid0(VALU_DEP_1) | instskip(SKIP_1) | instid1(TRANS32_DEP_1)
	v_rcp_f32_e32 v11, v10
	v_nop
	v_fma_f32 v12, -v10, v11, 1.0
	s_delay_alu instid0(VALU_DEP_1) | instskip(SKIP_1) | instid1(VALU_DEP_1)
	v_fmac_f32_e32 v11, v12, v11
	v_div_scale_f32 v12, vcc_lo, v7, v8, v7
	v_mul_f32_e32 v13, v12, v11
	s_delay_alu instid0(VALU_DEP_1) | instskip(NEXT) | instid1(VALU_DEP_1)
	v_fma_f32 v14, -v10, v13, v12
	v_fmac_f32_e32 v13, v14, v11
	s_delay_alu instid0(VALU_DEP_1) | instskip(NEXT) | instid1(VALU_DEP_1)
	v_fma_f32 v10, -v10, v13, v12
	v_div_fmas_f32 v10, v10, v11, v13
	s_delay_alu instid0(VALU_DEP_1)
	v_div_fixup_f32 v7, v10, v8, v7
.LBB89_13:
	s_or_b32 exec_lo, exec_lo, s3
	s_wait_loadcnt 0x0
	v_lshlrev_b32_e32 v8, 16, v4
	s_mov_b32 s3, exec_lo
	s_delay_alu instid0(VALU_DEP_1) | instskip(NEXT) | instid1(VALU_DEP_1)
	v_dual_mul_f32 v10, s9, v8 :: v_dual_lshlrev_b32 v8, 16, v3
	v_cmpx_nlt_f32_e32 s10, v10
	s_cbranch_execz .LBB89_15
; %bb.14:
	v_mul_f32_e32 v11, 0x3fb8aa3b, v10
	v_cmp_ngt_f32_e32 vcc_lo, 0xc2ce8ed0, v10
	s_delay_alu instid0(VALU_DEP_2) | instskip(SKIP_1) | instid1(VALU_DEP_2)
	v_rndne_f32_e32 v12, v11
	v_fma_f32 v13, 0x3fb8aa3b, v10, -v11
	v_sub_f32_e32 v11, v11, v12
	s_delay_alu instid0(VALU_DEP_2) | instskip(SKIP_1) | instid1(VALU_DEP_2)
	v_fmamk_f32 v13, v10, 0x32a5705f, v13
	v_cvt_i32_f32_e32 v12, v12
	v_add_f32_e32 v11, v11, v13
	s_delay_alu instid0(VALU_DEP_1) | instskip(SKIP_1) | instid1(TRANS32_DEP_1)
	v_exp_f32_e32 v11, v11
	v_nop
	v_ldexp_f32 v11, v11, v12
	s_delay_alu instid0(VALU_DEP_1) | instskip(SKIP_1) | instid1(VALU_DEP_2)
	v_cndmask_b32_e32 v11, 0, v11, vcc_lo
	v_cmp_nlt_f32_e32 vcc_lo, 0x42b17218, v10
	v_cndmask_b32_e32 v10, 0x7f800000, v11, vcc_lo
	s_delay_alu instid0(VALU_DEP_1) | instskip(NEXT) | instid1(VALU_DEP_1)
	v_dual_mul_f32 v8, v10, v8 :: v_dual_add_f32 v10, 1.0, v10
	v_div_scale_f32 v11, null, v10, v10, v8
	s_delay_alu instid0(VALU_DEP_1) | instskip(SKIP_1) | instid1(TRANS32_DEP_1)
	v_rcp_f32_e32 v12, v11
	v_nop
	v_fma_f32 v13, -v11, v12, 1.0
	s_delay_alu instid0(VALU_DEP_1) | instskip(SKIP_1) | instid1(VALU_DEP_1)
	v_fmac_f32_e32 v12, v13, v12
	v_div_scale_f32 v13, vcc_lo, v8, v10, v8
	v_mul_f32_e32 v14, v13, v12
	s_delay_alu instid0(VALU_DEP_1) | instskip(NEXT) | instid1(VALU_DEP_1)
	v_fma_f32 v15, -v11, v14, v13
	v_fmac_f32_e32 v14, v15, v12
	s_delay_alu instid0(VALU_DEP_1) | instskip(NEXT) | instid1(VALU_DEP_1)
	v_fma_f32 v11, -v11, v14, v13
	v_div_fmas_f32 v11, v11, v12, v14
	s_delay_alu instid0(VALU_DEP_1)
	v_div_fixup_f32 v8, v11, v10, v8
.LBB89_15:
	s_or_b32 exec_lo, exec_lo, s3
	v_and_b32_e32 v4, 0xffff0000, v4
	v_and_b32_e32 v3, 0xffff0000, v3
	s_mov_b32 s3, exec_lo
	s_delay_alu instid0(VALU_DEP_2) | instskip(NEXT) | instid1(VALU_DEP_1)
	v_mul_f32_e32 v4, s9, v4
	v_cmpx_nlt_f32_e32 s10, v4
	s_cbranch_execz .LBB89_17
; %bb.16:
	v_mul_f32_e32 v10, 0x3fb8aa3b, v4
	v_cmp_ngt_f32_e32 vcc_lo, 0xc2ce8ed0, v4
	s_delay_alu instid0(VALU_DEP_2) | instskip(SKIP_1) | instid1(VALU_DEP_2)
	v_rndne_f32_e32 v11, v10
	v_fma_f32 v12, 0x3fb8aa3b, v4, -v10
	v_sub_f32_e32 v10, v10, v11
	s_delay_alu instid0(VALU_DEP_2) | instskip(SKIP_1) | instid1(VALU_DEP_2)
	v_fmamk_f32 v12, v4, 0x32a5705f, v12
	v_cvt_i32_f32_e32 v11, v11
	v_add_f32_e32 v10, v10, v12
	s_delay_alu instid0(VALU_DEP_1) | instskip(SKIP_1) | instid1(TRANS32_DEP_1)
	v_exp_f32_e32 v10, v10
	v_nop
	v_ldexp_f32 v10, v10, v11
	s_delay_alu instid0(VALU_DEP_1) | instskip(SKIP_1) | instid1(VALU_DEP_2)
	v_cndmask_b32_e32 v10, 0, v10, vcc_lo
	v_cmp_nlt_f32_e32 vcc_lo, 0x42b17218, v4
	v_cndmask_b32_e32 v4, 0x7f800000, v10, vcc_lo
	s_delay_alu instid0(VALU_DEP_1) | instskip(NEXT) | instid1(VALU_DEP_1)
	v_dual_mul_f32 v3, v4, v3 :: v_dual_add_f32 v4, 1.0, v4
	v_div_scale_f32 v10, null, v4, v4, v3
	s_delay_alu instid0(VALU_DEP_1) | instskip(SKIP_1) | instid1(TRANS32_DEP_1)
	v_rcp_f32_e32 v11, v10
	v_nop
	v_fma_f32 v12, -v10, v11, 1.0
	s_delay_alu instid0(VALU_DEP_1) | instskip(SKIP_1) | instid1(VALU_DEP_1)
	v_fmac_f32_e32 v11, v12, v11
	v_div_scale_f32 v12, vcc_lo, v3, v4, v3
	v_mul_f32_e32 v13, v12, v11
	s_delay_alu instid0(VALU_DEP_1) | instskip(NEXT) | instid1(VALU_DEP_1)
	v_fma_f32 v14, -v10, v13, v12
	v_fmac_f32_e32 v13, v14, v11
	s_delay_alu instid0(VALU_DEP_1) | instskip(NEXT) | instid1(VALU_DEP_1)
	v_fma_f32 v10, -v10, v13, v12
	v_div_fmas_f32 v10, v10, v11, v13
	s_delay_alu instid0(VALU_DEP_1)
	v_div_fixup_f32 v3, v10, v4, v3
.LBB89_17:
	s_or_b32 exec_lo, exec_lo, s3
	v_bfe_u32 v4, v8, 16, 1
	v_bfe_u32 v10, v9, 16, 1
	;; [unrolled: 1-line block ×3, first 2 shown]
	v_cmp_o_f32_e32 vcc_lo, v8, v8
	v_bfe_u32 v12, v5, 16, 1
	v_add3_u32 v4, v8, v4, 0x7fff
	v_add3_u32 v10, v9, v10, 0x7fff
	v_add3_u32 v11, v7, v11, 0x7fff
	v_bfe_u32 v13, v6, 16, 1
	v_add3_u32 v12, v5, v12, 0x7fff
	s_delay_alu instid0(VALU_DEP_4) | instskip(NEXT) | instid1(VALU_DEP_4)
	v_dual_lshrrev_b32 v4, 16, v4 :: v_dual_lshrrev_b32 v10, 16, v10
	v_and_b32_e32 v11, 0xffff0000, v11
	s_add_nc_u64 s[14:15], s[4:5], s[0:1]
	s_mov_b32 s0, 0
	s_delay_alu instid0(VALU_DEP_2) | instskip(SKIP_4) | instid1(VALU_DEP_3)
	v_cndmask_b32_e32 v4, 0x7fc0, v4, vcc_lo
	v_cmp_o_f32_e32 vcc_lo, v9, v9
	v_bfe_u32 v9, v1, 16, 1
	v_cndmask_b32_e32 v8, 0x7fc0, v10, vcc_lo
	v_cmp_o_f32_e32 vcc_lo, v7, v7
	v_add3_u32 v9, v1, v9, 0x7fff
	v_lshrrev_b32_e32 v10, 16, v12
	v_bfe_u32 v12, v2, 16, 1
	v_cndmask_b32_e32 v7, 0x7fc00000, v11, vcc_lo
	v_add3_u32 v11, v6, v13, 0x7fff
	v_cmp_o_f32_e32 vcc_lo, v5, v5
	v_bfe_u32 v13, v3, 16, 1
	s_delay_alu instid0(VALU_DEP_4)
	v_dual_lshrrev_b32 v9, 16, v9 :: v_dual_bitop2_b32 v7, v7, v8 bitop3:0x54
	v_cndmask_b32_e32 v5, 0x7fc0, v10, vcc_lo
	v_and_b32_e32 v10, 0xffff0000, v11
	v_cmp_o_f32_e32 vcc_lo, v6, v6
	v_add3_u32 v11, v2, v12, 0x7fff
	v_add3_u32 v12, v3, v13, 0x7fff
	s_delay_alu instid0(VALU_DEP_4) | instskip(SKIP_1) | instid1(VALU_DEP_4)
	v_cndmask_b32_e32 v6, 0x7fc00000, v10, vcc_lo
	v_cmp_o_f32_e32 vcc_lo, v1, v1
	v_and_b32_e32 v10, 0xffff0000, v11
	s_delay_alu instid0(VALU_DEP_4) | instskip(SKIP_2) | instid1(VALU_DEP_4)
	v_and_b32_e32 v11, 0xffff0000, v12
	v_cndmask_b32_e32 v1, 0x7fc0, v9, vcc_lo
	v_cmp_o_f32_e32 vcc_lo, v2, v2
	v_cndmask_b32_e32 v2, 0x7fc00000, v10, vcc_lo
	v_cmp_o_f32_e32 vcc_lo, v3, v3
	s_delay_alu instid0(VALU_DEP_2) | instskip(SKIP_2) | instid1(VALU_DEP_2)
	v_or_b32_e32 v1, v2, v1
	v_cndmask_b32_e32 v3, 0x7fc00000, v11, vcc_lo
	v_or_b32_e32 v2, v6, v5
	v_or_b32_e32 v3, v3, v4
	s_clause 0x3
	global_store_b32 v0, v1, s[14:15] scale_offset
	global_store_b32 v0, v2, s[14:15] offset:1024 scale_offset
	global_store_b32 v0, v7, s[14:15] offset:2048 scale_offset
	;; [unrolled: 1-line block ×3, first 2 shown]
.LBB89_18:
	s_and_b32 vcc_lo, exec_lo, s0
	s_cbranch_vccz .LBB89_75
; %bb.19:
	v_cmp_gt_i32_e64 s0, s8, v0
	s_wait_xcnt 0x3
	v_dual_mov_b32 v12, 0 :: v_dual_bitop2_b32 v1, s2, v0 bitop3:0x54
	s_wait_xcnt 0x2
	v_or_b32_e32 v2, 0x100, v0
	v_dual_mov_b32 v5, v0 :: v_dual_mov_b32 v19, 0
	v_mov_b32_e32 v10, 0
	s_wait_xcnt 0x0
	s_and_saveexec_b32 s1, s0
	s_cbranch_execz .LBB89_21
; %bb.20:
	s_clause 0x1
	global_load_u16 v3, v1, s[12:13] scale_offset
	global_load_u16 v4, v1, s[6:7] scale_offset
	v_or_b32_e32 v5, 0x100, v0
	s_wait_loadcnt 0x0
	v_dual_lshlrev_b32 v19, 16, v3 :: v_dual_lshlrev_b32 v10, 16, v4
.LBB89_21:
	s_wait_xcnt 0x0
	s_or_b32 exec_lo, exec_lo, s1
	v_mov_b32_e32 v18, 0
	s_mov_b32 s1, exec_lo
	v_cmpx_gt_i32_e64 s8, v5
	s_cbranch_execz .LBB89_23
; %bb.22:
	v_add_nc_u32_e32 v3, s2, v5
	v_add_nc_u32_e32 v5, 0x100, v5
	s_clause 0x1
	global_load_u16 v4, v3, s[12:13] scale_offset
	global_load_u16 v6, v3, s[6:7] scale_offset
	s_wait_loadcnt 0x0
	v_dual_lshlrev_b32 v12, 16, v4 :: v_dual_lshlrev_b32 v18, 16, v6
.LBB89_23:
	s_wait_xcnt 0x0
	s_or_b32 exec_lo, exec_lo, s1
	v_dual_mov_b32 v15, 0 :: v_dual_mov_b32 v17, 0
	v_mov_b32_e32 v16, 0
	s_mov_b32 s1, exec_lo
	v_cmpx_gt_i32_e64 s8, v5
	s_cbranch_execz .LBB89_25
; %bb.24:
	v_add_nc_u32_e32 v3, s2, v5
	v_add_nc_u32_e32 v5, 0x100, v5
	s_clause 0x1
	global_load_u16 v4, v3, s[12:13] scale_offset
	global_load_u16 v6, v3, s[6:7] scale_offset
	s_wait_loadcnt 0x0
	v_dual_lshlrev_b32 v17, 16, v4 :: v_dual_lshlrev_b32 v16, 16, v6
.LBB89_25:
	s_wait_xcnt 0x0
	s_or_b32 exec_lo, exec_lo, s1
	v_mov_b32_e32 v14, 0
	s_mov_b32 s1, exec_lo
	v_cmpx_gt_i32_e64 s8, v5
	s_cbranch_execz .LBB89_27
; %bb.26:
	v_add_nc_u32_e32 v3, s2, v5
	v_add_nc_u32_e32 v5, 0x100, v5
	s_clause 0x1
	global_load_u16 v4, v3, s[12:13] scale_offset
	global_load_u16 v6, v3, s[6:7] scale_offset
	s_wait_loadcnt 0x0
	v_dual_lshlrev_b32 v15, 16, v4 :: v_dual_lshlrev_b32 v14, 16, v6
.LBB89_27:
	s_wait_xcnt 0x0
	s_or_b32 exec_lo, exec_lo, s1
	v_dual_mov_b32 v9, 0 :: v_dual_mov_b32 v13, 0
	v_mov_b32_e32 v11, 0
	s_mov_b32 s1, exec_lo
	v_cmpx_gt_i32_e64 s8, v5
	s_cbranch_execz .LBB89_29
; %bb.28:
	v_add_nc_u32_e32 v3, s2, v5
	v_add_nc_u32_e32 v5, 0x100, v5
	s_clause 0x1
	global_load_u16 v4, v3, s[12:13] scale_offset
	global_load_u16 v6, v3, s[6:7] scale_offset
	s_wait_loadcnt 0x0
	v_dual_lshlrev_b32 v13, 16, v4 :: v_dual_lshlrev_b32 v11, 16, v6
.LBB89_29:
	;; [unrolled: 31-line block ×3, first 2 shown]
	s_wait_xcnt 0x0
	s_or_b32 exec_lo, exec_lo, s1
	v_mov_b32_e32 v3, 0
	s_mov_b32 s1, exec_lo
	v_cmpx_gt_i32_e64 s8, v5
	s_cbranch_execz .LBB89_35
; %bb.34:
	v_add_nc_u32_e32 v3, s2, v5
	s_clause 0x1
	global_load_u16 v4, v3, s[12:13] scale_offset
	global_load_u16 v5, v3, s[6:7] scale_offset
	s_wait_loadcnt 0x0
	v_dual_lshlrev_b32 v4, 16, v4 :: v_dual_lshlrev_b32 v3, 16, v5
	s_or_b32 exec_lo, exec_lo, s1
                                        ; implicit-def: $vgpr5
	s_and_saveexec_b32 s1, s0
	s_cbranch_execz .LBB89_39
	s_branch .LBB89_36
.LBB89_35:
	s_or_b32 exec_lo, exec_lo, s1
                                        ; implicit-def: $vgpr5
	s_and_saveexec_b32 s1, s0
	s_cbranch_execz .LBB89_39
.LBB89_36:
	v_mul_f32_e32 v5, s9, v19
	s_mov_b32 s3, exec_lo
	s_delay_alu instid0(VALU_DEP_1)
	v_cmpx_nlt_f32_e32 s10, v5
	s_cbranch_execz .LBB89_38
; %bb.37:
	v_mul_f32_e32 v19, 0x3fb8aa3b, v5
	v_cmp_ngt_f32_e32 vcc_lo, 0xc2ce8ed0, v5
	s_delay_alu instid0(VALU_DEP_2) | instskip(SKIP_1) | instid1(VALU_DEP_2)
	v_rndne_f32_e32 v20, v19
	v_fma_f32 v21, 0x3fb8aa3b, v5, -v19
	v_sub_f32_e32 v19, v19, v20
	s_delay_alu instid0(VALU_DEP_2) | instskip(SKIP_1) | instid1(VALU_DEP_2)
	v_fmamk_f32 v21, v5, 0x32a5705f, v21
	v_cvt_i32_f32_e32 v20, v20
	v_add_f32_e32 v19, v19, v21
	s_delay_alu instid0(VALU_DEP_1) | instskip(SKIP_1) | instid1(TRANS32_DEP_1)
	v_exp_f32_e32 v19, v19
	v_nop
	v_ldexp_f32 v19, v19, v20
	s_delay_alu instid0(VALU_DEP_1) | instskip(SKIP_1) | instid1(VALU_DEP_2)
	v_cndmask_b32_e32 v19, 0, v19, vcc_lo
	v_cmp_nlt_f32_e32 vcc_lo, 0x42b17218, v5
	v_cndmask_b32_e32 v5, 0x7f800000, v19, vcc_lo
	s_delay_alu instid0(VALU_DEP_1) | instskip(NEXT) | instid1(VALU_DEP_1)
	v_dual_mul_f32 v10, v10, v5 :: v_dual_add_f32 v5, 1.0, v5
	v_div_scale_f32 v19, null, v5, v5, v10
	s_delay_alu instid0(VALU_DEP_1) | instskip(SKIP_1) | instid1(TRANS32_DEP_1)
	v_rcp_f32_e32 v20, v19
	v_nop
	v_fma_f32 v21, -v19, v20, 1.0
	s_delay_alu instid0(VALU_DEP_1) | instskip(SKIP_1) | instid1(VALU_DEP_1)
	v_fmac_f32_e32 v20, v21, v20
	v_div_scale_f32 v21, vcc_lo, v10, v5, v10
	v_mul_f32_e32 v22, v21, v20
	s_delay_alu instid0(VALU_DEP_1) | instskip(NEXT) | instid1(VALU_DEP_1)
	v_fma_f32 v23, -v19, v22, v21
	v_fmac_f32_e32 v22, v23, v20
	s_delay_alu instid0(VALU_DEP_1) | instskip(NEXT) | instid1(VALU_DEP_1)
	v_fma_f32 v19, -v19, v22, v21
	v_div_fmas_f32 v19, v19, v20, v22
	s_delay_alu instid0(VALU_DEP_1)
	v_div_fixup_f32 v10, v19, v5, v10
.LBB89_38:
	s_or_b32 exec_lo, exec_lo, s3
	s_delay_alu instid0(VALU_DEP_1) | instskip(SKIP_1) | instid1(VALU_DEP_2)
	v_bfe_u32 v5, v10, 16, 1
	v_cmp_o_f32_e32 vcc_lo, v10, v10
	v_add3_u32 v5, v10, v5, 0x7fff
	s_delay_alu instid0(VALU_DEP_1) | instskip(NEXT) | instid1(VALU_DEP_1)
	v_lshrrev_b32_e32 v5, 16, v5
	v_cndmask_b32_e32 v5, 0x7fc0, v5, vcc_lo
.LBB89_39:
	s_or_b32 exec_lo, exec_lo, s1
	s_delay_alu instid0(SALU_CYCLE_1)
	s_mov_b32 s1, exec_lo
                                        ; implicit-def: $vgpr10
	v_cmpx_gt_i32_e64 s8, v2
	s_cbranch_execz .LBB89_43
; %bb.40:
	v_mul_f32_e32 v10, s9, v12
	s_mov_b32 s3, exec_lo
	s_delay_alu instid0(VALU_DEP_1)
	v_cmpx_nlt_f32_e32 s10, v10
	s_cbranch_execz .LBB89_42
; %bb.41:
	v_mul_f32_e32 v12, 0x3fb8aa3b, v10
	v_cmp_ngt_f32_e32 vcc_lo, 0xc2ce8ed0, v10
	s_delay_alu instid0(VALU_DEP_2) | instskip(SKIP_1) | instid1(VALU_DEP_2)
	v_rndne_f32_e32 v19, v12
	v_fma_f32 v20, 0x3fb8aa3b, v10, -v12
	v_sub_f32_e32 v12, v12, v19
	s_delay_alu instid0(VALU_DEP_2) | instskip(SKIP_1) | instid1(VALU_DEP_2)
	v_fmamk_f32 v20, v10, 0x32a5705f, v20
	v_cvt_i32_f32_e32 v19, v19
	v_add_f32_e32 v12, v12, v20
	s_delay_alu instid0(VALU_DEP_1) | instskip(SKIP_1) | instid1(TRANS32_DEP_1)
	v_exp_f32_e32 v12, v12
	v_nop
	v_ldexp_f32 v12, v12, v19
	s_delay_alu instid0(VALU_DEP_1) | instskip(SKIP_1) | instid1(VALU_DEP_2)
	v_cndmask_b32_e32 v12, 0, v12, vcc_lo
	v_cmp_nlt_f32_e32 vcc_lo, 0x42b17218, v10
	v_cndmask_b32_e32 v10, 0x7f800000, v12, vcc_lo
	s_delay_alu instid0(VALU_DEP_1) | instskip(NEXT) | instid1(VALU_DEP_1)
	v_dual_mul_f32 v12, v18, v10 :: v_dual_add_f32 v10, 1.0, v10
	v_div_scale_f32 v18, null, v10, v10, v12
	s_delay_alu instid0(VALU_DEP_1) | instskip(SKIP_1) | instid1(TRANS32_DEP_1)
	v_rcp_f32_e32 v19, v18
	v_nop
	v_fma_f32 v20, -v18, v19, 1.0
	s_delay_alu instid0(VALU_DEP_1) | instskip(SKIP_1) | instid1(VALU_DEP_1)
	v_fmac_f32_e32 v19, v20, v19
	v_div_scale_f32 v20, vcc_lo, v12, v10, v12
	v_mul_f32_e32 v21, v20, v19
	s_delay_alu instid0(VALU_DEP_1) | instskip(NEXT) | instid1(VALU_DEP_1)
	v_fma_f32 v22, -v18, v21, v20
	v_fmac_f32_e32 v21, v22, v19
	s_delay_alu instid0(VALU_DEP_1) | instskip(NEXT) | instid1(VALU_DEP_1)
	v_fma_f32 v18, -v18, v21, v20
	v_div_fmas_f32 v18, v18, v19, v21
	s_delay_alu instid0(VALU_DEP_1)
	v_div_fixup_f32 v18, v18, v10, v12
.LBB89_42:
	s_or_b32 exec_lo, exec_lo, s3
	s_delay_alu instid0(VALU_DEP_1) | instskip(SKIP_1) | instid1(VALU_DEP_2)
	v_bfe_u32 v10, v18, 16, 1
	v_cmp_o_f32_e32 vcc_lo, v18, v18
	v_add3_u32 v10, v18, v10, 0x7fff
	s_delay_alu instid0(VALU_DEP_1) | instskip(NEXT) | instid1(VALU_DEP_1)
	v_lshrrev_b32_e32 v10, 16, v10
	v_cndmask_b32_e32 v10, 0x7fc0, v10, vcc_lo
.LBB89_43:
	s_or_b32 exec_lo, exec_lo, s1
	v_or_b32_e32 v12, 0x200, v0
	s_delay_alu instid0(VALU_DEP_1)
	v_cmp_gt_i32_e32 vcc_lo, s8, v12
                                        ; implicit-def: $vgpr12
	s_and_saveexec_b32 s1, vcc_lo
	s_cbranch_execz .LBB89_47
; %bb.44:
	v_mul_f32_e32 v12, s9, v17
	s_mov_b32 s3, exec_lo
	s_delay_alu instid0(VALU_DEP_1)
	v_cmpx_nlt_f32_e32 s10, v12
	s_cbranch_execz .LBB89_46
; %bb.45:
	v_mul_f32_e32 v17, 0x3fb8aa3b, v12
	v_cmp_ngt_f32_e32 vcc_lo, 0xc2ce8ed0, v12
	s_delay_alu instid0(VALU_DEP_2) | instskip(SKIP_1) | instid1(VALU_DEP_2)
	v_rndne_f32_e32 v18, v17
	v_fma_f32 v19, 0x3fb8aa3b, v12, -v17
	v_sub_f32_e32 v17, v17, v18
	s_delay_alu instid0(VALU_DEP_2) | instskip(SKIP_1) | instid1(VALU_DEP_2)
	v_fmamk_f32 v19, v12, 0x32a5705f, v19
	v_cvt_i32_f32_e32 v18, v18
	v_add_f32_e32 v17, v17, v19
	s_delay_alu instid0(VALU_DEP_1) | instskip(SKIP_1) | instid1(TRANS32_DEP_1)
	v_exp_f32_e32 v17, v17
	v_nop
	v_ldexp_f32 v17, v17, v18
	s_delay_alu instid0(VALU_DEP_1) | instskip(SKIP_1) | instid1(VALU_DEP_2)
	v_cndmask_b32_e32 v17, 0, v17, vcc_lo
	v_cmp_nlt_f32_e32 vcc_lo, 0x42b17218, v12
	v_cndmask_b32_e32 v12, 0x7f800000, v17, vcc_lo
	s_delay_alu instid0(VALU_DEP_1) | instskip(NEXT) | instid1(VALU_DEP_1)
	v_dual_mul_f32 v16, v16, v12 :: v_dual_add_f32 v12, 1.0, v12
	v_div_scale_f32 v17, null, v12, v12, v16
	s_delay_alu instid0(VALU_DEP_1) | instskip(SKIP_1) | instid1(TRANS32_DEP_1)
	v_rcp_f32_e32 v18, v17
	v_nop
	v_fma_f32 v19, -v17, v18, 1.0
	s_delay_alu instid0(VALU_DEP_1) | instskip(SKIP_1) | instid1(VALU_DEP_1)
	v_fmac_f32_e32 v18, v19, v18
	v_div_scale_f32 v19, vcc_lo, v16, v12, v16
	v_mul_f32_e32 v20, v19, v18
	s_delay_alu instid0(VALU_DEP_1) | instskip(NEXT) | instid1(VALU_DEP_1)
	v_fma_f32 v21, -v17, v20, v19
	v_fmac_f32_e32 v20, v21, v18
	s_delay_alu instid0(VALU_DEP_1) | instskip(NEXT) | instid1(VALU_DEP_1)
	v_fma_f32 v17, -v17, v20, v19
	v_div_fmas_f32 v17, v17, v18, v20
	s_delay_alu instid0(VALU_DEP_1)
	v_div_fixup_f32 v16, v17, v12, v16
.LBB89_46:
	s_or_b32 exec_lo, exec_lo, s3
	s_delay_alu instid0(VALU_DEP_1) | instskip(SKIP_1) | instid1(VALU_DEP_2)
	v_bfe_u32 v12, v16, 16, 1
	v_cmp_o_f32_e32 vcc_lo, v16, v16
	v_add3_u32 v12, v16, v12, 0x7fff
	s_delay_alu instid0(VALU_DEP_1) | instskip(NEXT) | instid1(VALU_DEP_1)
	v_lshrrev_b32_e32 v12, 16, v12
	v_cndmask_b32_e32 v12, 0x7fc0, v12, vcc_lo
.LBB89_47:
	s_or_b32 exec_lo, exec_lo, s1
	v_or_b32_e32 v16, 0x300, v0
	s_delay_alu instid0(VALU_DEP_1)
	v_cmp_gt_i32_e32 vcc_lo, s8, v16
                                        ; implicit-def: $vgpr16
	s_and_saveexec_b32 s1, vcc_lo
	s_cbranch_execz .LBB89_51
; %bb.48:
	v_mul_f32_e32 v15, s9, v15
	s_mov_b32 s3, exec_lo
	s_delay_alu instid0(VALU_DEP_1)
	v_cmpx_nlt_f32_e32 s10, v15
	s_cbranch_execz .LBB89_50
; %bb.49:
	v_mul_f32_e32 v16, 0x3fb8aa3b, v15
	v_cmp_ngt_f32_e32 vcc_lo, 0xc2ce8ed0, v15
	s_delay_alu instid0(VALU_DEP_2) | instskip(SKIP_1) | instid1(VALU_DEP_2)
	v_rndne_f32_e32 v17, v16
	v_fma_f32 v18, 0x3fb8aa3b, v15, -v16
	v_sub_f32_e32 v16, v16, v17
	s_delay_alu instid0(VALU_DEP_2) | instskip(SKIP_1) | instid1(VALU_DEP_2)
	v_fmamk_f32 v18, v15, 0x32a5705f, v18
	v_cvt_i32_f32_e32 v17, v17
	v_add_f32_e32 v16, v16, v18
	s_delay_alu instid0(VALU_DEP_1) | instskip(SKIP_1) | instid1(TRANS32_DEP_1)
	v_exp_f32_e32 v16, v16
	v_nop
	v_ldexp_f32 v16, v16, v17
	s_delay_alu instid0(VALU_DEP_1) | instskip(SKIP_1) | instid1(VALU_DEP_2)
	v_cndmask_b32_e32 v16, 0, v16, vcc_lo
	v_cmp_nlt_f32_e32 vcc_lo, 0x42b17218, v15
	v_cndmask_b32_e32 v15, 0x7f800000, v16, vcc_lo
	s_delay_alu instid0(VALU_DEP_1) | instskip(NEXT) | instid1(VALU_DEP_1)
	v_dual_mul_f32 v14, v14, v15 :: v_dual_add_f32 v15, 1.0, v15
	v_div_scale_f32 v16, null, v15, v15, v14
	s_delay_alu instid0(VALU_DEP_1) | instskip(SKIP_1) | instid1(TRANS32_DEP_1)
	v_rcp_f32_e32 v17, v16
	v_nop
	v_fma_f32 v18, -v16, v17, 1.0
	s_delay_alu instid0(VALU_DEP_1) | instskip(SKIP_1) | instid1(VALU_DEP_1)
	v_fmac_f32_e32 v17, v18, v17
	v_div_scale_f32 v18, vcc_lo, v14, v15, v14
	v_mul_f32_e32 v19, v18, v17
	s_delay_alu instid0(VALU_DEP_1) | instskip(NEXT) | instid1(VALU_DEP_1)
	v_fma_f32 v20, -v16, v19, v18
	v_fmac_f32_e32 v19, v20, v17
	s_delay_alu instid0(VALU_DEP_1) | instskip(NEXT) | instid1(VALU_DEP_1)
	v_fma_f32 v16, -v16, v19, v18
	v_div_fmas_f32 v16, v16, v17, v19
	s_delay_alu instid0(VALU_DEP_1)
	v_div_fixup_f32 v14, v16, v15, v14
.LBB89_50:
	s_or_b32 exec_lo, exec_lo, s3
	s_delay_alu instid0(VALU_DEP_1) | instskip(SKIP_1) | instid1(VALU_DEP_2)
	v_bfe_u32 v15, v14, 16, 1
	v_cmp_o_f32_e32 vcc_lo, v14, v14
	v_add3_u32 v15, v14, v15, 0x7fff
	s_delay_alu instid0(VALU_DEP_1) | instskip(NEXT) | instid1(VALU_DEP_1)
	v_lshrrev_b32_e32 v15, 16, v15
	v_cndmask_b32_e32 v16, 0x7fc0, v15, vcc_lo
.LBB89_51:
	s_or_b32 exec_lo, exec_lo, s1
	v_or_b32_e32 v14, 0x400, v0
	s_delay_alu instid0(VALU_DEP_1)
	v_cmp_gt_i32_e32 vcc_lo, s8, v14
                                        ; implicit-def: $vgpr14
	s_and_saveexec_b32 s1, vcc_lo
	s_cbranch_execz .LBB89_55
; %bb.52:
	v_mul_f32_e32 v13, s9, v13
	s_mov_b32 s3, exec_lo
	s_delay_alu instid0(VALU_DEP_1)
	v_cmpx_nlt_f32_e32 s10, v13
	s_cbranch_execz .LBB89_54
; %bb.53:
	v_mul_f32_e32 v14, 0x3fb8aa3b, v13
	v_cmp_ngt_f32_e32 vcc_lo, 0xc2ce8ed0, v13
	s_delay_alu instid0(VALU_DEP_2) | instskip(SKIP_1) | instid1(VALU_DEP_1)
	v_rndne_f32_e32 v15, v14
	v_fma_f32 v17, 0x3fb8aa3b, v13, -v14
	v_dual_sub_f32 v14, v14, v15 :: v_dual_fmamk_f32 v17, v13, 0x32a5705f, v17
	v_cvt_i32_f32_e32 v15, v15
	s_delay_alu instid0(VALU_DEP_2) | instskip(NEXT) | instid1(VALU_DEP_1)
	v_add_f32_e32 v14, v14, v17
	v_exp_f32_e32 v14, v14
	v_nop
	s_delay_alu instid0(TRANS32_DEP_1) | instskip(NEXT) | instid1(VALU_DEP_1)
	v_ldexp_f32 v14, v14, v15
	v_cndmask_b32_e32 v14, 0, v14, vcc_lo
	v_cmp_nlt_f32_e32 vcc_lo, 0x42b17218, v13
	s_delay_alu instid0(VALU_DEP_2) | instskip(NEXT) | instid1(VALU_DEP_1)
	v_cndmask_b32_e32 v13, 0x7f800000, v14, vcc_lo
	v_dual_mul_f32 v11, v11, v13 :: v_dual_add_f32 v13, 1.0, v13
	s_delay_alu instid0(VALU_DEP_1) | instskip(NEXT) | instid1(VALU_DEP_1)
	v_div_scale_f32 v14, null, v13, v13, v11
	v_rcp_f32_e32 v15, v14
	v_nop
	s_delay_alu instid0(TRANS32_DEP_1) | instskip(NEXT) | instid1(VALU_DEP_1)
	v_fma_f32 v17, -v14, v15, 1.0
	v_fmac_f32_e32 v15, v17, v15
	v_div_scale_f32 v17, vcc_lo, v11, v13, v11
	s_delay_alu instid0(VALU_DEP_1) | instskip(NEXT) | instid1(VALU_DEP_1)
	v_mul_f32_e32 v18, v17, v15
	v_fma_f32 v19, -v14, v18, v17
	s_delay_alu instid0(VALU_DEP_1) | instskip(NEXT) | instid1(VALU_DEP_1)
	v_fmac_f32_e32 v18, v19, v15
	v_fma_f32 v14, -v14, v18, v17
	s_delay_alu instid0(VALU_DEP_1) | instskip(NEXT) | instid1(VALU_DEP_1)
	v_div_fmas_f32 v14, v14, v15, v18
	v_div_fixup_f32 v11, v14, v13, v11
.LBB89_54:
	s_or_b32 exec_lo, exec_lo, s3
	s_delay_alu instid0(VALU_DEP_1) | instskip(SKIP_1) | instid1(VALU_DEP_2)
	v_bfe_u32 v13, v11, 16, 1
	v_cmp_o_f32_e32 vcc_lo, v11, v11
	v_add3_u32 v13, v11, v13, 0x7fff
	s_delay_alu instid0(VALU_DEP_1) | instskip(NEXT) | instid1(VALU_DEP_1)
	v_lshrrev_b32_e32 v13, 16, v13
	v_cndmask_b32_e32 v14, 0x7fc0, v13, vcc_lo
.LBB89_55:
	s_or_b32 exec_lo, exec_lo, s1
	v_or_b32_e32 v11, 0x500, v0
	s_delay_alu instid0(VALU_DEP_1)
	v_cmp_gt_i32_e32 vcc_lo, s8, v11
                                        ; implicit-def: $vgpr11
	s_and_saveexec_b32 s1, vcc_lo
	s_cbranch_execz .LBB89_59
; %bb.56:
	v_mul_f32_e32 v9, s9, v9
	s_mov_b32 s3, exec_lo
	s_delay_alu instid0(VALU_DEP_1)
	v_cmpx_nlt_f32_e32 s10, v9
	s_cbranch_execz .LBB89_58
; %bb.57:
	v_mul_f32_e32 v11, 0x3fb8aa3b, v9
	v_cmp_ngt_f32_e32 vcc_lo, 0xc2ce8ed0, v9
	s_delay_alu instid0(VALU_DEP_2) | instskip(SKIP_1) | instid1(VALU_DEP_2)
	v_rndne_f32_e32 v13, v11
	v_fma_f32 v15, 0x3fb8aa3b, v9, -v11
	v_sub_f32_e32 v11, v11, v13
	s_delay_alu instid0(VALU_DEP_2) | instskip(SKIP_1) | instid1(VALU_DEP_2)
	v_fmamk_f32 v15, v9, 0x32a5705f, v15
	v_cvt_i32_f32_e32 v13, v13
	v_add_f32_e32 v11, v11, v15
	s_delay_alu instid0(VALU_DEP_1) | instskip(SKIP_1) | instid1(TRANS32_DEP_1)
	v_exp_f32_e32 v11, v11
	v_nop
	v_ldexp_f32 v11, v11, v13
	s_delay_alu instid0(VALU_DEP_1) | instskip(SKIP_1) | instid1(VALU_DEP_2)
	v_cndmask_b32_e32 v11, 0, v11, vcc_lo
	v_cmp_nlt_f32_e32 vcc_lo, 0x42b17218, v9
	v_cndmask_b32_e32 v9, 0x7f800000, v11, vcc_lo
	s_delay_alu instid0(VALU_DEP_1) | instskip(NEXT) | instid1(VALU_DEP_1)
	v_dual_mul_f32 v8, v8, v9 :: v_dual_add_f32 v9, 1.0, v9
	v_div_scale_f32 v11, null, v9, v9, v8
	s_delay_alu instid0(VALU_DEP_1) | instskip(SKIP_1) | instid1(TRANS32_DEP_1)
	v_rcp_f32_e32 v13, v11
	v_nop
	v_fma_f32 v15, -v11, v13, 1.0
	s_delay_alu instid0(VALU_DEP_1) | instskip(SKIP_1) | instid1(VALU_DEP_1)
	v_fmac_f32_e32 v13, v15, v13
	v_div_scale_f32 v15, vcc_lo, v8, v9, v8
	v_mul_f32_e32 v17, v15, v13
	s_delay_alu instid0(VALU_DEP_1) | instskip(NEXT) | instid1(VALU_DEP_1)
	v_fma_f32 v18, -v11, v17, v15
	v_fmac_f32_e32 v17, v18, v13
	s_delay_alu instid0(VALU_DEP_1) | instskip(NEXT) | instid1(VALU_DEP_1)
	v_fma_f32 v11, -v11, v17, v15
	v_div_fmas_f32 v11, v11, v13, v17
	s_delay_alu instid0(VALU_DEP_1)
	v_div_fixup_f32 v8, v11, v9, v8
.LBB89_58:
	s_or_b32 exec_lo, exec_lo, s3
	s_delay_alu instid0(VALU_DEP_1) | instskip(SKIP_1) | instid1(VALU_DEP_2)
	v_bfe_u32 v9, v8, 16, 1
	v_cmp_o_f32_e32 vcc_lo, v8, v8
	v_add3_u32 v9, v8, v9, 0x7fff
	s_delay_alu instid0(VALU_DEP_1) | instskip(NEXT) | instid1(VALU_DEP_1)
	v_lshrrev_b32_e32 v9, 16, v9
	v_cndmask_b32_e32 v11, 0x7fc0, v9, vcc_lo
.LBB89_59:
	s_or_b32 exec_lo, exec_lo, s1
	v_or_b32_e32 v8, 0x600, v0
	s_delay_alu instid0(VALU_DEP_1)
	v_cmp_gt_i32_e32 vcc_lo, s8, v8
                                        ; implicit-def: $vgpr8
	s_and_saveexec_b32 s1, vcc_lo
	s_cbranch_execz .LBB89_63
; %bb.60:
	v_mul_f32_e32 v7, s9, v7
	s_mov_b32 s3, exec_lo
	s_delay_alu instid0(VALU_DEP_1)
	v_cmpx_nlt_f32_e32 s10, v7
	s_cbranch_execz .LBB89_62
; %bb.61:
	v_mul_f32_e32 v8, 0x3fb8aa3b, v7
	v_cmp_ngt_f32_e32 vcc_lo, 0xc2ce8ed0, v7
	s_delay_alu instid0(VALU_DEP_2) | instskip(SKIP_1) | instid1(VALU_DEP_1)
	v_rndne_f32_e32 v9, v8
	v_fma_f32 v13, 0x3fb8aa3b, v7, -v8
	v_dual_sub_f32 v8, v8, v9 :: v_dual_fmamk_f32 v13, v7, 0x32a5705f, v13
	v_cvt_i32_f32_e32 v9, v9
	s_delay_alu instid0(VALU_DEP_2) | instskip(NEXT) | instid1(VALU_DEP_1)
	v_add_f32_e32 v8, v8, v13
	v_exp_f32_e32 v8, v8
	v_nop
	s_delay_alu instid0(TRANS32_DEP_1) | instskip(NEXT) | instid1(VALU_DEP_1)
	v_ldexp_f32 v8, v8, v9
	v_cndmask_b32_e32 v8, 0, v8, vcc_lo
	v_cmp_nlt_f32_e32 vcc_lo, 0x42b17218, v7
	s_delay_alu instid0(VALU_DEP_2) | instskip(NEXT) | instid1(VALU_DEP_1)
	v_cndmask_b32_e32 v7, 0x7f800000, v8, vcc_lo
	v_dual_mul_f32 v6, v6, v7 :: v_dual_add_f32 v7, 1.0, v7
	s_delay_alu instid0(VALU_DEP_1) | instskip(NEXT) | instid1(VALU_DEP_1)
	v_div_scale_f32 v8, null, v7, v7, v6
	v_rcp_f32_e32 v9, v8
	v_nop
	s_delay_alu instid0(TRANS32_DEP_1) | instskip(NEXT) | instid1(VALU_DEP_1)
	v_fma_f32 v13, -v8, v9, 1.0
	v_fmac_f32_e32 v9, v13, v9
	v_div_scale_f32 v13, vcc_lo, v6, v7, v6
	s_delay_alu instid0(VALU_DEP_1) | instskip(NEXT) | instid1(VALU_DEP_1)
	v_mul_f32_e32 v15, v13, v9
	v_fma_f32 v17, -v8, v15, v13
	s_delay_alu instid0(VALU_DEP_1) | instskip(NEXT) | instid1(VALU_DEP_1)
	v_fmac_f32_e32 v15, v17, v9
	v_fma_f32 v8, -v8, v15, v13
	s_delay_alu instid0(VALU_DEP_1) | instskip(NEXT) | instid1(VALU_DEP_1)
	v_div_fmas_f32 v8, v8, v9, v15
	v_div_fixup_f32 v6, v8, v7, v6
.LBB89_62:
	s_or_b32 exec_lo, exec_lo, s3
	s_delay_alu instid0(VALU_DEP_1) | instskip(SKIP_1) | instid1(VALU_DEP_2)
	v_bfe_u32 v7, v6, 16, 1
	v_cmp_o_f32_e32 vcc_lo, v6, v6
	v_add3_u32 v7, v6, v7, 0x7fff
	s_delay_alu instid0(VALU_DEP_1) | instskip(NEXT) | instid1(VALU_DEP_1)
	v_lshrrev_b32_e32 v7, 16, v7
	v_cndmask_b32_e32 v8, 0x7fc0, v7, vcc_lo
.LBB89_63:
	s_or_b32 exec_lo, exec_lo, s1
	v_or_b32_e32 v6, 0x700, v0
	s_delay_alu instid0(VALU_DEP_1)
	v_cmp_gt_i32_e32 vcc_lo, s8, v6
                                        ; implicit-def: $vgpr6
	s_and_saveexec_b32 s1, vcc_lo
	s_cbranch_execz .LBB89_76
; %bb.64:
	v_mul_f32_e32 v4, s9, v4
	s_mov_b32 s3, exec_lo
	s_delay_alu instid0(VALU_DEP_1)
	v_cmpx_nlt_f32_e32 s10, v4
	s_cbranch_execz .LBB89_66
; %bb.65:
	v_mul_f32_e32 v6, 0x3fb8aa3b, v4
	v_cmp_ngt_f32_e32 vcc_lo, 0xc2ce8ed0, v4
	s_delay_alu instid0(VALU_DEP_2) | instskip(SKIP_1) | instid1(VALU_DEP_1)
	v_rndne_f32_e32 v7, v6
	v_fma_f32 v9, 0x3fb8aa3b, v4, -v6
	v_dual_sub_f32 v6, v6, v7 :: v_dual_fmamk_f32 v9, v4, 0x32a5705f, v9
	v_cvt_i32_f32_e32 v7, v7
	s_delay_alu instid0(VALU_DEP_2) | instskip(NEXT) | instid1(VALU_DEP_1)
	v_add_f32_e32 v6, v6, v9
	v_exp_f32_e32 v6, v6
	v_nop
	s_delay_alu instid0(TRANS32_DEP_1) | instskip(NEXT) | instid1(VALU_DEP_1)
	v_ldexp_f32 v6, v6, v7
	v_cndmask_b32_e32 v6, 0, v6, vcc_lo
	v_cmp_nlt_f32_e32 vcc_lo, 0x42b17218, v4
	s_delay_alu instid0(VALU_DEP_2) | instskip(NEXT) | instid1(VALU_DEP_1)
	v_cndmask_b32_e32 v4, 0x7f800000, v6, vcc_lo
	v_dual_mul_f32 v3, v3, v4 :: v_dual_add_f32 v4, 1.0, v4
	s_delay_alu instid0(VALU_DEP_1) | instskip(NEXT) | instid1(VALU_DEP_1)
	v_div_scale_f32 v6, null, v4, v4, v3
	v_rcp_f32_e32 v7, v6
	v_nop
	s_delay_alu instid0(TRANS32_DEP_1) | instskip(NEXT) | instid1(VALU_DEP_1)
	v_fma_f32 v9, -v6, v7, 1.0
	v_fmac_f32_e32 v7, v9, v7
	v_div_scale_f32 v9, vcc_lo, v3, v4, v3
	s_delay_alu instid0(VALU_DEP_1) | instskip(NEXT) | instid1(VALU_DEP_1)
	v_mul_f32_e32 v13, v9, v7
	v_fma_f32 v15, -v6, v13, v9
	s_delay_alu instid0(VALU_DEP_1) | instskip(NEXT) | instid1(VALU_DEP_1)
	v_fmac_f32_e32 v13, v15, v7
	v_fma_f32 v6, -v6, v13, v9
	s_delay_alu instid0(VALU_DEP_1) | instskip(NEXT) | instid1(VALU_DEP_1)
	v_div_fmas_f32 v6, v6, v7, v13
	v_div_fixup_f32 v3, v6, v4, v3
.LBB89_66:
	s_or_b32 exec_lo, exec_lo, s3
	s_delay_alu instid0(VALU_DEP_1) | instskip(SKIP_1) | instid1(VALU_DEP_2)
	v_bfe_u32 v4, v3, 16, 1
	v_cmp_o_f32_e32 vcc_lo, v3, v3
	v_add3_u32 v4, v3, v4, 0x7fff
	s_delay_alu instid0(VALU_DEP_1) | instskip(NEXT) | instid1(VALU_DEP_1)
	v_lshrrev_b32_e32 v4, 16, v4
	v_cndmask_b32_e32 v6, 0x7fc0, v4, vcc_lo
	s_or_b32 exec_lo, exec_lo, s1
	s_and_saveexec_b32 s1, s0
	s_delay_alu instid0(SALU_CYCLE_1)
	s_xor_b32 s0, exec_lo, s1
	s_cbranch_execnz .LBB89_77
.LBB89_67:
	s_or_b32 exec_lo, exec_lo, s0
	s_delay_alu instid0(SALU_CYCLE_1)
	s_mov_b32 s0, exec_lo
	v_cmpx_gt_i32_e64 s8, v0
	s_cbranch_execz .LBB89_78
.LBB89_68:
	v_add_nc_u32_e32 v1, s2, v0
	v_add_nc_u32_e32 v0, 0x100, v0
	global_store_b16 v1, v10, s[4:5] scale_offset
	s_wait_xcnt 0x0
	s_or_b32 exec_lo, exec_lo, s0
	s_delay_alu instid0(SALU_CYCLE_1)
	s_mov_b32 s0, exec_lo
	v_cmpx_gt_i32_e64 s8, v0
	s_cbranch_execnz .LBB89_79
.LBB89_69:
	s_or_b32 exec_lo, exec_lo, s0
	s_delay_alu instid0(SALU_CYCLE_1)
	s_mov_b32 s0, exec_lo
	v_cmpx_gt_i32_e64 s8, v0
	s_cbranch_execz .LBB89_80
.LBB89_70:
	v_add_nc_u32_e32 v1, s2, v0
	v_add_nc_u32_e32 v0, 0x100, v0
	global_store_b16 v1, v16, s[4:5] scale_offset
	s_wait_xcnt 0x0
	s_or_b32 exec_lo, exec_lo, s0
	s_delay_alu instid0(SALU_CYCLE_1)
	s_mov_b32 s0, exec_lo
	v_cmpx_gt_i32_e64 s8, v0
	s_cbranch_execnz .LBB89_81
.LBB89_71:
	s_or_b32 exec_lo, exec_lo, s0
	s_delay_alu instid0(SALU_CYCLE_1)
	s_mov_b32 s0, exec_lo
	v_cmpx_gt_i32_e64 s8, v0
	s_cbranch_execz .LBB89_82
.LBB89_72:
	v_add_nc_u32_e32 v1, s2, v0
	v_add_nc_u32_e32 v0, 0x100, v0
	global_store_b16 v1, v11, s[4:5] scale_offset
	s_wait_xcnt 0x0
	s_or_b32 exec_lo, exec_lo, s0
	s_delay_alu instid0(SALU_CYCLE_1)
	s_mov_b32 s0, exec_lo
	v_cmpx_gt_i32_e64 s8, v0
	s_cbranch_execnz .LBB89_83
.LBB89_73:
	s_or_b32 exec_lo, exec_lo, s0
	s_delay_alu instid0(SALU_CYCLE_1)
	s_mov_b32 s0, exec_lo
	v_cmpx_gt_i32_e64 s8, v0
	s_cbranch_execz .LBB89_75
.LBB89_74:
	v_add_nc_u32_e32 v0, s2, v0
	global_store_b16 v0, v6, s[4:5] scale_offset
.LBB89_75:
	s_endpgm
.LBB89_76:
	s_or_b32 exec_lo, exec_lo, s1
	s_and_saveexec_b32 s1, s0
	s_delay_alu instid0(SALU_CYCLE_1)
	s_xor_b32 s0, exec_lo, s1
	s_cbranch_execz .LBB89_67
.LBB89_77:
	v_mov_b32_e32 v0, v2
	global_store_b16 v1, v5, s[4:5] scale_offset
	s_wait_xcnt 0x0
	s_or_b32 exec_lo, exec_lo, s0
	s_delay_alu instid0(SALU_CYCLE_1)
	s_mov_b32 s0, exec_lo
	v_cmpx_gt_i32_e64 s8, v0
	s_cbranch_execnz .LBB89_68
.LBB89_78:
	s_or_b32 exec_lo, exec_lo, s0
	s_delay_alu instid0(SALU_CYCLE_1)
	s_mov_b32 s0, exec_lo
	v_cmpx_gt_i32_e64 s8, v0
	s_cbranch_execz .LBB89_69
.LBB89_79:
	v_add_nc_u32_e32 v1, s2, v0
	v_add_nc_u32_e32 v0, 0x100, v0
	global_store_b16 v1, v12, s[4:5] scale_offset
	s_wait_xcnt 0x0
	s_or_b32 exec_lo, exec_lo, s0
	s_delay_alu instid0(SALU_CYCLE_1)
	s_mov_b32 s0, exec_lo
	v_cmpx_gt_i32_e64 s8, v0
	s_cbranch_execnz .LBB89_70
.LBB89_80:
	s_or_b32 exec_lo, exec_lo, s0
	s_delay_alu instid0(SALU_CYCLE_1)
	s_mov_b32 s0, exec_lo
	v_cmpx_gt_i32_e64 s8, v0
	s_cbranch_execz .LBB89_71
.LBB89_81:
	v_add_nc_u32_e32 v1, s2, v0
	v_add_nc_u32_e32 v0, 0x100, v0
	global_store_b16 v1, v14, s[4:5] scale_offset
	s_wait_xcnt 0x0
	s_or_b32 exec_lo, exec_lo, s0
	s_delay_alu instid0(SALU_CYCLE_1)
	s_mov_b32 s0, exec_lo
	v_cmpx_gt_i32_e64 s8, v0
	s_cbranch_execnz .LBB89_72
.LBB89_82:
	s_or_b32 exec_lo, exec_lo, s0
	s_delay_alu instid0(SALU_CYCLE_1)
	s_mov_b32 s0, exec_lo
	v_cmpx_gt_i32_e64 s8, v0
	s_cbranch_execz .LBB89_73
.LBB89_83:
	v_add_nc_u32_e32 v1, s2, v0
	v_add_nc_u32_e32 v0, 0x100, v0
	global_store_b16 v1, v8, s[4:5] scale_offset
	s_wait_xcnt 0x0
	s_or_b32 exec_lo, exec_lo, s0
	s_delay_alu instid0(SALU_CYCLE_1)
	s_mov_b32 s0, exec_lo
	v_cmpx_gt_i32_e64 s8, v0
	s_cbranch_execnz .LBB89_74
	s_branch .LBB89_75
	.section	.rodata,"a",@progbits
	.p2align	6, 0x0
	.amdhsa_kernel _ZN2at6native29vectorized_elementwise_kernelILi2EZZZNS0_12_GLOBAL__N_124softplus_backward_kernelERNS_18TensorIteratorBaseERKN3c106ScalarES8_ENKUlvE_clEvENKUlvE2_clEvEUlNS5_8BFloat16ESB_E_St5arrayIPcLm3EEEEviT0_T1_
		.amdhsa_group_segment_fixed_size 0
		.amdhsa_private_segment_fixed_size 0
		.amdhsa_kernarg_size 40
		.amdhsa_user_sgpr_count 2
		.amdhsa_user_sgpr_dispatch_ptr 0
		.amdhsa_user_sgpr_queue_ptr 0
		.amdhsa_user_sgpr_kernarg_segment_ptr 1
		.amdhsa_user_sgpr_dispatch_id 0
		.amdhsa_user_sgpr_kernarg_preload_length 0
		.amdhsa_user_sgpr_kernarg_preload_offset 0
		.amdhsa_user_sgpr_private_segment_size 0
		.amdhsa_wavefront_size32 1
		.amdhsa_uses_dynamic_stack 0
		.amdhsa_enable_private_segment 0
		.amdhsa_system_sgpr_workgroup_id_x 1
		.amdhsa_system_sgpr_workgroup_id_y 0
		.amdhsa_system_sgpr_workgroup_id_z 0
		.amdhsa_system_sgpr_workgroup_info 0
		.amdhsa_system_vgpr_workitem_id 0
		.amdhsa_next_free_vgpr 24
		.amdhsa_next_free_sgpr 18
		.amdhsa_named_barrier_count 0
		.amdhsa_reserve_vcc 1
		.amdhsa_float_round_mode_32 0
		.amdhsa_float_round_mode_16_64 0
		.amdhsa_float_denorm_mode_32 3
		.amdhsa_float_denorm_mode_16_64 3
		.amdhsa_fp16_overflow 0
		.amdhsa_memory_ordered 1
		.amdhsa_forward_progress 1
		.amdhsa_inst_pref_size 51
		.amdhsa_round_robin_scheduling 0
		.amdhsa_exception_fp_ieee_invalid_op 0
		.amdhsa_exception_fp_denorm_src 0
		.amdhsa_exception_fp_ieee_div_zero 0
		.amdhsa_exception_fp_ieee_overflow 0
		.amdhsa_exception_fp_ieee_underflow 0
		.amdhsa_exception_fp_ieee_inexact 0
		.amdhsa_exception_int_div_zero 0
	.end_amdhsa_kernel
	.section	.text._ZN2at6native29vectorized_elementwise_kernelILi2EZZZNS0_12_GLOBAL__N_124softplus_backward_kernelERNS_18TensorIteratorBaseERKN3c106ScalarES8_ENKUlvE_clEvENKUlvE2_clEvEUlNS5_8BFloat16ESB_E_St5arrayIPcLm3EEEEviT0_T1_,"axG",@progbits,_ZN2at6native29vectorized_elementwise_kernelILi2EZZZNS0_12_GLOBAL__N_124softplus_backward_kernelERNS_18TensorIteratorBaseERKN3c106ScalarES8_ENKUlvE_clEvENKUlvE2_clEvEUlNS5_8BFloat16ESB_E_St5arrayIPcLm3EEEEviT0_T1_,comdat
.Lfunc_end89:
	.size	_ZN2at6native29vectorized_elementwise_kernelILi2EZZZNS0_12_GLOBAL__N_124softplus_backward_kernelERNS_18TensorIteratorBaseERKN3c106ScalarES8_ENKUlvE_clEvENKUlvE2_clEvEUlNS5_8BFloat16ESB_E_St5arrayIPcLm3EEEEviT0_T1_, .Lfunc_end89-_ZN2at6native29vectorized_elementwise_kernelILi2EZZZNS0_12_GLOBAL__N_124softplus_backward_kernelERNS_18TensorIteratorBaseERKN3c106ScalarES8_ENKUlvE_clEvENKUlvE2_clEvEUlNS5_8BFloat16ESB_E_St5arrayIPcLm3EEEEviT0_T1_
                                        ; -- End function
	.set _ZN2at6native29vectorized_elementwise_kernelILi2EZZZNS0_12_GLOBAL__N_124softplus_backward_kernelERNS_18TensorIteratorBaseERKN3c106ScalarES8_ENKUlvE_clEvENKUlvE2_clEvEUlNS5_8BFloat16ESB_E_St5arrayIPcLm3EEEEviT0_T1_.num_vgpr, 24
	.set _ZN2at6native29vectorized_elementwise_kernelILi2EZZZNS0_12_GLOBAL__N_124softplus_backward_kernelERNS_18TensorIteratorBaseERKN3c106ScalarES8_ENKUlvE_clEvENKUlvE2_clEvEUlNS5_8BFloat16ESB_E_St5arrayIPcLm3EEEEviT0_T1_.num_agpr, 0
	.set _ZN2at6native29vectorized_elementwise_kernelILi2EZZZNS0_12_GLOBAL__N_124softplus_backward_kernelERNS_18TensorIteratorBaseERKN3c106ScalarES8_ENKUlvE_clEvENKUlvE2_clEvEUlNS5_8BFloat16ESB_E_St5arrayIPcLm3EEEEviT0_T1_.numbered_sgpr, 18
	.set _ZN2at6native29vectorized_elementwise_kernelILi2EZZZNS0_12_GLOBAL__N_124softplus_backward_kernelERNS_18TensorIteratorBaseERKN3c106ScalarES8_ENKUlvE_clEvENKUlvE2_clEvEUlNS5_8BFloat16ESB_E_St5arrayIPcLm3EEEEviT0_T1_.num_named_barrier, 0
	.set _ZN2at6native29vectorized_elementwise_kernelILi2EZZZNS0_12_GLOBAL__N_124softplus_backward_kernelERNS_18TensorIteratorBaseERKN3c106ScalarES8_ENKUlvE_clEvENKUlvE2_clEvEUlNS5_8BFloat16ESB_E_St5arrayIPcLm3EEEEviT0_T1_.private_seg_size, 0
	.set _ZN2at6native29vectorized_elementwise_kernelILi2EZZZNS0_12_GLOBAL__N_124softplus_backward_kernelERNS_18TensorIteratorBaseERKN3c106ScalarES8_ENKUlvE_clEvENKUlvE2_clEvEUlNS5_8BFloat16ESB_E_St5arrayIPcLm3EEEEviT0_T1_.uses_vcc, 1
	.set _ZN2at6native29vectorized_elementwise_kernelILi2EZZZNS0_12_GLOBAL__N_124softplus_backward_kernelERNS_18TensorIteratorBaseERKN3c106ScalarES8_ENKUlvE_clEvENKUlvE2_clEvEUlNS5_8BFloat16ESB_E_St5arrayIPcLm3EEEEviT0_T1_.uses_flat_scratch, 0
	.set _ZN2at6native29vectorized_elementwise_kernelILi2EZZZNS0_12_GLOBAL__N_124softplus_backward_kernelERNS_18TensorIteratorBaseERKN3c106ScalarES8_ENKUlvE_clEvENKUlvE2_clEvEUlNS5_8BFloat16ESB_E_St5arrayIPcLm3EEEEviT0_T1_.has_dyn_sized_stack, 0
	.set _ZN2at6native29vectorized_elementwise_kernelILi2EZZZNS0_12_GLOBAL__N_124softplus_backward_kernelERNS_18TensorIteratorBaseERKN3c106ScalarES8_ENKUlvE_clEvENKUlvE2_clEvEUlNS5_8BFloat16ESB_E_St5arrayIPcLm3EEEEviT0_T1_.has_recursion, 0
	.set _ZN2at6native29vectorized_elementwise_kernelILi2EZZZNS0_12_GLOBAL__N_124softplus_backward_kernelERNS_18TensorIteratorBaseERKN3c106ScalarES8_ENKUlvE_clEvENKUlvE2_clEvEUlNS5_8BFloat16ESB_E_St5arrayIPcLm3EEEEviT0_T1_.has_indirect_call, 0
	.section	.AMDGPU.csdata,"",@progbits
; Kernel info:
; codeLenInByte = 6436
; TotalNumSgprs: 20
; NumVgprs: 24
; ScratchSize: 0
; MemoryBound: 0
; FloatMode: 240
; IeeeMode: 1
; LDSByteSize: 0 bytes/workgroup (compile time only)
; SGPRBlocks: 0
; VGPRBlocks: 1
; NumSGPRsForWavesPerEU: 20
; NumVGPRsForWavesPerEU: 24
; NamedBarCnt: 0
; Occupancy: 16
; WaveLimiterHint : 1
; COMPUTE_PGM_RSRC2:SCRATCH_EN: 0
; COMPUTE_PGM_RSRC2:USER_SGPR: 2
; COMPUTE_PGM_RSRC2:TRAP_HANDLER: 0
; COMPUTE_PGM_RSRC2:TGID_X_EN: 1
; COMPUTE_PGM_RSRC2:TGID_Y_EN: 0
; COMPUTE_PGM_RSRC2:TGID_Z_EN: 0
; COMPUTE_PGM_RSRC2:TIDIG_COMP_CNT: 0
	.section	.text._ZN2at6native27unrolled_elementwise_kernelIZZZNS0_12_GLOBAL__N_124softplus_backward_kernelERNS_18TensorIteratorBaseERKN3c106ScalarES8_ENKUlvE_clEvENKUlvE2_clEvEUlNS5_8BFloat16ESB_E_St5arrayIPcLm3EELi4E23TrivialOffsetCalculatorILi2EjESG_ILi1EjENS0_6memory15LoadWithoutCastENSJ_16StoreWithoutCastEEEviT_T0_T2_T3_T4_T5_,"axG",@progbits,_ZN2at6native27unrolled_elementwise_kernelIZZZNS0_12_GLOBAL__N_124softplus_backward_kernelERNS_18TensorIteratorBaseERKN3c106ScalarES8_ENKUlvE_clEvENKUlvE2_clEvEUlNS5_8BFloat16ESB_E_St5arrayIPcLm3EELi4E23TrivialOffsetCalculatorILi2EjESG_ILi1EjENS0_6memory15LoadWithoutCastENSJ_16StoreWithoutCastEEEviT_T0_T2_T3_T4_T5_,comdat
	.globl	_ZN2at6native27unrolled_elementwise_kernelIZZZNS0_12_GLOBAL__N_124softplus_backward_kernelERNS_18TensorIteratorBaseERKN3c106ScalarES8_ENKUlvE_clEvENKUlvE2_clEvEUlNS5_8BFloat16ESB_E_St5arrayIPcLm3EELi4E23TrivialOffsetCalculatorILi2EjESG_ILi1EjENS0_6memory15LoadWithoutCastENSJ_16StoreWithoutCastEEEviT_T0_T2_T3_T4_T5_ ; -- Begin function _ZN2at6native27unrolled_elementwise_kernelIZZZNS0_12_GLOBAL__N_124softplus_backward_kernelERNS_18TensorIteratorBaseERKN3c106ScalarES8_ENKUlvE_clEvENKUlvE2_clEvEUlNS5_8BFloat16ESB_E_St5arrayIPcLm3EELi4E23TrivialOffsetCalculatorILi2EjESG_ILi1EjENS0_6memory15LoadWithoutCastENSJ_16StoreWithoutCastEEEviT_T0_T2_T3_T4_T5_
	.p2align	8
	.type	_ZN2at6native27unrolled_elementwise_kernelIZZZNS0_12_GLOBAL__N_124softplus_backward_kernelERNS_18TensorIteratorBaseERKN3c106ScalarES8_ENKUlvE_clEvENKUlvE2_clEvEUlNS5_8BFloat16ESB_E_St5arrayIPcLm3EELi4E23TrivialOffsetCalculatorILi2EjESG_ILi1EjENS0_6memory15LoadWithoutCastENSJ_16StoreWithoutCastEEEviT_T0_T2_T3_T4_T5_,@function
_ZN2at6native27unrolled_elementwise_kernelIZZZNS0_12_GLOBAL__N_124softplus_backward_kernelERNS_18TensorIteratorBaseERKN3c106ScalarES8_ENKUlvE_clEvENKUlvE2_clEvEUlNS5_8BFloat16ESB_E_St5arrayIPcLm3EELi4E23TrivialOffsetCalculatorILi2EjESG_ILi1EjENS0_6memory15LoadWithoutCastENSJ_16StoreWithoutCastEEEviT_T0_T2_T3_T4_T5_: ; @_ZN2at6native27unrolled_elementwise_kernelIZZZNS0_12_GLOBAL__N_124softplus_backward_kernelERNS_18TensorIteratorBaseERKN3c106ScalarES8_ENKUlvE_clEvENKUlvE2_clEvEUlNS5_8BFloat16ESB_E_St5arrayIPcLm3EELi4E23TrivialOffsetCalculatorILi2EjESG_ILi1EjENS0_6memory15LoadWithoutCastENSJ_16StoreWithoutCastEEEviT_T0_T2_T3_T4_T5_
; %bb.0:
	s_load_b96 s[8:10], s[0:1], 0x0
	s_bfe_u32 s12, ttmp6, 0x4000c
	s_clause 0x1
	s_load_b128 s[4:7], s[0:1], 0x10
	s_load_b64 s[2:3], s[0:1], 0x20
	s_add_co_i32 s12, s12, 1
	s_and_b32 s11, ttmp6, 15
	s_wait_xcnt 0x0
	s_mul_i32 s1, ttmp9, s12
	s_getreg_b32 s0, hwreg(HW_REG_IB_STS2, 6, 4)
	s_add_co_i32 s11, s11, s1
	s_cmp_eq_u32 s0, 0
	v_dual_mov_b32 v7, 0 :: v_dual_mov_b32 v11, 0
	s_cselect_b32 s0, ttmp9, s11
	v_or_b32_e32 v1, 0x100, v0
	s_lshl_b32 s1, s0, 10
	s_delay_alu instid0(SALU_CYCLE_1) | instskip(SKIP_3) | instid1(SALU_CYCLE_1)
	v_dual_mov_b32 v5, v0 :: v_dual_bitop2_b32 v2, s1, v0 bitop3:0x54
	v_mov_b32_e32 v9, 0
	s_wait_kmcnt 0x0
	s_sub_co_i32 s8, s8, s1
	v_cmp_gt_i32_e64 s0, s8, v0
	s_and_saveexec_b32 s11, s0
	s_cbranch_execz .LBB90_2
; %bb.1:
	s_clause 0x1
	global_load_u16 v3, v2, s[2:3] scale_offset
	global_load_u16 v4, v2, s[6:7] scale_offset
	v_or_b32_e32 v5, 0x100, v0
	s_wait_loadcnt 0x0
	v_dual_lshlrev_b32 v11, 16, v3 :: v_dual_lshlrev_b32 v9, 16, v4
.LBB90_2:
	s_or_b32 exec_lo, exec_lo, s11
	v_mov_b32_e32 v10, 0
	s_mov_b32 s11, exec_lo
	v_cmpx_gt_i32_e64 s8, v5
	s_cbranch_execz .LBB90_4
; %bb.3:
	v_add_nc_u32_e32 v3, s1, v5
	v_add_nc_u32_e32 v5, 0x100, v5
	s_clause 0x1
	global_load_u16 v4, v3, s[2:3] scale_offset
	global_load_u16 v6, v3, s[6:7] scale_offset
	s_wait_loadcnt 0x0
	v_dual_lshlrev_b32 v7, 16, v4 :: v_dual_lshlrev_b32 v10, 16, v6
.LBB90_4:
	s_or_b32 exec_lo, exec_lo, s11
	v_dual_mov_b32 v4, 0 :: v_dual_mov_b32 v8, 0
	v_mov_b32_e32 v6, 0
	s_mov_b32 s11, exec_lo
	v_cmpx_gt_i32_e64 s8, v5
	s_cbranch_execz .LBB90_6
; %bb.5:
	v_add_nc_u32_e32 v3, s1, v5
	v_add_nc_u32_e32 v5, 0x100, v5
	s_clause 0x1
	global_load_u16 v6, v3, s[2:3] scale_offset
	global_load_u16 v12, v3, s[6:7] scale_offset
	s_wait_loadcnt 0x0
	v_dual_lshlrev_b32 v8, 16, v6 :: v_dual_lshlrev_b32 v6, 16, v12
.LBB90_6:
	s_or_b32 exec_lo, exec_lo, s11
	v_mov_b32_e32 v3, 0
	s_mov_b32 s11, exec_lo
	v_cmpx_gt_i32_e64 s8, v5
	s_cbranch_execz .LBB90_8
; %bb.7:
	v_add_nc_u32_e32 v3, s1, v5
	s_clause 0x1
	global_load_u16 v4, v3, s[2:3] scale_offset
	global_load_u16 v5, v3, s[6:7] scale_offset
	s_wait_loadcnt 0x0
	v_dual_lshlrev_b32 v4, 16, v4 :: v_dual_lshlrev_b32 v3, 16, v5
	s_or_b32 exec_lo, exec_lo, s11
                                        ; implicit-def: $vgpr5
	s_and_saveexec_b32 s2, s0
	s_cbranch_execz .LBB90_12
	s_branch .LBB90_9
.LBB90_8:
	s_or_b32 exec_lo, exec_lo, s11
                                        ; implicit-def: $vgpr5
	s_and_saveexec_b32 s2, s0
	s_cbranch_execz .LBB90_12
.LBB90_9:
	v_mul_f32_e32 v5, s9, v11
	s_mov_b32 s3, exec_lo
	s_delay_alu instid0(VALU_DEP_1)
	v_cmpx_nlt_f32_e32 s10, v5
	s_cbranch_execz .LBB90_11
; %bb.10:
	v_mul_f32_e32 v11, 0x3fb8aa3b, v5
	v_cmp_ngt_f32_e32 vcc_lo, 0xc2ce8ed0, v5
	s_delay_alu instid0(VALU_DEP_2) | instskip(SKIP_1) | instid1(VALU_DEP_2)
	v_rndne_f32_e32 v12, v11
	v_fma_f32 v13, 0x3fb8aa3b, v5, -v11
	v_sub_f32_e32 v11, v11, v12
	s_delay_alu instid0(VALU_DEP_2) | instskip(SKIP_1) | instid1(VALU_DEP_2)
	v_fmamk_f32 v13, v5, 0x32a5705f, v13
	v_cvt_i32_f32_e32 v12, v12
	v_add_f32_e32 v11, v11, v13
	s_delay_alu instid0(VALU_DEP_1) | instskip(SKIP_1) | instid1(TRANS32_DEP_1)
	v_exp_f32_e32 v11, v11
	v_nop
	v_ldexp_f32 v11, v11, v12
	s_delay_alu instid0(VALU_DEP_1) | instskip(SKIP_1) | instid1(VALU_DEP_2)
	v_cndmask_b32_e32 v11, 0, v11, vcc_lo
	v_cmp_nlt_f32_e32 vcc_lo, 0x42b17218, v5
	v_cndmask_b32_e32 v5, 0x7f800000, v11, vcc_lo
	s_delay_alu instid0(VALU_DEP_1) | instskip(NEXT) | instid1(VALU_DEP_1)
	v_dual_mul_f32 v9, v9, v5 :: v_dual_add_f32 v5, 1.0, v5
	v_div_scale_f32 v11, null, v5, v5, v9
	s_delay_alu instid0(VALU_DEP_1) | instskip(SKIP_1) | instid1(TRANS32_DEP_1)
	v_rcp_f32_e32 v12, v11
	v_nop
	v_fma_f32 v13, -v11, v12, 1.0
	s_delay_alu instid0(VALU_DEP_1) | instskip(SKIP_1) | instid1(VALU_DEP_1)
	v_fmac_f32_e32 v12, v13, v12
	v_div_scale_f32 v13, vcc_lo, v9, v5, v9
	v_mul_f32_e32 v14, v13, v12
	s_delay_alu instid0(VALU_DEP_1) | instskip(NEXT) | instid1(VALU_DEP_1)
	v_fma_f32 v15, -v11, v14, v13
	v_fmac_f32_e32 v14, v15, v12
	s_delay_alu instid0(VALU_DEP_1) | instskip(NEXT) | instid1(VALU_DEP_1)
	v_fma_f32 v11, -v11, v14, v13
	v_div_fmas_f32 v11, v11, v12, v14
	s_delay_alu instid0(VALU_DEP_1)
	v_div_fixup_f32 v9, v11, v5, v9
.LBB90_11:
	s_or_b32 exec_lo, exec_lo, s3
	s_delay_alu instid0(VALU_DEP_1) | instskip(SKIP_1) | instid1(VALU_DEP_2)
	v_bfe_u32 v5, v9, 16, 1
	v_cmp_o_f32_e32 vcc_lo, v9, v9
	v_add3_u32 v5, v9, v5, 0x7fff
	s_delay_alu instid0(VALU_DEP_1) | instskip(NEXT) | instid1(VALU_DEP_1)
	v_lshrrev_b32_e32 v5, 16, v5
	v_cndmask_b32_e32 v5, 0x7fc0, v5, vcc_lo
.LBB90_12:
	s_or_b32 exec_lo, exec_lo, s2
	s_delay_alu instid0(SALU_CYCLE_1)
	s_mov_b32 s2, exec_lo
                                        ; implicit-def: $vgpr9
	v_cmpx_gt_i32_e64 s8, v1
	s_cbranch_execz .LBB90_16
; %bb.13:
	v_mul_f32_e32 v7, s9, v7
	s_mov_b32 s3, exec_lo
	s_delay_alu instid0(VALU_DEP_1)
	v_cmpx_nlt_f32_e32 s10, v7
	s_cbranch_execz .LBB90_15
; %bb.14:
	v_mul_f32_e32 v9, 0x3fb8aa3b, v7
	v_cmp_ngt_f32_e32 vcc_lo, 0xc2ce8ed0, v7
	s_delay_alu instid0(VALU_DEP_2) | instskip(SKIP_1) | instid1(VALU_DEP_1)
	v_rndne_f32_e32 v11, v9
	v_fma_f32 v12, 0x3fb8aa3b, v7, -v9
	v_dual_sub_f32 v9, v9, v11 :: v_dual_fmamk_f32 v12, v7, 0x32a5705f, v12
	v_cvt_i32_f32_e32 v11, v11
	s_delay_alu instid0(VALU_DEP_2) | instskip(NEXT) | instid1(VALU_DEP_1)
	v_add_f32_e32 v9, v9, v12
	v_exp_f32_e32 v9, v9
	v_nop
	s_delay_alu instid0(TRANS32_DEP_1) | instskip(NEXT) | instid1(VALU_DEP_1)
	v_ldexp_f32 v9, v9, v11
	v_cndmask_b32_e32 v9, 0, v9, vcc_lo
	v_cmp_nlt_f32_e32 vcc_lo, 0x42b17218, v7
	s_delay_alu instid0(VALU_DEP_2) | instskip(NEXT) | instid1(VALU_DEP_1)
	v_cndmask_b32_e32 v7, 0x7f800000, v9, vcc_lo
	v_dual_mul_f32 v9, v10, v7 :: v_dual_add_f32 v7, 1.0, v7
	s_delay_alu instid0(VALU_DEP_1) | instskip(NEXT) | instid1(VALU_DEP_1)
	v_div_scale_f32 v10, null, v7, v7, v9
	v_rcp_f32_e32 v11, v10
	v_nop
	s_delay_alu instid0(TRANS32_DEP_1) | instskip(NEXT) | instid1(VALU_DEP_1)
	v_fma_f32 v12, -v10, v11, 1.0
	v_fmac_f32_e32 v11, v12, v11
	v_div_scale_f32 v12, vcc_lo, v9, v7, v9
	s_delay_alu instid0(VALU_DEP_1) | instskip(NEXT) | instid1(VALU_DEP_1)
	v_mul_f32_e32 v13, v12, v11
	v_fma_f32 v14, -v10, v13, v12
	s_delay_alu instid0(VALU_DEP_1) | instskip(NEXT) | instid1(VALU_DEP_1)
	v_fmac_f32_e32 v13, v14, v11
	v_fma_f32 v10, -v10, v13, v12
	s_delay_alu instid0(VALU_DEP_1) | instskip(NEXT) | instid1(VALU_DEP_1)
	v_div_fmas_f32 v10, v10, v11, v13
	v_div_fixup_f32 v10, v10, v7, v9
.LBB90_15:
	s_or_b32 exec_lo, exec_lo, s3
	s_delay_alu instid0(VALU_DEP_1) | instskip(SKIP_1) | instid1(VALU_DEP_2)
	v_bfe_u32 v7, v10, 16, 1
	v_cmp_o_f32_e32 vcc_lo, v10, v10
	v_add3_u32 v7, v10, v7, 0x7fff
	s_delay_alu instid0(VALU_DEP_1) | instskip(NEXT) | instid1(VALU_DEP_1)
	v_lshrrev_b32_e32 v7, 16, v7
	v_cndmask_b32_e32 v9, 0x7fc0, v7, vcc_lo
.LBB90_16:
	s_or_b32 exec_lo, exec_lo, s2
	v_or_b32_e32 v7, 0x200, v0
	s_delay_alu instid0(VALU_DEP_1)
	v_cmp_gt_i32_e32 vcc_lo, s8, v7
                                        ; implicit-def: $vgpr7
	s_and_saveexec_b32 s2, vcc_lo
	s_cbranch_execz .LBB90_20
; %bb.17:
	v_mul_f32_e32 v7, s9, v8
	s_mov_b32 s3, exec_lo
	s_delay_alu instid0(VALU_DEP_1)
	v_cmpx_nlt_f32_e32 s10, v7
	s_cbranch_execz .LBB90_19
; %bb.18:
	v_mul_f32_e32 v8, 0x3fb8aa3b, v7
	v_cmp_ngt_f32_e32 vcc_lo, 0xc2ce8ed0, v7
	s_delay_alu instid0(VALU_DEP_2) | instskip(SKIP_1) | instid1(VALU_DEP_1)
	v_rndne_f32_e32 v10, v8
	v_fma_f32 v11, 0x3fb8aa3b, v7, -v8
	v_dual_sub_f32 v8, v8, v10 :: v_dual_fmamk_f32 v11, v7, 0x32a5705f, v11
	v_cvt_i32_f32_e32 v10, v10
	s_delay_alu instid0(VALU_DEP_2) | instskip(NEXT) | instid1(VALU_DEP_1)
	v_add_f32_e32 v8, v8, v11
	v_exp_f32_e32 v8, v8
	v_nop
	s_delay_alu instid0(TRANS32_DEP_1) | instskip(NEXT) | instid1(VALU_DEP_1)
	v_ldexp_f32 v8, v8, v10
	v_cndmask_b32_e32 v8, 0, v8, vcc_lo
	v_cmp_nlt_f32_e32 vcc_lo, 0x42b17218, v7
	s_delay_alu instid0(VALU_DEP_2) | instskip(NEXT) | instid1(VALU_DEP_1)
	v_cndmask_b32_e32 v7, 0x7f800000, v8, vcc_lo
	v_dual_mul_f32 v6, v6, v7 :: v_dual_add_f32 v7, 1.0, v7
	s_delay_alu instid0(VALU_DEP_1) | instskip(NEXT) | instid1(VALU_DEP_1)
	v_div_scale_f32 v8, null, v7, v7, v6
	v_rcp_f32_e32 v10, v8
	v_nop
	s_delay_alu instid0(TRANS32_DEP_1) | instskip(NEXT) | instid1(VALU_DEP_1)
	v_fma_f32 v11, -v8, v10, 1.0
	v_fmac_f32_e32 v10, v11, v10
	v_div_scale_f32 v11, vcc_lo, v6, v7, v6
	s_delay_alu instid0(VALU_DEP_1) | instskip(NEXT) | instid1(VALU_DEP_1)
	v_mul_f32_e32 v12, v11, v10
	v_fma_f32 v13, -v8, v12, v11
	s_delay_alu instid0(VALU_DEP_1) | instskip(NEXT) | instid1(VALU_DEP_1)
	v_fmac_f32_e32 v12, v13, v10
	v_fma_f32 v8, -v8, v12, v11
	s_delay_alu instid0(VALU_DEP_1) | instskip(NEXT) | instid1(VALU_DEP_1)
	v_div_fmas_f32 v8, v8, v10, v12
	v_div_fixup_f32 v6, v8, v7, v6
.LBB90_19:
	s_or_b32 exec_lo, exec_lo, s3
	s_delay_alu instid0(VALU_DEP_1) | instskip(SKIP_1) | instid1(VALU_DEP_2)
	v_bfe_u32 v7, v6, 16, 1
	v_cmp_o_f32_e32 vcc_lo, v6, v6
	v_add3_u32 v7, v6, v7, 0x7fff
	s_delay_alu instid0(VALU_DEP_1) | instskip(NEXT) | instid1(VALU_DEP_1)
	v_lshrrev_b32_e32 v7, 16, v7
	v_cndmask_b32_e32 v7, 0x7fc0, v7, vcc_lo
.LBB90_20:
	s_or_b32 exec_lo, exec_lo, s2
	v_or_b32_e32 v6, 0x300, v0
	s_delay_alu instid0(VALU_DEP_1)
	v_cmp_gt_i32_e32 vcc_lo, s8, v6
                                        ; implicit-def: $vgpr6
	s_and_saveexec_b32 s2, vcc_lo
	s_cbranch_execz .LBB90_28
; %bb.21:
	v_mul_f32_e32 v4, s9, v4
	s_mov_b32 s3, exec_lo
	s_delay_alu instid0(VALU_DEP_1)
	v_cmpx_nlt_f32_e32 s10, v4
	s_cbranch_execz .LBB90_23
; %bb.22:
	v_mul_f32_e32 v6, 0x3fb8aa3b, v4
	v_cmp_ngt_f32_e32 vcc_lo, 0xc2ce8ed0, v4
	s_delay_alu instid0(VALU_DEP_2) | instskip(SKIP_1) | instid1(VALU_DEP_2)
	v_rndne_f32_e32 v8, v6
	v_fma_f32 v10, 0x3fb8aa3b, v4, -v6
	v_sub_f32_e32 v6, v6, v8
	s_delay_alu instid0(VALU_DEP_2) | instskip(SKIP_1) | instid1(VALU_DEP_2)
	v_fmamk_f32 v10, v4, 0x32a5705f, v10
	v_cvt_i32_f32_e32 v8, v8
	v_add_f32_e32 v6, v6, v10
	s_delay_alu instid0(VALU_DEP_1) | instskip(SKIP_1) | instid1(TRANS32_DEP_1)
	v_exp_f32_e32 v6, v6
	v_nop
	v_ldexp_f32 v6, v6, v8
	s_delay_alu instid0(VALU_DEP_1) | instskip(SKIP_1) | instid1(VALU_DEP_2)
	v_cndmask_b32_e32 v6, 0, v6, vcc_lo
	v_cmp_nlt_f32_e32 vcc_lo, 0x42b17218, v4
	v_cndmask_b32_e32 v4, 0x7f800000, v6, vcc_lo
	s_delay_alu instid0(VALU_DEP_1) | instskip(NEXT) | instid1(VALU_DEP_1)
	v_dual_mul_f32 v3, v3, v4 :: v_dual_add_f32 v4, 1.0, v4
	v_div_scale_f32 v6, null, v4, v4, v3
	s_delay_alu instid0(VALU_DEP_1) | instskip(SKIP_1) | instid1(TRANS32_DEP_1)
	v_rcp_f32_e32 v8, v6
	v_nop
	v_fma_f32 v10, -v6, v8, 1.0
	s_delay_alu instid0(VALU_DEP_1) | instskip(SKIP_1) | instid1(VALU_DEP_1)
	v_fmac_f32_e32 v8, v10, v8
	v_div_scale_f32 v10, vcc_lo, v3, v4, v3
	v_mul_f32_e32 v11, v10, v8
	s_delay_alu instid0(VALU_DEP_1) | instskip(NEXT) | instid1(VALU_DEP_1)
	v_fma_f32 v12, -v6, v11, v10
	v_fmac_f32_e32 v11, v12, v8
	s_delay_alu instid0(VALU_DEP_1) | instskip(NEXT) | instid1(VALU_DEP_1)
	v_fma_f32 v6, -v6, v11, v10
	v_div_fmas_f32 v6, v6, v8, v11
	s_delay_alu instid0(VALU_DEP_1)
	v_div_fixup_f32 v3, v6, v4, v3
.LBB90_23:
	s_or_b32 exec_lo, exec_lo, s3
	s_delay_alu instid0(VALU_DEP_1) | instskip(SKIP_1) | instid1(VALU_DEP_2)
	v_bfe_u32 v4, v3, 16, 1
	v_cmp_o_f32_e32 vcc_lo, v3, v3
	v_add3_u32 v4, v3, v4, 0x7fff
	s_delay_alu instid0(VALU_DEP_1) | instskip(NEXT) | instid1(VALU_DEP_1)
	v_lshrrev_b32_e32 v4, 16, v4
	v_cndmask_b32_e32 v6, 0x7fc0, v4, vcc_lo
	s_or_b32 exec_lo, exec_lo, s2
	s_and_saveexec_b32 s2, s0
	s_delay_alu instid0(SALU_CYCLE_1)
	s_xor_b32 s0, exec_lo, s2
	s_cbranch_execnz .LBB90_29
.LBB90_24:
	s_or_b32 exec_lo, exec_lo, s0
	s_delay_alu instid0(SALU_CYCLE_1)
	s_mov_b32 s0, exec_lo
	v_cmpx_gt_i32_e64 s8, v0
	s_cbranch_execz .LBB90_30
.LBB90_25:
	v_add_nc_u32_e32 v1, 0x100, v0
	s_delay_alu instid0(VALU_DEP_1) | instskip(SKIP_3) | instid1(SALU_CYCLE_1)
	v_dual_add_nc_u32 v2, s1, v0 :: v_dual_mov_b32 v0, v1
	global_store_b16 v2, v9, s[4:5] scale_offset
	s_wait_xcnt 0x0
	s_or_b32 exec_lo, exec_lo, s0
	s_mov_b32 s0, exec_lo
	v_cmpx_gt_i32_e64 s8, v0
	s_cbranch_execnz .LBB90_31
.LBB90_26:
	s_or_b32 exec_lo, exec_lo, s0
	s_delay_alu instid0(SALU_CYCLE_1)
	s_mov_b32 s0, exec_lo
	v_cmpx_gt_i32_e64 s8, v0
	s_cbranch_execz .LBB90_32
.LBB90_27:
	v_add_nc_u32_e32 v0, s1, v0
	global_store_b16 v0, v6, s[4:5] scale_offset
	s_endpgm
.LBB90_28:
	s_or_b32 exec_lo, exec_lo, s2
	s_and_saveexec_b32 s2, s0
	s_delay_alu instid0(SALU_CYCLE_1)
	s_xor_b32 s0, exec_lo, s2
	s_cbranch_execz .LBB90_24
.LBB90_29:
	v_mov_b32_e32 v0, v1
	global_store_b16 v2, v5, s[4:5] scale_offset
	s_wait_xcnt 0x0
	s_or_b32 exec_lo, exec_lo, s0
	s_delay_alu instid0(SALU_CYCLE_1)
	s_mov_b32 s0, exec_lo
	v_cmpx_gt_i32_e64 s8, v0
	s_cbranch_execnz .LBB90_25
.LBB90_30:
	s_or_b32 exec_lo, exec_lo, s0
	s_delay_alu instid0(SALU_CYCLE_1)
	s_mov_b32 s0, exec_lo
	v_cmpx_gt_i32_e64 s8, v0
	s_cbranch_execz .LBB90_26
.LBB90_31:
	v_add_nc_u32_e32 v1, 0x100, v0
	s_delay_alu instid0(VALU_DEP_1) | instskip(SKIP_3) | instid1(SALU_CYCLE_1)
	v_dual_add_nc_u32 v2, s1, v0 :: v_dual_mov_b32 v0, v1
	global_store_b16 v2, v7, s[4:5] scale_offset
	s_wait_xcnt 0x0
	s_or_b32 exec_lo, exec_lo, s0
	s_mov_b32 s0, exec_lo
	v_cmpx_gt_i32_e64 s8, v0
	s_cbranch_execnz .LBB90_27
.LBB90_32:
	s_endpgm
	.section	.rodata,"a",@progbits
	.p2align	6, 0x0
	.amdhsa_kernel _ZN2at6native27unrolled_elementwise_kernelIZZZNS0_12_GLOBAL__N_124softplus_backward_kernelERNS_18TensorIteratorBaseERKN3c106ScalarES8_ENKUlvE_clEvENKUlvE2_clEvEUlNS5_8BFloat16ESB_E_St5arrayIPcLm3EELi4E23TrivialOffsetCalculatorILi2EjESG_ILi1EjENS0_6memory15LoadWithoutCastENSJ_16StoreWithoutCastEEEviT_T0_T2_T3_T4_T5_
		.amdhsa_group_segment_fixed_size 0
		.amdhsa_private_segment_fixed_size 0
		.amdhsa_kernarg_size 44
		.amdhsa_user_sgpr_count 2
		.amdhsa_user_sgpr_dispatch_ptr 0
		.amdhsa_user_sgpr_queue_ptr 0
		.amdhsa_user_sgpr_kernarg_segment_ptr 1
		.amdhsa_user_sgpr_dispatch_id 0
		.amdhsa_user_sgpr_kernarg_preload_length 0
		.amdhsa_user_sgpr_kernarg_preload_offset 0
		.amdhsa_user_sgpr_private_segment_size 0
		.amdhsa_wavefront_size32 1
		.amdhsa_uses_dynamic_stack 0
		.amdhsa_enable_private_segment 0
		.amdhsa_system_sgpr_workgroup_id_x 1
		.amdhsa_system_sgpr_workgroup_id_y 0
		.amdhsa_system_sgpr_workgroup_id_z 0
		.amdhsa_system_sgpr_workgroup_info 0
		.amdhsa_system_vgpr_workitem_id 0
		.amdhsa_next_free_vgpr 16
		.amdhsa_next_free_sgpr 13
		.amdhsa_named_barrier_count 0
		.amdhsa_reserve_vcc 1
		.amdhsa_float_round_mode_32 0
		.amdhsa_float_round_mode_16_64 0
		.amdhsa_float_denorm_mode_32 3
		.amdhsa_float_denorm_mode_16_64 3
		.amdhsa_fp16_overflow 0
		.amdhsa_memory_ordered 1
		.amdhsa_forward_progress 1
		.amdhsa_inst_pref_size 16
		.amdhsa_round_robin_scheduling 0
		.amdhsa_exception_fp_ieee_invalid_op 0
		.amdhsa_exception_fp_denorm_src 0
		.amdhsa_exception_fp_ieee_div_zero 0
		.amdhsa_exception_fp_ieee_overflow 0
		.amdhsa_exception_fp_ieee_underflow 0
		.amdhsa_exception_fp_ieee_inexact 0
		.amdhsa_exception_int_div_zero 0
	.end_amdhsa_kernel
	.section	.text._ZN2at6native27unrolled_elementwise_kernelIZZZNS0_12_GLOBAL__N_124softplus_backward_kernelERNS_18TensorIteratorBaseERKN3c106ScalarES8_ENKUlvE_clEvENKUlvE2_clEvEUlNS5_8BFloat16ESB_E_St5arrayIPcLm3EELi4E23TrivialOffsetCalculatorILi2EjESG_ILi1EjENS0_6memory15LoadWithoutCastENSJ_16StoreWithoutCastEEEviT_T0_T2_T3_T4_T5_,"axG",@progbits,_ZN2at6native27unrolled_elementwise_kernelIZZZNS0_12_GLOBAL__N_124softplus_backward_kernelERNS_18TensorIteratorBaseERKN3c106ScalarES8_ENKUlvE_clEvENKUlvE2_clEvEUlNS5_8BFloat16ESB_E_St5arrayIPcLm3EELi4E23TrivialOffsetCalculatorILi2EjESG_ILi1EjENS0_6memory15LoadWithoutCastENSJ_16StoreWithoutCastEEEviT_T0_T2_T3_T4_T5_,comdat
.Lfunc_end90:
	.size	_ZN2at6native27unrolled_elementwise_kernelIZZZNS0_12_GLOBAL__N_124softplus_backward_kernelERNS_18TensorIteratorBaseERKN3c106ScalarES8_ENKUlvE_clEvENKUlvE2_clEvEUlNS5_8BFloat16ESB_E_St5arrayIPcLm3EELi4E23TrivialOffsetCalculatorILi2EjESG_ILi1EjENS0_6memory15LoadWithoutCastENSJ_16StoreWithoutCastEEEviT_T0_T2_T3_T4_T5_, .Lfunc_end90-_ZN2at6native27unrolled_elementwise_kernelIZZZNS0_12_GLOBAL__N_124softplus_backward_kernelERNS_18TensorIteratorBaseERKN3c106ScalarES8_ENKUlvE_clEvENKUlvE2_clEvEUlNS5_8BFloat16ESB_E_St5arrayIPcLm3EELi4E23TrivialOffsetCalculatorILi2EjESG_ILi1EjENS0_6memory15LoadWithoutCastENSJ_16StoreWithoutCastEEEviT_T0_T2_T3_T4_T5_
                                        ; -- End function
	.set _ZN2at6native27unrolled_elementwise_kernelIZZZNS0_12_GLOBAL__N_124softplus_backward_kernelERNS_18TensorIteratorBaseERKN3c106ScalarES8_ENKUlvE_clEvENKUlvE2_clEvEUlNS5_8BFloat16ESB_E_St5arrayIPcLm3EELi4E23TrivialOffsetCalculatorILi2EjESG_ILi1EjENS0_6memory15LoadWithoutCastENSJ_16StoreWithoutCastEEEviT_T0_T2_T3_T4_T5_.num_vgpr, 16
	.set _ZN2at6native27unrolled_elementwise_kernelIZZZNS0_12_GLOBAL__N_124softplus_backward_kernelERNS_18TensorIteratorBaseERKN3c106ScalarES8_ENKUlvE_clEvENKUlvE2_clEvEUlNS5_8BFloat16ESB_E_St5arrayIPcLm3EELi4E23TrivialOffsetCalculatorILi2EjESG_ILi1EjENS0_6memory15LoadWithoutCastENSJ_16StoreWithoutCastEEEviT_T0_T2_T3_T4_T5_.num_agpr, 0
	.set _ZN2at6native27unrolled_elementwise_kernelIZZZNS0_12_GLOBAL__N_124softplus_backward_kernelERNS_18TensorIteratorBaseERKN3c106ScalarES8_ENKUlvE_clEvENKUlvE2_clEvEUlNS5_8BFloat16ESB_E_St5arrayIPcLm3EELi4E23TrivialOffsetCalculatorILi2EjESG_ILi1EjENS0_6memory15LoadWithoutCastENSJ_16StoreWithoutCastEEEviT_T0_T2_T3_T4_T5_.numbered_sgpr, 13
	.set _ZN2at6native27unrolled_elementwise_kernelIZZZNS0_12_GLOBAL__N_124softplus_backward_kernelERNS_18TensorIteratorBaseERKN3c106ScalarES8_ENKUlvE_clEvENKUlvE2_clEvEUlNS5_8BFloat16ESB_E_St5arrayIPcLm3EELi4E23TrivialOffsetCalculatorILi2EjESG_ILi1EjENS0_6memory15LoadWithoutCastENSJ_16StoreWithoutCastEEEviT_T0_T2_T3_T4_T5_.num_named_barrier, 0
	.set _ZN2at6native27unrolled_elementwise_kernelIZZZNS0_12_GLOBAL__N_124softplus_backward_kernelERNS_18TensorIteratorBaseERKN3c106ScalarES8_ENKUlvE_clEvENKUlvE2_clEvEUlNS5_8BFloat16ESB_E_St5arrayIPcLm3EELi4E23TrivialOffsetCalculatorILi2EjESG_ILi1EjENS0_6memory15LoadWithoutCastENSJ_16StoreWithoutCastEEEviT_T0_T2_T3_T4_T5_.private_seg_size, 0
	.set _ZN2at6native27unrolled_elementwise_kernelIZZZNS0_12_GLOBAL__N_124softplus_backward_kernelERNS_18TensorIteratorBaseERKN3c106ScalarES8_ENKUlvE_clEvENKUlvE2_clEvEUlNS5_8BFloat16ESB_E_St5arrayIPcLm3EELi4E23TrivialOffsetCalculatorILi2EjESG_ILi1EjENS0_6memory15LoadWithoutCastENSJ_16StoreWithoutCastEEEviT_T0_T2_T3_T4_T5_.uses_vcc, 1
	.set _ZN2at6native27unrolled_elementwise_kernelIZZZNS0_12_GLOBAL__N_124softplus_backward_kernelERNS_18TensorIteratorBaseERKN3c106ScalarES8_ENKUlvE_clEvENKUlvE2_clEvEUlNS5_8BFloat16ESB_E_St5arrayIPcLm3EELi4E23TrivialOffsetCalculatorILi2EjESG_ILi1EjENS0_6memory15LoadWithoutCastENSJ_16StoreWithoutCastEEEviT_T0_T2_T3_T4_T5_.uses_flat_scratch, 0
	.set _ZN2at6native27unrolled_elementwise_kernelIZZZNS0_12_GLOBAL__N_124softplus_backward_kernelERNS_18TensorIteratorBaseERKN3c106ScalarES8_ENKUlvE_clEvENKUlvE2_clEvEUlNS5_8BFloat16ESB_E_St5arrayIPcLm3EELi4E23TrivialOffsetCalculatorILi2EjESG_ILi1EjENS0_6memory15LoadWithoutCastENSJ_16StoreWithoutCastEEEviT_T0_T2_T3_T4_T5_.has_dyn_sized_stack, 0
	.set _ZN2at6native27unrolled_elementwise_kernelIZZZNS0_12_GLOBAL__N_124softplus_backward_kernelERNS_18TensorIteratorBaseERKN3c106ScalarES8_ENKUlvE_clEvENKUlvE2_clEvEUlNS5_8BFloat16ESB_E_St5arrayIPcLm3EELi4E23TrivialOffsetCalculatorILi2EjESG_ILi1EjENS0_6memory15LoadWithoutCastENSJ_16StoreWithoutCastEEEviT_T0_T2_T3_T4_T5_.has_recursion, 0
	.set _ZN2at6native27unrolled_elementwise_kernelIZZZNS0_12_GLOBAL__N_124softplus_backward_kernelERNS_18TensorIteratorBaseERKN3c106ScalarES8_ENKUlvE_clEvENKUlvE2_clEvEUlNS5_8BFloat16ESB_E_St5arrayIPcLm3EELi4E23TrivialOffsetCalculatorILi2EjESG_ILi1EjENS0_6memory15LoadWithoutCastENSJ_16StoreWithoutCastEEEviT_T0_T2_T3_T4_T5_.has_indirect_call, 0
	.section	.AMDGPU.csdata,"",@progbits
; Kernel info:
; codeLenInByte = 1960
; TotalNumSgprs: 15
; NumVgprs: 16
; ScratchSize: 0
; MemoryBound: 0
; FloatMode: 240
; IeeeMode: 1
; LDSByteSize: 0 bytes/workgroup (compile time only)
; SGPRBlocks: 0
; VGPRBlocks: 0
; NumSGPRsForWavesPerEU: 15
; NumVGPRsForWavesPerEU: 16
; NamedBarCnt: 0
; Occupancy: 16
; WaveLimiterHint : 0
; COMPUTE_PGM_RSRC2:SCRATCH_EN: 0
; COMPUTE_PGM_RSRC2:USER_SGPR: 2
; COMPUTE_PGM_RSRC2:TRAP_HANDLER: 0
; COMPUTE_PGM_RSRC2:TGID_X_EN: 1
; COMPUTE_PGM_RSRC2:TGID_Y_EN: 0
; COMPUTE_PGM_RSRC2:TGID_Z_EN: 0
; COMPUTE_PGM_RSRC2:TIDIG_COMP_CNT: 0
	.section	.text._ZN2at6native32elementwise_kernel_manual_unrollILi128ELi8EZNS0_22gpu_kernel_impl_nocastIZZZNS0_12_GLOBAL__N_124softplus_backward_kernelERNS_18TensorIteratorBaseERKN3c106ScalarES9_ENKUlvE_clEvENKUlvE2_clEvEUlNS6_8BFloat16ESC_E_EEvS5_RKT_EUlibE_EEviT1_,"axG",@progbits,_ZN2at6native32elementwise_kernel_manual_unrollILi128ELi8EZNS0_22gpu_kernel_impl_nocastIZZZNS0_12_GLOBAL__N_124softplus_backward_kernelERNS_18TensorIteratorBaseERKN3c106ScalarES9_ENKUlvE_clEvENKUlvE2_clEvEUlNS6_8BFloat16ESC_E_EEvS5_RKT_EUlibE_EEviT1_,comdat
	.globl	_ZN2at6native32elementwise_kernel_manual_unrollILi128ELi8EZNS0_22gpu_kernel_impl_nocastIZZZNS0_12_GLOBAL__N_124softplus_backward_kernelERNS_18TensorIteratorBaseERKN3c106ScalarES9_ENKUlvE_clEvENKUlvE2_clEvEUlNS6_8BFloat16ESC_E_EEvS5_RKT_EUlibE_EEviT1_ ; -- Begin function _ZN2at6native32elementwise_kernel_manual_unrollILi128ELi8EZNS0_22gpu_kernel_impl_nocastIZZZNS0_12_GLOBAL__N_124softplus_backward_kernelERNS_18TensorIteratorBaseERKN3c106ScalarES9_ENKUlvE_clEvENKUlvE2_clEvEUlNS6_8BFloat16ESC_E_EEvS5_RKT_EUlibE_EEviT1_
	.p2align	8
	.type	_ZN2at6native32elementwise_kernel_manual_unrollILi128ELi8EZNS0_22gpu_kernel_impl_nocastIZZZNS0_12_GLOBAL__N_124softplus_backward_kernelERNS_18TensorIteratorBaseERKN3c106ScalarES9_ENKUlvE_clEvENKUlvE2_clEvEUlNS6_8BFloat16ESC_E_EEvS5_RKT_EUlibE_EEviT1_,@function
_ZN2at6native32elementwise_kernel_manual_unrollILi128ELi8EZNS0_22gpu_kernel_impl_nocastIZZZNS0_12_GLOBAL__N_124softplus_backward_kernelERNS_18TensorIteratorBaseERKN3c106ScalarES9_ENKUlvE_clEvENKUlvE2_clEvEUlNS6_8BFloat16ESC_E_EEvS5_RKT_EUlibE_EEviT1_: ; @_ZN2at6native32elementwise_kernel_manual_unrollILi128ELi8EZNS0_22gpu_kernel_impl_nocastIZZZNS0_12_GLOBAL__N_124softplus_backward_kernelERNS_18TensorIteratorBaseERKN3c106ScalarES9_ENKUlvE_clEvENKUlvE2_clEvEUlNS6_8BFloat16ESC_E_EEvS5_RKT_EUlibE_EEviT1_
; %bb.0:
	s_clause 0x1
	s_load_b32 s28, s[0:1], 0x8
	s_load_b32 s35, s[0:1], 0x0
	s_bfe_u32 s2, ttmp6, 0x4000c
	s_and_b32 s3, ttmp6, 15
	s_add_co_i32 s2, s2, 1
	s_getreg_b32 s4, hwreg(HW_REG_IB_STS2, 6, 4)
	s_mul_i32 s2, ttmp9, s2
	s_add_nc_u64 s[16:17], s[0:1], 8
	s_add_co_i32 s3, s3, s2
	s_cmp_eq_u32 s4, 0
	s_mov_b32 s23, 0
	s_cselect_b32 s2, ttmp9, s3
	s_wait_xcnt 0x0
	s_mov_b32 s0, exec_lo
	v_lshl_or_b32 v0, s2, 10, v0
	s_delay_alu instid0(VALU_DEP_1) | instskip(SKIP_2) | instid1(SALU_CYCLE_1)
	v_or_b32_e32 v4, 0x380, v0
	s_wait_kmcnt 0x0
	s_add_co_i32 s29, s28, -1
	s_cmp_gt_u32 s29, 1
	s_cselect_b32 s30, -1, 0
	v_cmpx_le_i32_e64 s35, v4
	s_xor_b32 s31, exec_lo, s0
	s_cbranch_execz .LBB91_122
; %bb.1:
	s_clause 0x4
	s_load_b128 s[8:11], s[16:17], 0x4
	s_load_b64 s[18:19], s[16:17], 0x14
	s_load_b128 s[12:15], s[16:17], 0xc4
	s_load_b64 s[20:21], s[16:17], 0xd4
	s_load_b256 s[0:7], s[16:17], 0x188
	s_cmp_lg_u32 s28, 0
	s_mov_b32 s25, s23
	s_cselect_b32 s36, -1, 0
	s_min_u32 s34, s29, 15
	s_cmp_gt_u32 s28, 1
	s_cselect_b32 s33, -1, 0
	s_wait_kmcnt 0x0
	s_mov_b32 s22, s9
	s_mov_b32 s24, s18
	s_mov_b32 s9, exec_lo
	v_cmpx_gt_i32_e64 s35, v0
	s_cbranch_execnz .LBB91_9
; %bb.2:
	s_or_b32 exec_lo, exec_lo, s9
	s_delay_alu instid0(SALU_CYCLE_1)
	s_mov_b32 s9, exec_lo
	v_cmpx_gt_i32_e64 s35, v0
	s_cbranch_execnz .LBB91_23
.LBB91_3:
	s_or_b32 exec_lo, exec_lo, s9
	s_delay_alu instid0(SALU_CYCLE_1)
	s_mov_b32 s9, exec_lo
	v_cmpx_gt_i32_e64 s35, v0
	s_cbranch_execnz .LBB91_37
.LBB91_4:
	s_or_b32 exec_lo, exec_lo, s9
	s_delay_alu instid0(SALU_CYCLE_1)
	s_mov_b32 s9, exec_lo
	v_cmpx_gt_i32_e64 s35, v0
	s_cbranch_execnz .LBB91_51
.LBB91_5:
	s_or_b32 exec_lo, exec_lo, s9
	s_delay_alu instid0(SALU_CYCLE_1)
	s_mov_b32 s9, exec_lo
	v_cmpx_gt_i32_e64 s35, v0
	s_cbranch_execnz .LBB91_65
.LBB91_6:
	s_or_b32 exec_lo, exec_lo, s9
	s_delay_alu instid0(SALU_CYCLE_1)
	s_mov_b32 s9, exec_lo
	v_cmpx_gt_i32_e64 s35, v0
	s_cbranch_execnz .LBB91_79
.LBB91_7:
	s_or_b32 exec_lo, exec_lo, s9
	s_delay_alu instid0(SALU_CYCLE_1)
	s_mov_b32 s9, exec_lo
	v_cmpx_gt_i32_e64 s35, v0
	s_cbranch_execnz .LBB91_93
.LBB91_8:
	s_or_b32 exec_lo, exec_lo, s9
	s_delay_alu instid0(SALU_CYCLE_1)
	s_mov_b32 s9, exec_lo
	v_cmpx_gt_i32_e64 s35, v0
	s_cbranch_execnz .LBB91_107
	s_branch .LBB91_121
.LBB91_9:
	s_and_not1_b32 vcc_lo, exec_lo, s30
	s_cbranch_vccnz .LBB91_15
; %bb.10:
	s_and_not1_b32 vcc_lo, exec_lo, s36
	s_cbranch_vccnz .LBB91_16
; %bb.11:
	v_dual_mov_b32 v4, 0 :: v_dual_mov_b32 v1, v0
	v_dual_mov_b32 v6, 0 :: v_dual_mov_b32 v5, 0
	s_add_co_i32 s18, s34, 1
	s_mov_b64 s[26:27], 0xffffffffffffffe8
	s_and_b32 s18, s18, 30
	s_add_nc_u64 s[26:27], s[16:17], s[26:27]
.LBB91_12:                              ; =>This Inner Loop Header: Depth=1
	s_clause 0x1
	s_load_b128 s[40:43], s[26:27], 0x1c
	s_load_b64 s[38:39], s[26:27], 0x2c
	s_add_co_i32 s18, s18, -2
	s_delay_alu instid0(SALU_CYCLE_1) | instskip(SKIP_2) | instid1(VALU_DEP_1)
	s_cmp_lg_u32 s18, 0
	s_wait_kmcnt 0x0
	v_mul_hi_u32 v2, s41, v1
	v_add_nc_u32_e32 v2, v1, v2
	s_delay_alu instid0(VALU_DEP_1) | instskip(NEXT) | instid1(VALU_DEP_1)
	v_lshrrev_b32_e32 v2, s42, v2
	v_mul_hi_u32 v3, s38, v2
	v_mul_lo_u32 v7, v2, s40
	s_clause 0x1
	s_load_b128 s[44:47], s[26:27], 0xdc
	s_load_b64 s[40:41], s[26:27], 0xec
	s_wait_xcnt 0x0
	s_add_nc_u64 s[26:27], s[26:27], 24
	s_delay_alu instid0(VALU_DEP_2) | instskip(NEXT) | instid1(VALU_DEP_2)
	v_add_nc_u32_e32 v3, v2, v3
	v_sub_nc_u32_e32 v7, v1, v7
	s_delay_alu instid0(VALU_DEP_2) | instskip(SKIP_1) | instid1(VALU_DEP_2)
	v_lshrrev_b32_e32 v1, s39, v3
	s_wait_kmcnt 0x0
	v_mad_u32 v4, v7, s44, v4
	s_delay_alu instid0(VALU_DEP_2) | instskip(SKIP_2) | instid1(VALU_DEP_3)
	v_mul_lo_u32 v3, v1, s43
	v_mad_u32 v5, v7, s46, v5
	v_mad_u32 v6, v7, s45, v6
	v_sub_nc_u32_e32 v2, v2, v3
	s_delay_alu instid0(VALU_DEP_1) | instskip(NEXT) | instid1(VALU_DEP_4)
	v_mad_u32 v4, v2, s47, v4
	v_mad_u32 v5, v2, s41, v5
	s_delay_alu instid0(VALU_DEP_4)
	v_mad_u32 v6, v2, s40, v6
	s_cbranch_scc1 .LBB91_12
; %bb.13:
	s_bitcmp1_b32 s34, 0
	s_cselect_b32 s18, -1, 0
	s_delay_alu instid0(SALU_CYCLE_1)
	s_and_b32 vcc_lo, exec_lo, s18
	s_cbranch_vccnz .LBB91_17
; %bb.14:
	s_clause 0x1
	s_load_b96 s[40:42], s[26:27], 0x1c
	s_load_b96 s[44:46], s[26:27], 0xdc
	s_wait_kmcnt 0x0
	v_mul_hi_u32 v2, s41, v1
	s_delay_alu instid0(VALU_DEP_1) | instskip(NEXT) | instid1(VALU_DEP_1)
	v_add_nc_u32_e32 v2, v1, v2
	v_lshrrev_b32_e32 v2, s42, v2
	s_delay_alu instid0(VALU_DEP_1) | instskip(NEXT) | instid1(VALU_DEP_1)
	v_mul_lo_u32 v2, v2, s40
	v_sub_nc_u32_e32 v1, v1, v2
	s_delay_alu instid0(VALU_DEP_1)
	v_mad_u32 v4, v1, s44, v4
	v_mad_u32 v6, v1, s45, v6
	;; [unrolled: 1-line block ×3, first 2 shown]
	s_cbranch_execz .LBB91_18
	s_branch .LBB91_20
.LBB91_15:
                                        ; implicit-def: $vgpr5
                                        ; implicit-def: $vgpr6
                                        ; implicit-def: $vgpr4
	s_branch .LBB91_18
.LBB91_16:
	v_dual_mov_b32 v5, 0 :: v_dual_mov_b32 v6, 0
	v_mov_b32_e32 v4, 0
.LBB91_17:
	s_cbranch_execnz .LBB91_20
.LBB91_18:
	v_mov_b32_e32 v1, 0
	s_and_not1_b32 vcc_lo, exec_lo, s33
	s_delay_alu instid0(VALU_DEP_1) | instskip(NEXT) | instid1(VALU_DEP_1)
	v_mul_u64_e32 v[2:3], s[22:23], v[0:1]
	v_add_nc_u32_e32 v2, v0, v3
	s_delay_alu instid0(VALU_DEP_1) | instskip(NEXT) | instid1(VALU_DEP_1)
	v_lshrrev_b32_e32 v2, s10, v2
	v_mul_lo_u32 v3, v2, s8
	s_delay_alu instid0(VALU_DEP_1) | instskip(NEXT) | instid1(VALU_DEP_1)
	v_sub_nc_u32_e32 v3, v0, v3
	v_mul_lo_u32 v4, v3, s12
	v_mul_lo_u32 v5, v3, s14
	;; [unrolled: 1-line block ×3, first 2 shown]
	s_cbranch_vccnz .LBB91_20
; %bb.19:
	v_mov_b32_e32 v3, v1
	s_delay_alu instid0(VALU_DEP_1) | instskip(NEXT) | instid1(VALU_DEP_1)
	v_mul_u64_e32 v[8:9], s[24:25], v[2:3]
	v_add_nc_u32_e32 v1, v2, v9
	s_delay_alu instid0(VALU_DEP_1) | instskip(NEXT) | instid1(VALU_DEP_1)
	v_lshrrev_b32_e32 v1, s19, v1
	v_mul_lo_u32 v1, v1, s11
	s_delay_alu instid0(VALU_DEP_1) | instskip(NEXT) | instid1(VALU_DEP_1)
	v_sub_nc_u32_e32 v1, v2, v1
	v_mad_u32 v4, v1, s15, v4
	v_mad_u32 v6, v1, s20, v6
	;; [unrolled: 1-line block ×3, first 2 shown]
.LBB91_20:
	global_load_u16 v1, v5, s[4:5]
	global_load_u16 v3, v6, s[2:3]
	s_mov_b32 s18, exec_lo
	s_wait_loadcnt 0x1
	v_lshlrev_b32_e32 v1, 16, v1
	s_wait_loadcnt 0x0
	s_delay_alu instid0(VALU_DEP_1) | instskip(NEXT) | instid1(VALU_DEP_1)
	v_dual_mul_f32 v2, s6, v1 :: v_dual_lshlrev_b32 v1, 16, v3
	v_cmpx_nlt_f32_e32 s7, v2
	s_cbranch_execz .LBB91_22
; %bb.21:
	v_mul_f32_e32 v3, 0x3fb8aa3b, v2
	v_cmp_ngt_f32_e32 vcc_lo, 0xc2ce8ed0, v2
	s_delay_alu instid0(VALU_DEP_2) | instskip(SKIP_1) | instid1(VALU_DEP_1)
	v_rndne_f32_e32 v5, v3
	v_fma_f32 v6, 0x3fb8aa3b, v2, -v3
	v_dual_sub_f32 v3, v3, v5 :: v_dual_fmamk_f32 v6, v2, 0x32a5705f, v6
	v_cvt_i32_f32_e32 v5, v5
	s_delay_alu instid0(VALU_DEP_2) | instskip(NEXT) | instid1(VALU_DEP_1)
	v_add_f32_e32 v3, v3, v6
	v_exp_f32_e32 v3, v3
	v_nop
	s_delay_alu instid0(TRANS32_DEP_1) | instskip(NEXT) | instid1(VALU_DEP_1)
	v_ldexp_f32 v3, v3, v5
	v_cndmask_b32_e32 v3, 0, v3, vcc_lo
	v_cmp_nlt_f32_e32 vcc_lo, 0x42b17218, v2
	s_delay_alu instid0(VALU_DEP_2) | instskip(NEXT) | instid1(VALU_DEP_1)
	v_cndmask_b32_e32 v2, 0x7f800000, v3, vcc_lo
	v_dual_mul_f32 v1, v2, v1 :: v_dual_add_f32 v2, 1.0, v2
	s_delay_alu instid0(VALU_DEP_1) | instskip(NEXT) | instid1(VALU_DEP_1)
	v_div_scale_f32 v3, null, v2, v2, v1
	v_rcp_f32_e32 v5, v3
	v_nop
	s_delay_alu instid0(TRANS32_DEP_1) | instskip(NEXT) | instid1(VALU_DEP_1)
	v_fma_f32 v6, -v3, v5, 1.0
	v_fmac_f32_e32 v5, v6, v5
	v_div_scale_f32 v6, vcc_lo, v1, v2, v1
	s_delay_alu instid0(VALU_DEP_1) | instskip(NEXT) | instid1(VALU_DEP_1)
	v_mul_f32_e32 v7, v6, v5
	v_fma_f32 v8, -v3, v7, v6
	s_delay_alu instid0(VALU_DEP_1) | instskip(NEXT) | instid1(VALU_DEP_1)
	v_fmac_f32_e32 v7, v8, v5
	v_fma_f32 v3, -v3, v7, v6
	s_delay_alu instid0(VALU_DEP_1) | instskip(NEXT) | instid1(VALU_DEP_1)
	v_div_fmas_f32 v3, v3, v5, v7
	v_div_fixup_f32 v1, v3, v2, v1
.LBB91_22:
	s_or_b32 exec_lo, exec_lo, s18
	s_delay_alu instid0(VALU_DEP_1) | instskip(SKIP_2) | instid1(VALU_DEP_3)
	v_bfe_u32 v2, v1, 16, 1
	v_cmp_o_f32_e32 vcc_lo, v1, v1
	v_add_nc_u32_e32 v0, 0x80, v0
	v_add3_u32 v2, v1, v2, 0x7fff
	s_delay_alu instid0(VALU_DEP_1) | instskip(NEXT) | instid1(VALU_DEP_1)
	v_lshrrev_b32_e32 v2, 16, v2
	v_cndmask_b32_e32 v1, 0x7fc0, v2, vcc_lo
	global_store_b16 v4, v1, s[0:1]
	s_wait_xcnt 0x0
	s_or_b32 exec_lo, exec_lo, s9
	s_delay_alu instid0(SALU_CYCLE_1)
	s_mov_b32 s9, exec_lo
	v_cmpx_gt_i32_e64 s35, v0
	s_cbranch_execz .LBB91_3
.LBB91_23:
	s_and_not1_b32 vcc_lo, exec_lo, s30
	s_cbranch_vccnz .LBB91_29
; %bb.24:
	s_and_not1_b32 vcc_lo, exec_lo, s36
	s_cbranch_vccnz .LBB91_30
; %bb.25:
	v_dual_mov_b32 v4, 0 :: v_dual_mov_b32 v1, v0
	v_dual_mov_b32 v6, 0 :: v_dual_mov_b32 v5, 0
	s_add_co_i32 s18, s34, 1
	s_mov_b64 s[26:27], 0xffffffffffffffe8
	s_and_b32 s18, s18, 30
	s_add_nc_u64 s[26:27], s[16:17], s[26:27]
.LBB91_26:                              ; =>This Inner Loop Header: Depth=1
	s_clause 0x1
	s_load_b128 s[40:43], s[26:27], 0x1c
	s_load_b64 s[38:39], s[26:27], 0x2c
	s_add_co_i32 s18, s18, -2
	s_delay_alu instid0(SALU_CYCLE_1) | instskip(SKIP_2) | instid1(VALU_DEP_1)
	s_cmp_eq_u32 s18, 0
	s_wait_kmcnt 0x0
	v_mul_hi_u32 v2, s41, v1
	v_add_nc_u32_e32 v2, v1, v2
	s_delay_alu instid0(VALU_DEP_1) | instskip(NEXT) | instid1(VALU_DEP_1)
	v_lshrrev_b32_e32 v2, s42, v2
	v_mul_hi_u32 v3, s38, v2
	v_mul_lo_u32 v7, v2, s40
	s_clause 0x1
	s_load_b128 s[44:47], s[26:27], 0xdc
	s_load_b64 s[40:41], s[26:27], 0xec
	s_wait_xcnt 0x0
	s_add_nc_u64 s[26:27], s[26:27], 24
	s_delay_alu instid0(VALU_DEP_2) | instskip(NEXT) | instid1(VALU_DEP_2)
	v_add_nc_u32_e32 v3, v2, v3
	v_sub_nc_u32_e32 v7, v1, v7
	s_delay_alu instid0(VALU_DEP_2) | instskip(SKIP_1) | instid1(VALU_DEP_2)
	v_lshrrev_b32_e32 v1, s39, v3
	s_wait_kmcnt 0x0
	v_mad_u32 v4, v7, s44, v4
	s_delay_alu instid0(VALU_DEP_2) | instskip(SKIP_2) | instid1(VALU_DEP_3)
	v_mul_lo_u32 v3, v1, s43
	v_mad_u32 v5, v7, s46, v5
	v_mad_u32 v6, v7, s45, v6
	v_sub_nc_u32_e32 v2, v2, v3
	s_delay_alu instid0(VALU_DEP_1) | instskip(NEXT) | instid1(VALU_DEP_4)
	v_mad_u32 v4, v2, s47, v4
	v_mad_u32 v5, v2, s41, v5
	s_delay_alu instid0(VALU_DEP_4)
	v_mad_u32 v6, v2, s40, v6
	s_cbranch_scc0 .LBB91_26
; %bb.27:
	s_bitcmp1_b32 s34, 0
	s_cselect_b32 s18, -1, 0
	s_delay_alu instid0(SALU_CYCLE_1)
	s_and_b32 vcc_lo, exec_lo, s18
	s_cbranch_vccnz .LBB91_31
; %bb.28:
	s_clause 0x1
	s_load_b96 s[40:42], s[26:27], 0x1c
	s_load_b96 s[44:46], s[26:27], 0xdc
	s_wait_kmcnt 0x0
	v_mul_hi_u32 v2, s41, v1
	s_delay_alu instid0(VALU_DEP_1) | instskip(NEXT) | instid1(VALU_DEP_1)
	v_add_nc_u32_e32 v2, v1, v2
	v_lshrrev_b32_e32 v2, s42, v2
	s_delay_alu instid0(VALU_DEP_1) | instskip(NEXT) | instid1(VALU_DEP_1)
	v_mul_lo_u32 v2, v2, s40
	v_sub_nc_u32_e32 v1, v1, v2
	s_delay_alu instid0(VALU_DEP_1)
	v_mad_u32 v4, v1, s44, v4
	v_mad_u32 v6, v1, s45, v6
	;; [unrolled: 1-line block ×3, first 2 shown]
	s_branch .LBB91_31
.LBB91_29:
                                        ; implicit-def: $vgpr5
                                        ; implicit-def: $vgpr6
                                        ; implicit-def: $vgpr4
	s_branch .LBB91_32
.LBB91_30:
	v_dual_mov_b32 v5, 0 :: v_dual_mov_b32 v6, 0
	v_mov_b32_e32 v4, 0
.LBB91_31:
	s_cbranch_execnz .LBB91_34
.LBB91_32:
	v_mov_b32_e32 v1, 0
	s_and_not1_b32 vcc_lo, exec_lo, s33
	s_delay_alu instid0(VALU_DEP_1) | instskip(NEXT) | instid1(VALU_DEP_1)
	v_mul_u64_e32 v[2:3], s[22:23], v[0:1]
	v_add_nc_u32_e32 v2, v0, v3
	s_delay_alu instid0(VALU_DEP_1) | instskip(NEXT) | instid1(VALU_DEP_1)
	v_lshrrev_b32_e32 v2, s10, v2
	v_mul_lo_u32 v3, v2, s8
	s_delay_alu instid0(VALU_DEP_1) | instskip(NEXT) | instid1(VALU_DEP_1)
	v_sub_nc_u32_e32 v3, v0, v3
	v_mul_lo_u32 v4, v3, s12
	v_mul_lo_u32 v5, v3, s14
	;; [unrolled: 1-line block ×3, first 2 shown]
	s_cbranch_vccnz .LBB91_34
; %bb.33:
	v_mov_b32_e32 v3, v1
	s_delay_alu instid0(VALU_DEP_1) | instskip(NEXT) | instid1(VALU_DEP_1)
	v_mul_u64_e32 v[8:9], s[24:25], v[2:3]
	v_add_nc_u32_e32 v1, v2, v9
	s_delay_alu instid0(VALU_DEP_1) | instskip(NEXT) | instid1(VALU_DEP_1)
	v_lshrrev_b32_e32 v1, s19, v1
	v_mul_lo_u32 v1, v1, s11
	s_delay_alu instid0(VALU_DEP_1) | instskip(NEXT) | instid1(VALU_DEP_1)
	v_sub_nc_u32_e32 v1, v2, v1
	v_mad_u32 v4, v1, s15, v4
	v_mad_u32 v6, v1, s20, v6
	;; [unrolled: 1-line block ×3, first 2 shown]
.LBB91_34:
	global_load_u16 v1, v5, s[4:5]
	global_load_u16 v3, v6, s[2:3]
	s_mov_b32 s18, exec_lo
	s_wait_loadcnt 0x1
	v_lshlrev_b32_e32 v1, 16, v1
	s_wait_loadcnt 0x0
	s_delay_alu instid0(VALU_DEP_1) | instskip(SKIP_1) | instid1(VALU_DEP_1)
	v_dual_mul_f32 v2, s6, v1 :: v_dual_lshlrev_b32 v1, 16, v3
	s_wait_xcnt 0x0
	v_cmpx_nlt_f32_e32 s7, v2
	s_cbranch_execz .LBB91_36
; %bb.35:
	v_mul_f32_e32 v3, 0x3fb8aa3b, v2
	v_cmp_ngt_f32_e32 vcc_lo, 0xc2ce8ed0, v2
	s_delay_alu instid0(VALU_DEP_2) | instskip(SKIP_1) | instid1(VALU_DEP_1)
	v_rndne_f32_e32 v5, v3
	v_fma_f32 v6, 0x3fb8aa3b, v2, -v3
	v_dual_sub_f32 v3, v3, v5 :: v_dual_fmamk_f32 v6, v2, 0x32a5705f, v6
	v_cvt_i32_f32_e32 v5, v5
	s_delay_alu instid0(VALU_DEP_2) | instskip(NEXT) | instid1(VALU_DEP_1)
	v_add_f32_e32 v3, v3, v6
	v_exp_f32_e32 v3, v3
	v_nop
	s_delay_alu instid0(TRANS32_DEP_1) | instskip(NEXT) | instid1(VALU_DEP_1)
	v_ldexp_f32 v3, v3, v5
	v_cndmask_b32_e32 v3, 0, v3, vcc_lo
	v_cmp_nlt_f32_e32 vcc_lo, 0x42b17218, v2
	s_delay_alu instid0(VALU_DEP_2) | instskip(NEXT) | instid1(VALU_DEP_1)
	v_cndmask_b32_e32 v2, 0x7f800000, v3, vcc_lo
	v_dual_mul_f32 v1, v2, v1 :: v_dual_add_f32 v2, 1.0, v2
	s_delay_alu instid0(VALU_DEP_1) | instskip(NEXT) | instid1(VALU_DEP_1)
	v_div_scale_f32 v3, null, v2, v2, v1
	v_rcp_f32_e32 v5, v3
	v_nop
	s_delay_alu instid0(TRANS32_DEP_1) | instskip(NEXT) | instid1(VALU_DEP_1)
	v_fma_f32 v6, -v3, v5, 1.0
	v_fmac_f32_e32 v5, v6, v5
	v_div_scale_f32 v6, vcc_lo, v1, v2, v1
	s_delay_alu instid0(VALU_DEP_1) | instskip(NEXT) | instid1(VALU_DEP_1)
	v_mul_f32_e32 v7, v6, v5
	v_fma_f32 v8, -v3, v7, v6
	s_delay_alu instid0(VALU_DEP_1) | instskip(NEXT) | instid1(VALU_DEP_1)
	v_fmac_f32_e32 v7, v8, v5
	v_fma_f32 v3, -v3, v7, v6
	s_delay_alu instid0(VALU_DEP_1) | instskip(NEXT) | instid1(VALU_DEP_1)
	v_div_fmas_f32 v3, v3, v5, v7
	v_div_fixup_f32 v1, v3, v2, v1
.LBB91_36:
	s_or_b32 exec_lo, exec_lo, s18
	s_delay_alu instid0(VALU_DEP_1) | instskip(SKIP_2) | instid1(VALU_DEP_3)
	v_bfe_u32 v2, v1, 16, 1
	v_cmp_o_f32_e32 vcc_lo, v1, v1
	v_add_nc_u32_e32 v0, 0x80, v0
	v_add3_u32 v2, v1, v2, 0x7fff
	s_delay_alu instid0(VALU_DEP_1) | instskip(NEXT) | instid1(VALU_DEP_1)
	v_lshrrev_b32_e32 v2, 16, v2
	v_cndmask_b32_e32 v1, 0x7fc0, v2, vcc_lo
	global_store_b16 v4, v1, s[0:1]
	s_wait_xcnt 0x0
	s_or_b32 exec_lo, exec_lo, s9
	s_delay_alu instid0(SALU_CYCLE_1)
	s_mov_b32 s9, exec_lo
	v_cmpx_gt_i32_e64 s35, v0
	s_cbranch_execz .LBB91_4
.LBB91_37:
	s_and_not1_b32 vcc_lo, exec_lo, s30
	s_cbranch_vccnz .LBB91_43
; %bb.38:
	s_and_not1_b32 vcc_lo, exec_lo, s36
	s_cbranch_vccnz .LBB91_44
; %bb.39:
	v_dual_mov_b32 v4, 0 :: v_dual_mov_b32 v1, v0
	v_dual_mov_b32 v6, 0 :: v_dual_mov_b32 v5, 0
	s_add_co_i32 s18, s34, 1
	s_mov_b64 s[26:27], 0xffffffffffffffe8
	s_and_b32 s18, s18, 30
	s_add_nc_u64 s[26:27], s[16:17], s[26:27]
.LBB91_40:                              ; =>This Inner Loop Header: Depth=1
	s_clause 0x1
	s_load_b128 s[40:43], s[26:27], 0x1c
	s_load_b64 s[38:39], s[26:27], 0x2c
	s_add_co_i32 s18, s18, -2
	s_delay_alu instid0(SALU_CYCLE_1) | instskip(SKIP_2) | instid1(VALU_DEP_1)
	s_cmp_eq_u32 s18, 0
	s_wait_kmcnt 0x0
	v_mul_hi_u32 v2, s41, v1
	v_add_nc_u32_e32 v2, v1, v2
	s_delay_alu instid0(VALU_DEP_1) | instskip(NEXT) | instid1(VALU_DEP_1)
	v_lshrrev_b32_e32 v2, s42, v2
	v_mul_hi_u32 v3, s38, v2
	v_mul_lo_u32 v7, v2, s40
	s_clause 0x1
	s_load_b128 s[44:47], s[26:27], 0xdc
	s_load_b64 s[40:41], s[26:27], 0xec
	s_wait_xcnt 0x0
	s_add_nc_u64 s[26:27], s[26:27], 24
	s_delay_alu instid0(VALU_DEP_2) | instskip(NEXT) | instid1(VALU_DEP_2)
	v_add_nc_u32_e32 v3, v2, v3
	v_sub_nc_u32_e32 v7, v1, v7
	s_delay_alu instid0(VALU_DEP_2) | instskip(SKIP_1) | instid1(VALU_DEP_2)
	v_lshrrev_b32_e32 v1, s39, v3
	s_wait_kmcnt 0x0
	v_mad_u32 v4, v7, s44, v4
	s_delay_alu instid0(VALU_DEP_2) | instskip(SKIP_2) | instid1(VALU_DEP_3)
	v_mul_lo_u32 v3, v1, s43
	v_mad_u32 v5, v7, s46, v5
	v_mad_u32 v6, v7, s45, v6
	v_sub_nc_u32_e32 v2, v2, v3
	s_delay_alu instid0(VALU_DEP_1) | instskip(NEXT) | instid1(VALU_DEP_4)
	v_mad_u32 v4, v2, s47, v4
	v_mad_u32 v5, v2, s41, v5
	s_delay_alu instid0(VALU_DEP_4)
	v_mad_u32 v6, v2, s40, v6
	s_cbranch_scc0 .LBB91_40
; %bb.41:
	s_bitcmp1_b32 s34, 0
	s_cselect_b32 s18, -1, 0
	s_delay_alu instid0(SALU_CYCLE_1)
	s_and_b32 vcc_lo, exec_lo, s18
	s_cbranch_vccnz .LBB91_45
; %bb.42:
	s_clause 0x1
	s_load_b96 s[40:42], s[26:27], 0x1c
	s_load_b96 s[44:46], s[26:27], 0xdc
	s_wait_kmcnt 0x0
	v_mul_hi_u32 v2, s41, v1
	s_delay_alu instid0(VALU_DEP_1) | instskip(NEXT) | instid1(VALU_DEP_1)
	v_add_nc_u32_e32 v2, v1, v2
	v_lshrrev_b32_e32 v2, s42, v2
	s_delay_alu instid0(VALU_DEP_1) | instskip(NEXT) | instid1(VALU_DEP_1)
	v_mul_lo_u32 v2, v2, s40
	v_sub_nc_u32_e32 v1, v1, v2
	s_delay_alu instid0(VALU_DEP_1)
	v_mad_u32 v4, v1, s44, v4
	v_mad_u32 v6, v1, s45, v6
	;; [unrolled: 1-line block ×3, first 2 shown]
	s_branch .LBB91_45
.LBB91_43:
                                        ; implicit-def: $vgpr5
                                        ; implicit-def: $vgpr6
                                        ; implicit-def: $vgpr4
	s_branch .LBB91_46
.LBB91_44:
	v_dual_mov_b32 v5, 0 :: v_dual_mov_b32 v6, 0
	v_mov_b32_e32 v4, 0
.LBB91_45:
	s_cbranch_execnz .LBB91_48
.LBB91_46:
	v_mov_b32_e32 v1, 0
	s_and_not1_b32 vcc_lo, exec_lo, s33
	s_delay_alu instid0(VALU_DEP_1) | instskip(NEXT) | instid1(VALU_DEP_1)
	v_mul_u64_e32 v[2:3], s[22:23], v[0:1]
	v_add_nc_u32_e32 v2, v0, v3
	s_delay_alu instid0(VALU_DEP_1) | instskip(NEXT) | instid1(VALU_DEP_1)
	v_lshrrev_b32_e32 v2, s10, v2
	v_mul_lo_u32 v3, v2, s8
	s_delay_alu instid0(VALU_DEP_1) | instskip(NEXT) | instid1(VALU_DEP_1)
	v_sub_nc_u32_e32 v3, v0, v3
	v_mul_lo_u32 v4, v3, s12
	v_mul_lo_u32 v5, v3, s14
	;; [unrolled: 1-line block ×3, first 2 shown]
	s_cbranch_vccnz .LBB91_48
; %bb.47:
	v_mov_b32_e32 v3, v1
	s_delay_alu instid0(VALU_DEP_1) | instskip(NEXT) | instid1(VALU_DEP_1)
	v_mul_u64_e32 v[8:9], s[24:25], v[2:3]
	v_add_nc_u32_e32 v1, v2, v9
	s_delay_alu instid0(VALU_DEP_1) | instskip(NEXT) | instid1(VALU_DEP_1)
	v_lshrrev_b32_e32 v1, s19, v1
	v_mul_lo_u32 v1, v1, s11
	s_delay_alu instid0(VALU_DEP_1) | instskip(NEXT) | instid1(VALU_DEP_1)
	v_sub_nc_u32_e32 v1, v2, v1
	v_mad_u32 v4, v1, s15, v4
	v_mad_u32 v6, v1, s20, v6
	;; [unrolled: 1-line block ×3, first 2 shown]
.LBB91_48:
	global_load_u16 v1, v5, s[4:5]
	global_load_u16 v3, v6, s[2:3]
	s_mov_b32 s18, exec_lo
	s_wait_loadcnt 0x1
	v_lshlrev_b32_e32 v1, 16, v1
	s_wait_loadcnt 0x0
	s_delay_alu instid0(VALU_DEP_1) | instskip(SKIP_1) | instid1(VALU_DEP_1)
	v_dual_mul_f32 v2, s6, v1 :: v_dual_lshlrev_b32 v1, 16, v3
	s_wait_xcnt 0x0
	v_cmpx_nlt_f32_e32 s7, v2
	s_cbranch_execz .LBB91_50
; %bb.49:
	v_mul_f32_e32 v3, 0x3fb8aa3b, v2
	v_cmp_ngt_f32_e32 vcc_lo, 0xc2ce8ed0, v2
	s_delay_alu instid0(VALU_DEP_2) | instskip(SKIP_1) | instid1(VALU_DEP_1)
	v_rndne_f32_e32 v5, v3
	v_fma_f32 v6, 0x3fb8aa3b, v2, -v3
	v_dual_sub_f32 v3, v3, v5 :: v_dual_fmamk_f32 v6, v2, 0x32a5705f, v6
	v_cvt_i32_f32_e32 v5, v5
	s_delay_alu instid0(VALU_DEP_2) | instskip(NEXT) | instid1(VALU_DEP_1)
	v_add_f32_e32 v3, v3, v6
	v_exp_f32_e32 v3, v3
	v_nop
	s_delay_alu instid0(TRANS32_DEP_1) | instskip(NEXT) | instid1(VALU_DEP_1)
	v_ldexp_f32 v3, v3, v5
	v_cndmask_b32_e32 v3, 0, v3, vcc_lo
	v_cmp_nlt_f32_e32 vcc_lo, 0x42b17218, v2
	s_delay_alu instid0(VALU_DEP_2) | instskip(NEXT) | instid1(VALU_DEP_1)
	v_cndmask_b32_e32 v2, 0x7f800000, v3, vcc_lo
	v_dual_mul_f32 v1, v2, v1 :: v_dual_add_f32 v2, 1.0, v2
	s_delay_alu instid0(VALU_DEP_1) | instskip(NEXT) | instid1(VALU_DEP_1)
	v_div_scale_f32 v3, null, v2, v2, v1
	v_rcp_f32_e32 v5, v3
	v_nop
	s_delay_alu instid0(TRANS32_DEP_1) | instskip(NEXT) | instid1(VALU_DEP_1)
	v_fma_f32 v6, -v3, v5, 1.0
	v_fmac_f32_e32 v5, v6, v5
	v_div_scale_f32 v6, vcc_lo, v1, v2, v1
	s_delay_alu instid0(VALU_DEP_1) | instskip(NEXT) | instid1(VALU_DEP_1)
	v_mul_f32_e32 v7, v6, v5
	v_fma_f32 v8, -v3, v7, v6
	s_delay_alu instid0(VALU_DEP_1) | instskip(NEXT) | instid1(VALU_DEP_1)
	v_fmac_f32_e32 v7, v8, v5
	v_fma_f32 v3, -v3, v7, v6
	s_delay_alu instid0(VALU_DEP_1) | instskip(NEXT) | instid1(VALU_DEP_1)
	v_div_fmas_f32 v3, v3, v5, v7
	v_div_fixup_f32 v1, v3, v2, v1
.LBB91_50:
	s_or_b32 exec_lo, exec_lo, s18
	s_delay_alu instid0(VALU_DEP_1) | instskip(SKIP_2) | instid1(VALU_DEP_3)
	v_bfe_u32 v2, v1, 16, 1
	v_cmp_o_f32_e32 vcc_lo, v1, v1
	v_add_nc_u32_e32 v0, 0x80, v0
	v_add3_u32 v2, v1, v2, 0x7fff
	s_delay_alu instid0(VALU_DEP_1) | instskip(NEXT) | instid1(VALU_DEP_1)
	v_lshrrev_b32_e32 v2, 16, v2
	v_cndmask_b32_e32 v1, 0x7fc0, v2, vcc_lo
	global_store_b16 v4, v1, s[0:1]
	s_wait_xcnt 0x0
	s_or_b32 exec_lo, exec_lo, s9
	s_delay_alu instid0(SALU_CYCLE_1)
	s_mov_b32 s9, exec_lo
	v_cmpx_gt_i32_e64 s35, v0
	s_cbranch_execz .LBB91_5
.LBB91_51:
	s_and_not1_b32 vcc_lo, exec_lo, s30
	s_cbranch_vccnz .LBB91_57
; %bb.52:
	s_and_not1_b32 vcc_lo, exec_lo, s36
	s_cbranch_vccnz .LBB91_58
; %bb.53:
	v_dual_mov_b32 v4, 0 :: v_dual_mov_b32 v1, v0
	v_dual_mov_b32 v6, 0 :: v_dual_mov_b32 v5, 0
	s_add_co_i32 s18, s34, 1
	s_mov_b64 s[26:27], 0xffffffffffffffe8
	s_and_b32 s18, s18, 30
	s_add_nc_u64 s[26:27], s[16:17], s[26:27]
.LBB91_54:                              ; =>This Inner Loop Header: Depth=1
	s_clause 0x1
	s_load_b128 s[40:43], s[26:27], 0x1c
	s_load_b64 s[38:39], s[26:27], 0x2c
	s_add_co_i32 s18, s18, -2
	s_delay_alu instid0(SALU_CYCLE_1) | instskip(SKIP_2) | instid1(VALU_DEP_1)
	s_cmp_eq_u32 s18, 0
	s_wait_kmcnt 0x0
	v_mul_hi_u32 v2, s41, v1
	v_add_nc_u32_e32 v2, v1, v2
	s_delay_alu instid0(VALU_DEP_1) | instskip(NEXT) | instid1(VALU_DEP_1)
	v_lshrrev_b32_e32 v2, s42, v2
	v_mul_hi_u32 v3, s38, v2
	v_mul_lo_u32 v7, v2, s40
	s_clause 0x1
	s_load_b128 s[44:47], s[26:27], 0xdc
	s_load_b64 s[40:41], s[26:27], 0xec
	s_wait_xcnt 0x0
	s_add_nc_u64 s[26:27], s[26:27], 24
	s_delay_alu instid0(VALU_DEP_2) | instskip(NEXT) | instid1(VALU_DEP_2)
	v_add_nc_u32_e32 v3, v2, v3
	v_sub_nc_u32_e32 v7, v1, v7
	s_delay_alu instid0(VALU_DEP_2) | instskip(SKIP_1) | instid1(VALU_DEP_2)
	v_lshrrev_b32_e32 v1, s39, v3
	s_wait_kmcnt 0x0
	v_mad_u32 v4, v7, s44, v4
	s_delay_alu instid0(VALU_DEP_2) | instskip(SKIP_2) | instid1(VALU_DEP_3)
	v_mul_lo_u32 v3, v1, s43
	v_mad_u32 v5, v7, s46, v5
	v_mad_u32 v6, v7, s45, v6
	v_sub_nc_u32_e32 v2, v2, v3
	s_delay_alu instid0(VALU_DEP_1) | instskip(NEXT) | instid1(VALU_DEP_4)
	v_mad_u32 v4, v2, s47, v4
	v_mad_u32 v5, v2, s41, v5
	s_delay_alu instid0(VALU_DEP_4)
	v_mad_u32 v6, v2, s40, v6
	s_cbranch_scc0 .LBB91_54
; %bb.55:
	s_bitcmp1_b32 s34, 0
	s_cselect_b32 s18, -1, 0
	s_delay_alu instid0(SALU_CYCLE_1)
	s_and_b32 vcc_lo, exec_lo, s18
	s_cbranch_vccnz .LBB91_59
; %bb.56:
	s_clause 0x1
	s_load_b96 s[40:42], s[26:27], 0x1c
	s_load_b96 s[44:46], s[26:27], 0xdc
	s_wait_kmcnt 0x0
	v_mul_hi_u32 v2, s41, v1
	s_delay_alu instid0(VALU_DEP_1) | instskip(NEXT) | instid1(VALU_DEP_1)
	v_add_nc_u32_e32 v2, v1, v2
	v_lshrrev_b32_e32 v2, s42, v2
	s_delay_alu instid0(VALU_DEP_1) | instskip(NEXT) | instid1(VALU_DEP_1)
	v_mul_lo_u32 v2, v2, s40
	v_sub_nc_u32_e32 v1, v1, v2
	s_delay_alu instid0(VALU_DEP_1)
	v_mad_u32 v4, v1, s44, v4
	v_mad_u32 v6, v1, s45, v6
	;; [unrolled: 1-line block ×3, first 2 shown]
	s_branch .LBB91_59
.LBB91_57:
                                        ; implicit-def: $vgpr5
                                        ; implicit-def: $vgpr6
                                        ; implicit-def: $vgpr4
	s_branch .LBB91_60
.LBB91_58:
	v_dual_mov_b32 v5, 0 :: v_dual_mov_b32 v6, 0
	v_mov_b32_e32 v4, 0
.LBB91_59:
	s_cbranch_execnz .LBB91_62
.LBB91_60:
	v_mov_b32_e32 v1, 0
	s_and_not1_b32 vcc_lo, exec_lo, s33
	s_delay_alu instid0(VALU_DEP_1) | instskip(NEXT) | instid1(VALU_DEP_1)
	v_mul_u64_e32 v[2:3], s[22:23], v[0:1]
	v_add_nc_u32_e32 v2, v0, v3
	s_delay_alu instid0(VALU_DEP_1) | instskip(NEXT) | instid1(VALU_DEP_1)
	v_lshrrev_b32_e32 v2, s10, v2
	v_mul_lo_u32 v3, v2, s8
	s_delay_alu instid0(VALU_DEP_1) | instskip(NEXT) | instid1(VALU_DEP_1)
	v_sub_nc_u32_e32 v3, v0, v3
	v_mul_lo_u32 v4, v3, s12
	v_mul_lo_u32 v5, v3, s14
	;; [unrolled: 1-line block ×3, first 2 shown]
	s_cbranch_vccnz .LBB91_62
; %bb.61:
	v_mov_b32_e32 v3, v1
	s_delay_alu instid0(VALU_DEP_1) | instskip(NEXT) | instid1(VALU_DEP_1)
	v_mul_u64_e32 v[8:9], s[24:25], v[2:3]
	v_add_nc_u32_e32 v1, v2, v9
	s_delay_alu instid0(VALU_DEP_1) | instskip(NEXT) | instid1(VALU_DEP_1)
	v_lshrrev_b32_e32 v1, s19, v1
	v_mul_lo_u32 v1, v1, s11
	s_delay_alu instid0(VALU_DEP_1) | instskip(NEXT) | instid1(VALU_DEP_1)
	v_sub_nc_u32_e32 v1, v2, v1
	v_mad_u32 v4, v1, s15, v4
	v_mad_u32 v6, v1, s20, v6
	;; [unrolled: 1-line block ×3, first 2 shown]
.LBB91_62:
	global_load_u16 v1, v5, s[4:5]
	global_load_u16 v3, v6, s[2:3]
	s_mov_b32 s18, exec_lo
	s_wait_loadcnt 0x1
	v_lshlrev_b32_e32 v1, 16, v1
	s_wait_loadcnt 0x0
	s_delay_alu instid0(VALU_DEP_1) | instskip(SKIP_1) | instid1(VALU_DEP_1)
	v_dual_mul_f32 v2, s6, v1 :: v_dual_lshlrev_b32 v1, 16, v3
	s_wait_xcnt 0x0
	v_cmpx_nlt_f32_e32 s7, v2
	s_cbranch_execz .LBB91_64
; %bb.63:
	v_mul_f32_e32 v3, 0x3fb8aa3b, v2
	v_cmp_ngt_f32_e32 vcc_lo, 0xc2ce8ed0, v2
	s_delay_alu instid0(VALU_DEP_2) | instskip(SKIP_1) | instid1(VALU_DEP_1)
	v_rndne_f32_e32 v5, v3
	v_fma_f32 v6, 0x3fb8aa3b, v2, -v3
	v_dual_sub_f32 v3, v3, v5 :: v_dual_fmamk_f32 v6, v2, 0x32a5705f, v6
	v_cvt_i32_f32_e32 v5, v5
	s_delay_alu instid0(VALU_DEP_2) | instskip(NEXT) | instid1(VALU_DEP_1)
	v_add_f32_e32 v3, v3, v6
	v_exp_f32_e32 v3, v3
	v_nop
	s_delay_alu instid0(TRANS32_DEP_1) | instskip(NEXT) | instid1(VALU_DEP_1)
	v_ldexp_f32 v3, v3, v5
	v_cndmask_b32_e32 v3, 0, v3, vcc_lo
	v_cmp_nlt_f32_e32 vcc_lo, 0x42b17218, v2
	s_delay_alu instid0(VALU_DEP_2) | instskip(NEXT) | instid1(VALU_DEP_1)
	v_cndmask_b32_e32 v2, 0x7f800000, v3, vcc_lo
	v_dual_mul_f32 v1, v2, v1 :: v_dual_add_f32 v2, 1.0, v2
	s_delay_alu instid0(VALU_DEP_1) | instskip(NEXT) | instid1(VALU_DEP_1)
	v_div_scale_f32 v3, null, v2, v2, v1
	v_rcp_f32_e32 v5, v3
	v_nop
	s_delay_alu instid0(TRANS32_DEP_1) | instskip(NEXT) | instid1(VALU_DEP_1)
	v_fma_f32 v6, -v3, v5, 1.0
	v_fmac_f32_e32 v5, v6, v5
	v_div_scale_f32 v6, vcc_lo, v1, v2, v1
	s_delay_alu instid0(VALU_DEP_1) | instskip(NEXT) | instid1(VALU_DEP_1)
	v_mul_f32_e32 v7, v6, v5
	v_fma_f32 v8, -v3, v7, v6
	s_delay_alu instid0(VALU_DEP_1) | instskip(NEXT) | instid1(VALU_DEP_1)
	v_fmac_f32_e32 v7, v8, v5
	v_fma_f32 v3, -v3, v7, v6
	s_delay_alu instid0(VALU_DEP_1) | instskip(NEXT) | instid1(VALU_DEP_1)
	v_div_fmas_f32 v3, v3, v5, v7
	v_div_fixup_f32 v1, v3, v2, v1
.LBB91_64:
	s_or_b32 exec_lo, exec_lo, s18
	s_delay_alu instid0(VALU_DEP_1) | instskip(SKIP_2) | instid1(VALU_DEP_3)
	v_bfe_u32 v2, v1, 16, 1
	v_cmp_o_f32_e32 vcc_lo, v1, v1
	v_add_nc_u32_e32 v0, 0x80, v0
	v_add3_u32 v2, v1, v2, 0x7fff
	s_delay_alu instid0(VALU_DEP_1) | instskip(NEXT) | instid1(VALU_DEP_1)
	v_lshrrev_b32_e32 v2, 16, v2
	v_cndmask_b32_e32 v1, 0x7fc0, v2, vcc_lo
	global_store_b16 v4, v1, s[0:1]
	s_wait_xcnt 0x0
	s_or_b32 exec_lo, exec_lo, s9
	s_delay_alu instid0(SALU_CYCLE_1)
	s_mov_b32 s9, exec_lo
	v_cmpx_gt_i32_e64 s35, v0
	s_cbranch_execz .LBB91_6
.LBB91_65:
	s_and_not1_b32 vcc_lo, exec_lo, s30
	s_cbranch_vccnz .LBB91_71
; %bb.66:
	s_and_not1_b32 vcc_lo, exec_lo, s36
	s_cbranch_vccnz .LBB91_72
; %bb.67:
	v_dual_mov_b32 v4, 0 :: v_dual_mov_b32 v1, v0
	v_dual_mov_b32 v6, 0 :: v_dual_mov_b32 v5, 0
	s_add_co_i32 s18, s34, 1
	s_mov_b64 s[26:27], 0xffffffffffffffe8
	s_and_b32 s18, s18, 30
	s_add_nc_u64 s[26:27], s[16:17], s[26:27]
.LBB91_68:                              ; =>This Inner Loop Header: Depth=1
	s_clause 0x1
	s_load_b128 s[40:43], s[26:27], 0x1c
	s_load_b64 s[38:39], s[26:27], 0x2c
	s_add_co_i32 s18, s18, -2
	s_delay_alu instid0(SALU_CYCLE_1) | instskip(SKIP_2) | instid1(VALU_DEP_1)
	s_cmp_eq_u32 s18, 0
	s_wait_kmcnt 0x0
	v_mul_hi_u32 v2, s41, v1
	v_add_nc_u32_e32 v2, v1, v2
	s_delay_alu instid0(VALU_DEP_1) | instskip(NEXT) | instid1(VALU_DEP_1)
	v_lshrrev_b32_e32 v2, s42, v2
	v_mul_hi_u32 v3, s38, v2
	v_mul_lo_u32 v7, v2, s40
	s_clause 0x1
	s_load_b128 s[44:47], s[26:27], 0xdc
	s_load_b64 s[40:41], s[26:27], 0xec
	s_wait_xcnt 0x0
	s_add_nc_u64 s[26:27], s[26:27], 24
	s_delay_alu instid0(VALU_DEP_2) | instskip(NEXT) | instid1(VALU_DEP_2)
	v_add_nc_u32_e32 v3, v2, v3
	v_sub_nc_u32_e32 v7, v1, v7
	s_delay_alu instid0(VALU_DEP_2) | instskip(SKIP_1) | instid1(VALU_DEP_2)
	v_lshrrev_b32_e32 v1, s39, v3
	s_wait_kmcnt 0x0
	v_mad_u32 v4, v7, s44, v4
	s_delay_alu instid0(VALU_DEP_2) | instskip(SKIP_2) | instid1(VALU_DEP_3)
	v_mul_lo_u32 v3, v1, s43
	v_mad_u32 v5, v7, s46, v5
	v_mad_u32 v6, v7, s45, v6
	v_sub_nc_u32_e32 v2, v2, v3
	s_delay_alu instid0(VALU_DEP_1) | instskip(NEXT) | instid1(VALU_DEP_4)
	v_mad_u32 v4, v2, s47, v4
	v_mad_u32 v5, v2, s41, v5
	s_delay_alu instid0(VALU_DEP_4)
	v_mad_u32 v6, v2, s40, v6
	s_cbranch_scc0 .LBB91_68
; %bb.69:
	s_bitcmp1_b32 s34, 0
	s_cselect_b32 s18, -1, 0
	s_delay_alu instid0(SALU_CYCLE_1)
	s_and_b32 vcc_lo, exec_lo, s18
	s_cbranch_vccnz .LBB91_73
; %bb.70:
	s_clause 0x1
	s_load_b96 s[40:42], s[26:27], 0x1c
	s_load_b96 s[44:46], s[26:27], 0xdc
	s_wait_kmcnt 0x0
	v_mul_hi_u32 v2, s41, v1
	s_delay_alu instid0(VALU_DEP_1) | instskip(NEXT) | instid1(VALU_DEP_1)
	v_add_nc_u32_e32 v2, v1, v2
	v_lshrrev_b32_e32 v2, s42, v2
	s_delay_alu instid0(VALU_DEP_1) | instskip(NEXT) | instid1(VALU_DEP_1)
	v_mul_lo_u32 v2, v2, s40
	v_sub_nc_u32_e32 v1, v1, v2
	s_delay_alu instid0(VALU_DEP_1)
	v_mad_u32 v4, v1, s44, v4
	v_mad_u32 v6, v1, s45, v6
	;; [unrolled: 1-line block ×3, first 2 shown]
	s_branch .LBB91_73
.LBB91_71:
                                        ; implicit-def: $vgpr5
                                        ; implicit-def: $vgpr6
                                        ; implicit-def: $vgpr4
	s_branch .LBB91_74
.LBB91_72:
	v_dual_mov_b32 v5, 0 :: v_dual_mov_b32 v6, 0
	v_mov_b32_e32 v4, 0
.LBB91_73:
	s_cbranch_execnz .LBB91_76
.LBB91_74:
	v_mov_b32_e32 v1, 0
	s_and_not1_b32 vcc_lo, exec_lo, s33
	s_delay_alu instid0(VALU_DEP_1) | instskip(NEXT) | instid1(VALU_DEP_1)
	v_mul_u64_e32 v[2:3], s[22:23], v[0:1]
	v_add_nc_u32_e32 v2, v0, v3
	s_delay_alu instid0(VALU_DEP_1) | instskip(NEXT) | instid1(VALU_DEP_1)
	v_lshrrev_b32_e32 v2, s10, v2
	v_mul_lo_u32 v3, v2, s8
	s_delay_alu instid0(VALU_DEP_1) | instskip(NEXT) | instid1(VALU_DEP_1)
	v_sub_nc_u32_e32 v3, v0, v3
	v_mul_lo_u32 v4, v3, s12
	v_mul_lo_u32 v5, v3, s14
	;; [unrolled: 1-line block ×3, first 2 shown]
	s_cbranch_vccnz .LBB91_76
; %bb.75:
	v_mov_b32_e32 v3, v1
	s_delay_alu instid0(VALU_DEP_1) | instskip(NEXT) | instid1(VALU_DEP_1)
	v_mul_u64_e32 v[8:9], s[24:25], v[2:3]
	v_add_nc_u32_e32 v1, v2, v9
	s_delay_alu instid0(VALU_DEP_1) | instskip(NEXT) | instid1(VALU_DEP_1)
	v_lshrrev_b32_e32 v1, s19, v1
	v_mul_lo_u32 v1, v1, s11
	s_delay_alu instid0(VALU_DEP_1) | instskip(NEXT) | instid1(VALU_DEP_1)
	v_sub_nc_u32_e32 v1, v2, v1
	v_mad_u32 v4, v1, s15, v4
	v_mad_u32 v6, v1, s20, v6
	;; [unrolled: 1-line block ×3, first 2 shown]
.LBB91_76:
	global_load_u16 v1, v5, s[4:5]
	global_load_u16 v3, v6, s[2:3]
	s_mov_b32 s18, exec_lo
	s_wait_loadcnt 0x1
	v_lshlrev_b32_e32 v1, 16, v1
	s_wait_loadcnt 0x0
	s_delay_alu instid0(VALU_DEP_1) | instskip(SKIP_1) | instid1(VALU_DEP_1)
	v_dual_mul_f32 v2, s6, v1 :: v_dual_lshlrev_b32 v1, 16, v3
	s_wait_xcnt 0x0
	v_cmpx_nlt_f32_e32 s7, v2
	s_cbranch_execz .LBB91_78
; %bb.77:
	v_mul_f32_e32 v3, 0x3fb8aa3b, v2
	v_cmp_ngt_f32_e32 vcc_lo, 0xc2ce8ed0, v2
	s_delay_alu instid0(VALU_DEP_2) | instskip(SKIP_1) | instid1(VALU_DEP_1)
	v_rndne_f32_e32 v5, v3
	v_fma_f32 v6, 0x3fb8aa3b, v2, -v3
	v_dual_sub_f32 v3, v3, v5 :: v_dual_fmamk_f32 v6, v2, 0x32a5705f, v6
	v_cvt_i32_f32_e32 v5, v5
	s_delay_alu instid0(VALU_DEP_2) | instskip(NEXT) | instid1(VALU_DEP_1)
	v_add_f32_e32 v3, v3, v6
	v_exp_f32_e32 v3, v3
	v_nop
	s_delay_alu instid0(TRANS32_DEP_1) | instskip(NEXT) | instid1(VALU_DEP_1)
	v_ldexp_f32 v3, v3, v5
	v_cndmask_b32_e32 v3, 0, v3, vcc_lo
	v_cmp_nlt_f32_e32 vcc_lo, 0x42b17218, v2
	s_delay_alu instid0(VALU_DEP_2) | instskip(NEXT) | instid1(VALU_DEP_1)
	v_cndmask_b32_e32 v2, 0x7f800000, v3, vcc_lo
	v_dual_mul_f32 v1, v2, v1 :: v_dual_add_f32 v2, 1.0, v2
	s_delay_alu instid0(VALU_DEP_1) | instskip(NEXT) | instid1(VALU_DEP_1)
	v_div_scale_f32 v3, null, v2, v2, v1
	v_rcp_f32_e32 v5, v3
	v_nop
	s_delay_alu instid0(TRANS32_DEP_1) | instskip(NEXT) | instid1(VALU_DEP_1)
	v_fma_f32 v6, -v3, v5, 1.0
	v_fmac_f32_e32 v5, v6, v5
	v_div_scale_f32 v6, vcc_lo, v1, v2, v1
	s_delay_alu instid0(VALU_DEP_1) | instskip(NEXT) | instid1(VALU_DEP_1)
	v_mul_f32_e32 v7, v6, v5
	v_fma_f32 v8, -v3, v7, v6
	s_delay_alu instid0(VALU_DEP_1) | instskip(NEXT) | instid1(VALU_DEP_1)
	v_fmac_f32_e32 v7, v8, v5
	v_fma_f32 v3, -v3, v7, v6
	s_delay_alu instid0(VALU_DEP_1) | instskip(NEXT) | instid1(VALU_DEP_1)
	v_div_fmas_f32 v3, v3, v5, v7
	v_div_fixup_f32 v1, v3, v2, v1
.LBB91_78:
	s_or_b32 exec_lo, exec_lo, s18
	s_delay_alu instid0(VALU_DEP_1) | instskip(SKIP_2) | instid1(VALU_DEP_3)
	v_bfe_u32 v2, v1, 16, 1
	v_cmp_o_f32_e32 vcc_lo, v1, v1
	v_add_nc_u32_e32 v0, 0x80, v0
	v_add3_u32 v2, v1, v2, 0x7fff
	s_delay_alu instid0(VALU_DEP_1) | instskip(NEXT) | instid1(VALU_DEP_1)
	v_lshrrev_b32_e32 v2, 16, v2
	v_cndmask_b32_e32 v1, 0x7fc0, v2, vcc_lo
	global_store_b16 v4, v1, s[0:1]
	s_wait_xcnt 0x0
	s_or_b32 exec_lo, exec_lo, s9
	s_delay_alu instid0(SALU_CYCLE_1)
	s_mov_b32 s9, exec_lo
	v_cmpx_gt_i32_e64 s35, v0
	s_cbranch_execz .LBB91_7
.LBB91_79:
	s_and_not1_b32 vcc_lo, exec_lo, s30
	s_cbranch_vccnz .LBB91_85
; %bb.80:
	s_and_not1_b32 vcc_lo, exec_lo, s36
	s_cbranch_vccnz .LBB91_86
; %bb.81:
	v_dual_mov_b32 v4, 0 :: v_dual_mov_b32 v1, v0
	v_dual_mov_b32 v6, 0 :: v_dual_mov_b32 v5, 0
	s_add_co_i32 s18, s34, 1
	s_mov_b64 s[26:27], 0xffffffffffffffe8
	s_and_b32 s18, s18, 30
	s_add_nc_u64 s[26:27], s[16:17], s[26:27]
.LBB91_82:                              ; =>This Inner Loop Header: Depth=1
	s_clause 0x1
	s_load_b128 s[40:43], s[26:27], 0x1c
	s_load_b64 s[38:39], s[26:27], 0x2c
	s_add_co_i32 s18, s18, -2
	s_delay_alu instid0(SALU_CYCLE_1) | instskip(SKIP_2) | instid1(VALU_DEP_1)
	s_cmp_eq_u32 s18, 0
	s_wait_kmcnt 0x0
	v_mul_hi_u32 v2, s41, v1
	v_add_nc_u32_e32 v2, v1, v2
	s_delay_alu instid0(VALU_DEP_1) | instskip(NEXT) | instid1(VALU_DEP_1)
	v_lshrrev_b32_e32 v2, s42, v2
	v_mul_hi_u32 v3, s38, v2
	v_mul_lo_u32 v7, v2, s40
	s_clause 0x1
	s_load_b128 s[44:47], s[26:27], 0xdc
	s_load_b64 s[40:41], s[26:27], 0xec
	s_wait_xcnt 0x0
	s_add_nc_u64 s[26:27], s[26:27], 24
	s_delay_alu instid0(VALU_DEP_2) | instskip(NEXT) | instid1(VALU_DEP_2)
	v_add_nc_u32_e32 v3, v2, v3
	v_sub_nc_u32_e32 v7, v1, v7
	s_delay_alu instid0(VALU_DEP_2) | instskip(SKIP_1) | instid1(VALU_DEP_2)
	v_lshrrev_b32_e32 v1, s39, v3
	s_wait_kmcnt 0x0
	v_mad_u32 v4, v7, s44, v4
	s_delay_alu instid0(VALU_DEP_2) | instskip(SKIP_2) | instid1(VALU_DEP_3)
	v_mul_lo_u32 v3, v1, s43
	v_mad_u32 v5, v7, s46, v5
	v_mad_u32 v6, v7, s45, v6
	v_sub_nc_u32_e32 v2, v2, v3
	s_delay_alu instid0(VALU_DEP_1) | instskip(NEXT) | instid1(VALU_DEP_4)
	v_mad_u32 v4, v2, s47, v4
	v_mad_u32 v5, v2, s41, v5
	s_delay_alu instid0(VALU_DEP_4)
	v_mad_u32 v6, v2, s40, v6
	s_cbranch_scc0 .LBB91_82
; %bb.83:
	s_bitcmp1_b32 s34, 0
	s_cselect_b32 s18, -1, 0
	s_delay_alu instid0(SALU_CYCLE_1)
	s_and_b32 vcc_lo, exec_lo, s18
	s_cbranch_vccnz .LBB91_87
; %bb.84:
	s_clause 0x1
	s_load_b96 s[40:42], s[26:27], 0x1c
	s_load_b96 s[44:46], s[26:27], 0xdc
	s_wait_kmcnt 0x0
	v_mul_hi_u32 v2, s41, v1
	s_delay_alu instid0(VALU_DEP_1) | instskip(NEXT) | instid1(VALU_DEP_1)
	v_add_nc_u32_e32 v2, v1, v2
	v_lshrrev_b32_e32 v2, s42, v2
	s_delay_alu instid0(VALU_DEP_1) | instskip(NEXT) | instid1(VALU_DEP_1)
	v_mul_lo_u32 v2, v2, s40
	v_sub_nc_u32_e32 v1, v1, v2
	s_delay_alu instid0(VALU_DEP_1)
	v_mad_u32 v4, v1, s44, v4
	v_mad_u32 v6, v1, s45, v6
	;; [unrolled: 1-line block ×3, first 2 shown]
	s_branch .LBB91_87
.LBB91_85:
                                        ; implicit-def: $vgpr5
                                        ; implicit-def: $vgpr6
                                        ; implicit-def: $vgpr4
	s_branch .LBB91_88
.LBB91_86:
	v_dual_mov_b32 v5, 0 :: v_dual_mov_b32 v6, 0
	v_mov_b32_e32 v4, 0
.LBB91_87:
	s_cbranch_execnz .LBB91_90
.LBB91_88:
	v_mov_b32_e32 v1, 0
	s_and_not1_b32 vcc_lo, exec_lo, s33
	s_delay_alu instid0(VALU_DEP_1) | instskip(NEXT) | instid1(VALU_DEP_1)
	v_mul_u64_e32 v[2:3], s[22:23], v[0:1]
	v_add_nc_u32_e32 v2, v0, v3
	s_delay_alu instid0(VALU_DEP_1) | instskip(NEXT) | instid1(VALU_DEP_1)
	v_lshrrev_b32_e32 v2, s10, v2
	v_mul_lo_u32 v3, v2, s8
	s_delay_alu instid0(VALU_DEP_1) | instskip(NEXT) | instid1(VALU_DEP_1)
	v_sub_nc_u32_e32 v3, v0, v3
	v_mul_lo_u32 v4, v3, s12
	v_mul_lo_u32 v5, v3, s14
	;; [unrolled: 1-line block ×3, first 2 shown]
	s_cbranch_vccnz .LBB91_90
; %bb.89:
	v_mov_b32_e32 v3, v1
	s_delay_alu instid0(VALU_DEP_1) | instskip(NEXT) | instid1(VALU_DEP_1)
	v_mul_u64_e32 v[8:9], s[24:25], v[2:3]
	v_add_nc_u32_e32 v1, v2, v9
	s_delay_alu instid0(VALU_DEP_1) | instskip(NEXT) | instid1(VALU_DEP_1)
	v_lshrrev_b32_e32 v1, s19, v1
	v_mul_lo_u32 v1, v1, s11
	s_delay_alu instid0(VALU_DEP_1) | instskip(NEXT) | instid1(VALU_DEP_1)
	v_sub_nc_u32_e32 v1, v2, v1
	v_mad_u32 v4, v1, s15, v4
	v_mad_u32 v6, v1, s20, v6
	v_mad_u32 v5, v1, s21, v5
.LBB91_90:
	global_load_u16 v1, v5, s[4:5]
	global_load_u16 v3, v6, s[2:3]
	s_mov_b32 s18, exec_lo
	s_wait_loadcnt 0x1
	v_lshlrev_b32_e32 v1, 16, v1
	s_wait_loadcnt 0x0
	s_delay_alu instid0(VALU_DEP_1) | instskip(SKIP_1) | instid1(VALU_DEP_1)
	v_dual_mul_f32 v2, s6, v1 :: v_dual_lshlrev_b32 v1, 16, v3
	s_wait_xcnt 0x0
	v_cmpx_nlt_f32_e32 s7, v2
	s_cbranch_execz .LBB91_92
; %bb.91:
	v_mul_f32_e32 v3, 0x3fb8aa3b, v2
	v_cmp_ngt_f32_e32 vcc_lo, 0xc2ce8ed0, v2
	s_delay_alu instid0(VALU_DEP_2) | instskip(SKIP_1) | instid1(VALU_DEP_1)
	v_rndne_f32_e32 v5, v3
	v_fma_f32 v6, 0x3fb8aa3b, v2, -v3
	v_dual_sub_f32 v3, v3, v5 :: v_dual_fmamk_f32 v6, v2, 0x32a5705f, v6
	v_cvt_i32_f32_e32 v5, v5
	s_delay_alu instid0(VALU_DEP_2) | instskip(NEXT) | instid1(VALU_DEP_1)
	v_add_f32_e32 v3, v3, v6
	v_exp_f32_e32 v3, v3
	v_nop
	s_delay_alu instid0(TRANS32_DEP_1) | instskip(NEXT) | instid1(VALU_DEP_1)
	v_ldexp_f32 v3, v3, v5
	v_cndmask_b32_e32 v3, 0, v3, vcc_lo
	v_cmp_nlt_f32_e32 vcc_lo, 0x42b17218, v2
	s_delay_alu instid0(VALU_DEP_2) | instskip(NEXT) | instid1(VALU_DEP_1)
	v_cndmask_b32_e32 v2, 0x7f800000, v3, vcc_lo
	v_dual_mul_f32 v1, v2, v1 :: v_dual_add_f32 v2, 1.0, v2
	s_delay_alu instid0(VALU_DEP_1) | instskip(NEXT) | instid1(VALU_DEP_1)
	v_div_scale_f32 v3, null, v2, v2, v1
	v_rcp_f32_e32 v5, v3
	v_nop
	s_delay_alu instid0(TRANS32_DEP_1) | instskip(NEXT) | instid1(VALU_DEP_1)
	v_fma_f32 v6, -v3, v5, 1.0
	v_fmac_f32_e32 v5, v6, v5
	v_div_scale_f32 v6, vcc_lo, v1, v2, v1
	s_delay_alu instid0(VALU_DEP_1) | instskip(NEXT) | instid1(VALU_DEP_1)
	v_mul_f32_e32 v7, v6, v5
	v_fma_f32 v8, -v3, v7, v6
	s_delay_alu instid0(VALU_DEP_1) | instskip(NEXT) | instid1(VALU_DEP_1)
	v_fmac_f32_e32 v7, v8, v5
	v_fma_f32 v3, -v3, v7, v6
	s_delay_alu instid0(VALU_DEP_1) | instskip(NEXT) | instid1(VALU_DEP_1)
	v_div_fmas_f32 v3, v3, v5, v7
	v_div_fixup_f32 v1, v3, v2, v1
.LBB91_92:
	s_or_b32 exec_lo, exec_lo, s18
	s_delay_alu instid0(VALU_DEP_1) | instskip(SKIP_2) | instid1(VALU_DEP_3)
	v_bfe_u32 v2, v1, 16, 1
	v_cmp_o_f32_e32 vcc_lo, v1, v1
	v_add_nc_u32_e32 v0, 0x80, v0
	v_add3_u32 v2, v1, v2, 0x7fff
	s_delay_alu instid0(VALU_DEP_1) | instskip(NEXT) | instid1(VALU_DEP_1)
	v_lshrrev_b32_e32 v2, 16, v2
	v_cndmask_b32_e32 v1, 0x7fc0, v2, vcc_lo
	global_store_b16 v4, v1, s[0:1]
	s_wait_xcnt 0x0
	s_or_b32 exec_lo, exec_lo, s9
	s_delay_alu instid0(SALU_CYCLE_1)
	s_mov_b32 s9, exec_lo
	v_cmpx_gt_i32_e64 s35, v0
	s_cbranch_execz .LBB91_8
.LBB91_93:
	s_and_not1_b32 vcc_lo, exec_lo, s30
	s_cbranch_vccnz .LBB91_99
; %bb.94:
	s_and_not1_b32 vcc_lo, exec_lo, s36
	s_cbranch_vccnz .LBB91_100
; %bb.95:
	v_dual_mov_b32 v4, 0 :: v_dual_mov_b32 v1, v0
	v_dual_mov_b32 v6, 0 :: v_dual_mov_b32 v5, 0
	s_add_co_i32 s18, s34, 1
	s_mov_b64 s[26:27], 0xffffffffffffffe8
	s_and_b32 s18, s18, 30
	s_add_nc_u64 s[26:27], s[16:17], s[26:27]
.LBB91_96:                              ; =>This Inner Loop Header: Depth=1
	s_clause 0x1
	s_load_b128 s[40:43], s[26:27], 0x1c
	s_load_b64 s[38:39], s[26:27], 0x2c
	s_add_co_i32 s18, s18, -2
	s_delay_alu instid0(SALU_CYCLE_1) | instskip(SKIP_2) | instid1(VALU_DEP_1)
	s_cmp_eq_u32 s18, 0
	s_wait_kmcnt 0x0
	v_mul_hi_u32 v2, s41, v1
	v_add_nc_u32_e32 v2, v1, v2
	s_delay_alu instid0(VALU_DEP_1) | instskip(NEXT) | instid1(VALU_DEP_1)
	v_lshrrev_b32_e32 v2, s42, v2
	v_mul_hi_u32 v3, s38, v2
	v_mul_lo_u32 v7, v2, s40
	s_clause 0x1
	s_load_b128 s[44:47], s[26:27], 0xdc
	s_load_b64 s[40:41], s[26:27], 0xec
	s_wait_xcnt 0x0
	s_add_nc_u64 s[26:27], s[26:27], 24
	s_delay_alu instid0(VALU_DEP_2) | instskip(NEXT) | instid1(VALU_DEP_2)
	v_add_nc_u32_e32 v3, v2, v3
	v_sub_nc_u32_e32 v7, v1, v7
	s_delay_alu instid0(VALU_DEP_2) | instskip(SKIP_1) | instid1(VALU_DEP_2)
	v_lshrrev_b32_e32 v1, s39, v3
	s_wait_kmcnt 0x0
	v_mad_u32 v4, v7, s44, v4
	s_delay_alu instid0(VALU_DEP_2) | instskip(SKIP_2) | instid1(VALU_DEP_3)
	v_mul_lo_u32 v3, v1, s43
	v_mad_u32 v5, v7, s46, v5
	v_mad_u32 v6, v7, s45, v6
	v_sub_nc_u32_e32 v2, v2, v3
	s_delay_alu instid0(VALU_DEP_1) | instskip(NEXT) | instid1(VALU_DEP_4)
	v_mad_u32 v4, v2, s47, v4
	v_mad_u32 v5, v2, s41, v5
	s_delay_alu instid0(VALU_DEP_4)
	v_mad_u32 v6, v2, s40, v6
	s_cbranch_scc0 .LBB91_96
; %bb.97:
	s_bitcmp1_b32 s34, 0
	s_cselect_b32 s18, -1, 0
	s_delay_alu instid0(SALU_CYCLE_1)
	s_and_b32 vcc_lo, exec_lo, s18
	s_cbranch_vccnz .LBB91_101
; %bb.98:
	s_clause 0x1
	s_load_b96 s[40:42], s[26:27], 0x1c
	s_load_b96 s[44:46], s[26:27], 0xdc
	s_wait_kmcnt 0x0
	v_mul_hi_u32 v2, s41, v1
	s_delay_alu instid0(VALU_DEP_1) | instskip(NEXT) | instid1(VALU_DEP_1)
	v_add_nc_u32_e32 v2, v1, v2
	v_lshrrev_b32_e32 v2, s42, v2
	s_delay_alu instid0(VALU_DEP_1) | instskip(NEXT) | instid1(VALU_DEP_1)
	v_mul_lo_u32 v2, v2, s40
	v_sub_nc_u32_e32 v1, v1, v2
	s_delay_alu instid0(VALU_DEP_1)
	v_mad_u32 v4, v1, s44, v4
	v_mad_u32 v6, v1, s45, v6
	;; [unrolled: 1-line block ×3, first 2 shown]
	s_branch .LBB91_101
.LBB91_99:
                                        ; implicit-def: $vgpr5
                                        ; implicit-def: $vgpr6
                                        ; implicit-def: $vgpr4
	s_branch .LBB91_102
.LBB91_100:
	v_dual_mov_b32 v5, 0 :: v_dual_mov_b32 v6, 0
	v_mov_b32_e32 v4, 0
.LBB91_101:
	s_cbranch_execnz .LBB91_104
.LBB91_102:
	v_mov_b32_e32 v1, 0
	s_and_not1_b32 vcc_lo, exec_lo, s33
	s_delay_alu instid0(VALU_DEP_1) | instskip(NEXT) | instid1(VALU_DEP_1)
	v_mul_u64_e32 v[2:3], s[22:23], v[0:1]
	v_add_nc_u32_e32 v2, v0, v3
	s_delay_alu instid0(VALU_DEP_1) | instskip(NEXT) | instid1(VALU_DEP_1)
	v_lshrrev_b32_e32 v2, s10, v2
	v_mul_lo_u32 v3, v2, s8
	s_delay_alu instid0(VALU_DEP_1) | instskip(NEXT) | instid1(VALU_DEP_1)
	v_sub_nc_u32_e32 v3, v0, v3
	v_mul_lo_u32 v4, v3, s12
	v_mul_lo_u32 v5, v3, s14
	;; [unrolled: 1-line block ×3, first 2 shown]
	s_cbranch_vccnz .LBB91_104
; %bb.103:
	v_mov_b32_e32 v3, v1
	s_delay_alu instid0(VALU_DEP_1) | instskip(NEXT) | instid1(VALU_DEP_1)
	v_mul_u64_e32 v[8:9], s[24:25], v[2:3]
	v_add_nc_u32_e32 v1, v2, v9
	s_delay_alu instid0(VALU_DEP_1) | instskip(NEXT) | instid1(VALU_DEP_1)
	v_lshrrev_b32_e32 v1, s19, v1
	v_mul_lo_u32 v1, v1, s11
	s_delay_alu instid0(VALU_DEP_1) | instskip(NEXT) | instid1(VALU_DEP_1)
	v_sub_nc_u32_e32 v1, v2, v1
	v_mad_u32 v4, v1, s15, v4
	v_mad_u32 v6, v1, s20, v6
	;; [unrolled: 1-line block ×3, first 2 shown]
.LBB91_104:
	global_load_u16 v1, v5, s[4:5]
	global_load_u16 v3, v6, s[2:3]
	s_mov_b32 s18, exec_lo
	s_wait_loadcnt 0x1
	v_lshlrev_b32_e32 v1, 16, v1
	s_wait_loadcnt 0x0
	s_delay_alu instid0(VALU_DEP_1) | instskip(SKIP_1) | instid1(VALU_DEP_1)
	v_dual_mul_f32 v2, s6, v1 :: v_dual_lshlrev_b32 v1, 16, v3
	s_wait_xcnt 0x0
	v_cmpx_nlt_f32_e32 s7, v2
	s_cbranch_execz .LBB91_106
; %bb.105:
	v_mul_f32_e32 v3, 0x3fb8aa3b, v2
	v_cmp_ngt_f32_e32 vcc_lo, 0xc2ce8ed0, v2
	s_delay_alu instid0(VALU_DEP_2) | instskip(SKIP_1) | instid1(VALU_DEP_1)
	v_rndne_f32_e32 v5, v3
	v_fma_f32 v6, 0x3fb8aa3b, v2, -v3
	v_dual_sub_f32 v3, v3, v5 :: v_dual_fmamk_f32 v6, v2, 0x32a5705f, v6
	v_cvt_i32_f32_e32 v5, v5
	s_delay_alu instid0(VALU_DEP_2) | instskip(NEXT) | instid1(VALU_DEP_1)
	v_add_f32_e32 v3, v3, v6
	v_exp_f32_e32 v3, v3
	v_nop
	s_delay_alu instid0(TRANS32_DEP_1) | instskip(NEXT) | instid1(VALU_DEP_1)
	v_ldexp_f32 v3, v3, v5
	v_cndmask_b32_e32 v3, 0, v3, vcc_lo
	v_cmp_nlt_f32_e32 vcc_lo, 0x42b17218, v2
	s_delay_alu instid0(VALU_DEP_2) | instskip(NEXT) | instid1(VALU_DEP_1)
	v_cndmask_b32_e32 v2, 0x7f800000, v3, vcc_lo
	v_dual_mul_f32 v1, v2, v1 :: v_dual_add_f32 v2, 1.0, v2
	s_delay_alu instid0(VALU_DEP_1) | instskip(NEXT) | instid1(VALU_DEP_1)
	v_div_scale_f32 v3, null, v2, v2, v1
	v_rcp_f32_e32 v5, v3
	v_nop
	s_delay_alu instid0(TRANS32_DEP_1) | instskip(NEXT) | instid1(VALU_DEP_1)
	v_fma_f32 v6, -v3, v5, 1.0
	v_fmac_f32_e32 v5, v6, v5
	v_div_scale_f32 v6, vcc_lo, v1, v2, v1
	s_delay_alu instid0(VALU_DEP_1) | instskip(NEXT) | instid1(VALU_DEP_1)
	v_mul_f32_e32 v7, v6, v5
	v_fma_f32 v8, -v3, v7, v6
	s_delay_alu instid0(VALU_DEP_1) | instskip(NEXT) | instid1(VALU_DEP_1)
	v_fmac_f32_e32 v7, v8, v5
	v_fma_f32 v3, -v3, v7, v6
	s_delay_alu instid0(VALU_DEP_1) | instskip(NEXT) | instid1(VALU_DEP_1)
	v_div_fmas_f32 v3, v3, v5, v7
	v_div_fixup_f32 v1, v3, v2, v1
.LBB91_106:
	s_or_b32 exec_lo, exec_lo, s18
	s_delay_alu instid0(VALU_DEP_1) | instskip(SKIP_2) | instid1(VALU_DEP_3)
	v_bfe_u32 v2, v1, 16, 1
	v_cmp_o_f32_e32 vcc_lo, v1, v1
	v_add_nc_u32_e32 v0, 0x80, v0
	v_add3_u32 v2, v1, v2, 0x7fff
	s_delay_alu instid0(VALU_DEP_1) | instskip(NEXT) | instid1(VALU_DEP_1)
	v_lshrrev_b32_e32 v2, 16, v2
	v_cndmask_b32_e32 v1, 0x7fc0, v2, vcc_lo
	global_store_b16 v4, v1, s[0:1]
	s_wait_xcnt 0x0
	s_or_b32 exec_lo, exec_lo, s9
	s_delay_alu instid0(SALU_CYCLE_1)
	s_mov_b32 s9, exec_lo
	v_cmpx_gt_i32_e64 s35, v0
	s_cbranch_execz .LBB91_121
.LBB91_107:
	s_and_not1_b32 vcc_lo, exec_lo, s30
	s_cbranch_vccnz .LBB91_113
; %bb.108:
	s_and_not1_b32 vcc_lo, exec_lo, s36
	s_cbranch_vccnz .LBB91_114
; %bb.109:
	v_dual_mov_b32 v4, 0 :: v_dual_mov_b32 v1, v0
	v_dual_mov_b32 v6, 0 :: v_dual_mov_b32 v5, 0
	s_add_co_i32 s18, s34, 1
	s_mov_b64 s[26:27], 0xffffffffffffffe8
	s_and_b32 s18, s18, 30
	s_add_nc_u64 s[26:27], s[16:17], s[26:27]
.LBB91_110:                             ; =>This Inner Loop Header: Depth=1
	s_clause 0x1
	s_load_b128 s[36:39], s[26:27], 0x1c
	s_load_b64 s[44:45], s[26:27], 0x2c
	s_add_co_i32 s18, s18, -2
	s_delay_alu instid0(SALU_CYCLE_1) | instskip(SKIP_2) | instid1(VALU_DEP_1)
	s_cmp_eq_u32 s18, 0
	s_wait_kmcnt 0x0
	v_mul_hi_u32 v2, s37, v1
	v_add_nc_u32_e32 v2, v1, v2
	s_delay_alu instid0(VALU_DEP_1) | instskip(NEXT) | instid1(VALU_DEP_1)
	v_lshrrev_b32_e32 v2, s38, v2
	v_mul_hi_u32 v3, s44, v2
	v_mul_lo_u32 v7, v2, s36
	s_clause 0x1
	s_load_b128 s[40:43], s[26:27], 0xdc
	s_load_b64 s[36:37], s[26:27], 0xec
	s_wait_xcnt 0x0
	s_add_nc_u64 s[26:27], s[26:27], 24
	s_delay_alu instid0(VALU_DEP_2) | instskip(NEXT) | instid1(VALU_DEP_2)
	v_add_nc_u32_e32 v3, v2, v3
	v_sub_nc_u32_e32 v7, v1, v7
	s_delay_alu instid0(VALU_DEP_2) | instskip(SKIP_1) | instid1(VALU_DEP_2)
	v_lshrrev_b32_e32 v1, s45, v3
	s_wait_kmcnt 0x0
	v_mad_u32 v4, v7, s40, v4
	s_delay_alu instid0(VALU_DEP_2) | instskip(SKIP_2) | instid1(VALU_DEP_3)
	v_mul_lo_u32 v3, v1, s39
	v_mad_u32 v5, v7, s42, v5
	v_mad_u32 v6, v7, s41, v6
	v_sub_nc_u32_e32 v2, v2, v3
	s_delay_alu instid0(VALU_DEP_1) | instskip(NEXT) | instid1(VALU_DEP_4)
	v_mad_u32 v4, v2, s43, v4
	v_mad_u32 v5, v2, s37, v5
	s_delay_alu instid0(VALU_DEP_4)
	v_mad_u32 v6, v2, s36, v6
	s_cbranch_scc0 .LBB91_110
; %bb.111:
	s_bitcmp1_b32 s34, 0
	s_cselect_b32 s18, -1, 0
	s_delay_alu instid0(SALU_CYCLE_1)
	s_and_b32 vcc_lo, exec_lo, s18
	s_cbranch_vccnz .LBB91_115
; %bb.112:
	s_clause 0x1
	s_load_b96 s[36:38], s[26:27], 0x1c
	s_load_b96 s[40:42], s[26:27], 0xdc
	s_wait_kmcnt 0x0
	v_mul_hi_u32 v2, s37, v1
	s_delay_alu instid0(VALU_DEP_1) | instskip(NEXT) | instid1(VALU_DEP_1)
	v_add_nc_u32_e32 v2, v1, v2
	v_lshrrev_b32_e32 v2, s38, v2
	s_delay_alu instid0(VALU_DEP_1) | instskip(NEXT) | instid1(VALU_DEP_1)
	v_mul_lo_u32 v2, v2, s36
	v_sub_nc_u32_e32 v1, v1, v2
	s_delay_alu instid0(VALU_DEP_1)
	v_mad_u32 v4, v1, s40, v4
	v_mad_u32 v6, v1, s41, v6
	;; [unrolled: 1-line block ×3, first 2 shown]
	s_branch .LBB91_115
.LBB91_113:
                                        ; implicit-def: $vgpr5
                                        ; implicit-def: $vgpr6
                                        ; implicit-def: $vgpr4
	s_branch .LBB91_116
.LBB91_114:
	v_dual_mov_b32 v5, 0 :: v_dual_mov_b32 v6, 0
	v_mov_b32_e32 v4, 0
.LBB91_115:
	s_cbranch_execnz .LBB91_118
.LBB91_116:
	v_mov_b32_e32 v1, 0
	s_and_not1_b32 vcc_lo, exec_lo, s33
	s_delay_alu instid0(VALU_DEP_1) | instskip(NEXT) | instid1(VALU_DEP_1)
	v_mul_u64_e32 v[2:3], s[22:23], v[0:1]
	v_add_nc_u32_e32 v2, v0, v3
	s_delay_alu instid0(VALU_DEP_1) | instskip(NEXT) | instid1(VALU_DEP_1)
	v_lshrrev_b32_e32 v2, s10, v2
	v_mul_lo_u32 v3, v2, s8
	s_delay_alu instid0(VALU_DEP_1) | instskip(NEXT) | instid1(VALU_DEP_1)
	v_sub_nc_u32_e32 v0, v0, v3
	v_mul_lo_u32 v4, v0, s12
	v_mul_lo_u32 v5, v0, s14
	;; [unrolled: 1-line block ×3, first 2 shown]
	s_cbranch_vccnz .LBB91_118
; %bb.117:
	v_mov_b32_e32 v3, v1
	s_delay_alu instid0(VALU_DEP_1) | instskip(NEXT) | instid1(VALU_DEP_1)
	v_mul_u64_e32 v[0:1], s[24:25], v[2:3]
	v_add_nc_u32_e32 v0, v2, v1
	s_delay_alu instid0(VALU_DEP_1) | instskip(NEXT) | instid1(VALU_DEP_1)
	v_lshrrev_b32_e32 v0, s19, v0
	v_mul_lo_u32 v0, v0, s11
	s_delay_alu instid0(VALU_DEP_1) | instskip(NEXT) | instid1(VALU_DEP_1)
	v_sub_nc_u32_e32 v0, v2, v0
	v_mad_u32 v4, v0, s15, v4
	v_mad_u32 v6, v0, s20, v6
	;; [unrolled: 1-line block ×3, first 2 shown]
.LBB91_118:
	global_load_u16 v0, v5, s[4:5]
	global_load_u16 v2, v6, s[2:3]
	s_wait_xcnt 0x0
	s_mov_b32 s2, exec_lo
	s_wait_loadcnt 0x1
	v_lshlrev_b32_e32 v0, 16, v0
	s_wait_loadcnt 0x0
	s_delay_alu instid0(VALU_DEP_1) | instskip(NEXT) | instid1(VALU_DEP_1)
	v_dual_mul_f32 v1, s6, v0 :: v_dual_lshlrev_b32 v0, 16, v2
	v_cmpx_nlt_f32_e32 s7, v1
	s_cbranch_execz .LBB91_120
; %bb.119:
	v_mul_f32_e32 v2, 0x3fb8aa3b, v1
	v_cmp_ngt_f32_e32 vcc_lo, 0xc2ce8ed0, v1
	s_delay_alu instid0(VALU_DEP_2) | instskip(SKIP_1) | instid1(VALU_DEP_1)
	v_rndne_f32_e32 v3, v2
	v_fma_f32 v5, 0x3fb8aa3b, v1, -v2
	v_dual_sub_f32 v2, v2, v3 :: v_dual_fmamk_f32 v5, v1, 0x32a5705f, v5
	v_cvt_i32_f32_e32 v3, v3
	s_delay_alu instid0(VALU_DEP_2) | instskip(NEXT) | instid1(VALU_DEP_1)
	v_add_f32_e32 v2, v2, v5
	v_exp_f32_e32 v2, v2
	v_nop
	s_delay_alu instid0(TRANS32_DEP_1) | instskip(NEXT) | instid1(VALU_DEP_1)
	v_ldexp_f32 v2, v2, v3
	v_cndmask_b32_e32 v2, 0, v2, vcc_lo
	v_cmp_nlt_f32_e32 vcc_lo, 0x42b17218, v1
	s_delay_alu instid0(VALU_DEP_2) | instskip(NEXT) | instid1(VALU_DEP_1)
	v_cndmask_b32_e32 v1, 0x7f800000, v2, vcc_lo
	v_dual_mul_f32 v0, v1, v0 :: v_dual_add_f32 v1, 1.0, v1
	s_delay_alu instid0(VALU_DEP_1) | instskip(NEXT) | instid1(VALU_DEP_1)
	v_div_scale_f32 v2, null, v1, v1, v0
	v_rcp_f32_e32 v3, v2
	v_nop
	s_delay_alu instid0(TRANS32_DEP_1) | instskip(NEXT) | instid1(VALU_DEP_1)
	v_fma_f32 v5, -v2, v3, 1.0
	v_fmac_f32_e32 v3, v5, v3
	v_div_scale_f32 v5, vcc_lo, v0, v1, v0
	s_delay_alu instid0(VALU_DEP_1) | instskip(NEXT) | instid1(VALU_DEP_1)
	v_mul_f32_e32 v6, v5, v3
	v_fma_f32 v7, -v2, v6, v5
	s_delay_alu instid0(VALU_DEP_1) | instskip(NEXT) | instid1(VALU_DEP_1)
	v_fmac_f32_e32 v6, v7, v3
	v_fma_f32 v2, -v2, v6, v5
	s_delay_alu instid0(VALU_DEP_1) | instskip(NEXT) | instid1(VALU_DEP_1)
	v_div_fmas_f32 v2, v2, v3, v6
	v_div_fixup_f32 v0, v2, v1, v0
.LBB91_120:
	s_or_b32 exec_lo, exec_lo, s2
	s_delay_alu instid0(VALU_DEP_1) | instskip(SKIP_1) | instid1(VALU_DEP_2)
	v_bfe_u32 v1, v0, 16, 1
	v_cmp_o_f32_e32 vcc_lo, v0, v0
	v_add3_u32 v1, v0, v1, 0x7fff
	s_delay_alu instid0(VALU_DEP_1) | instskip(NEXT) | instid1(VALU_DEP_1)
	v_lshrrev_b32_e32 v1, 16, v1
	v_cndmask_b32_e32 v0, 0x7fc0, v1, vcc_lo
	global_store_b16 v4, v0, s[0:1]
.LBB91_121:
	s_wait_xcnt 0x0
	s_or_b32 exec_lo, exec_lo, s9
                                        ; implicit-def: $vgpr4
                                        ; implicit-def: $vgpr0
.LBB91_122:
	s_and_not1_saveexec_b32 s0, s31
	s_cbranch_execz .LBB91_129
; %bb.123:
	v_cndmask_b32_e64 v10, 0, 1, s30
	s_and_not1_b32 vcc_lo, exec_lo, s30
	s_cbranch_vccnz .LBB91_130
; %bb.124:
	s_cmp_lg_u32 s28, 0
	s_mov_b32 s2, 0
	s_cbranch_scc0 .LBB91_134
; %bb.125:
	s_min_u32 s3, s29, 15
	v_dual_mov_b32 v1, 0 :: v_dual_mov_b32 v2, v0
	v_dual_mov_b32 v6, 0 :: v_dual_mov_b32 v5, 0
	s_add_co_i32 s4, s3, 1
	s_mov_b64 s[0:1], 0xffffffffffffffe8
	s_and_b32 s4, s4, 30
	s_add_nc_u64 s[0:1], s[16:17], s[0:1]
.LBB91_126:                             ; =>This Inner Loop Header: Depth=1
	s_clause 0x1
	s_load_b128 s[8:11], s[0:1], 0x1c
	s_load_b64 s[6:7], s[0:1], 0x2c
	s_add_co_i32 s4, s4, -2
	s_delay_alu instid0(SALU_CYCLE_1) | instskip(SKIP_2) | instid1(VALU_DEP_1)
	s_cmp_lg_u32 s4, 0
	s_wait_kmcnt 0x0
	v_mul_hi_u32 v3, s9, v2
	v_add_nc_u32_e32 v3, v2, v3
	s_delay_alu instid0(VALU_DEP_1) | instskip(NEXT) | instid1(VALU_DEP_1)
	v_lshrrev_b32_e32 v3, s10, v3
	v_mul_hi_u32 v7, s6, v3
	v_mul_lo_u32 v8, v3, s8
	s_clause 0x1
	s_load_b128 s[12:15], s[0:1], 0xdc
	s_load_b64 s[8:9], s[0:1], 0xec
	s_wait_xcnt 0x0
	s_add_nc_u64 s[0:1], s[0:1], 24
	s_delay_alu instid0(VALU_DEP_1) | instskip(NEXT) | instid1(VALU_DEP_1)
	v_dual_add_nc_u32 v7, v3, v7 :: v_dual_sub_nc_u32 v8, v2, v8
	v_lshrrev_b32_e32 v2, s7, v7
	s_wait_kmcnt 0x0
	s_delay_alu instid0(VALU_DEP_2) | instskip(NEXT) | instid1(VALU_DEP_2)
	v_mad_u32 v1, v8, s12, v1
	v_mul_lo_u32 v7, v2, s11
	v_mad_u32 v5, v8, s14, v5
	v_mad_u32 v6, v8, s13, v6
	s_delay_alu instid0(VALU_DEP_3) | instskip(NEXT) | instid1(VALU_DEP_1)
	v_sub_nc_u32_e32 v3, v3, v7
	v_mad_u32 v1, v3, s15, v1
	s_delay_alu instid0(VALU_DEP_4) | instskip(NEXT) | instid1(VALU_DEP_4)
	v_mad_u32 v5, v3, s9, v5
	v_mad_u32 v6, v3, s8, v6
	s_cbranch_scc1 .LBB91_126
; %bb.127:
	s_bitcmp1_b32 s3, 0
	s_cselect_b32 s3, -1, 0
	s_delay_alu instid0(SALU_CYCLE_1)
	s_and_b32 vcc_lo, exec_lo, s3
	s_cbranch_vccnz .LBB91_131
; %bb.128:
	s_clause 0x1
	s_load_b96 s[4:6], s[0:1], 0x1c
	s_load_b96 s[8:10], s[0:1], 0xdc
	s_wait_kmcnt 0x0
	v_mul_hi_u32 v3, s5, v2
	s_delay_alu instid0(VALU_DEP_1) | instskip(NEXT) | instid1(VALU_DEP_1)
	v_add_nc_u32_e32 v3, v2, v3
	v_lshrrev_b32_e32 v3, s6, v3
	s_delay_alu instid0(VALU_DEP_1) | instskip(NEXT) | instid1(VALU_DEP_1)
	v_mul_lo_u32 v3, v3, s4
	v_sub_nc_u32_e32 v2, v2, v3
	s_delay_alu instid0(VALU_DEP_1)
	v_mad_u32 v1, v2, s8, v1
	v_mad_u32 v6, v2, s9, v6
	;; [unrolled: 1-line block ×3, first 2 shown]
	s_and_not1_b32 vcc_lo, exec_lo, s2
	s_cbranch_vccz .LBB91_132
	s_branch .LBB91_135
.LBB91_129:
	s_endpgm
.LBB91_130:
	s_mov_b32 s2, -1
                                        ; implicit-def: $vgpr5
                                        ; implicit-def: $vgpr6
                                        ; implicit-def: $vgpr1
.LBB91_131:
	s_delay_alu instid0(SALU_CYCLE_1)
	s_and_not1_b32 vcc_lo, exec_lo, s2
	s_cbranch_vccnz .LBB91_135
.LBB91_132:
	s_clause 0x1
	s_load_b96 s[0:2], s[16:17], 0x4
	s_load_b96 s[4:6], s[16:17], 0xc4
	s_cmp_lt_u32 s28, 2
	s_wait_kmcnt 0x0
	v_mul_hi_u32 v1, s1, v0
	s_delay_alu instid0(VALU_DEP_1) | instskip(NEXT) | instid1(VALU_DEP_1)
	v_add_nc_u32_e32 v1, v0, v1
	v_lshrrev_b32_e32 v2, s2, v1
	s_delay_alu instid0(VALU_DEP_1) | instskip(NEXT) | instid1(VALU_DEP_1)
	v_mul_lo_u32 v1, v2, s0
	v_sub_nc_u32_e32 v3, v0, v1
	s_delay_alu instid0(VALU_DEP_1)
	v_mul_lo_u32 v1, v3, s4
	v_mul_lo_u32 v5, v3, s6
	;; [unrolled: 1-line block ×3, first 2 shown]
	s_cbranch_scc1 .LBB91_135
; %bb.133:
	s_clause 0x1
	s_load_b96 s[0:2], s[16:17], 0x10
	s_load_b96 s[4:6], s[16:17], 0xd0
	s_wait_kmcnt 0x0
	v_mul_hi_u32 v3, s1, v2
	s_delay_alu instid0(VALU_DEP_1) | instskip(NEXT) | instid1(VALU_DEP_1)
	v_add_nc_u32_e32 v3, v2, v3
	v_lshrrev_b32_e32 v3, s2, v3
	s_delay_alu instid0(VALU_DEP_1) | instskip(NEXT) | instid1(VALU_DEP_1)
	v_mul_lo_u32 v3, v3, s0
	v_sub_nc_u32_e32 v2, v2, v3
	s_delay_alu instid0(VALU_DEP_1)
	v_mad_u32 v1, v2, s4, v1
	v_mad_u32 v6, v2, s5, v6
	;; [unrolled: 1-line block ×3, first 2 shown]
	s_branch .LBB91_135
.LBB91_134:
	v_dual_mov_b32 v5, 0 :: v_dual_mov_b32 v6, 0
	v_mov_b32_e32 v1, 0
	s_and_not1_b32 vcc_lo, exec_lo, s2
	s_cbranch_vccz .LBB91_132
.LBB91_135:
	v_cmp_ne_u32_e32 vcc_lo, 1, v10
	v_add_nc_u32_e32 v3, 0x80, v0
	s_cbranch_vccnz .LBB91_141
; %bb.136:
	s_cmp_lg_u32 s28, 0
	s_mov_b32 s2, 0
	s_cbranch_scc0 .LBB91_145
; %bb.137:
	s_min_u32 s3, s29, 15
	v_dual_mov_b32 v2, 0 :: v_dual_mov_b32 v7, v3
	v_dual_mov_b32 v9, 0 :: v_dual_mov_b32 v8, 0
	s_add_co_i32 s4, s3, 1
	s_mov_b64 s[0:1], 0xffffffffffffffe8
	s_and_b32 s4, s4, 30
	s_add_nc_u64 s[0:1], s[16:17], s[0:1]
.LBB91_138:                             ; =>This Inner Loop Header: Depth=1
	s_clause 0x1
	s_load_b128 s[8:11], s[0:1], 0x1c
	s_load_b64 s[6:7], s[0:1], 0x2c
	s_add_co_i32 s4, s4, -2
	s_delay_alu instid0(SALU_CYCLE_1) | instskip(SKIP_2) | instid1(VALU_DEP_1)
	s_cmp_lg_u32 s4, 0
	s_wait_kmcnt 0x0
	v_mul_hi_u32 v11, s9, v7
	v_add_nc_u32_e32 v11, v7, v11
	s_delay_alu instid0(VALU_DEP_1) | instskip(NEXT) | instid1(VALU_DEP_1)
	v_lshrrev_b32_e32 v11, s10, v11
	v_mul_hi_u32 v12, s6, v11
	v_mul_lo_u32 v13, v11, s8
	s_clause 0x1
	s_load_b128 s[12:15], s[0:1], 0xdc
	s_load_b64 s[8:9], s[0:1], 0xec
	s_wait_xcnt 0x0
	s_add_nc_u64 s[0:1], s[0:1], 24
	s_delay_alu instid0(VALU_DEP_2) | instskip(NEXT) | instid1(VALU_DEP_1)
	v_add_nc_u32_e32 v12, v11, v12
	v_dual_sub_nc_u32 v13, v7, v13 :: v_dual_lshrrev_b32 v7, s7, v12
	s_wait_kmcnt 0x0
	s_delay_alu instid0(VALU_DEP_1) | instskip(NEXT) | instid1(VALU_DEP_2)
	v_mad_u32 v2, v13, s12, v2
	v_mul_lo_u32 v12, v7, s11
	v_mad_u32 v8, v13, s14, v8
	v_mad_u32 v9, v13, s13, v9
	s_delay_alu instid0(VALU_DEP_3) | instskip(NEXT) | instid1(VALU_DEP_1)
	v_sub_nc_u32_e32 v11, v11, v12
	v_mad_u32 v2, v11, s15, v2
	s_delay_alu instid0(VALU_DEP_4) | instskip(NEXT) | instid1(VALU_DEP_4)
	v_mad_u32 v8, v11, s9, v8
	v_mad_u32 v9, v11, s8, v9
	s_cbranch_scc1 .LBB91_138
; %bb.139:
	s_bitcmp1_b32 s3, 0
	s_cselect_b32 s3, -1, 0
	s_delay_alu instid0(SALU_CYCLE_1)
	s_and_b32 vcc_lo, exec_lo, s3
	s_cbranch_vccnz .LBB91_142
; %bb.140:
	s_clause 0x1
	s_load_b96 s[4:6], s[0:1], 0x1c
	s_load_b96 s[8:10], s[0:1], 0xdc
	s_wait_kmcnt 0x0
	v_mul_hi_u32 v11, s5, v7
	s_delay_alu instid0(VALU_DEP_1) | instskip(NEXT) | instid1(VALU_DEP_1)
	v_add_nc_u32_e32 v11, v7, v11
	v_lshrrev_b32_e32 v11, s6, v11
	s_delay_alu instid0(VALU_DEP_1) | instskip(NEXT) | instid1(VALU_DEP_1)
	v_mul_lo_u32 v11, v11, s4
	v_sub_nc_u32_e32 v7, v7, v11
	s_delay_alu instid0(VALU_DEP_1)
	v_mad_u32 v2, v7, s8, v2
	v_mad_u32 v9, v7, s9, v9
	;; [unrolled: 1-line block ×3, first 2 shown]
	s_and_not1_b32 vcc_lo, exec_lo, s2
	s_cbranch_vccz .LBB91_143
	s_branch .LBB91_146
.LBB91_141:
	s_mov_b32 s2, -1
                                        ; implicit-def: $vgpr8
                                        ; implicit-def: $vgpr9
                                        ; implicit-def: $vgpr2
.LBB91_142:
	s_delay_alu instid0(SALU_CYCLE_1)
	s_and_not1_b32 vcc_lo, exec_lo, s2
	s_cbranch_vccnz .LBB91_146
.LBB91_143:
	s_clause 0x1
	s_load_b96 s[0:2], s[16:17], 0x4
	s_load_b96 s[4:6], s[16:17], 0xc4
	s_cmp_lt_u32 s28, 2
	s_wait_kmcnt 0x0
	v_mul_hi_u32 v2, s1, v3
	s_delay_alu instid0(VALU_DEP_1) | instskip(NEXT) | instid1(VALU_DEP_1)
	v_add_nc_u32_e32 v2, v3, v2
	v_lshrrev_b32_e32 v7, s2, v2
	s_delay_alu instid0(VALU_DEP_1) | instskip(NEXT) | instid1(VALU_DEP_1)
	v_mul_lo_u32 v2, v7, s0
	v_sub_nc_u32_e32 v3, v3, v2
	s_delay_alu instid0(VALU_DEP_1)
	v_mul_lo_u32 v2, v3, s4
	v_mul_lo_u32 v8, v3, s6
	;; [unrolled: 1-line block ×3, first 2 shown]
	s_cbranch_scc1 .LBB91_146
; %bb.144:
	s_clause 0x1
	s_load_b96 s[0:2], s[16:17], 0x10
	s_load_b96 s[4:6], s[16:17], 0xd0
	s_wait_kmcnt 0x0
	v_mul_hi_u32 v3, s1, v7
	s_delay_alu instid0(VALU_DEP_1) | instskip(NEXT) | instid1(VALU_DEP_1)
	v_add_nc_u32_e32 v3, v7, v3
	v_lshrrev_b32_e32 v3, s2, v3
	s_delay_alu instid0(VALU_DEP_1) | instskip(NEXT) | instid1(VALU_DEP_1)
	v_mul_lo_u32 v3, v3, s0
	v_sub_nc_u32_e32 v3, v7, v3
	s_delay_alu instid0(VALU_DEP_1)
	v_mad_u32 v2, v3, s4, v2
	v_mad_u32 v9, v3, s5, v9
	v_mad_u32 v8, v3, s6, v8
	s_branch .LBB91_146
.LBB91_145:
	v_dual_mov_b32 v8, 0 :: v_dual_mov_b32 v9, 0
	v_mov_b32_e32 v2, 0
	s_and_not1_b32 vcc_lo, exec_lo, s2
	s_cbranch_vccz .LBB91_143
.LBB91_146:
	v_cmp_ne_u32_e32 vcc_lo, 1, v10
	v_add_nc_u32_e32 v7, 0x100, v0
	s_cbranch_vccnz .LBB91_152
; %bb.147:
	s_cmp_lg_u32 s28, 0
	s_mov_b32 s2, 0
	s_cbranch_scc0 .LBB91_156
; %bb.148:
	s_min_u32 s3, s29, 15
	v_dual_mov_b32 v3, 0 :: v_dual_mov_b32 v13, v7
	v_dual_mov_b32 v12, 0 :: v_dual_mov_b32 v11, 0
	s_add_co_i32 s4, s3, 1
	s_mov_b64 s[0:1], 0xffffffffffffffe8
	s_and_b32 s4, s4, 30
	s_add_nc_u64 s[0:1], s[16:17], s[0:1]
.LBB91_149:                             ; =>This Inner Loop Header: Depth=1
	s_clause 0x1
	s_load_b128 s[8:11], s[0:1], 0x1c
	s_load_b64 s[6:7], s[0:1], 0x2c
	s_add_co_i32 s4, s4, -2
	s_delay_alu instid0(SALU_CYCLE_1) | instskip(SKIP_2) | instid1(VALU_DEP_1)
	s_cmp_lg_u32 s4, 0
	s_wait_kmcnt 0x0
	v_mul_hi_u32 v14, s9, v13
	v_add_nc_u32_e32 v14, v13, v14
	s_delay_alu instid0(VALU_DEP_1) | instskip(NEXT) | instid1(VALU_DEP_1)
	v_lshrrev_b32_e32 v14, s10, v14
	v_mul_hi_u32 v15, s6, v14
	v_mul_lo_u32 v16, v14, s8
	s_clause 0x1
	s_load_b128 s[12:15], s[0:1], 0xdc
	s_load_b64 s[8:9], s[0:1], 0xec
	s_wait_xcnt 0x0
	s_add_nc_u64 s[0:1], s[0:1], 24
	s_delay_alu instid0(VALU_DEP_1) | instskip(NEXT) | instid1(VALU_DEP_1)
	v_dual_add_nc_u32 v15, v14, v15 :: v_dual_sub_nc_u32 v16, v13, v16
	v_lshrrev_b32_e32 v13, s7, v15
	s_wait_kmcnt 0x0
	s_delay_alu instid0(VALU_DEP_2) | instskip(NEXT) | instid1(VALU_DEP_2)
	v_mad_u32 v3, v16, s12, v3
	v_mul_lo_u32 v15, v13, s11
	v_mad_u32 v11, v16, s14, v11
	v_mad_u32 v12, v16, s13, v12
	s_delay_alu instid0(VALU_DEP_3) | instskip(NEXT) | instid1(VALU_DEP_1)
	v_sub_nc_u32_e32 v14, v14, v15
	v_mad_u32 v3, v14, s15, v3
	s_delay_alu instid0(VALU_DEP_4) | instskip(NEXT) | instid1(VALU_DEP_4)
	v_mad_u32 v11, v14, s9, v11
	v_mad_u32 v12, v14, s8, v12
	s_cbranch_scc1 .LBB91_149
; %bb.150:
	s_bitcmp1_b32 s3, 0
	s_cselect_b32 s3, -1, 0
	s_delay_alu instid0(SALU_CYCLE_1)
	s_and_b32 vcc_lo, exec_lo, s3
	s_cbranch_vccnz .LBB91_153
; %bb.151:
	s_clause 0x1
	s_load_b96 s[4:6], s[0:1], 0x1c
	s_load_b96 s[8:10], s[0:1], 0xdc
	s_wait_kmcnt 0x0
	v_mul_hi_u32 v14, s5, v13
	s_delay_alu instid0(VALU_DEP_1) | instskip(NEXT) | instid1(VALU_DEP_1)
	v_add_nc_u32_e32 v14, v13, v14
	v_lshrrev_b32_e32 v14, s6, v14
	s_delay_alu instid0(VALU_DEP_1) | instskip(NEXT) | instid1(VALU_DEP_1)
	v_mul_lo_u32 v14, v14, s4
	v_sub_nc_u32_e32 v13, v13, v14
	s_delay_alu instid0(VALU_DEP_1)
	v_mad_u32 v3, v13, s8, v3
	v_mad_u32 v12, v13, s9, v12
	;; [unrolled: 1-line block ×3, first 2 shown]
	s_and_not1_b32 vcc_lo, exec_lo, s2
	s_cbranch_vccz .LBB91_154
	s_branch .LBB91_157
.LBB91_152:
	s_mov_b32 s2, -1
                                        ; implicit-def: $vgpr11
                                        ; implicit-def: $vgpr12
                                        ; implicit-def: $vgpr3
.LBB91_153:
	s_delay_alu instid0(SALU_CYCLE_1)
	s_and_not1_b32 vcc_lo, exec_lo, s2
	s_cbranch_vccnz .LBB91_157
.LBB91_154:
	s_clause 0x1
	s_load_b96 s[0:2], s[16:17], 0x4
	s_load_b96 s[4:6], s[16:17], 0xc4
	s_cmp_lt_u32 s28, 2
	s_wait_kmcnt 0x0
	v_mul_hi_u32 v3, s1, v7
	s_delay_alu instid0(VALU_DEP_1) | instskip(NEXT) | instid1(VALU_DEP_1)
	v_add_nc_u32_e32 v3, v7, v3
	v_lshrrev_b32_e32 v13, s2, v3
	s_delay_alu instid0(VALU_DEP_1) | instskip(NEXT) | instid1(VALU_DEP_1)
	v_mul_lo_u32 v3, v13, s0
	v_sub_nc_u32_e32 v7, v7, v3
	s_delay_alu instid0(VALU_DEP_1)
	v_mul_lo_u32 v3, v7, s4
	v_mul_lo_u32 v11, v7, s6
	;; [unrolled: 1-line block ×3, first 2 shown]
	s_cbranch_scc1 .LBB91_157
; %bb.155:
	s_clause 0x1
	s_load_b96 s[0:2], s[16:17], 0x10
	s_load_b96 s[4:6], s[16:17], 0xd0
	s_wait_kmcnt 0x0
	v_mul_hi_u32 v7, s1, v13
	s_delay_alu instid0(VALU_DEP_1) | instskip(NEXT) | instid1(VALU_DEP_1)
	v_add_nc_u32_e32 v7, v13, v7
	v_lshrrev_b32_e32 v7, s2, v7
	s_delay_alu instid0(VALU_DEP_1) | instskip(NEXT) | instid1(VALU_DEP_1)
	v_mul_lo_u32 v7, v7, s0
	v_sub_nc_u32_e32 v7, v13, v7
	s_delay_alu instid0(VALU_DEP_1)
	v_mad_u32 v3, v7, s4, v3
	v_mad_u32 v12, v7, s5, v12
	;; [unrolled: 1-line block ×3, first 2 shown]
	s_branch .LBB91_157
.LBB91_156:
	v_dual_mov_b32 v11, 0 :: v_dual_mov_b32 v12, 0
	v_mov_b32_e32 v3, 0
	s_and_not1_b32 vcc_lo, exec_lo, s2
	s_cbranch_vccz .LBB91_154
.LBB91_157:
	v_cmp_ne_u32_e32 vcc_lo, 1, v10
	v_add_nc_u32_e32 v13, 0x180, v0
	s_cbranch_vccnz .LBB91_163
; %bb.158:
	s_cmp_lg_u32 s28, 0
	s_mov_b32 s2, 0
	s_cbranch_scc0 .LBB91_167
; %bb.159:
	s_min_u32 s3, s29, 15
	v_dual_mov_b32 v7, 0 :: v_dual_mov_b32 v16, v13
	v_dual_mov_b32 v15, 0 :: v_dual_mov_b32 v14, 0
	s_add_co_i32 s4, s3, 1
	s_mov_b64 s[0:1], 0xffffffffffffffe8
	s_and_b32 s4, s4, 30
	s_add_nc_u64 s[0:1], s[16:17], s[0:1]
.LBB91_160:                             ; =>This Inner Loop Header: Depth=1
	s_clause 0x1
	s_load_b128 s[8:11], s[0:1], 0x1c
	s_load_b64 s[6:7], s[0:1], 0x2c
	s_add_co_i32 s4, s4, -2
	s_delay_alu instid0(SALU_CYCLE_1) | instskip(SKIP_2) | instid1(VALU_DEP_1)
	s_cmp_lg_u32 s4, 0
	s_wait_kmcnt 0x0
	v_mul_hi_u32 v17, s9, v16
	v_add_nc_u32_e32 v17, v16, v17
	s_delay_alu instid0(VALU_DEP_1) | instskip(NEXT) | instid1(VALU_DEP_1)
	v_lshrrev_b32_e32 v17, s10, v17
	v_mul_hi_u32 v18, s6, v17
	v_mul_lo_u32 v19, v17, s8
	s_clause 0x1
	s_load_b128 s[12:15], s[0:1], 0xdc
	s_load_b64 s[8:9], s[0:1], 0xec
	s_wait_xcnt 0x0
	s_add_nc_u64 s[0:1], s[0:1], 24
	s_delay_alu instid0(VALU_DEP_1) | instskip(NEXT) | instid1(VALU_DEP_1)
	v_dual_add_nc_u32 v18, v17, v18 :: v_dual_sub_nc_u32 v19, v16, v19
	v_lshrrev_b32_e32 v16, s7, v18
	s_wait_kmcnt 0x0
	s_delay_alu instid0(VALU_DEP_2) | instskip(NEXT) | instid1(VALU_DEP_2)
	v_mad_u32 v7, v19, s12, v7
	v_mul_lo_u32 v18, v16, s11
	v_mad_u32 v14, v19, s14, v14
	v_mad_u32 v15, v19, s13, v15
	s_delay_alu instid0(VALU_DEP_3) | instskip(NEXT) | instid1(VALU_DEP_1)
	v_sub_nc_u32_e32 v17, v17, v18
	v_mad_u32 v7, v17, s15, v7
	s_delay_alu instid0(VALU_DEP_4) | instskip(NEXT) | instid1(VALU_DEP_4)
	v_mad_u32 v14, v17, s9, v14
	v_mad_u32 v15, v17, s8, v15
	s_cbranch_scc1 .LBB91_160
; %bb.161:
	s_bitcmp1_b32 s3, 0
	s_cselect_b32 s3, -1, 0
	s_delay_alu instid0(SALU_CYCLE_1)
	s_and_b32 vcc_lo, exec_lo, s3
	s_cbranch_vccnz .LBB91_164
; %bb.162:
	s_clause 0x1
	s_load_b96 s[4:6], s[0:1], 0x1c
	s_load_b96 s[8:10], s[0:1], 0xdc
	s_wait_kmcnt 0x0
	v_mul_hi_u32 v17, s5, v16
	s_delay_alu instid0(VALU_DEP_1) | instskip(NEXT) | instid1(VALU_DEP_1)
	v_add_nc_u32_e32 v17, v16, v17
	v_lshrrev_b32_e32 v17, s6, v17
	s_delay_alu instid0(VALU_DEP_1) | instskip(NEXT) | instid1(VALU_DEP_1)
	v_mul_lo_u32 v17, v17, s4
	v_sub_nc_u32_e32 v16, v16, v17
	s_delay_alu instid0(VALU_DEP_1)
	v_mad_u32 v7, v16, s8, v7
	v_mad_u32 v15, v16, s9, v15
	;; [unrolled: 1-line block ×3, first 2 shown]
	s_and_not1_b32 vcc_lo, exec_lo, s2
	s_cbranch_vccz .LBB91_165
	s_branch .LBB91_168
.LBB91_163:
	s_mov_b32 s2, -1
                                        ; implicit-def: $vgpr14
                                        ; implicit-def: $vgpr15
                                        ; implicit-def: $vgpr7
.LBB91_164:
	s_delay_alu instid0(SALU_CYCLE_1)
	s_and_not1_b32 vcc_lo, exec_lo, s2
	s_cbranch_vccnz .LBB91_168
.LBB91_165:
	s_clause 0x1
	s_load_b96 s[0:2], s[16:17], 0x4
	s_load_b96 s[4:6], s[16:17], 0xc4
	s_cmp_lt_u32 s28, 2
	s_wait_kmcnt 0x0
	v_mul_hi_u32 v7, s1, v13
	s_delay_alu instid0(VALU_DEP_1) | instskip(NEXT) | instid1(VALU_DEP_1)
	v_add_nc_u32_e32 v7, v13, v7
	v_lshrrev_b32_e32 v16, s2, v7
	s_delay_alu instid0(VALU_DEP_1) | instskip(NEXT) | instid1(VALU_DEP_1)
	v_mul_lo_u32 v7, v16, s0
	v_sub_nc_u32_e32 v13, v13, v7
	s_delay_alu instid0(VALU_DEP_1)
	v_mul_lo_u32 v7, v13, s4
	v_mul_lo_u32 v14, v13, s6
	;; [unrolled: 1-line block ×3, first 2 shown]
	s_cbranch_scc1 .LBB91_168
; %bb.166:
	s_clause 0x1
	s_load_b96 s[0:2], s[16:17], 0x10
	s_load_b96 s[4:6], s[16:17], 0xd0
	s_wait_kmcnt 0x0
	v_mul_hi_u32 v13, s1, v16
	s_delay_alu instid0(VALU_DEP_1) | instskip(NEXT) | instid1(VALU_DEP_1)
	v_add_nc_u32_e32 v13, v16, v13
	v_lshrrev_b32_e32 v13, s2, v13
	s_delay_alu instid0(VALU_DEP_1) | instskip(NEXT) | instid1(VALU_DEP_1)
	v_mul_lo_u32 v13, v13, s0
	v_sub_nc_u32_e32 v13, v16, v13
	s_delay_alu instid0(VALU_DEP_1)
	v_mad_u32 v7, v13, s4, v7
	v_mad_u32 v15, v13, s5, v15
	;; [unrolled: 1-line block ×3, first 2 shown]
	s_branch .LBB91_168
.LBB91_167:
	v_dual_mov_b32 v14, 0 :: v_dual_mov_b32 v15, 0
	v_mov_b32_e32 v7, 0
	s_and_not1_b32 vcc_lo, exec_lo, s2
	s_cbranch_vccz .LBB91_165
.LBB91_168:
	v_cmp_ne_u32_e32 vcc_lo, 1, v10
	v_add_nc_u32_e32 v16, 0x200, v0
	s_cbranch_vccnz .LBB91_174
; %bb.169:
	s_cmp_lg_u32 s28, 0
	s_mov_b32 s2, 0
	s_cbranch_scc0 .LBB91_178
; %bb.170:
	s_min_u32 s3, s29, 15
	v_dual_mov_b32 v13, 0 :: v_dual_mov_b32 v19, v16
	v_dual_mov_b32 v18, 0 :: v_dual_mov_b32 v17, 0
	s_add_co_i32 s4, s3, 1
	s_mov_b64 s[0:1], 0xffffffffffffffe8
	s_and_b32 s4, s4, 30
	s_add_nc_u64 s[0:1], s[16:17], s[0:1]
.LBB91_171:                             ; =>This Inner Loop Header: Depth=1
	s_clause 0x1
	s_load_b128 s[8:11], s[0:1], 0x1c
	s_load_b64 s[6:7], s[0:1], 0x2c
	s_add_co_i32 s4, s4, -2
	s_delay_alu instid0(SALU_CYCLE_1) | instskip(SKIP_2) | instid1(VALU_DEP_1)
	s_cmp_lg_u32 s4, 0
	s_wait_kmcnt 0x0
	v_mul_hi_u32 v20, s9, v19
	v_add_nc_u32_e32 v20, v19, v20
	s_delay_alu instid0(VALU_DEP_1) | instskip(NEXT) | instid1(VALU_DEP_1)
	v_lshrrev_b32_e32 v20, s10, v20
	v_mul_hi_u32 v21, s6, v20
	v_mul_lo_u32 v22, v20, s8
	s_clause 0x1
	s_load_b128 s[12:15], s[0:1], 0xdc
	s_load_b64 s[8:9], s[0:1], 0xec
	s_wait_xcnt 0x0
	s_add_nc_u64 s[0:1], s[0:1], 24
	s_delay_alu instid0(VALU_DEP_1) | instskip(NEXT) | instid1(VALU_DEP_1)
	v_dual_add_nc_u32 v21, v20, v21 :: v_dual_sub_nc_u32 v22, v19, v22
	v_lshrrev_b32_e32 v19, s7, v21
	s_wait_kmcnt 0x0
	s_delay_alu instid0(VALU_DEP_2) | instskip(NEXT) | instid1(VALU_DEP_2)
	v_mad_u32 v13, v22, s12, v13
	v_mul_lo_u32 v21, v19, s11
	v_mad_u32 v17, v22, s14, v17
	v_mad_u32 v18, v22, s13, v18
	s_delay_alu instid0(VALU_DEP_3) | instskip(NEXT) | instid1(VALU_DEP_1)
	v_sub_nc_u32_e32 v20, v20, v21
	v_mad_u32 v13, v20, s15, v13
	s_delay_alu instid0(VALU_DEP_4) | instskip(NEXT) | instid1(VALU_DEP_4)
	v_mad_u32 v17, v20, s9, v17
	v_mad_u32 v18, v20, s8, v18
	s_cbranch_scc1 .LBB91_171
; %bb.172:
	s_bitcmp1_b32 s3, 0
	s_cselect_b32 s3, -1, 0
	s_delay_alu instid0(SALU_CYCLE_1)
	s_and_b32 vcc_lo, exec_lo, s3
	s_cbranch_vccnz .LBB91_175
; %bb.173:
	s_clause 0x1
	s_load_b96 s[4:6], s[0:1], 0x1c
	s_load_b96 s[8:10], s[0:1], 0xdc
	s_wait_kmcnt 0x0
	v_mul_hi_u32 v20, s5, v19
	s_delay_alu instid0(VALU_DEP_1) | instskip(NEXT) | instid1(VALU_DEP_1)
	v_add_nc_u32_e32 v20, v19, v20
	v_lshrrev_b32_e32 v20, s6, v20
	s_delay_alu instid0(VALU_DEP_1) | instskip(NEXT) | instid1(VALU_DEP_1)
	v_mul_lo_u32 v20, v20, s4
	v_sub_nc_u32_e32 v19, v19, v20
	s_delay_alu instid0(VALU_DEP_1)
	v_mad_u32 v13, v19, s8, v13
	v_mad_u32 v18, v19, s9, v18
	;; [unrolled: 1-line block ×3, first 2 shown]
	s_and_not1_b32 vcc_lo, exec_lo, s2
	s_cbranch_vccz .LBB91_176
	s_branch .LBB91_179
.LBB91_174:
	s_mov_b32 s2, -1
                                        ; implicit-def: $vgpr17
                                        ; implicit-def: $vgpr18
                                        ; implicit-def: $vgpr13
.LBB91_175:
	s_delay_alu instid0(SALU_CYCLE_1)
	s_and_not1_b32 vcc_lo, exec_lo, s2
	s_cbranch_vccnz .LBB91_179
.LBB91_176:
	s_clause 0x1
	s_load_b96 s[0:2], s[16:17], 0x4
	s_load_b96 s[4:6], s[16:17], 0xc4
	s_cmp_lt_u32 s28, 2
	s_wait_kmcnt 0x0
	v_mul_hi_u32 v13, s1, v16
	s_delay_alu instid0(VALU_DEP_1) | instskip(NEXT) | instid1(VALU_DEP_1)
	v_add_nc_u32_e32 v13, v16, v13
	v_lshrrev_b32_e32 v19, s2, v13
	s_delay_alu instid0(VALU_DEP_1) | instskip(NEXT) | instid1(VALU_DEP_1)
	v_mul_lo_u32 v13, v19, s0
	v_sub_nc_u32_e32 v16, v16, v13
	s_delay_alu instid0(VALU_DEP_1)
	v_mul_lo_u32 v13, v16, s4
	v_mul_lo_u32 v17, v16, s6
	;; [unrolled: 1-line block ×3, first 2 shown]
	s_cbranch_scc1 .LBB91_179
; %bb.177:
	s_clause 0x1
	s_load_b96 s[0:2], s[16:17], 0x10
	s_load_b96 s[4:6], s[16:17], 0xd0
	s_wait_kmcnt 0x0
	v_mul_hi_u32 v16, s1, v19
	s_delay_alu instid0(VALU_DEP_1) | instskip(NEXT) | instid1(VALU_DEP_1)
	v_add_nc_u32_e32 v16, v19, v16
	v_lshrrev_b32_e32 v16, s2, v16
	s_delay_alu instid0(VALU_DEP_1) | instskip(NEXT) | instid1(VALU_DEP_1)
	v_mul_lo_u32 v16, v16, s0
	v_sub_nc_u32_e32 v16, v19, v16
	s_delay_alu instid0(VALU_DEP_1)
	v_mad_u32 v13, v16, s4, v13
	v_mad_u32 v18, v16, s5, v18
	;; [unrolled: 1-line block ×3, first 2 shown]
	s_branch .LBB91_179
.LBB91_178:
	v_dual_mov_b32 v17, 0 :: v_dual_mov_b32 v18, 0
	v_mov_b32_e32 v13, 0
	s_and_not1_b32 vcc_lo, exec_lo, s2
	s_cbranch_vccz .LBB91_176
.LBB91_179:
	v_cmp_ne_u32_e32 vcc_lo, 1, v10
	v_add_nc_u32_e32 v21, 0x280, v0
	s_cbranch_vccnz .LBB91_185
; %bb.180:
	s_cmp_lg_u32 s28, 0
	s_mov_b32 s2, 0
	s_cbranch_scc0 .LBB91_189
; %bb.181:
	s_min_u32 s3, s29, 15
	v_dual_mov_b32 v16, 0 :: v_dual_mov_b32 v22, v21
	v_dual_mov_b32 v20, 0 :: v_dual_mov_b32 v19, 0
	s_add_co_i32 s4, s3, 1
	s_mov_b64 s[0:1], 0xffffffffffffffe8
	s_and_b32 s4, s4, 30
	s_add_nc_u64 s[0:1], s[16:17], s[0:1]
.LBB91_182:                             ; =>This Inner Loop Header: Depth=1
	s_clause 0x1
	s_load_b128 s[8:11], s[0:1], 0x1c
	s_load_b64 s[6:7], s[0:1], 0x2c
	s_add_co_i32 s4, s4, -2
	s_delay_alu instid0(SALU_CYCLE_1) | instskip(SKIP_2) | instid1(VALU_DEP_1)
	s_cmp_lg_u32 s4, 0
	s_wait_kmcnt 0x0
	v_mul_hi_u32 v23, s9, v22
	v_add_nc_u32_e32 v23, v22, v23
	s_delay_alu instid0(VALU_DEP_1) | instskip(NEXT) | instid1(VALU_DEP_1)
	v_lshrrev_b32_e32 v23, s10, v23
	v_mul_hi_u32 v24, s6, v23
	v_mul_lo_u32 v25, v23, s8
	s_clause 0x1
	s_load_b128 s[12:15], s[0:1], 0xdc
	s_load_b64 s[8:9], s[0:1], 0xec
	s_wait_xcnt 0x0
	s_add_nc_u64 s[0:1], s[0:1], 24
	s_delay_alu instid0(VALU_DEP_1) | instskip(NEXT) | instid1(VALU_DEP_1)
	v_dual_add_nc_u32 v24, v23, v24 :: v_dual_sub_nc_u32 v25, v22, v25
	v_lshrrev_b32_e32 v22, s7, v24
	s_wait_kmcnt 0x0
	s_delay_alu instid0(VALU_DEP_2) | instskip(NEXT) | instid1(VALU_DEP_2)
	v_mad_u32 v16, v25, s12, v16
	v_mul_lo_u32 v24, v22, s11
	v_mad_u32 v19, v25, s14, v19
	v_mad_u32 v20, v25, s13, v20
	s_delay_alu instid0(VALU_DEP_3) | instskip(NEXT) | instid1(VALU_DEP_1)
	v_sub_nc_u32_e32 v23, v23, v24
	v_mad_u32 v16, v23, s15, v16
	s_delay_alu instid0(VALU_DEP_4) | instskip(NEXT) | instid1(VALU_DEP_4)
	v_mad_u32 v19, v23, s9, v19
	v_mad_u32 v20, v23, s8, v20
	s_cbranch_scc1 .LBB91_182
; %bb.183:
	s_bitcmp1_b32 s3, 0
	s_cselect_b32 s3, -1, 0
	s_delay_alu instid0(SALU_CYCLE_1)
	s_and_b32 vcc_lo, exec_lo, s3
	s_cbranch_vccnz .LBB91_186
; %bb.184:
	s_clause 0x1
	s_load_b96 s[4:6], s[0:1], 0x1c
	s_load_b96 s[8:10], s[0:1], 0xdc
	s_wait_kmcnt 0x0
	v_mul_hi_u32 v23, s5, v22
	s_delay_alu instid0(VALU_DEP_1) | instskip(NEXT) | instid1(VALU_DEP_1)
	v_add_nc_u32_e32 v23, v22, v23
	v_lshrrev_b32_e32 v23, s6, v23
	s_delay_alu instid0(VALU_DEP_1) | instskip(NEXT) | instid1(VALU_DEP_1)
	v_mul_lo_u32 v23, v23, s4
	v_sub_nc_u32_e32 v22, v22, v23
	s_delay_alu instid0(VALU_DEP_1)
	v_mad_u32 v16, v22, s8, v16
	v_mad_u32 v20, v22, s9, v20
	;; [unrolled: 1-line block ×3, first 2 shown]
	s_and_not1_b32 vcc_lo, exec_lo, s2
	s_cbranch_vccz .LBB91_187
	s_branch .LBB91_190
.LBB91_185:
	s_mov_b32 s2, -1
                                        ; implicit-def: $vgpr19
                                        ; implicit-def: $vgpr20
                                        ; implicit-def: $vgpr16
.LBB91_186:
	s_delay_alu instid0(SALU_CYCLE_1)
	s_and_not1_b32 vcc_lo, exec_lo, s2
	s_cbranch_vccnz .LBB91_190
.LBB91_187:
	s_clause 0x1
	s_load_b96 s[0:2], s[16:17], 0x4
	s_load_b96 s[4:6], s[16:17], 0xc4
	s_cmp_lt_u32 s28, 2
	s_wait_kmcnt 0x0
	v_mul_hi_u32 v16, s1, v21
	s_delay_alu instid0(VALU_DEP_1) | instskip(NEXT) | instid1(VALU_DEP_1)
	v_add_nc_u32_e32 v16, v21, v16
	v_lshrrev_b32_e32 v22, s2, v16
	s_delay_alu instid0(VALU_DEP_1) | instskip(NEXT) | instid1(VALU_DEP_1)
	v_mul_lo_u32 v16, v22, s0
	v_sub_nc_u32_e32 v20, v21, v16
	s_delay_alu instid0(VALU_DEP_1)
	v_mul_lo_u32 v16, v20, s4
	v_mul_lo_u32 v19, v20, s6
	;; [unrolled: 1-line block ×3, first 2 shown]
	s_cbranch_scc1 .LBB91_190
; %bb.188:
	s_clause 0x1
	s_load_b96 s[0:2], s[16:17], 0x10
	s_load_b96 s[4:6], s[16:17], 0xd0
	s_wait_kmcnt 0x0
	v_mul_hi_u32 v21, s1, v22
	s_delay_alu instid0(VALU_DEP_1) | instskip(NEXT) | instid1(VALU_DEP_1)
	v_add_nc_u32_e32 v21, v22, v21
	v_lshrrev_b32_e32 v21, s2, v21
	s_delay_alu instid0(VALU_DEP_1) | instskip(NEXT) | instid1(VALU_DEP_1)
	v_mul_lo_u32 v21, v21, s0
	v_sub_nc_u32_e32 v21, v22, v21
	s_delay_alu instid0(VALU_DEP_1)
	v_mad_u32 v16, v21, s4, v16
	v_mad_u32 v20, v21, s5, v20
	;; [unrolled: 1-line block ×3, first 2 shown]
	s_branch .LBB91_190
.LBB91_189:
	v_dual_mov_b32 v19, 0 :: v_dual_mov_b32 v20, 0
	v_mov_b32_e32 v16, 0
	s_and_not1_b32 vcc_lo, exec_lo, s2
	s_cbranch_vccz .LBB91_187
.LBB91_190:
	v_cmp_ne_u32_e32 vcc_lo, 1, v10
	v_add_nc_u32_e32 v23, 0x300, v0
	s_cbranch_vccnz .LBB91_196
; %bb.191:
	s_cmp_lg_u32 s28, 0
	s_mov_b32 s2, 0
	s_cbranch_scc0 .LBB91_200
; %bb.192:
	s_min_u32 s3, s29, 15
	v_dual_mov_b32 v0, 0 :: v_dual_mov_b32 v24, v23
	v_dual_mov_b32 v22, 0 :: v_dual_mov_b32 v21, 0
	s_add_co_i32 s4, s3, 1
	s_mov_b64 s[0:1], 0xffffffffffffffe8
	s_and_b32 s4, s4, 30
	s_add_nc_u64 s[0:1], s[16:17], s[0:1]
.LBB91_193:                             ; =>This Inner Loop Header: Depth=1
	s_clause 0x1
	s_load_b128 s[8:11], s[0:1], 0x1c
	s_load_b64 s[6:7], s[0:1], 0x2c
	s_add_co_i32 s4, s4, -2
	s_delay_alu instid0(SALU_CYCLE_1) | instskip(SKIP_2) | instid1(VALU_DEP_1)
	s_cmp_lg_u32 s4, 0
	s_wait_kmcnt 0x0
	v_mul_hi_u32 v25, s9, v24
	v_add_nc_u32_e32 v25, v24, v25
	s_delay_alu instid0(VALU_DEP_1) | instskip(NEXT) | instid1(VALU_DEP_1)
	v_lshrrev_b32_e32 v25, s10, v25
	v_mul_hi_u32 v26, s6, v25
	v_mul_lo_u32 v27, v25, s8
	s_clause 0x1
	s_load_b128 s[12:15], s[0:1], 0xdc
	s_load_b64 s[8:9], s[0:1], 0xec
	s_wait_xcnt 0x0
	s_add_nc_u64 s[0:1], s[0:1], 24
	s_delay_alu instid0(VALU_DEP_1) | instskip(NEXT) | instid1(VALU_DEP_1)
	v_dual_add_nc_u32 v26, v25, v26 :: v_dual_sub_nc_u32 v27, v24, v27
	v_lshrrev_b32_e32 v24, s7, v26
	s_wait_kmcnt 0x0
	s_delay_alu instid0(VALU_DEP_2) | instskip(NEXT) | instid1(VALU_DEP_2)
	v_mad_u32 v0, v27, s12, v0
	v_mul_lo_u32 v26, v24, s11
	v_mad_u32 v21, v27, s14, v21
	v_mad_u32 v22, v27, s13, v22
	s_delay_alu instid0(VALU_DEP_3) | instskip(NEXT) | instid1(VALU_DEP_1)
	v_sub_nc_u32_e32 v25, v25, v26
	v_mad_u32 v0, v25, s15, v0
	s_delay_alu instid0(VALU_DEP_4) | instskip(NEXT) | instid1(VALU_DEP_4)
	v_mad_u32 v21, v25, s9, v21
	v_mad_u32 v22, v25, s8, v22
	s_cbranch_scc1 .LBB91_193
; %bb.194:
	s_bitcmp1_b32 s3, 0
	s_cselect_b32 s3, -1, 0
	s_delay_alu instid0(SALU_CYCLE_1)
	s_and_b32 vcc_lo, exec_lo, s3
	s_cbranch_vccnz .LBB91_197
; %bb.195:
	s_clause 0x1
	s_load_b96 s[4:6], s[0:1], 0x1c
	s_load_b96 s[8:10], s[0:1], 0xdc
	s_wait_kmcnt 0x0
	v_mul_hi_u32 v25, s5, v24
	s_delay_alu instid0(VALU_DEP_1) | instskip(NEXT) | instid1(VALU_DEP_1)
	v_add_nc_u32_e32 v25, v24, v25
	v_lshrrev_b32_e32 v25, s6, v25
	s_delay_alu instid0(VALU_DEP_1) | instskip(NEXT) | instid1(VALU_DEP_1)
	v_mul_lo_u32 v25, v25, s4
	v_sub_nc_u32_e32 v24, v24, v25
	s_delay_alu instid0(VALU_DEP_1)
	v_mad_u32 v0, v24, s8, v0
	v_mad_u32 v22, v24, s9, v22
	v_mad_u32 v21, v24, s10, v21
	s_and_not1_b32 vcc_lo, exec_lo, s2
	s_cbranch_vccz .LBB91_198
	s_branch .LBB91_201
.LBB91_196:
	s_mov_b32 s2, -1
                                        ; implicit-def: $vgpr21
                                        ; implicit-def: $vgpr22
                                        ; implicit-def: $vgpr0
.LBB91_197:
	s_delay_alu instid0(SALU_CYCLE_1)
	s_and_not1_b32 vcc_lo, exec_lo, s2
	s_cbranch_vccnz .LBB91_201
.LBB91_198:
	s_clause 0x1
	s_load_b96 s[0:2], s[16:17], 0x4
	s_load_b96 s[4:6], s[16:17], 0xc4
	s_cmp_lt_u32 s28, 2
	s_wait_kmcnt 0x0
	v_mul_hi_u32 v0, s1, v23
	s_delay_alu instid0(VALU_DEP_1) | instskip(NEXT) | instid1(VALU_DEP_1)
	v_add_nc_u32_e32 v0, v23, v0
	v_lshrrev_b32_e32 v24, s2, v0
	s_delay_alu instid0(VALU_DEP_1) | instskip(NEXT) | instid1(VALU_DEP_1)
	v_mul_lo_u32 v0, v24, s0
	v_sub_nc_u32_e32 v22, v23, v0
	s_delay_alu instid0(VALU_DEP_1)
	v_mul_lo_u32 v0, v22, s4
	v_mul_lo_u32 v21, v22, s6
	;; [unrolled: 1-line block ×3, first 2 shown]
	s_cbranch_scc1 .LBB91_201
; %bb.199:
	s_clause 0x1
	s_load_b96 s[0:2], s[16:17], 0x10
	s_load_b96 s[4:6], s[16:17], 0xd0
	s_wait_kmcnt 0x0
	v_mul_hi_u32 v23, s1, v24
	s_delay_alu instid0(VALU_DEP_1) | instskip(NEXT) | instid1(VALU_DEP_1)
	v_add_nc_u32_e32 v23, v24, v23
	v_lshrrev_b32_e32 v23, s2, v23
	s_delay_alu instid0(VALU_DEP_1) | instskip(NEXT) | instid1(VALU_DEP_1)
	v_mul_lo_u32 v23, v23, s0
	v_sub_nc_u32_e32 v23, v24, v23
	s_delay_alu instid0(VALU_DEP_1)
	v_mad_u32 v0, v23, s4, v0
	v_mad_u32 v22, v23, s5, v22
	;; [unrolled: 1-line block ×3, first 2 shown]
	s_branch .LBB91_201
.LBB91_200:
	v_dual_mov_b32 v21, 0 :: v_dual_mov_b32 v22, 0
	v_mov_b32_e32 v0, 0
	s_and_not1_b32 vcc_lo, exec_lo, s2
	s_cbranch_vccz .LBB91_198
.LBB91_201:
	v_cmp_ne_u32_e32 vcc_lo, 1, v10
	s_cbranch_vccnz .LBB91_207
; %bb.202:
	s_cmp_lg_u32 s28, 0
	s_mov_b32 s2, 0
	s_cbranch_scc0 .LBB91_211
; %bb.203:
	s_min_u32 s3, s29, 15
	v_dual_mov_b32 v10, 0 :: v_dual_mov_b32 v25, v4
	v_dual_mov_b32 v24, 0 :: v_dual_mov_b32 v23, 0
	s_add_co_i32 s4, s3, 1
	s_mov_b64 s[0:1], 0xffffffffffffffe8
	s_and_b32 s4, s4, 30
	s_add_nc_u64 s[0:1], s[16:17], s[0:1]
.LBB91_204:                             ; =>This Inner Loop Header: Depth=1
	s_clause 0x1
	s_load_b128 s[8:11], s[0:1], 0x1c
	s_load_b64 s[6:7], s[0:1], 0x2c
	s_add_co_i32 s4, s4, -2
	s_delay_alu instid0(SALU_CYCLE_1) | instskip(SKIP_2) | instid1(VALU_DEP_1)
	s_cmp_lg_u32 s4, 0
	s_wait_kmcnt 0x0
	v_mul_hi_u32 v26, s9, v25
	v_add_nc_u32_e32 v26, v25, v26
	s_delay_alu instid0(VALU_DEP_1) | instskip(NEXT) | instid1(VALU_DEP_1)
	v_lshrrev_b32_e32 v26, s10, v26
	v_mul_hi_u32 v27, s6, v26
	v_mul_lo_u32 v28, v26, s8
	s_clause 0x1
	s_load_b128 s[12:15], s[0:1], 0xdc
	s_load_b64 s[8:9], s[0:1], 0xec
	s_wait_xcnt 0x0
	s_add_nc_u64 s[0:1], s[0:1], 24
	s_delay_alu instid0(VALU_DEP_1) | instskip(NEXT) | instid1(VALU_DEP_1)
	v_dual_add_nc_u32 v27, v26, v27 :: v_dual_sub_nc_u32 v28, v25, v28
	v_lshrrev_b32_e32 v25, s7, v27
	s_wait_kmcnt 0x0
	s_delay_alu instid0(VALU_DEP_2) | instskip(NEXT) | instid1(VALU_DEP_2)
	v_mad_u32 v10, v28, s12, v10
	v_mul_lo_u32 v27, v25, s11
	v_mad_u32 v23, v28, s14, v23
	v_mad_u32 v24, v28, s13, v24
	s_delay_alu instid0(VALU_DEP_3) | instskip(NEXT) | instid1(VALU_DEP_1)
	v_sub_nc_u32_e32 v26, v26, v27
	v_mad_u32 v10, v26, s15, v10
	s_delay_alu instid0(VALU_DEP_4) | instskip(NEXT) | instid1(VALU_DEP_4)
	v_mad_u32 v23, v26, s9, v23
	v_mad_u32 v24, v26, s8, v24
	s_cbranch_scc1 .LBB91_204
; %bb.205:
	s_bitcmp1_b32 s3, 0
	s_cselect_b32 s3, -1, 0
	s_delay_alu instid0(SALU_CYCLE_1)
	s_and_b32 vcc_lo, exec_lo, s3
	s_cbranch_vccnz .LBB91_208
; %bb.206:
	s_clause 0x1
	s_load_b96 s[4:6], s[0:1], 0x1c
	s_load_b96 s[8:10], s[0:1], 0xdc
	s_wait_kmcnt 0x0
	v_mul_hi_u32 v26, s5, v25
	s_delay_alu instid0(VALU_DEP_1) | instskip(NEXT) | instid1(VALU_DEP_1)
	v_add_nc_u32_e32 v26, v25, v26
	v_lshrrev_b32_e32 v26, s6, v26
	s_delay_alu instid0(VALU_DEP_1) | instskip(NEXT) | instid1(VALU_DEP_1)
	v_mul_lo_u32 v26, v26, s4
	v_sub_nc_u32_e32 v25, v25, v26
	s_delay_alu instid0(VALU_DEP_1)
	v_mad_u32 v10, v25, s8, v10
	v_mad_u32 v24, v25, s9, v24
	;; [unrolled: 1-line block ×3, first 2 shown]
	s_and_not1_b32 vcc_lo, exec_lo, s2
	s_cbranch_vccz .LBB91_209
	s_branch .LBB91_212
.LBB91_207:
	s_mov_b32 s2, -1
                                        ; implicit-def: $vgpr23
                                        ; implicit-def: $vgpr24
                                        ; implicit-def: $vgpr10
.LBB91_208:
	s_delay_alu instid0(SALU_CYCLE_1)
	s_and_not1_b32 vcc_lo, exec_lo, s2
	s_cbranch_vccnz .LBB91_212
.LBB91_209:
	s_clause 0x1
	s_load_b96 s[0:2], s[16:17], 0x4
	s_load_b96 s[4:6], s[16:17], 0xc4
	s_cmp_lt_u32 s28, 2
	s_wait_kmcnt 0x0
	v_mul_hi_u32 v10, s1, v4
	s_delay_alu instid0(VALU_DEP_1) | instskip(NEXT) | instid1(VALU_DEP_1)
	v_add_nc_u32_e32 v10, v4, v10
	v_lshrrev_b32_e32 v25, s2, v10
	s_delay_alu instid0(VALU_DEP_1) | instskip(NEXT) | instid1(VALU_DEP_1)
	v_mul_lo_u32 v10, v25, s0
	v_sub_nc_u32_e32 v4, v4, v10
	s_delay_alu instid0(VALU_DEP_1)
	v_mul_lo_u32 v10, v4, s4
	v_mul_lo_u32 v23, v4, s6
	;; [unrolled: 1-line block ×3, first 2 shown]
	s_cbranch_scc1 .LBB91_212
; %bb.210:
	s_clause 0x1
	s_load_b96 s[0:2], s[16:17], 0x10
	s_load_b96 s[4:6], s[16:17], 0xd0
	s_wait_kmcnt 0x0
	v_mul_hi_u32 v4, s1, v25
	s_delay_alu instid0(VALU_DEP_1) | instskip(NEXT) | instid1(VALU_DEP_1)
	v_add_nc_u32_e32 v4, v25, v4
	v_lshrrev_b32_e32 v4, s2, v4
	s_delay_alu instid0(VALU_DEP_1) | instskip(NEXT) | instid1(VALU_DEP_1)
	v_mul_lo_u32 v4, v4, s0
	v_sub_nc_u32_e32 v4, v25, v4
	s_delay_alu instid0(VALU_DEP_1)
	v_mad_u32 v10, v4, s4, v10
	v_mad_u32 v24, v4, s5, v24
	v_mad_u32 v23, v4, s6, v23
	s_branch .LBB91_212
.LBB91_211:
	v_dual_mov_b32 v23, 0 :: v_dual_mov_b32 v24, 0
	v_mov_b32_e32 v10, 0
	s_and_not1_b32 vcc_lo, exec_lo, s2
	s_cbranch_vccz .LBB91_209
.LBB91_212:
	s_load_b256 s[0:7], s[16:17], 0x188
	s_mov_b32 s8, exec_lo
	s_wait_kmcnt 0x0
	global_load_u16 v4, v5, s[4:5]
	global_load_u16 v25, v6, s[2:3]
	s_wait_loadcnt 0x1
	v_lshlrev_b32_e32 v4, 16, v4
	s_wait_loadcnt 0x0
	s_wait_xcnt 0x1
	s_delay_alu instid0(VALU_DEP_1) | instskip(SKIP_1) | instid1(VALU_DEP_1)
	v_dual_mul_f32 v5, s6, v4 :: v_dual_lshlrev_b32 v4, 16, v25
	s_wait_xcnt 0x0
	v_cmpx_nlt_f32_e32 s7, v5
	s_cbranch_execz .LBB91_214
; %bb.213:
	v_mul_f32_e32 v6, 0x3fb8aa3b, v5
	v_cmp_ngt_f32_e32 vcc_lo, 0xc2ce8ed0, v5
	s_delay_alu instid0(VALU_DEP_2) | instskip(SKIP_1) | instid1(VALU_DEP_2)
	v_rndne_f32_e32 v25, v6
	v_fma_f32 v26, 0x3fb8aa3b, v5, -v6
	v_sub_f32_e32 v6, v6, v25
	s_delay_alu instid0(VALU_DEP_2) | instskip(SKIP_1) | instid1(VALU_DEP_2)
	v_fmamk_f32 v26, v5, 0x32a5705f, v26
	v_cvt_i32_f32_e32 v25, v25
	v_add_f32_e32 v6, v6, v26
	s_delay_alu instid0(VALU_DEP_1) | instskip(SKIP_1) | instid1(TRANS32_DEP_1)
	v_exp_f32_e32 v6, v6
	v_nop
	v_ldexp_f32 v6, v6, v25
	s_delay_alu instid0(VALU_DEP_1) | instskip(SKIP_1) | instid1(VALU_DEP_2)
	v_cndmask_b32_e32 v6, 0, v6, vcc_lo
	v_cmp_nlt_f32_e32 vcc_lo, 0x42b17218, v5
	v_cndmask_b32_e32 v5, 0x7f800000, v6, vcc_lo
	s_delay_alu instid0(VALU_DEP_1) | instskip(NEXT) | instid1(VALU_DEP_1)
	v_dual_mul_f32 v4, v5, v4 :: v_dual_add_f32 v5, 1.0, v5
	v_div_scale_f32 v6, null, v5, v5, v4
	s_delay_alu instid0(VALU_DEP_1) | instskip(SKIP_1) | instid1(TRANS32_DEP_1)
	v_rcp_f32_e32 v25, v6
	v_nop
	v_fma_f32 v26, -v6, v25, 1.0
	s_delay_alu instid0(VALU_DEP_1) | instskip(SKIP_1) | instid1(VALU_DEP_1)
	v_fmac_f32_e32 v25, v26, v25
	v_div_scale_f32 v26, vcc_lo, v4, v5, v4
	v_mul_f32_e32 v27, v26, v25
	s_delay_alu instid0(VALU_DEP_1) | instskip(NEXT) | instid1(VALU_DEP_1)
	v_fma_f32 v28, -v6, v27, v26
	v_fmac_f32_e32 v27, v28, v25
	s_delay_alu instid0(VALU_DEP_1) | instskip(NEXT) | instid1(VALU_DEP_1)
	v_fma_f32 v6, -v6, v27, v26
	v_div_fmas_f32 v6, v6, v25, v27
	s_delay_alu instid0(VALU_DEP_1)
	v_div_fixup_f32 v4, v6, v5, v4
.LBB91_214:
	s_or_b32 exec_lo, exec_lo, s8
	global_load_u16 v5, v8, s[4:5]
	global_load_u16 v25, v9, s[2:3]
	s_mov_b32 s8, exec_lo
	s_wait_loadcnt 0x1
	v_lshlrev_b32_e32 v5, 16, v5
	s_delay_alu instid0(VALU_DEP_1) | instskip(SKIP_3) | instid1(VALU_DEP_2)
	v_mul_f32_e32 v6, s6, v5
	s_wait_loadcnt 0x0
	v_lshlrev_b32_e32 v5, 16, v25
	s_wait_xcnt 0x0
	v_cmpx_nlt_f32_e32 s7, v6
	s_cbranch_execz .LBB91_216
; %bb.215:
	v_mul_f32_e32 v8, 0x3fb8aa3b, v6
	v_cmp_ngt_f32_e32 vcc_lo, 0xc2ce8ed0, v6
	s_delay_alu instid0(VALU_DEP_2) | instskip(SKIP_1) | instid1(VALU_DEP_1)
	v_rndne_f32_e32 v9, v8
	v_fma_f32 v25, 0x3fb8aa3b, v6, -v8
	v_dual_sub_f32 v8, v8, v9 :: v_dual_fmamk_f32 v25, v6, 0x32a5705f, v25
	v_cvt_i32_f32_e32 v9, v9
	s_delay_alu instid0(VALU_DEP_2) | instskip(NEXT) | instid1(VALU_DEP_1)
	v_add_f32_e32 v8, v8, v25
	v_exp_f32_e32 v8, v8
	v_nop
	s_delay_alu instid0(TRANS32_DEP_1) | instskip(NEXT) | instid1(VALU_DEP_1)
	v_ldexp_f32 v8, v8, v9
	v_cndmask_b32_e32 v8, 0, v8, vcc_lo
	v_cmp_nlt_f32_e32 vcc_lo, 0x42b17218, v6
	s_delay_alu instid0(VALU_DEP_2) | instskip(NEXT) | instid1(VALU_DEP_1)
	v_cndmask_b32_e32 v6, 0x7f800000, v8, vcc_lo
	v_dual_mul_f32 v5, v6, v5 :: v_dual_add_f32 v6, 1.0, v6
	s_delay_alu instid0(VALU_DEP_1) | instskip(NEXT) | instid1(VALU_DEP_1)
	v_div_scale_f32 v8, null, v6, v6, v5
	v_rcp_f32_e32 v9, v8
	v_nop
	s_delay_alu instid0(TRANS32_DEP_1) | instskip(NEXT) | instid1(VALU_DEP_1)
	v_fma_f32 v25, -v8, v9, 1.0
	v_fmac_f32_e32 v9, v25, v9
	v_div_scale_f32 v25, vcc_lo, v5, v6, v5
	s_delay_alu instid0(VALU_DEP_1) | instskip(NEXT) | instid1(VALU_DEP_1)
	v_mul_f32_e32 v26, v25, v9
	v_fma_f32 v27, -v8, v26, v25
	s_delay_alu instid0(VALU_DEP_1) | instskip(NEXT) | instid1(VALU_DEP_1)
	v_fmac_f32_e32 v26, v27, v9
	v_fma_f32 v8, -v8, v26, v25
	s_delay_alu instid0(VALU_DEP_1) | instskip(NEXT) | instid1(VALU_DEP_1)
	v_div_fmas_f32 v8, v8, v9, v26
	v_div_fixup_f32 v5, v8, v6, v5
.LBB91_216:
	s_or_b32 exec_lo, exec_lo, s8
	global_load_u16 v6, v11, s[4:5]
	global_load_u16 v9, v12, s[2:3]
	s_mov_b32 s8, exec_lo
	s_wait_loadcnt 0x1
	v_lshlrev_b32_e32 v6, 16, v6
	s_wait_loadcnt 0x0
	s_delay_alu instid0(VALU_DEP_1) | instskip(SKIP_1) | instid1(VALU_DEP_1)
	v_dual_mul_f32 v8, s6, v6 :: v_dual_lshlrev_b32 v6, 16, v9
	s_wait_xcnt 0x0
	v_cmpx_nlt_f32_e32 s7, v8
	s_cbranch_execz .LBB91_218
; %bb.217:
	v_mul_f32_e32 v9, 0x3fb8aa3b, v8
	v_cmp_ngt_f32_e32 vcc_lo, 0xc2ce8ed0, v8
	s_delay_alu instid0(VALU_DEP_2) | instskip(SKIP_1) | instid1(VALU_DEP_1)
	v_rndne_f32_e32 v11, v9
	v_fma_f32 v12, 0x3fb8aa3b, v8, -v9
	v_dual_sub_f32 v9, v9, v11 :: v_dual_fmamk_f32 v12, v8, 0x32a5705f, v12
	v_cvt_i32_f32_e32 v11, v11
	s_delay_alu instid0(VALU_DEP_2) | instskip(NEXT) | instid1(VALU_DEP_1)
	v_add_f32_e32 v9, v9, v12
	v_exp_f32_e32 v9, v9
	v_nop
	s_delay_alu instid0(TRANS32_DEP_1) | instskip(NEXT) | instid1(VALU_DEP_1)
	v_ldexp_f32 v9, v9, v11
	v_cndmask_b32_e32 v9, 0, v9, vcc_lo
	v_cmp_nlt_f32_e32 vcc_lo, 0x42b17218, v8
	s_delay_alu instid0(VALU_DEP_2) | instskip(NEXT) | instid1(VALU_DEP_1)
	v_cndmask_b32_e32 v8, 0x7f800000, v9, vcc_lo
	v_dual_mul_f32 v6, v8, v6 :: v_dual_add_f32 v8, 1.0, v8
	s_delay_alu instid0(VALU_DEP_1) | instskip(NEXT) | instid1(VALU_DEP_1)
	v_div_scale_f32 v9, null, v8, v8, v6
	v_rcp_f32_e32 v11, v9
	v_nop
	s_delay_alu instid0(TRANS32_DEP_1) | instskip(NEXT) | instid1(VALU_DEP_1)
	v_fma_f32 v12, -v9, v11, 1.0
	v_fmac_f32_e32 v11, v12, v11
	v_div_scale_f32 v12, vcc_lo, v6, v8, v6
	s_delay_alu instid0(VALU_DEP_1) | instskip(NEXT) | instid1(VALU_DEP_1)
	v_mul_f32_e32 v25, v12, v11
	v_fma_f32 v26, -v9, v25, v12
	s_delay_alu instid0(VALU_DEP_1) | instskip(NEXT) | instid1(VALU_DEP_1)
	v_fmac_f32_e32 v25, v26, v11
	v_fma_f32 v9, -v9, v25, v12
	s_delay_alu instid0(VALU_DEP_1) | instskip(NEXT) | instid1(VALU_DEP_1)
	v_div_fmas_f32 v9, v9, v11, v25
	v_div_fixup_f32 v6, v9, v8, v6
.LBB91_218:
	s_or_b32 exec_lo, exec_lo, s8
	global_load_u16 v8, v14, s[4:5]
	global_load_u16 v11, v15, s[2:3]
	s_mov_b32 s8, exec_lo
	s_wait_loadcnt 0x1
	v_lshlrev_b32_e32 v8, 16, v8
	s_wait_loadcnt 0x0
	s_delay_alu instid0(VALU_DEP_1) | instskip(SKIP_1) | instid1(VALU_DEP_1)
	v_dual_mul_f32 v9, s6, v8 :: v_dual_lshlrev_b32 v8, 16, v11
	;; [unrolled: 49-line block ×5, first 2 shown]
	s_wait_xcnt 0x0
	v_cmpx_nlt_f32_e32 s7, v14
	s_cbranch_execz .LBB91_226
; %bb.225:
	v_mul_f32_e32 v15, 0x3fb8aa3b, v14
	v_cmp_ngt_f32_e32 vcc_lo, 0xc2ce8ed0, v14
	s_delay_alu instid0(VALU_DEP_2) | instskip(SKIP_1) | instid1(VALU_DEP_1)
	v_rndne_f32_e32 v17, v15
	v_fma_f32 v18, 0x3fb8aa3b, v14, -v15
	v_dual_sub_f32 v15, v15, v17 :: v_dual_fmamk_f32 v18, v14, 0x32a5705f, v18
	v_cvt_i32_f32_e32 v17, v17
	s_delay_alu instid0(VALU_DEP_2) | instskip(NEXT) | instid1(VALU_DEP_1)
	v_add_f32_e32 v15, v15, v18
	v_exp_f32_e32 v15, v15
	v_nop
	s_delay_alu instid0(TRANS32_DEP_1) | instskip(NEXT) | instid1(VALU_DEP_1)
	v_ldexp_f32 v15, v15, v17
	v_cndmask_b32_e32 v15, 0, v15, vcc_lo
	v_cmp_nlt_f32_e32 vcc_lo, 0x42b17218, v14
	s_delay_alu instid0(VALU_DEP_2) | instskip(NEXT) | instid1(VALU_DEP_1)
	v_cndmask_b32_e32 v14, 0x7f800000, v15, vcc_lo
	v_dual_mul_f32 v12, v14, v12 :: v_dual_add_f32 v14, 1.0, v14
	s_delay_alu instid0(VALU_DEP_1) | instskip(NEXT) | instid1(VALU_DEP_1)
	v_div_scale_f32 v15, null, v14, v14, v12
	v_rcp_f32_e32 v17, v15
	v_nop
	s_delay_alu instid0(TRANS32_DEP_1) | instskip(NEXT) | instid1(VALU_DEP_1)
	v_fma_f32 v18, -v15, v17, 1.0
	v_fmac_f32_e32 v17, v18, v17
	v_div_scale_f32 v18, vcc_lo, v12, v14, v12
	s_delay_alu instid0(VALU_DEP_1) | instskip(NEXT) | instid1(VALU_DEP_1)
	v_mul_f32_e32 v19, v18, v17
	v_fma_f32 v20, -v15, v19, v18
	s_delay_alu instid0(VALU_DEP_1) | instskip(NEXT) | instid1(VALU_DEP_1)
	v_fmac_f32_e32 v19, v20, v17
	v_fma_f32 v15, -v15, v19, v18
	s_delay_alu instid0(VALU_DEP_1) | instskip(NEXT) | instid1(VALU_DEP_1)
	v_div_fmas_f32 v15, v15, v17, v19
	v_div_fixup_f32 v12, v15, v14, v12
.LBB91_226:
	s_or_b32 exec_lo, exec_lo, s8
	global_load_u16 v14, v23, s[4:5]
	global_load_u16 v17, v24, s[2:3]
	s_wait_xcnt 0x0
	s_mov_b32 s2, exec_lo
	s_wait_loadcnt 0x1
	v_lshlrev_b32_e32 v14, 16, v14
	s_wait_loadcnt 0x0
	s_delay_alu instid0(VALU_DEP_1) | instskip(NEXT) | instid1(VALU_DEP_1)
	v_dual_mul_f32 v15, s6, v14 :: v_dual_lshlrev_b32 v14, 16, v17
	v_cmpx_nlt_f32_e32 s7, v15
	s_cbranch_execz .LBB91_228
; %bb.227:
	v_mul_f32_e32 v17, 0x3fb8aa3b, v15
	v_cmp_ngt_f32_e32 vcc_lo, 0xc2ce8ed0, v15
	s_delay_alu instid0(VALU_DEP_2) | instskip(SKIP_1) | instid1(VALU_DEP_2)
	v_rndne_f32_e32 v18, v17
	v_fma_f32 v19, 0x3fb8aa3b, v15, -v17
	v_sub_f32_e32 v17, v17, v18
	s_delay_alu instid0(VALU_DEP_2) | instskip(SKIP_1) | instid1(VALU_DEP_2)
	v_fmamk_f32 v19, v15, 0x32a5705f, v19
	v_cvt_i32_f32_e32 v18, v18
	v_add_f32_e32 v17, v17, v19
	s_delay_alu instid0(VALU_DEP_1) | instskip(SKIP_1) | instid1(TRANS32_DEP_1)
	v_exp_f32_e32 v17, v17
	v_nop
	v_ldexp_f32 v17, v17, v18
	s_delay_alu instid0(VALU_DEP_1) | instskip(SKIP_1) | instid1(VALU_DEP_2)
	v_cndmask_b32_e32 v17, 0, v17, vcc_lo
	v_cmp_nlt_f32_e32 vcc_lo, 0x42b17218, v15
	v_cndmask_b32_e32 v15, 0x7f800000, v17, vcc_lo
	s_delay_alu instid0(VALU_DEP_1) | instskip(NEXT) | instid1(VALU_DEP_1)
	v_dual_mul_f32 v14, v15, v14 :: v_dual_add_f32 v15, 1.0, v15
	v_div_scale_f32 v17, null, v15, v15, v14
	s_delay_alu instid0(VALU_DEP_1) | instskip(SKIP_1) | instid1(TRANS32_DEP_1)
	v_rcp_f32_e32 v18, v17
	v_nop
	v_fma_f32 v19, -v17, v18, 1.0
	s_delay_alu instid0(VALU_DEP_1) | instskip(SKIP_1) | instid1(VALU_DEP_1)
	v_fmac_f32_e32 v18, v19, v18
	v_div_scale_f32 v19, vcc_lo, v14, v15, v14
	v_mul_f32_e32 v20, v19, v18
	s_delay_alu instid0(VALU_DEP_1) | instskip(NEXT) | instid1(VALU_DEP_1)
	v_fma_f32 v21, -v17, v20, v19
	v_fmac_f32_e32 v20, v21, v18
	s_delay_alu instid0(VALU_DEP_1) | instskip(NEXT) | instid1(VALU_DEP_1)
	v_fma_f32 v17, -v17, v20, v19
	v_div_fmas_f32 v17, v17, v18, v20
	s_delay_alu instid0(VALU_DEP_1)
	v_div_fixup_f32 v14, v17, v15, v14
.LBB91_228:
	s_or_b32 exec_lo, exec_lo, s2
	v_bfe_u32 v15, v12, 16, 1
	v_bfe_u32 v17, v11, 16, 1
	;; [unrolled: 1-line block ×3, first 2 shown]
	v_cmp_o_f32_e32 vcc_lo, v12, v12
	v_bfe_u32 v19, v8, 16, 1
	v_add3_u32 v15, v12, v15, 0x7fff
	v_add3_u32 v17, v11, v17, 0x7fff
	;; [unrolled: 1-line block ×3, first 2 shown]
	v_bfe_u32 v20, v6, 16, 1
	v_add3_u32 v19, v8, v19, 0x7fff
	s_delay_alu instid0(VALU_DEP_4) | instskip(NEXT) | instid1(VALU_DEP_1)
	v_dual_lshrrev_b32 v15, 16, v15 :: v_dual_lshrrev_b32 v17, 16, v17
	v_cndmask_b32_e32 v12, 0x7fc0, v15, vcc_lo
	v_cmp_o_f32_e32 vcc_lo, v11, v11
	v_lshrrev_b32_e32 v18, 16, v18
	v_bfe_u32 v15, v5, 16, 1
	v_cndmask_b32_e32 v11, 0x7fc0, v17, vcc_lo
	v_cmp_o_f32_e32 vcc_lo, v9, v9
	v_bfe_u32 v17, v4, 16, 1
	s_delay_alu instid0(VALU_DEP_4)
	v_add3_u32 v15, v5, v15, 0x7fff
	v_dual_cndmask_b32 v9, 0x7fc0, v18 :: v_dual_lshrrev_b32 v18, 16, v19
	v_cmp_o_f32_e32 vcc_lo, v8, v8
	v_add3_u32 v19, v6, v20, 0x7fff
	v_bfe_u32 v20, v14, 16, 1
	v_add3_u32 v17, v4, v17, 0x7fff
	v_dual_cndmask_b32 v8, 0x7fc0, v18 :: v_dual_lshrrev_b32 v15, 16, v15
	s_delay_alu instid0(VALU_DEP_4)
	v_lshrrev_b32_e32 v19, 16, v19
	v_cmp_o_f32_e32 vcc_lo, v5, v5
	v_add3_u32 v18, v14, v20, 0x7fff
	v_lshrrev_b32_e32 v17, 16, v17
	v_cndmask_b32_e32 v5, 0x7fc0, v15, vcc_lo
	v_cmp_o_f32_e32 vcc_lo, v4, v4
	s_delay_alu instid0(VALU_DEP_3) | instskip(SKIP_3) | instid1(VALU_DEP_4)
	v_dual_cndmask_b32 v4, 0x7fc0, v17 :: v_dual_lshrrev_b32 v15, 16, v18
	v_cmp_o_f32_e32 vcc_lo, v6, v6
	v_cndmask_b32_e32 v6, 0x7fc0, v19, vcc_lo
	v_cmp_o_f32_e32 vcc_lo, v14, v14
	v_cndmask_b32_e32 v14, 0x7fc0, v15, vcc_lo
	s_clause 0x7
	global_store_b16 v1, v4, s[0:1]
	global_store_b16 v2, v5, s[0:1]
	;; [unrolled: 1-line block ×8, first 2 shown]
	s_endpgm
	.section	.rodata,"a",@progbits
	.p2align	6, 0x0
	.amdhsa_kernel _ZN2at6native32elementwise_kernel_manual_unrollILi128ELi8EZNS0_22gpu_kernel_impl_nocastIZZZNS0_12_GLOBAL__N_124softplus_backward_kernelERNS_18TensorIteratorBaseERKN3c106ScalarES9_ENKUlvE_clEvENKUlvE2_clEvEUlNS6_8BFloat16ESC_E_EEvS5_RKT_EUlibE_EEviT1_
		.amdhsa_group_segment_fixed_size 0
		.amdhsa_private_segment_fixed_size 0
		.amdhsa_kernarg_size 432
		.amdhsa_user_sgpr_count 2
		.amdhsa_user_sgpr_dispatch_ptr 0
		.amdhsa_user_sgpr_queue_ptr 0
		.amdhsa_user_sgpr_kernarg_segment_ptr 1
		.amdhsa_user_sgpr_dispatch_id 0
		.amdhsa_user_sgpr_kernarg_preload_length 0
		.amdhsa_user_sgpr_kernarg_preload_offset 0
		.amdhsa_user_sgpr_private_segment_size 0
		.amdhsa_wavefront_size32 1
		.amdhsa_uses_dynamic_stack 0
		.amdhsa_enable_private_segment 0
		.amdhsa_system_sgpr_workgroup_id_x 1
		.amdhsa_system_sgpr_workgroup_id_y 0
		.amdhsa_system_sgpr_workgroup_id_z 0
		.amdhsa_system_sgpr_workgroup_info 0
		.amdhsa_system_vgpr_workitem_id 0
		.amdhsa_next_free_vgpr 29
		.amdhsa_next_free_sgpr 48
		.amdhsa_named_barrier_count 0
		.amdhsa_reserve_vcc 1
		.amdhsa_float_round_mode_32 0
		.amdhsa_float_round_mode_16_64 0
		.amdhsa_float_denorm_mode_32 3
		.amdhsa_float_denorm_mode_16_64 3
		.amdhsa_fp16_overflow 0
		.amdhsa_memory_ordered 1
		.amdhsa_forward_progress 1
		.amdhsa_inst_pref_size 118
		.amdhsa_round_robin_scheduling 0
		.amdhsa_exception_fp_ieee_invalid_op 0
		.amdhsa_exception_fp_denorm_src 0
		.amdhsa_exception_fp_ieee_div_zero 0
		.amdhsa_exception_fp_ieee_overflow 0
		.amdhsa_exception_fp_ieee_underflow 0
		.amdhsa_exception_fp_ieee_inexact 0
		.amdhsa_exception_int_div_zero 0
	.end_amdhsa_kernel
	.section	.text._ZN2at6native32elementwise_kernel_manual_unrollILi128ELi8EZNS0_22gpu_kernel_impl_nocastIZZZNS0_12_GLOBAL__N_124softplus_backward_kernelERNS_18TensorIteratorBaseERKN3c106ScalarES9_ENKUlvE_clEvENKUlvE2_clEvEUlNS6_8BFloat16ESC_E_EEvS5_RKT_EUlibE_EEviT1_,"axG",@progbits,_ZN2at6native32elementwise_kernel_manual_unrollILi128ELi8EZNS0_22gpu_kernel_impl_nocastIZZZNS0_12_GLOBAL__N_124softplus_backward_kernelERNS_18TensorIteratorBaseERKN3c106ScalarES9_ENKUlvE_clEvENKUlvE2_clEvEUlNS6_8BFloat16ESC_E_EEvS5_RKT_EUlibE_EEviT1_,comdat
.Lfunc_end91:
	.size	_ZN2at6native32elementwise_kernel_manual_unrollILi128ELi8EZNS0_22gpu_kernel_impl_nocastIZZZNS0_12_GLOBAL__N_124softplus_backward_kernelERNS_18TensorIteratorBaseERKN3c106ScalarES9_ENKUlvE_clEvENKUlvE2_clEvEUlNS6_8BFloat16ESC_E_EEvS5_RKT_EUlibE_EEviT1_, .Lfunc_end91-_ZN2at6native32elementwise_kernel_manual_unrollILi128ELi8EZNS0_22gpu_kernel_impl_nocastIZZZNS0_12_GLOBAL__N_124softplus_backward_kernelERNS_18TensorIteratorBaseERKN3c106ScalarES9_ENKUlvE_clEvENKUlvE2_clEvEUlNS6_8BFloat16ESC_E_EEvS5_RKT_EUlibE_EEviT1_
                                        ; -- End function
	.set _ZN2at6native32elementwise_kernel_manual_unrollILi128ELi8EZNS0_22gpu_kernel_impl_nocastIZZZNS0_12_GLOBAL__N_124softplus_backward_kernelERNS_18TensorIteratorBaseERKN3c106ScalarES9_ENKUlvE_clEvENKUlvE2_clEvEUlNS6_8BFloat16ESC_E_EEvS5_RKT_EUlibE_EEviT1_.num_vgpr, 29
	.set _ZN2at6native32elementwise_kernel_manual_unrollILi128ELi8EZNS0_22gpu_kernel_impl_nocastIZZZNS0_12_GLOBAL__N_124softplus_backward_kernelERNS_18TensorIteratorBaseERKN3c106ScalarES9_ENKUlvE_clEvENKUlvE2_clEvEUlNS6_8BFloat16ESC_E_EEvS5_RKT_EUlibE_EEviT1_.num_agpr, 0
	.set _ZN2at6native32elementwise_kernel_manual_unrollILi128ELi8EZNS0_22gpu_kernel_impl_nocastIZZZNS0_12_GLOBAL__N_124softplus_backward_kernelERNS_18TensorIteratorBaseERKN3c106ScalarES9_ENKUlvE_clEvENKUlvE2_clEvEUlNS6_8BFloat16ESC_E_EEvS5_RKT_EUlibE_EEviT1_.numbered_sgpr, 48
	.set _ZN2at6native32elementwise_kernel_manual_unrollILi128ELi8EZNS0_22gpu_kernel_impl_nocastIZZZNS0_12_GLOBAL__N_124softplus_backward_kernelERNS_18TensorIteratorBaseERKN3c106ScalarES9_ENKUlvE_clEvENKUlvE2_clEvEUlNS6_8BFloat16ESC_E_EEvS5_RKT_EUlibE_EEviT1_.num_named_barrier, 0
	.set _ZN2at6native32elementwise_kernel_manual_unrollILi128ELi8EZNS0_22gpu_kernel_impl_nocastIZZZNS0_12_GLOBAL__N_124softplus_backward_kernelERNS_18TensorIteratorBaseERKN3c106ScalarES9_ENKUlvE_clEvENKUlvE2_clEvEUlNS6_8BFloat16ESC_E_EEvS5_RKT_EUlibE_EEviT1_.private_seg_size, 0
	.set _ZN2at6native32elementwise_kernel_manual_unrollILi128ELi8EZNS0_22gpu_kernel_impl_nocastIZZZNS0_12_GLOBAL__N_124softplus_backward_kernelERNS_18TensorIteratorBaseERKN3c106ScalarES9_ENKUlvE_clEvENKUlvE2_clEvEUlNS6_8BFloat16ESC_E_EEvS5_RKT_EUlibE_EEviT1_.uses_vcc, 1
	.set _ZN2at6native32elementwise_kernel_manual_unrollILi128ELi8EZNS0_22gpu_kernel_impl_nocastIZZZNS0_12_GLOBAL__N_124softplus_backward_kernelERNS_18TensorIteratorBaseERKN3c106ScalarES9_ENKUlvE_clEvENKUlvE2_clEvEUlNS6_8BFloat16ESC_E_EEvS5_RKT_EUlibE_EEviT1_.uses_flat_scratch, 0
	.set _ZN2at6native32elementwise_kernel_manual_unrollILi128ELi8EZNS0_22gpu_kernel_impl_nocastIZZZNS0_12_GLOBAL__N_124softplus_backward_kernelERNS_18TensorIteratorBaseERKN3c106ScalarES9_ENKUlvE_clEvENKUlvE2_clEvEUlNS6_8BFloat16ESC_E_EEvS5_RKT_EUlibE_EEviT1_.has_dyn_sized_stack, 0
	.set _ZN2at6native32elementwise_kernel_manual_unrollILi128ELi8EZNS0_22gpu_kernel_impl_nocastIZZZNS0_12_GLOBAL__N_124softplus_backward_kernelERNS_18TensorIteratorBaseERKN3c106ScalarES9_ENKUlvE_clEvENKUlvE2_clEvEUlNS6_8BFloat16ESC_E_EEvS5_RKT_EUlibE_EEviT1_.has_recursion, 0
	.set _ZN2at6native32elementwise_kernel_manual_unrollILi128ELi8EZNS0_22gpu_kernel_impl_nocastIZZZNS0_12_GLOBAL__N_124softplus_backward_kernelERNS_18TensorIteratorBaseERKN3c106ScalarES9_ENKUlvE_clEvENKUlvE2_clEvEUlNS6_8BFloat16ESC_E_EEvS5_RKT_EUlibE_EEviT1_.has_indirect_call, 0
	.section	.AMDGPU.csdata,"",@progbits
; Kernel info:
; codeLenInByte = 15052
; TotalNumSgprs: 50
; NumVgprs: 29
; ScratchSize: 0
; MemoryBound: 0
; FloatMode: 240
; IeeeMode: 1
; LDSByteSize: 0 bytes/workgroup (compile time only)
; SGPRBlocks: 0
; VGPRBlocks: 1
; NumSGPRsForWavesPerEU: 50
; NumVGPRsForWavesPerEU: 29
; NamedBarCnt: 0
; Occupancy: 16
; WaveLimiterHint : 1
; COMPUTE_PGM_RSRC2:SCRATCH_EN: 0
; COMPUTE_PGM_RSRC2:USER_SGPR: 2
; COMPUTE_PGM_RSRC2:TRAP_HANDLER: 0
; COMPUTE_PGM_RSRC2:TGID_X_EN: 1
; COMPUTE_PGM_RSRC2:TGID_Y_EN: 0
; COMPUTE_PGM_RSRC2:TGID_Z_EN: 0
; COMPUTE_PGM_RSRC2:TIDIG_COMP_CNT: 0
	.section	.text._ZN2at6native32elementwise_kernel_manual_unrollILi128ELi4EZNS0_15gpu_kernel_implIZZZNS0_12_GLOBAL__N_124softplus_backward_kernelERNS_18TensorIteratorBaseERKN3c106ScalarES9_ENKUlvE_clEvENKUlvE2_clEvEUlNS6_8BFloat16ESC_E_EEvS5_RKT_EUlibE_EEviT1_,"axG",@progbits,_ZN2at6native32elementwise_kernel_manual_unrollILi128ELi4EZNS0_15gpu_kernel_implIZZZNS0_12_GLOBAL__N_124softplus_backward_kernelERNS_18TensorIteratorBaseERKN3c106ScalarES9_ENKUlvE_clEvENKUlvE2_clEvEUlNS6_8BFloat16ESC_E_EEvS5_RKT_EUlibE_EEviT1_,comdat
	.globl	_ZN2at6native32elementwise_kernel_manual_unrollILi128ELi4EZNS0_15gpu_kernel_implIZZZNS0_12_GLOBAL__N_124softplus_backward_kernelERNS_18TensorIteratorBaseERKN3c106ScalarES9_ENKUlvE_clEvENKUlvE2_clEvEUlNS6_8BFloat16ESC_E_EEvS5_RKT_EUlibE_EEviT1_ ; -- Begin function _ZN2at6native32elementwise_kernel_manual_unrollILi128ELi4EZNS0_15gpu_kernel_implIZZZNS0_12_GLOBAL__N_124softplus_backward_kernelERNS_18TensorIteratorBaseERKN3c106ScalarES9_ENKUlvE_clEvENKUlvE2_clEvEUlNS6_8BFloat16ESC_E_EEvS5_RKT_EUlibE_EEviT1_
	.p2align	8
	.type	_ZN2at6native32elementwise_kernel_manual_unrollILi128ELi4EZNS0_15gpu_kernel_implIZZZNS0_12_GLOBAL__N_124softplus_backward_kernelERNS_18TensorIteratorBaseERKN3c106ScalarES9_ENKUlvE_clEvENKUlvE2_clEvEUlNS6_8BFloat16ESC_E_EEvS5_RKT_EUlibE_EEviT1_,@function
_ZN2at6native32elementwise_kernel_manual_unrollILi128ELi4EZNS0_15gpu_kernel_implIZZZNS0_12_GLOBAL__N_124softplus_backward_kernelERNS_18TensorIteratorBaseERKN3c106ScalarES9_ENKUlvE_clEvENKUlvE2_clEvEUlNS6_8BFloat16ESC_E_EEvS5_RKT_EUlibE_EEviT1_: ; @_ZN2at6native32elementwise_kernel_manual_unrollILi128ELi4EZNS0_15gpu_kernel_implIZZZNS0_12_GLOBAL__N_124softplus_backward_kernelERNS_18TensorIteratorBaseERKN3c106ScalarES9_ENKUlvE_clEvENKUlvE2_clEvEUlNS6_8BFloat16ESC_E_EEvS5_RKT_EUlibE_EEviT1_
; %bb.0:
	s_load_b64 s[2:3], s[0:1], 0x30
	s_bfe_u32 s8, ttmp6, 0x4000c
	s_clause 0x1
	s_load_b32 s18, s[0:1], 0x0
	s_load_b128 s[4:7], s[0:1], 0x8
	s_add_co_i32 s15, s8, 1
	s_clause 0x1
	s_load_b64 s[12:13], s[0:1], 0x18
	s_load_b128 s[8:11], s[0:1], 0x20
	s_and_b32 s14, ttmp6, 15
	s_wait_xcnt 0x0
	s_mul_i32 s0, ttmp9, s15
	s_getreg_b32 s16, hwreg(HW_REG_IB_STS2, 6, 4)
	s_add_co_i32 s14, s14, s0
	s_mov_b32 s17, 0
	s_wait_kmcnt 0x0
	s_lshr_b32 s15, s3, 8
	s_lshr_b32 s1, s3, 16
	s_cmp_eq_u32 s16, 0
	s_cselect_b32 s0, ttmp9, s14
	s_mov_b32 s14, 0
	v_lshl_or_b32 v6, s0, 9, v0
	s_mov_b32 s0, exec_lo
	s_delay_alu instid0(VALU_DEP_1) | instskip(NEXT) | instid1(VALU_DEP_1)
	v_or_b32_e32 v0, 0x180, v6
	v_cmpx_le_i32_e64 s18, v0
	s_xor_b32 s16, exec_lo, s0
	s_cbranch_execz .LBB92_1555
; %bb.1:
	s_mov_b32 s25, -1
	s_mov_b32 s22, 0
	s_mov_b32 s20, 0
	;; [unrolled: 1-line block ×3, first 2 shown]
	s_mov_b32 s21, exec_lo
	v_cmpx_gt_i32_e64 s18, v6
	s_cbranch_execz .LBB92_384
; %bb.2:
	v_mul_lo_u32 v0, v6, s9
	s_and_b32 s0, s15, 0xff
	s_delay_alu instid0(SALU_CYCLE_1) | instskip(NEXT) | instid1(VALU_DEP_1)
	s_cmp_lt_i32 s0, 11
	v_ashrrev_i32_e32 v1, 31, v0
	s_delay_alu instid0(VALU_DEP_1)
	v_add_nc_u64_e32 v[0:1], s[6:7], v[0:1]
	s_cbranch_scc1 .LBB92_9
; %bb.3:
	s_and_b32 s17, 0xffff, s0
	s_delay_alu instid0(SALU_CYCLE_1)
	s_cmp_gt_i32 s17, 25
	s_cbranch_scc0 .LBB92_18
; %bb.4:
	s_cmp_gt_i32 s17, 28
	s_cbranch_scc0 .LBB92_30
; %bb.5:
	;; [unrolled: 3-line block ×4, first 2 shown]
	s_cmp_eq_u32 s17, 46
	s_mov_b32 s23, 0
	s_cbranch_scc0 .LBB92_39
; %bb.8:
	global_load_b32 v2, v[0:1], off
	s_mov_b32 s19, -1
	s_branch .LBB92_41
.LBB92_9:
                                        ; implicit-def: $vgpr2
	s_cbranch_execnz .LBB92_107
.LBB92_10:
	s_and_not1_b32 vcc_lo, exec_lo, s19
	s_cbranch_vccnz .LBB92_154
.LBB92_11:
	s_wait_xcnt 0x0
	v_mul_lo_u32 v0, v6, s10
	s_and_b32 s0, s1, 0xff
	s_delay_alu instid0(SALU_CYCLE_1) | instskip(NEXT) | instid1(VALU_DEP_1)
	s_cmp_lt_i32 s0, 11
	v_ashrrev_i32_e32 v1, 31, v0
	s_delay_alu instid0(VALU_DEP_1)
	v_add_nc_u64_e32 v[0:1], s[12:13], v[0:1]
	s_cbranch_scc1 .LBB92_19
; %bb.12:
	s_and_b32 s17, 0xffff, s0
	s_delay_alu instid0(SALU_CYCLE_1)
	s_cmp_gt_i32 s17, 25
	s_cbranch_scc0 .LBB92_31
; %bb.13:
	s_cmp_gt_i32 s17, 28
	s_cbranch_scc0 .LBB92_34
; %bb.14:
	;; [unrolled: 3-line block ×4, first 2 shown]
	s_cmp_eq_u32 s17, 46
	s_mov_b32 s24, 0
	s_cbranch_scc0 .LBB92_155
; %bb.17:
	global_load_b32 v3, v[0:1], off
	s_mov_b32 s23, -1
	s_mov_b32 s19, 0
	s_branch .LBB92_157
.LBB92_18:
                                        ; implicit-def: $vgpr2
	s_cbranch_execnz .LBB92_72
	s_branch .LBB92_106
.LBB92_19:
	s_mov_b32 s19, 0
	s_mov_b32 s23, 0
                                        ; implicit-def: $vgpr3
	s_cbranch_execnz .LBB92_333
.LBB92_20:
	s_and_not1_b32 vcc_lo, exec_lo, s23
	s_cbranch_vccnz .LBB92_381
.LBB92_21:
	s_wait_loadcnt 0x0
	s_delay_alu instid0(VALU_DEP_1) | instskip(SKIP_1) | instid1(VALU_DEP_1)
	v_dual_lshlrev_b32 v0, 16, v3 :: v_dual_lshlrev_b32 v2, 16, v2
	s_mov_b32 s0, exec_lo
	v_mul_f32_e32 v0, s11, v0
	s_delay_alu instid0(VALU_DEP_1)
	v_cmpx_nlt_f32_e32 s2, v0
	s_cbranch_execz .LBB92_23
; %bb.22:
	v_mul_f32_e32 v1, 0x3fb8aa3b, v0
	v_cmp_ngt_f32_e32 vcc_lo, 0xc2ce8ed0, v0
	s_delay_alu instid0(VALU_DEP_2) | instskip(SKIP_1) | instid1(VALU_DEP_1)
	v_rndne_f32_e32 v3, v1
	v_fma_f32 v4, 0x3fb8aa3b, v0, -v1
	v_dual_sub_f32 v1, v1, v3 :: v_dual_fmamk_f32 v4, v0, 0x32a5705f, v4
	v_cvt_i32_f32_e32 v3, v3
	s_delay_alu instid0(VALU_DEP_2) | instskip(NEXT) | instid1(VALU_DEP_1)
	v_add_f32_e32 v1, v1, v4
	v_exp_f32_e32 v1, v1
	v_nop
	s_delay_alu instid0(TRANS32_DEP_1) | instskip(NEXT) | instid1(VALU_DEP_1)
	v_ldexp_f32 v1, v1, v3
	v_cndmask_b32_e32 v1, 0, v1, vcc_lo
	v_cmp_nlt_f32_e32 vcc_lo, 0x42b17218, v0
	s_delay_alu instid0(VALU_DEP_2) | instskip(NEXT) | instid1(VALU_DEP_1)
	v_cndmask_b32_e32 v0, 0x7f800000, v1, vcc_lo
	v_dual_mul_f32 v1, v0, v2 :: v_dual_add_f32 v0, 1.0, v0
	s_delay_alu instid0(VALU_DEP_1) | instskip(NEXT) | instid1(VALU_DEP_1)
	v_div_scale_f32 v2, null, v0, v0, v1
	v_rcp_f32_e32 v3, v2
	v_nop
	s_delay_alu instid0(TRANS32_DEP_1) | instskip(NEXT) | instid1(VALU_DEP_1)
	v_fma_f32 v4, -v2, v3, 1.0
	v_fmac_f32_e32 v3, v4, v3
	v_div_scale_f32 v4, vcc_lo, v1, v0, v1
	s_delay_alu instid0(VALU_DEP_1) | instskip(NEXT) | instid1(VALU_DEP_1)
	v_mul_f32_e32 v5, v4, v3
	v_fma_f32 v7, -v2, v5, v4
	s_delay_alu instid0(VALU_DEP_1) | instskip(NEXT) | instid1(VALU_DEP_1)
	v_fmac_f32_e32 v5, v7, v3
	v_fma_f32 v2, -v2, v5, v4
	s_delay_alu instid0(VALU_DEP_1) | instskip(NEXT) | instid1(VALU_DEP_1)
	v_div_fmas_f32 v2, v2, v3, v5
	v_div_fixup_f32 v2, v2, v0, v1
.LBB92_23:
	s_or_b32 exec_lo, exec_lo, s0
	v_mul_lo_u32 v0, v6, s8
	s_delay_alu instid0(VALU_DEP_2) | instskip(SKIP_2) | instid1(SALU_CYCLE_1)
	v_bfe_u32 v1, v2, 16, 1
	v_cmp_o_f32_e32 vcc_lo, v2, v2
	s_and_b32 s17, s3, 0xff
	s_cmp_lt_i32 s17, 11
	s_delay_alu instid0(VALU_DEP_2) | instskip(NEXT) | instid1(VALU_DEP_1)
	v_add3_u32 v3, v2, v1, 0x7fff
	v_dual_ashrrev_i32 v1, 31, v0 :: v_dual_lshrrev_b32 v3, 16, v3
	s_delay_alu instid0(VALU_DEP_1) | instskip(NEXT) | instid1(VALU_DEP_2)
	v_add_nc_u64_e32 v[0:1], s[4:5], v[0:1]
	v_cndmask_b32_e32 v2, 0x7fc0, v3, vcc_lo
	s_cbranch_scc1 .LBB92_32
; %bb.24:
	s_and_b32 s23, 0xffff, s17
	s_delay_alu instid0(SALU_CYCLE_1)
	s_cmp_gt_i32 s23, 25
	s_cbranch_scc0 .LBB92_35
; %bb.25:
	s_cmp_gt_i32 s23, 28
	s_cbranch_scc0 .LBB92_38
; %bb.26:
	;; [unrolled: 3-line block ×4, first 2 shown]
	s_mov_b32 s25, 0
	s_mov_b32 s0, -1
	s_cmp_eq_u32 s23, 46
	s_mov_b32 s24, 0
	s_cbranch_scc0 .LBB92_161
; %bb.29:
	v_and_b32_e32 v3, 0xffff, v2
	s_mov_b32 s24, -1
	s_mov_b32 s0, 0
	global_store_b32 v[0:1], v3, off
	s_branch .LBB92_161
.LBB92_30:
	s_mov_b32 s23, -1
                                        ; implicit-def: $vgpr2
	s_branch .LBB92_53
.LBB92_31:
	s_mov_b32 s24, -1
	s_mov_b32 s19, 0
	s_mov_b32 s23, 0
                                        ; implicit-def: $vgpr3
	s_branch .LBB92_297
.LBB92_32:
	s_mov_b32 s23, -1
	s_mov_b32 s0, 0
	s_mov_b32 s24, 0
	s_branch .LBB92_230
.LBB92_33:
	s_mov_b32 s23, -1
                                        ; implicit-def: $vgpr2
	s_branch .LBB92_48
.LBB92_34:
	s_mov_b32 s24, -1
	s_mov_b32 s19, 0
	s_mov_b32 s23, 0
                                        ; implicit-def: $vgpr3
	s_branch .LBB92_278
.LBB92_35:
	s_mov_b32 s25, -1
	s_mov_b32 s0, 0
	s_mov_b32 s24, 0
	s_branch .LBB92_188
.LBB92_36:
	s_mov_b32 s23, -1
	s_branch .LBB92_40
.LBB92_37:
	s_mov_b32 s24, -1
	s_mov_b32 s19, 0
	s_mov_b32 s23, 0
                                        ; implicit-def: $vgpr3
	s_branch .LBB92_273
.LBB92_38:
	s_mov_b32 s25, -1
	s_mov_b32 s0, 0
	s_mov_b32 s24, 0
	s_branch .LBB92_171
.LBB92_39:
	s_mov_b32 s20, -1
.LBB92_40:
                                        ; implicit-def: $vgpr2
.LBB92_41:
	s_and_b32 vcc_lo, exec_lo, s23
	s_cbranch_vccz .LBB92_47
; %bb.42:
	s_cmp_eq_u32 s17, 44
	s_cbranch_scc0 .LBB92_46
; %bb.43:
	s_wait_loadcnt 0x0
	global_load_u8 v2, v[0:1], off
	s_mov_b32 s20, 0
	s_mov_b32 s19, -1
	s_wait_loadcnt 0x0
	v_lshlrev_b32_e32 v3, 23, v2
	v_cmp_ne_u32_e32 vcc_lo, 0xff, v2
	s_delay_alu instid0(VALU_DEP_2) | instskip(SKIP_1) | instid1(VALU_DEP_2)
	v_cndmask_b32_e32 v3, 0x7f800001, v3, vcc_lo
	v_cmp_ne_u32_e32 vcc_lo, 0, v2
	v_cndmask_b32_e32 v2, 0x400000, v3, vcc_lo
	s_delay_alu instid0(VALU_DEP_1) | instskip(NEXT) | instid1(VALU_DEP_1)
	v_add_nc_u32_e32 v3, 0x7fff, v2
	v_lshrrev_b32_e32 v3, 16, v3
	v_cmp_o_f32_e32 vcc_lo, v2, v2
	s_delay_alu instid0(VALU_DEP_2)
	v_cndmask_b32_e32 v2, 0x7fc0, v3, vcc_lo
	s_branch .LBB92_47
.LBB92_44:
	s_mov_b32 s24, -1
	s_mov_b32 s19, 0
	s_branch .LBB92_156
.LBB92_45:
	s_mov_b32 s25, -1
	s_mov_b32 s0, 0
	s_mov_b32 s24, 0
	s_branch .LBB92_167
.LBB92_46:
	s_mov_b32 s20, -1
                                        ; implicit-def: $vgpr2
.LBB92_47:
	s_mov_b32 s23, 0
.LBB92_48:
	s_delay_alu instid0(SALU_CYCLE_1)
	s_and_b32 vcc_lo, exec_lo, s23
	s_cbranch_vccz .LBB92_52
; %bb.49:
	s_cmp_eq_u32 s17, 29
	s_cbranch_scc0 .LBB92_51
; %bb.50:
	s_wait_loadcnt 0x0
	global_load_b64 v[2:3], v[0:1], off
	s_mov_b32 s19, -1
	s_mov_b32 s20, 0
	s_mov_b32 s23, 0
	s_wait_loadcnt 0x0
	v_clz_i32_u32_e32 v4, v3
	s_delay_alu instid0(VALU_DEP_1) | instskip(NEXT) | instid1(VALU_DEP_1)
	v_min_u32_e32 v4, 32, v4
	v_lshlrev_b64_e32 v[2:3], v4, v[2:3]
	s_delay_alu instid0(VALU_DEP_1) | instskip(NEXT) | instid1(VALU_DEP_1)
	v_min_u32_e32 v2, 1, v2
	v_dual_sub_nc_u32 v3, 32, v4 :: v_dual_bitop2_b32 v2, v3, v2 bitop3:0x54
	s_delay_alu instid0(VALU_DEP_1) | instskip(NEXT) | instid1(VALU_DEP_1)
	v_cvt_f32_u32_e32 v2, v2
	v_ldexp_f32 v2, v2, v3
	s_delay_alu instid0(VALU_DEP_1) | instskip(NEXT) | instid1(VALU_DEP_1)
	v_bfe_u32 v3, v2, 16, 1
	v_add3_u32 v2, v2, v3, 0x7fff
	s_delay_alu instid0(VALU_DEP_1)
	v_lshrrev_b32_e32 v2, 16, v2
	s_branch .LBB92_53
.LBB92_51:
	s_mov_b32 s20, -1
                                        ; implicit-def: $vgpr2
.LBB92_52:
	s_mov_b32 s23, 0
.LBB92_53:
	s_delay_alu instid0(SALU_CYCLE_1)
	s_and_b32 vcc_lo, exec_lo, s23
	s_cbranch_vccz .LBB92_71
; %bb.54:
	s_cmp_lt_i32 s17, 27
	s_cbranch_scc1 .LBB92_57
; %bb.55:
	s_cmp_gt_i32 s17, 27
	s_cbranch_scc0 .LBB92_58
; %bb.56:
	s_wait_loadcnt 0x0
	global_load_b32 v2, v[0:1], off
	s_mov_b32 s19, 0
	s_wait_loadcnt 0x0
	v_cvt_f32_u32_e32 v2, v2
	s_delay_alu instid0(VALU_DEP_1) | instskip(NEXT) | instid1(VALU_DEP_1)
	v_bfe_u32 v3, v2, 16, 1
	v_add3_u32 v2, v2, v3, 0x7fff
	s_delay_alu instid0(VALU_DEP_1)
	v_lshrrev_b32_e32 v2, 16, v2
	s_branch .LBB92_59
.LBB92_57:
	s_mov_b32 s19, -1
                                        ; implicit-def: $vgpr2
	s_branch .LBB92_62
.LBB92_58:
	s_mov_b32 s19, -1
                                        ; implicit-def: $vgpr2
.LBB92_59:
	s_delay_alu instid0(SALU_CYCLE_1)
	s_and_not1_b32 vcc_lo, exec_lo, s19
	s_cbranch_vccnz .LBB92_61
; %bb.60:
	s_wait_loadcnt 0x0
	global_load_u16 v2, v[0:1], off
	s_wait_loadcnt 0x0
	v_cvt_f32_u32_e32 v2, v2
	s_delay_alu instid0(VALU_DEP_1) | instskip(NEXT) | instid1(VALU_DEP_1)
	v_bfe_u32 v3, v2, 16, 1
	v_add3_u32 v2, v2, v3, 0x7fff
	s_delay_alu instid0(VALU_DEP_1)
	v_lshrrev_b32_e32 v2, 16, v2
.LBB92_61:
	s_mov_b32 s19, 0
.LBB92_62:
	s_delay_alu instid0(SALU_CYCLE_1)
	s_and_not1_b32 vcc_lo, exec_lo, s19
	s_cbranch_vccnz .LBB92_70
; %bb.63:
	s_wait_loadcnt 0x0
	global_load_u8 v2, v[0:1], off
	s_mov_b32 s19, 0
	s_mov_b32 s23, exec_lo
	s_wait_loadcnt 0x0
	v_cmpx_lt_i16_e32 0x7f, v2
	s_xor_b32 s23, exec_lo, s23
	s_cbranch_execz .LBB92_83
; %bb.64:
	s_mov_b32 s19, -1
	s_mov_b32 s24, exec_lo
	v_cmpx_eq_u16_e32 0x80, v2
; %bb.65:
	s_xor_b32 s19, exec_lo, -1
; %bb.66:
	s_or_b32 exec_lo, exec_lo, s24
	s_delay_alu instid0(SALU_CYCLE_1)
	s_and_b32 s19, s19, exec_lo
	s_or_saveexec_b32 s23, s23
	v_mov_b32_e32 v3, 0x7f800001
	s_xor_b32 exec_lo, exec_lo, s23
	s_cbranch_execnz .LBB92_84
.LBB92_67:
	s_or_b32 exec_lo, exec_lo, s23
	s_and_saveexec_b32 s23, s19
	s_cbranch_execz .LBB92_69
.LBB92_68:
	v_and_b32_e32 v3, 0xffff, v2
	s_delay_alu instid0(VALU_DEP_1) | instskip(SKIP_1) | instid1(VALU_DEP_2)
	v_and_b32_e32 v4, 7, v3
	v_bfe_u32 v8, v3, 3, 4
	v_clz_i32_u32_e32 v5, v4
	s_delay_alu instid0(VALU_DEP_2) | instskip(NEXT) | instid1(VALU_DEP_2)
	v_cmp_eq_u32_e32 vcc_lo, 0, v8
	v_min_u32_e32 v5, 32, v5
	s_delay_alu instid0(VALU_DEP_1) | instskip(NEXT) | instid1(VALU_DEP_1)
	v_subrev_nc_u32_e32 v7, 28, v5
	v_dual_lshlrev_b32 v3, v7, v3 :: v_dual_sub_nc_u32 v5, 29, v5
	s_delay_alu instid0(VALU_DEP_1) | instskip(NEXT) | instid1(VALU_DEP_2)
	v_dual_lshlrev_b32 v2, 24, v2 :: v_dual_bitop2_b32 v3, 7, v3 bitop3:0x40
	v_cndmask_b32_e32 v5, v8, v5, vcc_lo
	s_delay_alu instid0(VALU_DEP_2) | instskip(NEXT) | instid1(VALU_DEP_3)
	v_cndmask_b32_e32 v3, v4, v3, vcc_lo
	v_and_b32_e32 v2, 0x80000000, v2
	s_delay_alu instid0(VALU_DEP_3) | instskip(NEXT) | instid1(VALU_DEP_3)
	v_lshl_add_u32 v4, v5, 23, 0x3b800000
	v_lshlrev_b32_e32 v3, 20, v3
	s_delay_alu instid0(VALU_DEP_1)
	v_or3_b32 v3, v2, v4, v3
.LBB92_69:
	s_or_b32 exec_lo, exec_lo, s23
	s_delay_alu instid0(VALU_DEP_1) | instskip(SKIP_1) | instid1(VALU_DEP_2)
	v_bfe_u32 v2, v3, 16, 1
	v_cmp_o_f32_e32 vcc_lo, v3, v3
	v_add3_u32 v2, v3, v2, 0x7fff
	s_delay_alu instid0(VALU_DEP_1) | instskip(NEXT) | instid1(VALU_DEP_1)
	v_lshrrev_b32_e32 v2, 16, v2
	v_cndmask_b32_e32 v2, 0x7fc0, v2, vcc_lo
.LBB92_70:
	s_mov_b32 s19, -1
.LBB92_71:
	s_branch .LBB92_106
.LBB92_72:
	s_cmp_gt_i32 s17, 22
	s_cbranch_scc0 .LBB92_82
; %bb.73:
	s_cmp_lt_i32 s17, 24
	s_cbranch_scc1 .LBB92_85
; %bb.74:
	s_cmp_gt_i32 s17, 24
	s_cbranch_scc0 .LBB92_86
; %bb.75:
	s_wait_loadcnt 0x0
	global_load_u8 v2, v[0:1], off
	s_mov_b32 s19, 0
	s_mov_b32 s23, exec_lo
	s_wait_loadcnt 0x0
	v_cmpx_lt_i16_e32 0x7f, v2
	s_xor_b32 s23, exec_lo, s23
	s_cbranch_execz .LBB92_98
; %bb.76:
	s_mov_b32 s19, -1
	s_mov_b32 s24, exec_lo
	v_cmpx_eq_u16_e32 0x80, v2
; %bb.77:
	s_xor_b32 s19, exec_lo, -1
; %bb.78:
	s_or_b32 exec_lo, exec_lo, s24
	s_delay_alu instid0(SALU_CYCLE_1)
	s_and_b32 s19, s19, exec_lo
	s_or_saveexec_b32 s23, s23
	v_mov_b32_e32 v3, 0x7f800001
	s_xor_b32 exec_lo, exec_lo, s23
	s_cbranch_execnz .LBB92_99
.LBB92_79:
	s_or_b32 exec_lo, exec_lo, s23
	s_and_saveexec_b32 s23, s19
	s_cbranch_execz .LBB92_81
.LBB92_80:
	v_and_b32_e32 v3, 0xffff, v2
	s_delay_alu instid0(VALU_DEP_1) | instskip(SKIP_1) | instid1(VALU_DEP_2)
	v_and_b32_e32 v4, 3, v3
	v_bfe_u32 v8, v3, 2, 5
	v_clz_i32_u32_e32 v5, v4
	s_delay_alu instid0(VALU_DEP_2) | instskip(NEXT) | instid1(VALU_DEP_2)
	v_cmp_eq_u32_e32 vcc_lo, 0, v8
	v_min_u32_e32 v5, 32, v5
	s_delay_alu instid0(VALU_DEP_1) | instskip(NEXT) | instid1(VALU_DEP_1)
	v_subrev_nc_u32_e32 v7, 29, v5
	v_dual_lshlrev_b32 v3, v7, v3 :: v_dual_sub_nc_u32 v5, 30, v5
	s_delay_alu instid0(VALU_DEP_1) | instskip(NEXT) | instid1(VALU_DEP_2)
	v_dual_lshlrev_b32 v2, 24, v2 :: v_dual_bitop2_b32 v3, 3, v3 bitop3:0x40
	v_cndmask_b32_e32 v5, v8, v5, vcc_lo
	s_delay_alu instid0(VALU_DEP_2) | instskip(NEXT) | instid1(VALU_DEP_3)
	v_cndmask_b32_e32 v3, v4, v3, vcc_lo
	v_and_b32_e32 v2, 0x80000000, v2
	s_delay_alu instid0(VALU_DEP_3) | instskip(NEXT) | instid1(VALU_DEP_3)
	v_lshl_add_u32 v4, v5, 23, 0x37800000
	v_lshlrev_b32_e32 v3, 21, v3
	s_delay_alu instid0(VALU_DEP_1)
	v_or3_b32 v3, v2, v4, v3
.LBB92_81:
	s_or_b32 exec_lo, exec_lo, s23
	s_delay_alu instid0(VALU_DEP_1) | instskip(SKIP_2) | instid1(VALU_DEP_2)
	v_bfe_u32 v2, v3, 16, 1
	v_cmp_o_f32_e32 vcc_lo, v3, v3
	s_mov_b32 s19, 0
	v_add3_u32 v2, v3, v2, 0x7fff
	s_delay_alu instid0(VALU_DEP_1) | instskip(NEXT) | instid1(VALU_DEP_1)
	v_lshrrev_b32_e32 v2, 16, v2
	v_cndmask_b32_e32 v2, 0x7fc0, v2, vcc_lo
	s_branch .LBB92_87
.LBB92_82:
	s_mov_b32 s23, -1
                                        ; implicit-def: $vgpr2
	s_branch .LBB92_93
.LBB92_83:
	s_or_saveexec_b32 s23, s23
	v_mov_b32_e32 v3, 0x7f800001
	s_xor_b32 exec_lo, exec_lo, s23
	s_cbranch_execz .LBB92_67
.LBB92_84:
	v_cmp_ne_u16_e32 vcc_lo, 0, v2
	v_mov_b32_e32 v3, 0
	s_and_not1_b32 s19, s19, exec_lo
	s_and_b32 s24, vcc_lo, exec_lo
	s_delay_alu instid0(SALU_CYCLE_1)
	s_or_b32 s19, s19, s24
	s_or_b32 exec_lo, exec_lo, s23
	s_and_saveexec_b32 s23, s19
	s_cbranch_execnz .LBB92_68
	s_branch .LBB92_69
.LBB92_85:
	s_mov_b32 s19, -1
                                        ; implicit-def: $vgpr2
	s_branch .LBB92_90
.LBB92_86:
	s_mov_b32 s19, -1
                                        ; implicit-def: $vgpr2
.LBB92_87:
	s_delay_alu instid0(SALU_CYCLE_1)
	s_and_b32 vcc_lo, exec_lo, s19
	s_cbranch_vccz .LBB92_89
; %bb.88:
	s_wait_loadcnt 0x0
	global_load_u8 v2, v[0:1], off
	s_wait_loadcnt 0x0
	v_lshlrev_b32_e32 v2, 24, v2
	s_delay_alu instid0(VALU_DEP_1) | instskip(NEXT) | instid1(VALU_DEP_1)
	v_and_b32_e32 v3, 0x7f000000, v2
	v_clz_i32_u32_e32 v4, v3
	v_add_nc_u32_e32 v7, 0x1000000, v3
	v_cmp_ne_u32_e32 vcc_lo, 0, v3
	s_delay_alu instid0(VALU_DEP_3) | instskip(NEXT) | instid1(VALU_DEP_1)
	v_min_u32_e32 v4, 32, v4
	v_sub_nc_u32_e64 v4, v4, 4 clamp
	s_delay_alu instid0(VALU_DEP_1) | instskip(NEXT) | instid1(VALU_DEP_1)
	v_dual_lshlrev_b32 v5, v4, v3 :: v_dual_lshlrev_b32 v4, 23, v4
	v_lshrrev_b32_e32 v5, 4, v5
	s_delay_alu instid0(VALU_DEP_1) | instskip(NEXT) | instid1(VALU_DEP_1)
	v_dual_sub_nc_u32 v4, v5, v4 :: v_dual_ashrrev_i32 v5, 8, v7
	v_add_nc_u32_e32 v4, 0x3c000000, v4
	s_delay_alu instid0(VALU_DEP_1) | instskip(NEXT) | instid1(VALU_DEP_1)
	v_and_or_b32 v4, 0x7f800000, v5, v4
	v_cndmask_b32_e32 v3, 0, v4, vcc_lo
	s_delay_alu instid0(VALU_DEP_1) | instskip(SKIP_1) | instid1(VALU_DEP_2)
	v_and_or_b32 v2, 0x80000000, v2, v3
	v_bfe_u32 v3, v3, 16, 1
	v_cmp_o_f32_e32 vcc_lo, v2, v2
	s_delay_alu instid0(VALU_DEP_2) | instskip(NEXT) | instid1(VALU_DEP_1)
	v_add3_u32 v3, v2, v3, 0x7fff
	v_lshrrev_b32_e32 v3, 16, v3
	s_delay_alu instid0(VALU_DEP_1)
	v_cndmask_b32_e32 v2, 0x7fc0, v3, vcc_lo
.LBB92_89:
	s_mov_b32 s19, 0
.LBB92_90:
	s_delay_alu instid0(SALU_CYCLE_1)
	s_and_not1_b32 vcc_lo, exec_lo, s19
	s_cbranch_vccnz .LBB92_92
; %bb.91:
	s_wait_loadcnt 0x0
	global_load_u8 v2, v[0:1], off
	s_wait_loadcnt 0x0
	v_lshlrev_b32_e32 v3, 25, v2
	v_lshlrev_b16 v2, 8, v2
	s_delay_alu instid0(VALU_DEP_1) | instskip(SKIP_1) | instid1(VALU_DEP_2)
	v_and_or_b32 v5, 0x7f00, v2, 0.5
	v_bfe_i32 v2, v2, 0, 16
	v_dual_add_f32 v5, -0.5, v5 :: v_dual_lshrrev_b32 v4, 4, v3
	v_cmp_gt_u32_e32 vcc_lo, 0x8000000, v3
	s_delay_alu instid0(VALU_DEP_2) | instskip(NEXT) | instid1(VALU_DEP_1)
	v_or_b32_e32 v4, 0x70000000, v4
	v_mul_f32_e32 v4, 0x7800000, v4
	s_delay_alu instid0(VALU_DEP_1) | instskip(NEXT) | instid1(VALU_DEP_1)
	v_cndmask_b32_e32 v3, v4, v5, vcc_lo
	v_and_or_b32 v2, 0x80000000, v2, v3
	v_bfe_u32 v3, v3, 16, 1
	s_delay_alu instid0(VALU_DEP_2) | instskip(NEXT) | instid1(VALU_DEP_2)
	v_cmp_o_f32_e32 vcc_lo, v2, v2
	v_add3_u32 v3, v2, v3, 0x7fff
	s_delay_alu instid0(VALU_DEP_1) | instskip(NEXT) | instid1(VALU_DEP_1)
	v_lshrrev_b32_e32 v3, 16, v3
	v_cndmask_b32_e32 v2, 0x7fc0, v3, vcc_lo
.LBB92_92:
	s_mov_b32 s23, 0
	s_mov_b32 s19, -1
.LBB92_93:
	s_and_not1_b32 vcc_lo, exec_lo, s23
	s_cbranch_vccnz .LBB92_106
; %bb.94:
	s_cmp_gt_i32 s17, 14
	s_cbranch_scc0 .LBB92_97
; %bb.95:
	s_cmp_eq_u32 s17, 15
	s_cbranch_scc0 .LBB92_100
; %bb.96:
	s_wait_loadcnt 0x0
	global_load_u16 v2, v[0:1], off
	s_mov_b32 s19, -1
	s_mov_b32 s20, 0
	s_branch .LBB92_101
.LBB92_97:
	s_mov_b32 s23, -1
                                        ; implicit-def: $vgpr2
	s_branch .LBB92_102
.LBB92_98:
	s_or_saveexec_b32 s23, s23
	v_mov_b32_e32 v3, 0x7f800001
	s_xor_b32 exec_lo, exec_lo, s23
	s_cbranch_execz .LBB92_79
.LBB92_99:
	v_cmp_ne_u16_e32 vcc_lo, 0, v2
	v_mov_b32_e32 v3, 0
	s_and_not1_b32 s19, s19, exec_lo
	s_and_b32 s24, vcc_lo, exec_lo
	s_delay_alu instid0(SALU_CYCLE_1)
	s_or_b32 s19, s19, s24
	s_or_b32 exec_lo, exec_lo, s23
	s_and_saveexec_b32 s23, s19
	s_cbranch_execnz .LBB92_80
	s_branch .LBB92_81
.LBB92_100:
	s_mov_b32 s20, -1
                                        ; implicit-def: $vgpr2
.LBB92_101:
	s_mov_b32 s23, 0
.LBB92_102:
	s_delay_alu instid0(SALU_CYCLE_1)
	s_and_b32 vcc_lo, exec_lo, s23
	s_cbranch_vccz .LBB92_106
; %bb.103:
	s_cmp_eq_u32 s17, 11
	s_cbranch_scc0 .LBB92_105
; %bb.104:
	s_wait_loadcnt 0x0
	global_load_u8 v2, v[0:1], off
	s_mov_b32 s20, 0
	s_mov_b32 s19, -1
	s_wait_loadcnt 0x0
	v_cmp_ne_u16_e32 vcc_lo, 0, v2
	v_cndmask_b32_e64 v2, 0, 1.0, vcc_lo
	s_delay_alu instid0(VALU_DEP_1)
	v_lshrrev_b32_e32 v2, 16, v2
	s_branch .LBB92_106
.LBB92_105:
	s_mov_b32 s20, -1
                                        ; implicit-def: $vgpr2
.LBB92_106:
	s_branch .LBB92_10
.LBB92_107:
	s_and_b32 s0, 0xffff, s0
	s_delay_alu instid0(SALU_CYCLE_1)
	s_cmp_lt_i32 s0, 5
	s_cbranch_scc1 .LBB92_112
; %bb.108:
	s_cmp_lt_i32 s0, 8
	s_cbranch_scc1 .LBB92_113
; %bb.109:
	;; [unrolled: 3-line block ×3, first 2 shown]
	s_cmp_gt_i32 s0, 9
	s_cbranch_scc0 .LBB92_115
; %bb.111:
	s_wait_loadcnt 0x0
	global_load_b64 v[2:3], v[0:1], off
	s_mov_b32 s17, 0
	s_wait_loadcnt 0x0
	v_cvt_f32_f64_e32 v2, v[2:3]
	s_delay_alu instid0(VALU_DEP_1) | instskip(SKIP_1) | instid1(VALU_DEP_2)
	v_bfe_u32 v3, v2, 16, 1
	v_cmp_o_f32_e32 vcc_lo, v2, v2
	v_add3_u32 v3, v2, v3, 0x7fff
	s_delay_alu instid0(VALU_DEP_1) | instskip(NEXT) | instid1(VALU_DEP_1)
	v_lshrrev_b32_e32 v3, 16, v3
	v_cndmask_b32_e32 v2, 0x7fc0, v3, vcc_lo
	s_branch .LBB92_116
.LBB92_112:
                                        ; implicit-def: $vgpr2
	s_branch .LBB92_134
.LBB92_113:
	s_mov_b32 s17, -1
                                        ; implicit-def: $vgpr2
	s_branch .LBB92_122
.LBB92_114:
	s_mov_b32 s17, -1
                                        ; implicit-def: $vgpr2
	s_branch .LBB92_119
.LBB92_115:
	s_mov_b32 s17, -1
                                        ; implicit-def: $vgpr2
.LBB92_116:
	s_delay_alu instid0(SALU_CYCLE_1)
	s_and_not1_b32 vcc_lo, exec_lo, s17
	s_cbranch_vccnz .LBB92_118
; %bb.117:
	s_wait_loadcnt 0x0
	global_load_b32 v2, v[0:1], off
	s_wait_loadcnt 0x0
	v_bfe_u32 v3, v2, 16, 1
	v_cmp_o_f32_e32 vcc_lo, v2, v2
	s_delay_alu instid0(VALU_DEP_2) | instskip(NEXT) | instid1(VALU_DEP_1)
	v_add3_u32 v3, v2, v3, 0x7fff
	v_lshrrev_b32_e32 v3, 16, v3
	s_delay_alu instid0(VALU_DEP_1)
	v_cndmask_b32_e32 v2, 0x7fc0, v3, vcc_lo
.LBB92_118:
	s_mov_b32 s17, 0
.LBB92_119:
	s_delay_alu instid0(SALU_CYCLE_1)
	s_and_not1_b32 vcc_lo, exec_lo, s17
	s_cbranch_vccnz .LBB92_121
; %bb.120:
	s_wait_loadcnt 0x0
	global_load_b32 v2, v[0:1], off
	s_wait_loadcnt 0x0
	v_cvt_f32_f16_e32 v3, v2
	v_cmp_o_f16_e32 vcc_lo, v2, v2
	s_delay_alu instid0(VALU_DEP_2) | instskip(NEXT) | instid1(VALU_DEP_1)
	v_bfe_u32 v4, v3, 16, 1
	v_add3_u32 v3, v3, v4, 0x7fff
	s_delay_alu instid0(VALU_DEP_1) | instskip(NEXT) | instid1(VALU_DEP_1)
	v_lshrrev_b32_e32 v3, 16, v3
	v_cndmask_b32_e32 v2, 0x7fc0, v3, vcc_lo
.LBB92_121:
	s_mov_b32 s17, 0
.LBB92_122:
	s_delay_alu instid0(SALU_CYCLE_1)
	s_and_not1_b32 vcc_lo, exec_lo, s17
	s_cbranch_vccnz .LBB92_133
; %bb.123:
	s_cmp_lt_i32 s0, 6
	s_cbranch_scc1 .LBB92_126
; %bb.124:
	s_cmp_gt_i32 s0, 6
	s_cbranch_scc0 .LBB92_127
; %bb.125:
	s_wait_loadcnt 0x0
	global_load_b64 v[2:3], v[0:1], off
	s_mov_b32 s17, 0
	s_wait_loadcnt 0x0
	v_cvt_f32_f64_e32 v2, v[2:3]
	s_delay_alu instid0(VALU_DEP_1) | instskip(SKIP_1) | instid1(VALU_DEP_2)
	v_bfe_u32 v3, v2, 16, 1
	v_cmp_o_f32_e32 vcc_lo, v2, v2
	v_add3_u32 v3, v2, v3, 0x7fff
	s_delay_alu instid0(VALU_DEP_1) | instskip(NEXT) | instid1(VALU_DEP_1)
	v_lshrrev_b32_e32 v3, 16, v3
	v_cndmask_b32_e32 v2, 0x7fc0, v3, vcc_lo
	s_branch .LBB92_128
.LBB92_126:
	s_mov_b32 s17, -1
                                        ; implicit-def: $vgpr2
	s_branch .LBB92_131
.LBB92_127:
	s_mov_b32 s17, -1
                                        ; implicit-def: $vgpr2
.LBB92_128:
	s_delay_alu instid0(SALU_CYCLE_1)
	s_and_not1_b32 vcc_lo, exec_lo, s17
	s_cbranch_vccnz .LBB92_130
; %bb.129:
	s_wait_loadcnt 0x0
	global_load_b32 v2, v[0:1], off
	s_wait_loadcnt 0x0
	v_bfe_u32 v3, v2, 16, 1
	v_cmp_o_f32_e32 vcc_lo, v2, v2
	s_delay_alu instid0(VALU_DEP_2) | instskip(NEXT) | instid1(VALU_DEP_1)
	v_add3_u32 v3, v2, v3, 0x7fff
	v_lshrrev_b32_e32 v3, 16, v3
	s_delay_alu instid0(VALU_DEP_1)
	v_cndmask_b32_e32 v2, 0x7fc0, v3, vcc_lo
.LBB92_130:
	s_mov_b32 s17, 0
.LBB92_131:
	s_delay_alu instid0(SALU_CYCLE_1)
	s_and_not1_b32 vcc_lo, exec_lo, s17
	s_cbranch_vccnz .LBB92_133
; %bb.132:
	s_wait_loadcnt 0x0
	global_load_u16 v2, v[0:1], off
	s_wait_loadcnt 0x0
	v_cvt_f32_f16_e32 v3, v2
	v_cmp_o_f16_e32 vcc_lo, v2, v2
	s_delay_alu instid0(VALU_DEP_2) | instskip(NEXT) | instid1(VALU_DEP_1)
	v_bfe_u32 v4, v3, 16, 1
	v_add3_u32 v3, v3, v4, 0x7fff
	s_delay_alu instid0(VALU_DEP_1) | instskip(NEXT) | instid1(VALU_DEP_1)
	v_lshrrev_b32_e32 v3, 16, v3
	v_cndmask_b32_e32 v2, 0x7fc0, v3, vcc_lo
.LBB92_133:
	s_cbranch_execnz .LBB92_153
.LBB92_134:
	s_cmp_lt_i32 s0, 2
	s_cbranch_scc1 .LBB92_138
; %bb.135:
	s_cmp_lt_i32 s0, 3
	s_cbranch_scc1 .LBB92_139
; %bb.136:
	s_cmp_gt_i32 s0, 3
	s_cbranch_scc0 .LBB92_140
; %bb.137:
	s_wait_loadcnt 0x0
	global_load_b64 v[2:3], v[0:1], off
	s_mov_b32 s17, 0
	s_wait_loadcnt 0x0
	v_xor_b32_e32 v4, v2, v3
	v_cls_i32_e32 v5, v3
	s_delay_alu instid0(VALU_DEP_2) | instskip(NEXT) | instid1(VALU_DEP_1)
	v_ashrrev_i32_e32 v4, 31, v4
	v_add_nc_u32_e32 v4, 32, v4
	s_delay_alu instid0(VALU_DEP_1) | instskip(NEXT) | instid1(VALU_DEP_1)
	v_add_min_u32_e64 v4, v5, -1, v4
	v_lshlrev_b64_e32 v[2:3], v4, v[2:3]
	s_delay_alu instid0(VALU_DEP_1) | instskip(NEXT) | instid1(VALU_DEP_1)
	v_min_u32_e32 v2, 1, v2
	v_dual_sub_nc_u32 v3, 32, v4 :: v_dual_bitop2_b32 v2, v3, v2 bitop3:0x54
	s_delay_alu instid0(VALU_DEP_1) | instskip(NEXT) | instid1(VALU_DEP_1)
	v_cvt_f32_i32_e32 v2, v2
	v_ldexp_f32 v2, v2, v3
	s_delay_alu instid0(VALU_DEP_1) | instskip(NEXT) | instid1(VALU_DEP_1)
	v_bfe_u32 v3, v2, 16, 1
	v_add3_u32 v2, v2, v3, 0x7fff
	s_delay_alu instid0(VALU_DEP_1)
	v_lshrrev_b32_e32 v2, 16, v2
	s_branch .LBB92_141
.LBB92_138:
	s_mov_b32 s17, -1
                                        ; implicit-def: $vgpr2
	s_branch .LBB92_147
.LBB92_139:
	s_mov_b32 s17, -1
                                        ; implicit-def: $vgpr2
	s_branch .LBB92_144
.LBB92_140:
	s_mov_b32 s17, -1
                                        ; implicit-def: $vgpr2
.LBB92_141:
	s_delay_alu instid0(SALU_CYCLE_1)
	s_and_not1_b32 vcc_lo, exec_lo, s17
	s_cbranch_vccnz .LBB92_143
; %bb.142:
	s_wait_loadcnt 0x0
	global_load_b32 v2, v[0:1], off
	s_wait_loadcnt 0x0
	v_cvt_f32_i32_e32 v2, v2
	s_delay_alu instid0(VALU_DEP_1) | instskip(NEXT) | instid1(VALU_DEP_1)
	v_bfe_u32 v3, v2, 16, 1
	v_add3_u32 v2, v2, v3, 0x7fff
	s_delay_alu instid0(VALU_DEP_1)
	v_lshrrev_b32_e32 v2, 16, v2
.LBB92_143:
	s_mov_b32 s17, 0
.LBB92_144:
	s_delay_alu instid0(SALU_CYCLE_1)
	s_and_not1_b32 vcc_lo, exec_lo, s17
	s_cbranch_vccnz .LBB92_146
; %bb.145:
	s_wait_loadcnt 0x0
	global_load_i16 v2, v[0:1], off
	s_wait_loadcnt 0x0
	v_cvt_f32_i32_e32 v2, v2
	s_delay_alu instid0(VALU_DEP_1) | instskip(NEXT) | instid1(VALU_DEP_1)
	v_bfe_u32 v3, v2, 16, 1
	v_add3_u32 v2, v2, v3, 0x7fff
	s_delay_alu instid0(VALU_DEP_1)
	v_lshrrev_b32_e32 v2, 16, v2
.LBB92_146:
	s_mov_b32 s17, 0
.LBB92_147:
	s_delay_alu instid0(SALU_CYCLE_1)
	s_and_not1_b32 vcc_lo, exec_lo, s17
	s_cbranch_vccnz .LBB92_153
; %bb.148:
	s_cmp_gt_i32 s0, 0
	s_mov_b32 s0, 0
	s_cbranch_scc0 .LBB92_150
; %bb.149:
	s_wait_loadcnt 0x0
	global_load_i8 v2, v[0:1], off
	s_wait_loadcnt 0x0
	v_cvt_f32_i32_e32 v2, v2
	s_delay_alu instid0(VALU_DEP_1) | instskip(NEXT) | instid1(VALU_DEP_1)
	v_bfe_u32 v3, v2, 16, 1
	v_add3_u32 v2, v2, v3, 0x7fff
	s_delay_alu instid0(VALU_DEP_1)
	v_lshrrev_b32_e32 v2, 16, v2
	s_branch .LBB92_151
.LBB92_150:
	s_mov_b32 s0, -1
                                        ; implicit-def: $vgpr2
.LBB92_151:
	s_delay_alu instid0(SALU_CYCLE_1)
	s_and_not1_b32 vcc_lo, exec_lo, s0
	s_cbranch_vccnz .LBB92_153
; %bb.152:
	global_load_u8 v0, v[0:1], off
	s_wait_loadcnt 0x0
	v_cvt_f32_ubyte0_e32 v0, v0
	s_delay_alu instid0(VALU_DEP_1) | instskip(NEXT) | instid1(VALU_DEP_1)
	v_bfe_u32 v1, v0, 16, 1
	v_add3_u32 v0, v0, v1, 0x7fff
	s_delay_alu instid0(VALU_DEP_1)
	v_lshrrev_b32_e32 v2, 16, v0
.LBB92_153:
	s_branch .LBB92_11
.LBB92_154:
	s_mov_b32 s0, 0
	s_mov_b32 s19, 0
	s_branch .LBB92_382
.LBB92_155:
	s_mov_b32 s19, -1
.LBB92_156:
	s_mov_b32 s23, 0
                                        ; implicit-def: $vgpr3
.LBB92_157:
	s_and_b32 vcc_lo, exec_lo, s24
	s_cbranch_vccz .LBB92_272
; %bb.158:
	s_cmp_eq_u32 s17, 44
	s_cbranch_scc0 .LBB92_271
; %bb.159:
	s_wait_loadcnt 0x0
	global_load_u8 v3, v[0:1], off
	s_mov_b32 s19, 0
	s_mov_b32 s23, -1
	s_wait_loadcnt 0x0
	v_lshlrev_b32_e32 v4, 23, v3
	v_cmp_ne_u32_e32 vcc_lo, 0xff, v3
	s_delay_alu instid0(VALU_DEP_2) | instskip(SKIP_1) | instid1(VALU_DEP_2)
	v_cndmask_b32_e32 v4, 0x7f800001, v4, vcc_lo
	v_cmp_ne_u32_e32 vcc_lo, 0, v3
	v_cndmask_b32_e32 v3, 0x400000, v4, vcc_lo
	s_delay_alu instid0(VALU_DEP_1) | instskip(NEXT) | instid1(VALU_DEP_1)
	v_add_nc_u32_e32 v4, 0x7fff, v3
	v_lshrrev_b32_e32 v4, 16, v4
	v_cmp_o_f32_e32 vcc_lo, v3, v3
	s_delay_alu instid0(VALU_DEP_2)
	v_cndmask_b32_e32 v3, 0x7fc0, v4, vcc_lo
	s_branch .LBB92_272
.LBB92_160:
	s_mov_b32 s25, -1
	s_mov_b32 s0, 0
	s_mov_b32 s24, 0
.LBB92_161:
	s_and_b32 vcc_lo, exec_lo, s25
	s_cbranch_vccz .LBB92_166
; %bb.162:
	s_cmp_eq_u32 s23, 44
	s_mov_b32 s0, -1
	s_cbranch_scc0 .LBB92_166
; %bb.163:
	s_wait_xcnt 0x0
	v_and_b32_e32 v3, 0xffff, v2
	v_mov_b32_e32 v4, 0xff
	s_mov_b32 s24, exec_lo
	s_delay_alu instid0(VALU_DEP_2) | instskip(NEXT) | instid1(VALU_DEP_1)
	v_bfe_u32 v5, v3, 7, 8
	v_cmpx_ne_u32_e32 0xff, v5
	s_cbranch_execz .LBB92_165
; %bb.164:
	v_dual_lshlrev_b32 v4, 16, v3 :: v_dual_bitop2_b32 v7, 64, v3 bitop3:0x40
	v_lshrrev_b32_e32 v3, 7, v3
	s_delay_alu instid0(VALU_DEP_2) | instskip(NEXT) | instid1(VALU_DEP_3)
	v_and_or_b32 v4, 0x3f0000, v4, v5
	v_cmp_ne_u32_e32 vcc_lo, 0, v7
	s_delay_alu instid0(VALU_DEP_2) | instskip(SKIP_1) | instid1(SALU_CYCLE_1)
	v_cmp_ne_u32_e64 s0, 0, v4
	s_and_b32 s0, vcc_lo, s0
	v_cndmask_b32_e64 v4, 0, 1, s0
	s_delay_alu instid0(VALU_DEP_1)
	v_add_nc_u32_e32 v4, v3, v4
.LBB92_165:
	s_or_b32 exec_lo, exec_lo, s24
	s_mov_b32 s24, -1
	s_mov_b32 s0, 0
	global_store_b8 v[0:1], v4, off
.LBB92_166:
	s_mov_b32 s25, 0
.LBB92_167:
	s_delay_alu instid0(SALU_CYCLE_1)
	s_and_b32 vcc_lo, exec_lo, s25
	s_cbranch_vccz .LBB92_170
; %bb.168:
	s_cmp_eq_u32 s23, 29
	s_mov_b32 s0, -1
	s_cbranch_scc0 .LBB92_170
; %bb.169:
	s_wait_xcnt 0x0
	v_lshlrev_b32_e32 v3, 16, v2
	s_mov_b32 s24, -1
	s_mov_b32 s0, 0
	s_mov_b32 s25, 0
	s_delay_alu instid0(VALU_DEP_1) | instskip(NEXT) | instid1(VALU_DEP_1)
	v_trunc_f32_e32 v3, v3
	v_mul_f32_e32 v4, 0x2f800000, v3
	s_delay_alu instid0(VALU_DEP_1) | instskip(NEXT) | instid1(VALU_DEP_1)
	v_floor_f32_e32 v4, v4
	v_fmamk_f32 v3, v4, 0xcf800000, v3
	v_cvt_u32_f32_e32 v5, v4
	s_delay_alu instid0(VALU_DEP_2)
	v_cvt_u32_f32_e32 v4, v3
	global_store_b64 v[0:1], v[4:5], off
	s_branch .LBB92_171
.LBB92_170:
	s_mov_b32 s25, 0
.LBB92_171:
	s_delay_alu instid0(SALU_CYCLE_1)
	s_and_b32 vcc_lo, exec_lo, s25
	s_cbranch_vccz .LBB92_187
; %bb.172:
	s_cmp_lt_i32 s23, 27
	s_mov_b32 s24, -1
	s_cbranch_scc1 .LBB92_178
; %bb.173:
	s_cmp_gt_i32 s23, 27
	s_cbranch_scc0 .LBB92_175
; %bb.174:
	s_wait_xcnt 0x0
	v_lshlrev_b32_e32 v3, 16, v2
	s_mov_b32 s24, 0
	s_delay_alu instid0(VALU_DEP_1)
	v_cvt_u32_f32_e32 v3, v3
	global_store_b32 v[0:1], v3, off
.LBB92_175:
	s_and_not1_b32 vcc_lo, exec_lo, s24
	s_cbranch_vccnz .LBB92_177
; %bb.176:
	s_wait_xcnt 0x0
	v_lshlrev_b32_e32 v3, 16, v2
	s_delay_alu instid0(VALU_DEP_1)
	v_cvt_u32_f32_e32 v3, v3
	global_store_b16 v[0:1], v3, off
.LBB92_177:
	s_mov_b32 s24, 0
.LBB92_178:
	s_delay_alu instid0(SALU_CYCLE_1)
	s_and_not1_b32 vcc_lo, exec_lo, s24
	s_cbranch_vccnz .LBB92_186
; %bb.179:
	s_wait_xcnt 0x0
	v_lshlrev_b32_e32 v5, 16, v2
	v_mov_b32_e32 v7, 0x80
	s_mov_b32 s24, exec_lo
	s_delay_alu instid0(VALU_DEP_2) | instskip(NEXT) | instid1(VALU_DEP_1)
	v_and_b32_e32 v4, 0x7fffffff, v5
	v_cmpx_gt_u32_e32 0x43800000, v4
	s_cbranch_execz .LBB92_185
; %bb.180:
	v_and_b32_e32 v3, 0xffff, v2
	v_cmp_lt_u32_e32 vcc_lo, 0x3bffffff, v4
	s_mov_b32 s25, 0
                                        ; implicit-def: $vgpr4
	s_and_saveexec_b32 s26, vcc_lo
	s_delay_alu instid0(SALU_CYCLE_1)
	s_xor_b32 s26, exec_lo, s26
	s_cbranch_execz .LBB92_413
; %bb.181:
	v_bfe_u32 v4, v3, 4, 1
	s_mov_b32 s25, exec_lo
	s_delay_alu instid0(VALU_DEP_1) | instskip(NEXT) | instid1(VALU_DEP_1)
	v_add3_u32 v4, v5, v4, 0x487ffff
                                        ; implicit-def: $vgpr5
	v_lshrrev_b32_e32 v4, 20, v4
	s_and_not1_saveexec_b32 s26, s26
	s_cbranch_execnz .LBB92_414
.LBB92_182:
	s_or_b32 exec_lo, exec_lo, s26
	v_mov_b32_e32 v7, 0
	s_and_saveexec_b32 s26, s25
.LBB92_183:
	v_lshrrev_b32_e32 v3, 8, v3
	s_delay_alu instid0(VALU_DEP_1)
	v_and_or_b32 v7, 0x80, v3, v4
.LBB92_184:
	s_or_b32 exec_lo, exec_lo, s26
.LBB92_185:
	s_delay_alu instid0(SALU_CYCLE_1)
	s_or_b32 exec_lo, exec_lo, s24
	global_store_b8 v[0:1], v7, off
.LBB92_186:
	s_mov_b32 s24, -1
.LBB92_187:
	s_mov_b32 s25, 0
.LBB92_188:
	s_delay_alu instid0(SALU_CYCLE_1)
	s_and_b32 vcc_lo, exec_lo, s25
	s_cbranch_vccz .LBB92_229
; %bb.189:
	s_cmp_gt_i32 s23, 22
	s_mov_b32 s25, -1
	s_cbranch_scc0 .LBB92_221
; %bb.190:
	s_cmp_lt_i32 s23, 24
	s_mov_b32 s24, -1
	s_cbranch_scc1 .LBB92_210
; %bb.191:
	s_cmp_gt_i32 s23, 24
	s_cbranch_scc0 .LBB92_199
; %bb.192:
	s_wait_xcnt 0x0
	v_lshlrev_b32_e32 v5, 16, v2
	v_mov_b32_e32 v7, 0x80
	s_mov_b32 s24, exec_lo
	s_delay_alu instid0(VALU_DEP_2) | instskip(NEXT) | instid1(VALU_DEP_1)
	v_and_b32_e32 v4, 0x7fffffff, v5
	v_cmpx_gt_u32_e32 0x47800000, v4
	s_cbranch_execz .LBB92_198
; %bb.193:
	v_and_b32_e32 v3, 0xffff, v2
	v_cmp_lt_u32_e32 vcc_lo, 0x37ffffff, v4
	s_mov_b32 s25, 0
                                        ; implicit-def: $vgpr4
	s_and_saveexec_b32 s26, vcc_lo
	s_delay_alu instid0(SALU_CYCLE_1)
	s_xor_b32 s26, exec_lo, s26
	s_cbranch_execz .LBB92_532
; %bb.194:
	v_bfe_u32 v4, v3, 5, 1
	s_mov_b32 s25, exec_lo
	s_delay_alu instid0(VALU_DEP_1) | instskip(NEXT) | instid1(VALU_DEP_1)
	v_add3_u32 v4, v5, v4, 0x88fffff
                                        ; implicit-def: $vgpr5
	v_lshrrev_b32_e32 v4, 21, v4
	s_and_not1_saveexec_b32 s26, s26
	s_cbranch_execnz .LBB92_533
.LBB92_195:
	s_or_b32 exec_lo, exec_lo, s26
	v_mov_b32_e32 v7, 0
	s_and_saveexec_b32 s26, s25
.LBB92_196:
	v_lshrrev_b32_e32 v3, 8, v3
	s_delay_alu instid0(VALU_DEP_1)
	v_and_or_b32 v7, 0x80, v3, v4
.LBB92_197:
	s_or_b32 exec_lo, exec_lo, s26
.LBB92_198:
	s_delay_alu instid0(SALU_CYCLE_1)
	s_or_b32 exec_lo, exec_lo, s24
	s_mov_b32 s24, 0
	global_store_b8 v[0:1], v7, off
.LBB92_199:
	s_and_b32 vcc_lo, exec_lo, s24
	s_cbranch_vccz .LBB92_209
; %bb.200:
	s_wait_xcnt 0x0
	v_lshlrev_b32_e32 v5, 16, v2
	v_and_b32_e32 v3, 0xffff, v2
	s_mov_b32 s24, exec_lo
                                        ; implicit-def: $vgpr4
	s_delay_alu instid0(VALU_DEP_2) | instskip(NEXT) | instid1(VALU_DEP_1)
	v_and_b32_e32 v7, 0x7fffffff, v5
	v_cmpx_gt_u32_e32 0x43f00000, v7
	s_xor_b32 s24, exec_lo, s24
	s_cbranch_execz .LBB92_206
; %bb.201:
	s_mov_b32 s25, exec_lo
                                        ; implicit-def: $vgpr4
	v_cmpx_lt_u32_e32 0x3c7fffff, v7
	s_xor_b32 s25, exec_lo, s25
; %bb.202:
	v_bfe_u32 v4, v3, 4, 1
	s_delay_alu instid0(VALU_DEP_1) | instskip(NEXT) | instid1(VALU_DEP_1)
	v_add3_u32 v4, v5, v4, 0x407ffff
	v_and_b32_e32 v5, 0xff00000, v4
	v_lshrrev_b32_e32 v4, 20, v4
	s_delay_alu instid0(VALU_DEP_2) | instskip(NEXT) | instid1(VALU_DEP_2)
	v_cmp_ne_u32_e32 vcc_lo, 0x7f00000, v5
                                        ; implicit-def: $vgpr5
	v_cndmask_b32_e32 v4, 0x7e, v4, vcc_lo
; %bb.203:
	s_and_not1_saveexec_b32 s25, s25
; %bb.204:
	v_add_f32_e64 v4, 0x46800000, |v5|
; %bb.205:
	s_or_b32 exec_lo, exec_lo, s25
                                        ; implicit-def: $vgpr7
.LBB92_206:
	s_and_not1_saveexec_b32 s24, s24
; %bb.207:
	v_mov_b32_e32 v4, 0x7f
	v_cmp_lt_u32_e32 vcc_lo, 0x7f800000, v7
	s_delay_alu instid0(VALU_DEP_2)
	v_cndmask_b32_e32 v4, 0x7e, v4, vcc_lo
; %bb.208:
	s_or_b32 exec_lo, exec_lo, s24
	v_lshrrev_b32_e32 v3, 8, v3
	s_delay_alu instid0(VALU_DEP_1)
	v_and_or_b32 v3, 0x80, v3, v4
	global_store_b8 v[0:1], v3, off
.LBB92_209:
	s_mov_b32 s24, 0
.LBB92_210:
	s_delay_alu instid0(SALU_CYCLE_1)
	s_and_not1_b32 vcc_lo, exec_lo, s24
	s_cbranch_vccnz .LBB92_220
; %bb.211:
	s_wait_xcnt 0x0
	v_lshlrev_b32_e32 v5, 16, v2
	v_and_b32_e32 v3, 0xffff, v2
	s_mov_b32 s24, exec_lo
                                        ; implicit-def: $vgpr4
	s_delay_alu instid0(VALU_DEP_2) | instskip(NEXT) | instid1(VALU_DEP_1)
	v_and_b32_e32 v7, 0x7fffffff, v5
	v_cmpx_gt_u32_e32 0x47800000, v7
	s_xor_b32 s24, exec_lo, s24
	s_cbranch_execz .LBB92_217
; %bb.212:
	s_mov_b32 s25, exec_lo
                                        ; implicit-def: $vgpr4
	v_cmpx_lt_u32_e32 0x387fffff, v7
	s_xor_b32 s25, exec_lo, s25
; %bb.213:
	v_bfe_u32 v4, v3, 5, 1
	s_delay_alu instid0(VALU_DEP_1) | instskip(NEXT) | instid1(VALU_DEP_1)
	v_add3_u32 v4, v5, v4, 0x80fffff
                                        ; implicit-def: $vgpr5
	v_lshrrev_b32_e32 v4, 21, v4
; %bb.214:
	s_and_not1_saveexec_b32 s25, s25
; %bb.215:
	v_add_f32_e64 v4, 0x43000000, |v5|
; %bb.216:
	s_or_b32 exec_lo, exec_lo, s25
                                        ; implicit-def: $vgpr7
.LBB92_217:
	s_and_not1_saveexec_b32 s24, s24
; %bb.218:
	v_mov_b32_e32 v4, 0x7f
	v_cmp_lt_u32_e32 vcc_lo, 0x7f800000, v7
	s_delay_alu instid0(VALU_DEP_2)
	v_cndmask_b32_e32 v4, 0x7c, v4, vcc_lo
; %bb.219:
	s_or_b32 exec_lo, exec_lo, s24
	v_lshrrev_b32_e32 v3, 8, v3
	s_delay_alu instid0(VALU_DEP_1)
	v_and_or_b32 v3, 0x80, v3, v4
	global_store_b8 v[0:1], v3, off
.LBB92_220:
	s_mov_b32 s25, 0
	s_mov_b32 s24, -1
.LBB92_221:
	s_and_not1_b32 vcc_lo, exec_lo, s25
	s_cbranch_vccnz .LBB92_229
; %bb.222:
	s_cmp_gt_i32 s23, 14
	s_mov_b32 s25, -1
	s_cbranch_scc0 .LBB92_226
; %bb.223:
	s_cmp_eq_u32 s23, 15
	s_mov_b32 s0, -1
	s_cbranch_scc0 .LBB92_225
; %bb.224:
	s_mov_b32 s24, -1
	s_mov_b32 s0, 0
	global_store_b16 v[0:1], v2, off
.LBB92_225:
	s_mov_b32 s25, 0
.LBB92_226:
	s_delay_alu instid0(SALU_CYCLE_1)
	s_and_b32 vcc_lo, exec_lo, s25
	s_cbranch_vccz .LBB92_229
; %bb.227:
	s_cmp_eq_u32 s23, 11
	s_mov_b32 s0, -1
	s_cbranch_scc0 .LBB92_229
; %bb.228:
	s_wait_xcnt 0x0
	v_and_b32_e32 v3, 0x7fff, v2
	s_mov_b32 s0, 0
	s_mov_b32 s24, -1
	s_delay_alu instid0(VALU_DEP_1)
	v_cmp_ne_u16_e32 vcc_lo, 0, v3
	v_cndmask_b32_e64 v3, 0, 1, vcc_lo
	global_store_b8 v[0:1], v3, off
.LBB92_229:
	s_mov_b32 s23, 0
.LBB92_230:
	s_delay_alu instid0(SALU_CYCLE_1)
	s_and_b32 vcc_lo, exec_lo, s23
	s_cbranch_vccz .LBB92_269
; %bb.231:
	s_and_b32 s17, 0xffff, s17
	s_mov_b32 s23, -1
	s_cmp_lt_i32 s17, 5
	s_cbranch_scc1 .LBB92_252
; %bb.232:
	s_cmp_lt_i32 s17, 8
	s_cbranch_scc1 .LBB92_242
; %bb.233:
	;; [unrolled: 3-line block ×3, first 2 shown]
	s_cmp_gt_i32 s17, 9
	s_cbranch_scc0 .LBB92_236
; %bb.235:
	s_wait_xcnt 0x0
	v_dual_mov_b32 v10, 0 :: v_dual_lshlrev_b32 v3, 16, v2
	s_mov_b32 s23, 0
	s_delay_alu instid0(VALU_DEP_1) | instskip(NEXT) | instid1(VALU_DEP_2)
	v_cvt_f64_f32_e32 v[8:9], v3
	v_mov_b32_e32 v11, v10
	global_store_b128 v[0:1], v[8:11], off
.LBB92_236:
	s_and_not1_b32 vcc_lo, exec_lo, s23
	s_cbranch_vccnz .LBB92_238
; %bb.237:
	s_wait_xcnt 0x0
	v_dual_mov_b32 v5, 0 :: v_dual_lshlrev_b32 v4, 16, v2
	global_store_b64 v[0:1], v[4:5], off
.LBB92_238:
	s_mov_b32 s23, 0
.LBB92_239:
	s_delay_alu instid0(SALU_CYCLE_1)
	s_and_not1_b32 vcc_lo, exec_lo, s23
	s_cbranch_vccnz .LBB92_241
; %bb.240:
	s_wait_xcnt 0x0
	v_lshlrev_b32_e32 v3, 16, v2
	s_delay_alu instid0(VALU_DEP_1) | instskip(NEXT) | instid1(VALU_DEP_1)
	v_cvt_f16_f32_e32 v3, v3
	v_and_b32_e32 v3, 0xffff, v3
	global_store_b32 v[0:1], v3, off
.LBB92_241:
	s_mov_b32 s23, 0
.LBB92_242:
	s_delay_alu instid0(SALU_CYCLE_1)
	s_and_not1_b32 vcc_lo, exec_lo, s23
	s_cbranch_vccnz .LBB92_251
; %bb.243:
	s_cmp_lt_i32 s17, 6
	s_mov_b32 s23, -1
	s_cbranch_scc1 .LBB92_249
; %bb.244:
	s_cmp_gt_i32 s17, 6
	s_cbranch_scc0 .LBB92_246
; %bb.245:
	s_wait_xcnt 0x0
	v_lshlrev_b32_e32 v3, 16, v2
	s_mov_b32 s23, 0
	s_delay_alu instid0(VALU_DEP_1)
	v_cvt_f64_f32_e32 v[4:5], v3
	global_store_b64 v[0:1], v[4:5], off
.LBB92_246:
	s_and_not1_b32 vcc_lo, exec_lo, s23
	s_cbranch_vccnz .LBB92_248
; %bb.247:
	s_wait_xcnt 0x0
	v_lshlrev_b32_e32 v3, 16, v2
	global_store_b32 v[0:1], v3, off
.LBB92_248:
	s_mov_b32 s23, 0
.LBB92_249:
	s_delay_alu instid0(SALU_CYCLE_1)
	s_and_not1_b32 vcc_lo, exec_lo, s23
	s_cbranch_vccnz .LBB92_251
; %bb.250:
	s_wait_xcnt 0x0
	v_lshlrev_b32_e32 v3, 16, v2
	s_delay_alu instid0(VALU_DEP_1)
	v_cvt_f16_f32_e32 v3, v3
	global_store_b16 v[0:1], v3, off
.LBB92_251:
	s_mov_b32 s23, 0
.LBB92_252:
	s_delay_alu instid0(SALU_CYCLE_1)
	s_and_not1_b32 vcc_lo, exec_lo, s23
	s_cbranch_vccnz .LBB92_268
; %bb.253:
	s_cmp_lt_i32 s17, 2
	s_mov_b32 s23, -1
	s_cbranch_scc1 .LBB92_263
; %bb.254:
	s_cmp_lt_i32 s17, 3
	s_cbranch_scc1 .LBB92_260
; %bb.255:
	s_cmp_gt_i32 s17, 3
	s_cbranch_scc0 .LBB92_257
; %bb.256:
	s_wait_xcnt 0x0
	v_lshlrev_b32_e32 v3, 16, v2
	s_mov_b32 s23, 0
	s_delay_alu instid0(VALU_DEP_1) | instskip(NEXT) | instid1(VALU_DEP_1)
	v_trunc_f32_e32 v3, v3
	v_mul_f32_e64 v4, 0x2f800000, |v3|
	s_delay_alu instid0(VALU_DEP_1) | instskip(SKIP_1) | instid1(VALU_DEP_2)
	v_floor_f32_e32 v5, v4
	v_ashrrev_i32_e32 v4, 31, v3
	v_fma_f32 v7, 0xcf800000, v5, |v3|
	v_cvt_u32_f32_e32 v3, v5
	s_delay_alu instid0(VALU_DEP_3) | instskip(NEXT) | instid1(VALU_DEP_3)
	v_mov_b32_e32 v5, v4
	v_cvt_u32_f32_e32 v7, v7
	s_delay_alu instid0(VALU_DEP_3) | instskip(NEXT) | instid1(VALU_DEP_2)
	v_xor_b32_e32 v9, v3, v4
	v_xor_b32_e32 v8, v7, v4
	s_delay_alu instid0(VALU_DEP_1)
	v_sub_nc_u64_e32 v[4:5], v[8:9], v[4:5]
	global_store_b64 v[0:1], v[4:5], off
.LBB92_257:
	s_and_not1_b32 vcc_lo, exec_lo, s23
	s_cbranch_vccnz .LBB92_259
; %bb.258:
	s_wait_xcnt 0x0
	v_lshlrev_b32_e32 v3, 16, v2
	s_delay_alu instid0(VALU_DEP_1)
	v_cvt_i32_f32_e32 v3, v3
	global_store_b32 v[0:1], v3, off
.LBB92_259:
	s_mov_b32 s23, 0
.LBB92_260:
	s_delay_alu instid0(SALU_CYCLE_1)
	s_and_not1_b32 vcc_lo, exec_lo, s23
	s_cbranch_vccnz .LBB92_262
; %bb.261:
	s_wait_xcnt 0x0
	v_lshlrev_b32_e32 v3, 16, v2
	s_delay_alu instid0(VALU_DEP_1)
	v_cvt_i32_f32_e32 v3, v3
	global_store_b16 v[0:1], v3, off
.LBB92_262:
	s_mov_b32 s23, 0
.LBB92_263:
	s_delay_alu instid0(SALU_CYCLE_1)
	s_and_not1_b32 vcc_lo, exec_lo, s23
	s_cbranch_vccnz .LBB92_268
; %bb.264:
	s_wait_xcnt 0x0
	v_lshlrev_b32_e32 v2, 16, v2
	s_cmp_gt_i32 s17, 0
	s_mov_b32 s17, -1
	s_cbranch_scc0 .LBB92_266
; %bb.265:
	s_delay_alu instid0(VALU_DEP_1)
	v_cvt_i32_f32_e32 v3, v2
	s_mov_b32 s17, 0
	global_store_b8 v[0:1], v3, off
.LBB92_266:
	s_and_not1_b32 vcc_lo, exec_lo, s17
	s_cbranch_vccnz .LBB92_268
; %bb.267:
	v_trunc_f32_e32 v2, v2
	s_wait_xcnt 0x0
	s_delay_alu instid0(VALU_DEP_1) | instskip(NEXT) | instid1(VALU_DEP_1)
	v_mul_f32_e64 v3, 0x2f800000, |v2|
	v_floor_f32_e32 v3, v3
	s_delay_alu instid0(VALU_DEP_1) | instskip(SKIP_1) | instid1(VALU_DEP_2)
	v_fma_f32 v3, 0xcf800000, v3, |v2|
	v_ashrrev_i32_e32 v2, 31, v2
	v_cvt_u32_f32_e32 v3, v3
	s_delay_alu instid0(VALU_DEP_1) | instskip(NEXT) | instid1(VALU_DEP_1)
	v_xor_b32_e32 v3, v3, v2
	v_sub_nc_u32_e32 v2, v3, v2
	global_store_b8 v[0:1], v2, off
.LBB92_268:
	s_mov_b32 s24, -1
.LBB92_269:
	s_delay_alu instid0(SALU_CYCLE_1)
	s_and_not1_b32 vcc_lo, exec_lo, s24
	s_cbranch_vccnz .LBB92_382
; %bb.270:
	v_add_nc_u32_e32 v6, 0x80, v6
	s_mov_b32 s23, -1
	s_branch .LBB92_383
.LBB92_271:
	s_mov_b32 s19, -1
                                        ; implicit-def: $vgpr3
.LBB92_272:
	s_mov_b32 s24, 0
.LBB92_273:
	s_delay_alu instid0(SALU_CYCLE_1)
	s_and_b32 vcc_lo, exec_lo, s24
	s_cbranch_vccz .LBB92_277
; %bb.274:
	s_cmp_eq_u32 s17, 29
	s_cbranch_scc0 .LBB92_276
; %bb.275:
	global_load_b64 v[4:5], v[0:1], off
	s_mov_b32 s23, -1
	s_mov_b32 s19, 0
	s_mov_b32 s24, 0
	s_wait_loadcnt 0x0
	v_clz_i32_u32_e32 v3, v5
	s_delay_alu instid0(VALU_DEP_1) | instskip(NEXT) | instid1(VALU_DEP_1)
	v_min_u32_e32 v3, 32, v3
	v_lshlrev_b64_e32 v[4:5], v3, v[4:5]
	v_sub_nc_u32_e32 v3, 32, v3
	s_delay_alu instid0(VALU_DEP_2) | instskip(NEXT) | instid1(VALU_DEP_1)
	v_min_u32_e32 v4, 1, v4
	v_or_b32_e32 v4, v5, v4
	s_delay_alu instid0(VALU_DEP_1) | instskip(NEXT) | instid1(VALU_DEP_1)
	v_cvt_f32_u32_e32 v4, v4
	v_ldexp_f32 v3, v4, v3
	s_delay_alu instid0(VALU_DEP_1) | instskip(NEXT) | instid1(VALU_DEP_1)
	v_bfe_u32 v4, v3, 16, 1
	v_add3_u32 v3, v3, v4, 0x7fff
	s_delay_alu instid0(VALU_DEP_1)
	v_lshrrev_b32_e32 v3, 16, v3
	s_branch .LBB92_278
.LBB92_276:
	s_mov_b32 s19, -1
                                        ; implicit-def: $vgpr3
.LBB92_277:
	s_mov_b32 s24, 0
.LBB92_278:
	s_delay_alu instid0(SALU_CYCLE_1)
	s_and_b32 vcc_lo, exec_lo, s24
	s_cbranch_vccz .LBB92_296
; %bb.279:
	s_cmp_lt_i32 s17, 27
	s_cbranch_scc1 .LBB92_282
; %bb.280:
	s_cmp_gt_i32 s17, 27
	s_cbranch_scc0 .LBB92_283
; %bb.281:
	s_wait_loadcnt 0x0
	global_load_b32 v3, v[0:1], off
	s_mov_b32 s23, 0
	s_wait_loadcnt 0x0
	v_cvt_f32_u32_e32 v3, v3
	s_delay_alu instid0(VALU_DEP_1) | instskip(NEXT) | instid1(VALU_DEP_1)
	v_bfe_u32 v4, v3, 16, 1
	v_add3_u32 v3, v3, v4, 0x7fff
	s_delay_alu instid0(VALU_DEP_1)
	v_lshrrev_b32_e32 v3, 16, v3
	s_branch .LBB92_284
.LBB92_282:
	s_mov_b32 s23, -1
                                        ; implicit-def: $vgpr3
	s_branch .LBB92_287
.LBB92_283:
	s_mov_b32 s23, -1
                                        ; implicit-def: $vgpr3
.LBB92_284:
	s_delay_alu instid0(SALU_CYCLE_1)
	s_and_not1_b32 vcc_lo, exec_lo, s23
	s_cbranch_vccnz .LBB92_286
; %bb.285:
	s_wait_loadcnt 0x0
	global_load_u16 v3, v[0:1], off
	s_wait_loadcnt 0x0
	v_cvt_f32_u32_e32 v3, v3
	s_delay_alu instid0(VALU_DEP_1) | instskip(NEXT) | instid1(VALU_DEP_1)
	v_bfe_u32 v4, v3, 16, 1
	v_add3_u32 v3, v3, v4, 0x7fff
	s_delay_alu instid0(VALU_DEP_1)
	v_lshrrev_b32_e32 v3, 16, v3
.LBB92_286:
	s_mov_b32 s23, 0
.LBB92_287:
	s_delay_alu instid0(SALU_CYCLE_1)
	s_and_not1_b32 vcc_lo, exec_lo, s23
	s_cbranch_vccnz .LBB92_295
; %bb.288:
	s_wait_loadcnt 0x0
	global_load_u8 v3, v[0:1], off
	s_mov_b32 s23, 0
	s_mov_b32 s24, exec_lo
	s_wait_loadcnt 0x0
	v_cmpx_lt_i16_e32 0x7f, v3
	s_xor_b32 s24, exec_lo, s24
	s_cbranch_execz .LBB92_309
; %bb.289:
	s_mov_b32 s23, -1
	s_mov_b32 s25, exec_lo
	v_cmpx_eq_u16_e32 0x80, v3
; %bb.290:
	s_xor_b32 s23, exec_lo, -1
; %bb.291:
	s_or_b32 exec_lo, exec_lo, s25
	s_delay_alu instid0(SALU_CYCLE_1)
	s_and_b32 s23, s23, exec_lo
	s_or_saveexec_b32 s24, s24
	v_mov_b32_e32 v4, 0x7f800001
	s_xor_b32 exec_lo, exec_lo, s24
	s_cbranch_execnz .LBB92_310
.LBB92_292:
	s_or_b32 exec_lo, exec_lo, s24
	s_and_saveexec_b32 s24, s23
	s_cbranch_execz .LBB92_294
.LBB92_293:
	v_and_b32_e32 v4, 0xffff, v3
	s_delay_alu instid0(VALU_DEP_1) | instskip(SKIP_1) | instid1(VALU_DEP_2)
	v_and_b32_e32 v5, 7, v4
	v_bfe_u32 v9, v4, 3, 4
	v_clz_i32_u32_e32 v7, v5
	s_delay_alu instid0(VALU_DEP_2) | instskip(NEXT) | instid1(VALU_DEP_2)
	v_cmp_eq_u32_e32 vcc_lo, 0, v9
	v_min_u32_e32 v7, 32, v7
	s_delay_alu instid0(VALU_DEP_1) | instskip(NEXT) | instid1(VALU_DEP_1)
	v_subrev_nc_u32_e32 v8, 28, v7
	v_dual_lshlrev_b32 v4, v8, v4 :: v_dual_sub_nc_u32 v7, 29, v7
	s_delay_alu instid0(VALU_DEP_1) | instskip(NEXT) | instid1(VALU_DEP_1)
	v_dual_lshlrev_b32 v3, 24, v3 :: v_dual_bitop2_b32 v4, 7, v4 bitop3:0x40
	v_cndmask_b32_e32 v4, v5, v4, vcc_lo
	s_delay_alu instid0(VALU_DEP_3) | instskip(NEXT) | instid1(VALU_DEP_3)
	v_cndmask_b32_e32 v7, v9, v7, vcc_lo
	v_and_b32_e32 v3, 0x80000000, v3
	s_delay_alu instid0(VALU_DEP_3) | instskip(NEXT) | instid1(VALU_DEP_3)
	v_lshlrev_b32_e32 v4, 20, v4
	v_lshl_add_u32 v5, v7, 23, 0x3b800000
	s_delay_alu instid0(VALU_DEP_1)
	v_or3_b32 v4, v3, v5, v4
.LBB92_294:
	s_or_b32 exec_lo, exec_lo, s24
	s_delay_alu instid0(VALU_DEP_1) | instskip(SKIP_1) | instid1(VALU_DEP_2)
	v_bfe_u32 v3, v4, 16, 1
	v_cmp_o_f32_e32 vcc_lo, v4, v4
	v_add3_u32 v3, v4, v3, 0x7fff
	s_delay_alu instid0(VALU_DEP_1) | instskip(NEXT) | instid1(VALU_DEP_1)
	v_lshrrev_b32_e32 v3, 16, v3
	v_cndmask_b32_e32 v3, 0x7fc0, v3, vcc_lo
.LBB92_295:
	s_mov_b32 s23, -1
.LBB92_296:
	s_mov_b32 s24, 0
.LBB92_297:
	s_delay_alu instid0(SALU_CYCLE_1)
	s_and_b32 vcc_lo, exec_lo, s24
	s_cbranch_vccz .LBB92_332
; %bb.298:
	s_cmp_gt_i32 s17, 22
	s_cbranch_scc0 .LBB92_308
; %bb.299:
	s_cmp_lt_i32 s17, 24
	s_cbranch_scc1 .LBB92_311
; %bb.300:
	s_cmp_gt_i32 s17, 24
	s_cbranch_scc0 .LBB92_312
; %bb.301:
	s_wait_loadcnt 0x0
	global_load_u8 v3, v[0:1], off
	s_mov_b32 s23, 0
	s_mov_b32 s24, exec_lo
	s_wait_loadcnt 0x0
	v_cmpx_lt_i16_e32 0x7f, v3
	s_xor_b32 s24, exec_lo, s24
	s_cbranch_execz .LBB92_324
; %bb.302:
	s_mov_b32 s23, -1
	s_mov_b32 s25, exec_lo
	v_cmpx_eq_u16_e32 0x80, v3
; %bb.303:
	s_xor_b32 s23, exec_lo, -1
; %bb.304:
	s_or_b32 exec_lo, exec_lo, s25
	s_delay_alu instid0(SALU_CYCLE_1)
	s_and_b32 s23, s23, exec_lo
	s_or_saveexec_b32 s24, s24
	v_mov_b32_e32 v4, 0x7f800001
	s_xor_b32 exec_lo, exec_lo, s24
	s_cbranch_execnz .LBB92_325
.LBB92_305:
	s_or_b32 exec_lo, exec_lo, s24
	s_and_saveexec_b32 s24, s23
	s_cbranch_execz .LBB92_307
.LBB92_306:
	v_and_b32_e32 v4, 0xffff, v3
	s_delay_alu instid0(VALU_DEP_1) | instskip(SKIP_1) | instid1(VALU_DEP_2)
	v_and_b32_e32 v5, 3, v4
	v_bfe_u32 v9, v4, 2, 5
	v_clz_i32_u32_e32 v7, v5
	s_delay_alu instid0(VALU_DEP_2) | instskip(NEXT) | instid1(VALU_DEP_2)
	v_cmp_eq_u32_e32 vcc_lo, 0, v9
	v_min_u32_e32 v7, 32, v7
	s_delay_alu instid0(VALU_DEP_1) | instskip(NEXT) | instid1(VALU_DEP_1)
	v_subrev_nc_u32_e32 v8, 29, v7
	v_dual_lshlrev_b32 v4, v8, v4 :: v_dual_sub_nc_u32 v7, 30, v7
	s_delay_alu instid0(VALU_DEP_1) | instskip(NEXT) | instid1(VALU_DEP_1)
	v_dual_lshlrev_b32 v3, 24, v3 :: v_dual_bitop2_b32 v4, 3, v4 bitop3:0x40
	v_cndmask_b32_e32 v4, v5, v4, vcc_lo
	s_delay_alu instid0(VALU_DEP_3) | instskip(NEXT) | instid1(VALU_DEP_3)
	v_cndmask_b32_e32 v7, v9, v7, vcc_lo
	v_and_b32_e32 v3, 0x80000000, v3
	s_delay_alu instid0(VALU_DEP_3) | instskip(NEXT) | instid1(VALU_DEP_3)
	v_lshlrev_b32_e32 v4, 21, v4
	v_lshl_add_u32 v5, v7, 23, 0x37800000
	s_delay_alu instid0(VALU_DEP_1)
	v_or3_b32 v4, v3, v5, v4
.LBB92_307:
	s_or_b32 exec_lo, exec_lo, s24
	s_delay_alu instid0(VALU_DEP_1) | instskip(SKIP_2) | instid1(VALU_DEP_2)
	v_bfe_u32 v3, v4, 16, 1
	v_cmp_o_f32_e32 vcc_lo, v4, v4
	s_mov_b32 s23, 0
	v_add3_u32 v3, v4, v3, 0x7fff
	s_delay_alu instid0(VALU_DEP_1) | instskip(NEXT) | instid1(VALU_DEP_1)
	v_lshrrev_b32_e32 v3, 16, v3
	v_cndmask_b32_e32 v3, 0x7fc0, v3, vcc_lo
	s_branch .LBB92_313
.LBB92_308:
	s_mov_b32 s24, -1
                                        ; implicit-def: $vgpr3
	s_branch .LBB92_319
.LBB92_309:
	s_or_saveexec_b32 s24, s24
	v_mov_b32_e32 v4, 0x7f800001
	s_xor_b32 exec_lo, exec_lo, s24
	s_cbranch_execz .LBB92_292
.LBB92_310:
	v_cmp_ne_u16_e32 vcc_lo, 0, v3
	v_mov_b32_e32 v4, 0
	s_and_not1_b32 s23, s23, exec_lo
	s_and_b32 s25, vcc_lo, exec_lo
	s_delay_alu instid0(SALU_CYCLE_1)
	s_or_b32 s23, s23, s25
	s_or_b32 exec_lo, exec_lo, s24
	s_and_saveexec_b32 s24, s23
	s_cbranch_execnz .LBB92_293
	s_branch .LBB92_294
.LBB92_311:
	s_mov_b32 s23, -1
                                        ; implicit-def: $vgpr3
	s_branch .LBB92_316
.LBB92_312:
	s_mov_b32 s23, -1
                                        ; implicit-def: $vgpr3
.LBB92_313:
	s_delay_alu instid0(SALU_CYCLE_1)
	s_and_b32 vcc_lo, exec_lo, s23
	s_cbranch_vccz .LBB92_315
; %bb.314:
	s_wait_loadcnt 0x0
	global_load_u8 v3, v[0:1], off
	s_wait_loadcnt 0x0
	v_lshlrev_b32_e32 v3, 24, v3
	s_delay_alu instid0(VALU_DEP_1) | instskip(NEXT) | instid1(VALU_DEP_1)
	v_and_b32_e32 v4, 0x7f000000, v3
	v_clz_i32_u32_e32 v5, v4
	v_add_nc_u32_e32 v8, 0x1000000, v4
	v_cmp_ne_u32_e32 vcc_lo, 0, v4
	s_delay_alu instid0(VALU_DEP_3) | instskip(NEXT) | instid1(VALU_DEP_1)
	v_min_u32_e32 v5, 32, v5
	v_sub_nc_u32_e64 v5, v5, 4 clamp
	s_delay_alu instid0(VALU_DEP_1) | instskip(NEXT) | instid1(VALU_DEP_1)
	v_dual_lshlrev_b32 v7, v5, v4 :: v_dual_lshlrev_b32 v5, 23, v5
	v_lshrrev_b32_e32 v7, 4, v7
	s_delay_alu instid0(VALU_DEP_1) | instskip(NEXT) | instid1(VALU_DEP_1)
	v_dual_sub_nc_u32 v5, v7, v5 :: v_dual_ashrrev_i32 v7, 8, v8
	v_add_nc_u32_e32 v5, 0x3c000000, v5
	s_delay_alu instid0(VALU_DEP_1) | instskip(NEXT) | instid1(VALU_DEP_1)
	v_and_or_b32 v5, 0x7f800000, v7, v5
	v_cndmask_b32_e32 v4, 0, v5, vcc_lo
	s_delay_alu instid0(VALU_DEP_1) | instskip(SKIP_1) | instid1(VALU_DEP_2)
	v_and_or_b32 v3, 0x80000000, v3, v4
	v_bfe_u32 v4, v4, 16, 1
	v_cmp_o_f32_e32 vcc_lo, v3, v3
	s_delay_alu instid0(VALU_DEP_2) | instskip(NEXT) | instid1(VALU_DEP_1)
	v_add3_u32 v4, v3, v4, 0x7fff
	v_lshrrev_b32_e32 v4, 16, v4
	s_delay_alu instid0(VALU_DEP_1)
	v_cndmask_b32_e32 v3, 0x7fc0, v4, vcc_lo
.LBB92_315:
	s_mov_b32 s23, 0
.LBB92_316:
	s_delay_alu instid0(SALU_CYCLE_1)
	s_and_not1_b32 vcc_lo, exec_lo, s23
	s_cbranch_vccnz .LBB92_318
; %bb.317:
	s_wait_loadcnt 0x0
	global_load_u8 v3, v[0:1], off
	s_wait_loadcnt 0x0
	v_lshlrev_b32_e32 v4, 25, v3
	v_lshlrev_b16 v3, 8, v3
	s_delay_alu instid0(VALU_DEP_1) | instskip(NEXT) | instid1(VALU_DEP_3)
	v_and_or_b32 v7, 0x7f00, v3, 0.5
	v_lshrrev_b32_e32 v5, 4, v4
	v_bfe_i32 v3, v3, 0, 16
	s_delay_alu instid0(VALU_DEP_3) | instskip(NEXT) | instid1(VALU_DEP_3)
	v_add_f32_e32 v7, -0.5, v7
	v_or_b32_e32 v5, 0x70000000, v5
	s_delay_alu instid0(VALU_DEP_1) | instskip(SKIP_1) | instid1(VALU_DEP_2)
	v_mul_f32_e32 v5, 0x7800000, v5
	v_cmp_gt_u32_e32 vcc_lo, 0x8000000, v4
	v_cndmask_b32_e32 v4, v5, v7, vcc_lo
	s_delay_alu instid0(VALU_DEP_1) | instskip(SKIP_1) | instid1(VALU_DEP_2)
	v_and_or_b32 v3, 0x80000000, v3, v4
	v_bfe_u32 v4, v4, 16, 1
	v_cmp_o_f32_e32 vcc_lo, v3, v3
	s_delay_alu instid0(VALU_DEP_2) | instskip(NEXT) | instid1(VALU_DEP_1)
	v_add3_u32 v4, v3, v4, 0x7fff
	v_lshrrev_b32_e32 v4, 16, v4
	s_delay_alu instid0(VALU_DEP_1)
	v_cndmask_b32_e32 v3, 0x7fc0, v4, vcc_lo
.LBB92_318:
	s_mov_b32 s24, 0
	s_mov_b32 s23, -1
.LBB92_319:
	s_and_not1_b32 vcc_lo, exec_lo, s24
	s_cbranch_vccnz .LBB92_332
; %bb.320:
	s_cmp_gt_i32 s17, 14
	s_cbranch_scc0 .LBB92_323
; %bb.321:
	s_cmp_eq_u32 s17, 15
	s_cbranch_scc0 .LBB92_326
; %bb.322:
	s_wait_loadcnt 0x0
	global_load_u16 v3, v[0:1], off
	s_mov_b32 s23, -1
	s_mov_b32 s19, 0
	s_branch .LBB92_327
.LBB92_323:
	s_mov_b32 s24, -1
                                        ; implicit-def: $vgpr3
	s_branch .LBB92_328
.LBB92_324:
	s_or_saveexec_b32 s24, s24
	v_mov_b32_e32 v4, 0x7f800001
	s_xor_b32 exec_lo, exec_lo, s24
	s_cbranch_execz .LBB92_305
.LBB92_325:
	v_cmp_ne_u16_e32 vcc_lo, 0, v3
	v_mov_b32_e32 v4, 0
	s_and_not1_b32 s23, s23, exec_lo
	s_and_b32 s25, vcc_lo, exec_lo
	s_delay_alu instid0(SALU_CYCLE_1)
	s_or_b32 s23, s23, s25
	s_or_b32 exec_lo, exec_lo, s24
	s_and_saveexec_b32 s24, s23
	s_cbranch_execnz .LBB92_306
	s_branch .LBB92_307
.LBB92_326:
	s_mov_b32 s19, -1
                                        ; implicit-def: $vgpr3
.LBB92_327:
	s_mov_b32 s24, 0
.LBB92_328:
	s_delay_alu instid0(SALU_CYCLE_1)
	s_and_b32 vcc_lo, exec_lo, s24
	s_cbranch_vccz .LBB92_332
; %bb.329:
	s_cmp_eq_u32 s17, 11
	s_cbranch_scc0 .LBB92_331
; %bb.330:
	s_wait_loadcnt 0x0
	global_load_u8 v3, v[0:1], off
	s_mov_b32 s19, 0
	s_mov_b32 s23, -1
	s_wait_loadcnt 0x0
	v_cmp_ne_u16_e32 vcc_lo, 0, v3
	v_cndmask_b32_e64 v3, 0, 1.0, vcc_lo
	s_delay_alu instid0(VALU_DEP_1)
	v_lshrrev_b32_e32 v3, 16, v3
	s_branch .LBB92_332
.LBB92_331:
	s_mov_b32 s19, -1
                                        ; implicit-def: $vgpr3
.LBB92_332:
	s_branch .LBB92_20
.LBB92_333:
	s_and_b32 s0, 0xffff, s0
	s_delay_alu instid0(SALU_CYCLE_1)
	s_cmp_lt_i32 s0, 5
	s_cbranch_scc1 .LBB92_338
; %bb.334:
	s_cmp_lt_i32 s0, 8
	s_cbranch_scc1 .LBB92_339
; %bb.335:
	;; [unrolled: 3-line block ×3, first 2 shown]
	s_cmp_gt_i32 s0, 9
	s_cbranch_scc0 .LBB92_341
; %bb.337:
	global_load_b64 v[4:5], v[0:1], off
	s_mov_b32 s17, 0
	s_wait_loadcnt 0x0
	v_cvt_f32_f64_e32 v3, v[4:5]
	s_delay_alu instid0(VALU_DEP_1) | instskip(SKIP_1) | instid1(VALU_DEP_2)
	v_bfe_u32 v4, v3, 16, 1
	v_cmp_o_f32_e32 vcc_lo, v3, v3
	v_add3_u32 v4, v3, v4, 0x7fff
	s_delay_alu instid0(VALU_DEP_1) | instskip(NEXT) | instid1(VALU_DEP_1)
	v_lshrrev_b32_e32 v4, 16, v4
	v_cndmask_b32_e32 v3, 0x7fc0, v4, vcc_lo
	s_branch .LBB92_342
.LBB92_338:
	s_mov_b32 s17, -1
                                        ; implicit-def: $vgpr3
	s_branch .LBB92_360
.LBB92_339:
	s_mov_b32 s17, -1
                                        ; implicit-def: $vgpr3
	s_branch .LBB92_348
.LBB92_340:
	s_mov_b32 s17, -1
                                        ; implicit-def: $vgpr3
	s_branch .LBB92_345
.LBB92_341:
	s_mov_b32 s17, -1
                                        ; implicit-def: $vgpr3
.LBB92_342:
	s_delay_alu instid0(SALU_CYCLE_1)
	s_and_not1_b32 vcc_lo, exec_lo, s17
	s_cbranch_vccnz .LBB92_344
; %bb.343:
	s_wait_loadcnt 0x0
	global_load_b32 v3, v[0:1], off
	s_wait_loadcnt 0x0
	v_bfe_u32 v4, v3, 16, 1
	v_cmp_o_f32_e32 vcc_lo, v3, v3
	s_delay_alu instid0(VALU_DEP_2) | instskip(NEXT) | instid1(VALU_DEP_1)
	v_add3_u32 v4, v3, v4, 0x7fff
	v_lshrrev_b32_e32 v4, 16, v4
	s_delay_alu instid0(VALU_DEP_1)
	v_cndmask_b32_e32 v3, 0x7fc0, v4, vcc_lo
.LBB92_344:
	s_mov_b32 s17, 0
.LBB92_345:
	s_delay_alu instid0(SALU_CYCLE_1)
	s_and_not1_b32 vcc_lo, exec_lo, s17
	s_cbranch_vccnz .LBB92_347
; %bb.346:
	s_wait_loadcnt 0x0
	global_load_b32 v3, v[0:1], off
	s_wait_loadcnt 0x0
	v_cvt_f32_f16_e32 v4, v3
	v_cmp_o_f16_e32 vcc_lo, v3, v3
	s_delay_alu instid0(VALU_DEP_2) | instskip(NEXT) | instid1(VALU_DEP_1)
	v_bfe_u32 v5, v4, 16, 1
	v_add3_u32 v4, v4, v5, 0x7fff
	s_delay_alu instid0(VALU_DEP_1) | instskip(NEXT) | instid1(VALU_DEP_1)
	v_lshrrev_b32_e32 v4, 16, v4
	v_cndmask_b32_e32 v3, 0x7fc0, v4, vcc_lo
.LBB92_347:
	s_mov_b32 s17, 0
.LBB92_348:
	s_delay_alu instid0(SALU_CYCLE_1)
	s_and_not1_b32 vcc_lo, exec_lo, s17
	s_cbranch_vccnz .LBB92_359
; %bb.349:
	s_cmp_lt_i32 s0, 6
	s_cbranch_scc1 .LBB92_352
; %bb.350:
	s_cmp_gt_i32 s0, 6
	s_cbranch_scc0 .LBB92_353
; %bb.351:
	global_load_b64 v[4:5], v[0:1], off
	s_mov_b32 s17, 0
	s_wait_loadcnt 0x0
	v_cvt_f32_f64_e32 v3, v[4:5]
	s_delay_alu instid0(VALU_DEP_1) | instskip(SKIP_1) | instid1(VALU_DEP_2)
	v_bfe_u32 v4, v3, 16, 1
	v_cmp_o_f32_e32 vcc_lo, v3, v3
	v_add3_u32 v4, v3, v4, 0x7fff
	s_delay_alu instid0(VALU_DEP_1) | instskip(NEXT) | instid1(VALU_DEP_1)
	v_lshrrev_b32_e32 v4, 16, v4
	v_cndmask_b32_e32 v3, 0x7fc0, v4, vcc_lo
	s_branch .LBB92_354
.LBB92_352:
	s_mov_b32 s17, -1
                                        ; implicit-def: $vgpr3
	s_branch .LBB92_357
.LBB92_353:
	s_mov_b32 s17, -1
                                        ; implicit-def: $vgpr3
.LBB92_354:
	s_delay_alu instid0(SALU_CYCLE_1)
	s_and_not1_b32 vcc_lo, exec_lo, s17
	s_cbranch_vccnz .LBB92_356
; %bb.355:
	s_wait_loadcnt 0x0
	global_load_b32 v3, v[0:1], off
	s_wait_loadcnt 0x0
	v_bfe_u32 v4, v3, 16, 1
	v_cmp_o_f32_e32 vcc_lo, v3, v3
	s_delay_alu instid0(VALU_DEP_2) | instskip(NEXT) | instid1(VALU_DEP_1)
	v_add3_u32 v4, v3, v4, 0x7fff
	v_lshrrev_b32_e32 v4, 16, v4
	s_delay_alu instid0(VALU_DEP_1)
	v_cndmask_b32_e32 v3, 0x7fc0, v4, vcc_lo
.LBB92_356:
	s_mov_b32 s17, 0
.LBB92_357:
	s_delay_alu instid0(SALU_CYCLE_1)
	s_and_not1_b32 vcc_lo, exec_lo, s17
	s_cbranch_vccnz .LBB92_359
; %bb.358:
	s_wait_loadcnt 0x0
	global_load_u16 v3, v[0:1], off
	s_wait_loadcnt 0x0
	v_cvt_f32_f16_e32 v4, v3
	v_cmp_o_f16_e32 vcc_lo, v3, v3
	s_delay_alu instid0(VALU_DEP_2) | instskip(NEXT) | instid1(VALU_DEP_1)
	v_bfe_u32 v5, v4, 16, 1
	v_add3_u32 v4, v4, v5, 0x7fff
	s_delay_alu instid0(VALU_DEP_1) | instskip(NEXT) | instid1(VALU_DEP_1)
	v_lshrrev_b32_e32 v4, 16, v4
	v_cndmask_b32_e32 v3, 0x7fc0, v4, vcc_lo
.LBB92_359:
	s_mov_b32 s17, 0
.LBB92_360:
	s_delay_alu instid0(SALU_CYCLE_1)
	s_and_not1_b32 vcc_lo, exec_lo, s17
	s_cbranch_vccnz .LBB92_380
; %bb.361:
	s_cmp_lt_i32 s0, 2
	s_cbranch_scc1 .LBB92_365
; %bb.362:
	s_cmp_lt_i32 s0, 3
	s_cbranch_scc1 .LBB92_366
; %bb.363:
	s_cmp_gt_i32 s0, 3
	s_cbranch_scc0 .LBB92_367
; %bb.364:
	global_load_b64 v[4:5], v[0:1], off
	s_mov_b32 s17, 0
	s_wait_loadcnt 0x0
	v_xor_b32_e32 v3, v4, v5
	v_cls_i32_e32 v7, v5
	s_delay_alu instid0(VALU_DEP_2) | instskip(NEXT) | instid1(VALU_DEP_1)
	v_ashrrev_i32_e32 v3, 31, v3
	v_add_nc_u32_e32 v3, 32, v3
	s_delay_alu instid0(VALU_DEP_1) | instskip(NEXT) | instid1(VALU_DEP_1)
	v_add_min_u32_e64 v3, v7, -1, v3
	v_lshlrev_b64_e32 v[4:5], v3, v[4:5]
	v_sub_nc_u32_e32 v3, 32, v3
	s_delay_alu instid0(VALU_DEP_2) | instskip(NEXT) | instid1(VALU_DEP_1)
	v_min_u32_e32 v4, 1, v4
	v_or_b32_e32 v4, v5, v4
	s_delay_alu instid0(VALU_DEP_1) | instskip(NEXT) | instid1(VALU_DEP_1)
	v_cvt_f32_i32_e32 v4, v4
	v_ldexp_f32 v3, v4, v3
	s_delay_alu instid0(VALU_DEP_1) | instskip(NEXT) | instid1(VALU_DEP_1)
	v_bfe_u32 v4, v3, 16, 1
	v_add3_u32 v3, v3, v4, 0x7fff
	s_delay_alu instid0(VALU_DEP_1)
	v_lshrrev_b32_e32 v3, 16, v3
	s_branch .LBB92_368
.LBB92_365:
	s_mov_b32 s17, -1
                                        ; implicit-def: $vgpr3
	s_branch .LBB92_374
.LBB92_366:
	s_mov_b32 s17, -1
                                        ; implicit-def: $vgpr3
	s_branch .LBB92_371
.LBB92_367:
	s_mov_b32 s17, -1
                                        ; implicit-def: $vgpr3
.LBB92_368:
	s_delay_alu instid0(SALU_CYCLE_1)
	s_and_not1_b32 vcc_lo, exec_lo, s17
	s_cbranch_vccnz .LBB92_370
; %bb.369:
	s_wait_loadcnt 0x0
	global_load_b32 v3, v[0:1], off
	s_wait_loadcnt 0x0
	v_cvt_f32_i32_e32 v3, v3
	s_delay_alu instid0(VALU_DEP_1) | instskip(NEXT) | instid1(VALU_DEP_1)
	v_bfe_u32 v4, v3, 16, 1
	v_add3_u32 v3, v3, v4, 0x7fff
	s_delay_alu instid0(VALU_DEP_1)
	v_lshrrev_b32_e32 v3, 16, v3
.LBB92_370:
	s_mov_b32 s17, 0
.LBB92_371:
	s_delay_alu instid0(SALU_CYCLE_1)
	s_and_not1_b32 vcc_lo, exec_lo, s17
	s_cbranch_vccnz .LBB92_373
; %bb.372:
	s_wait_loadcnt 0x0
	global_load_i16 v3, v[0:1], off
	s_wait_loadcnt 0x0
	v_cvt_f32_i32_e32 v3, v3
	s_delay_alu instid0(VALU_DEP_1) | instskip(NEXT) | instid1(VALU_DEP_1)
	v_bfe_u32 v4, v3, 16, 1
	v_add3_u32 v3, v3, v4, 0x7fff
	s_delay_alu instid0(VALU_DEP_1)
	v_lshrrev_b32_e32 v3, 16, v3
.LBB92_373:
	s_mov_b32 s17, 0
.LBB92_374:
	s_delay_alu instid0(SALU_CYCLE_1)
	s_and_not1_b32 vcc_lo, exec_lo, s17
	s_cbranch_vccnz .LBB92_380
; %bb.375:
	s_cmp_gt_i32 s0, 0
	s_mov_b32 s0, 0
	s_cbranch_scc0 .LBB92_377
; %bb.376:
	s_wait_loadcnt 0x0
	global_load_i8 v3, v[0:1], off
	s_wait_loadcnt 0x0
	v_cvt_f32_i32_e32 v3, v3
	s_delay_alu instid0(VALU_DEP_1) | instskip(NEXT) | instid1(VALU_DEP_1)
	v_bfe_u32 v4, v3, 16, 1
	v_add3_u32 v3, v3, v4, 0x7fff
	s_delay_alu instid0(VALU_DEP_1)
	v_lshrrev_b32_e32 v3, 16, v3
	s_branch .LBB92_378
.LBB92_377:
	s_mov_b32 s0, -1
                                        ; implicit-def: $vgpr3
.LBB92_378:
	s_delay_alu instid0(SALU_CYCLE_1)
	s_and_not1_b32 vcc_lo, exec_lo, s0
	s_cbranch_vccnz .LBB92_380
; %bb.379:
	global_load_u8 v0, v[0:1], off
	s_wait_loadcnt 0x0
	v_cvt_f32_ubyte0_e32 v0, v0
	s_delay_alu instid0(VALU_DEP_1) | instskip(NEXT) | instid1(VALU_DEP_1)
	v_bfe_u32 v1, v0, 16, 1
	v_add3_u32 v0, v0, v1, 0x7fff
	s_delay_alu instid0(VALU_DEP_1)
	v_lshrrev_b32_e32 v3, 16, v0
.LBB92_380:
	s_branch .LBB92_21
.LBB92_381:
	s_mov_b32 s0, 0
.LBB92_382:
	s_mov_b32 s23, 0
                                        ; implicit-def: $vgpr6
.LBB92_383:
	s_and_b32 s17, s0, exec_lo
	s_and_b32 s19, s19, exec_lo
	;; [unrolled: 1-line block ×3, first 2 shown]
	s_or_not1_b32 s25, s23, exec_lo
.LBB92_384:
	s_wait_xcnt 0x0
	s_or_b32 exec_lo, exec_lo, s21
	s_mov_b32 s24, 0
	s_mov_b32 s23, 0
                                        ; implicit-def: $sgpr0
                                        ; implicit-def: $vgpr0_vgpr1
                                        ; implicit-def: $vgpr2
	s_and_saveexec_b32 s21, s25
	s_cbranch_execz .LBB92_393
; %bb.385:
	s_mov_b32 s27, -1
	s_mov_b32 s22, s20
	s_mov_b32 s24, s19
	;; [unrolled: 1-line block ×3, first 2 shown]
	s_mov_b32 s25, exec_lo
	v_cmpx_gt_i32_e64 s18, v6
	s_cbranch_execz .LBB92_779
; %bb.386:
	v_mul_lo_u32 v0, v6, s9
	s_and_b32 s0, s15, 0xff
	s_delay_alu instid0(SALU_CYCLE_1) | instskip(NEXT) | instid1(VALU_DEP_1)
	s_cmp_lt_i32 s0, 11
	v_ashrrev_i32_e32 v1, 31, v0
	s_delay_alu instid0(VALU_DEP_1)
	v_add_nc_u64_e32 v[0:1], s[6:7], v[0:1]
	s_cbranch_scc1 .LBB92_396
; %bb.387:
	s_and_b32 s23, 0xffff, s0
	s_delay_alu instid0(SALU_CYCLE_1)
	s_cmp_gt_i32 s23, 25
	s_cbranch_scc0 .LBB92_405
; %bb.388:
	s_cmp_gt_i32 s23, 28
	s_cbranch_scc0 .LBB92_407
; %bb.389:
	;; [unrolled: 3-line block ×4, first 2 shown]
	s_cmp_eq_u32 s23, 46
	s_mov_b32 s26, 0
	s_cbranch_scc0 .LBB92_415
; %bb.392:
	s_wait_loadcnt 0x0
	global_load_b32 v2, v[0:1], off
	s_mov_b32 s24, -1
	s_mov_b32 s22, 0
	s_branch .LBB92_417
.LBB92_393:
	s_or_b32 exec_lo, exec_lo, s21
	s_mov_b32 s18, 0
	s_and_saveexec_b32 s21, s20
	s_cbranch_execnz .LBB92_1257
.LBB92_394:
	s_or_b32 exec_lo, exec_lo, s21
	s_and_saveexec_b32 s20, s22
	s_delay_alu instid0(SALU_CYCLE_1)
	s_xor_b32 s20, exec_lo, s20
	s_cbranch_execz .LBB92_1258
.LBB92_395:
	s_wait_loadcnt 0x0
	global_load_u8 v2, v[0:1], off
	s_or_b32 s23, s23, exec_lo
	s_wait_loadcnt 0x0
	v_cmp_ne_u16_e32 vcc_lo, 0, v2
	v_cndmask_b32_e64 v2, 0, 1.0, vcc_lo
	s_delay_alu instid0(VALU_DEP_1)
	v_lshrrev_b32_e32 v2, 16, v2
	s_wait_xcnt 0x0
	s_or_b32 exec_lo, exec_lo, s20
	s_and_saveexec_b32 s20, s24
	s_cbranch_execz .LBB92_1304
	s_branch .LBB92_1259
.LBB92_396:
	s_mov_b32 s24, 0
	s_mov_b32 s22, s20
                                        ; implicit-def: $vgpr2
	s_cbranch_execnz .LBB92_483
.LBB92_397:
	s_and_not1_b32 vcc_lo, exec_lo, s24
	s_cbranch_vccnz .LBB92_531
.LBB92_398:
	s_wait_xcnt 0x0
	v_mul_lo_u32 v0, v6, s10
	s_and_b32 s0, s1, 0xff
	s_delay_alu instid0(SALU_CYCLE_1) | instskip(NEXT) | instid1(VALU_DEP_1)
	s_cmp_lt_i32 s0, 11
	v_ashrrev_i32_e32 v1, 31, v0
	s_delay_alu instid0(VALU_DEP_1)
	v_add_nc_u64_e32 v[0:1], s[12:13], v[0:1]
	s_cbranch_scc1 .LBB92_406
; %bb.399:
	s_and_b32 s23, 0xffff, s0
	s_delay_alu instid0(SALU_CYCLE_1)
	s_cmp_gt_i32 s23, 25
	s_cbranch_scc0 .LBB92_408
; %bb.400:
	s_cmp_gt_i32 s23, 28
	s_cbranch_scc0 .LBB92_410
; %bb.401:
	s_cmp_gt_i32 s23, 43
	s_cbranch_scc0 .LBB92_412
; %bb.402:
	s_cmp_gt_i32 s23, 45
	s_cbranch_scc0 .LBB92_420
; %bb.403:
	s_cmp_eq_u32 s23, 46
	s_mov_b32 s27, 0
	s_cbranch_scc0 .LBB92_534
; %bb.404:
	s_wait_loadcnt 0x0
	global_load_b32 v3, v[0:1], off
	s_mov_b32 s26, -1
	s_mov_b32 s24, 0
	s_branch .LBB92_536
.LBB92_405:
	s_mov_b32 s26, -1
	s_mov_b32 s24, 0
	s_mov_b32 s22, s20
                                        ; implicit-def: $vgpr2
	s_branch .LBB92_447
.LBB92_406:
	s_mov_b32 s23, -1
	s_mov_b32 s26, 0
	s_mov_b32 s24, s19
                                        ; implicit-def: $vgpr3
	s_branch .LBB92_601
.LBB92_407:
	s_mov_b32 s26, -1
	s_mov_b32 s24, 0
	s_mov_b32 s22, s20
                                        ; implicit-def: $vgpr2
	s_branch .LBB92_428
.LBB92_408:
	s_mov_b32 s27, -1
	s_mov_b32 s26, 0
	s_mov_b32 s24, s19
                                        ; implicit-def: $vgpr3
	s_branch .LBB92_565
.LBB92_409:
	s_mov_b32 s26, -1
	s_mov_b32 s24, 0
	s_mov_b32 s22, s20
                                        ; implicit-def: $vgpr2
	s_branch .LBB92_423
.LBB92_410:
	s_mov_b32 s27, -1
	s_mov_b32 s26, 0
	s_mov_b32 s24, s19
                                        ; implicit-def: $vgpr3
	s_branch .LBB92_546
.LBB92_411:
	s_mov_b32 s26, -1
	s_mov_b32 s24, 0
	s_mov_b32 s22, s20
	s_branch .LBB92_416
.LBB92_412:
	s_mov_b32 s27, -1
	s_mov_b32 s26, 0
	s_mov_b32 s24, s19
                                        ; implicit-def: $vgpr3
	s_branch .LBB92_541
.LBB92_413:
	s_and_not1_saveexec_b32 s26, s26
	s_cbranch_execz .LBB92_182
.LBB92_414:
	v_add_f32_e64 v4, 0x46000000, |v5|
	s_and_not1_b32 s25, s25, exec_lo
	s_delay_alu instid0(VALU_DEP_1) | instskip(NEXT) | instid1(VALU_DEP_1)
	v_and_b32_e32 v4, 0xff, v4
	v_cmp_ne_u32_e32 vcc_lo, 0, v4
	s_and_b32 s27, vcc_lo, exec_lo
	s_delay_alu instid0(SALU_CYCLE_1)
	s_or_b32 s25, s25, s27
	s_or_b32 exec_lo, exec_lo, s26
	v_mov_b32_e32 v7, 0
	s_and_saveexec_b32 s26, s25
	s_cbranch_execnz .LBB92_183
	s_branch .LBB92_184
.LBB92_415:
	s_mov_b32 s22, -1
	s_mov_b32 s24, 0
.LBB92_416:
                                        ; implicit-def: $vgpr2
.LBB92_417:
	s_and_b32 vcc_lo, exec_lo, s26
	s_cbranch_vccz .LBB92_422
; %bb.418:
	s_cmp_eq_u32 s23, 44
	s_cbranch_scc0 .LBB92_421
; %bb.419:
	s_wait_loadcnt 0x0
	global_load_u8 v2, v[0:1], off
	s_mov_b32 s22, 0
	s_mov_b32 s24, -1
	s_wait_loadcnt 0x0
	v_lshlrev_b32_e32 v3, 23, v2
	v_cmp_ne_u32_e32 vcc_lo, 0xff, v2
	s_delay_alu instid0(VALU_DEP_2) | instskip(SKIP_1) | instid1(VALU_DEP_2)
	v_cndmask_b32_e32 v3, 0x7f800001, v3, vcc_lo
	v_cmp_ne_u32_e32 vcc_lo, 0, v2
	v_cndmask_b32_e32 v2, 0x400000, v3, vcc_lo
	s_delay_alu instid0(VALU_DEP_1) | instskip(NEXT) | instid1(VALU_DEP_1)
	v_add_nc_u32_e32 v3, 0x7fff, v2
	v_lshrrev_b32_e32 v3, 16, v3
	v_cmp_o_f32_e32 vcc_lo, v2, v2
	s_delay_alu instid0(VALU_DEP_2)
	v_cndmask_b32_e32 v2, 0x7fc0, v3, vcc_lo
	s_branch .LBB92_422
.LBB92_420:
	s_mov_b32 s27, -1
	s_mov_b32 s26, 0
	s_mov_b32 s24, s19
	s_branch .LBB92_535
.LBB92_421:
	s_mov_b32 s22, -1
                                        ; implicit-def: $vgpr2
.LBB92_422:
	s_mov_b32 s26, 0
.LBB92_423:
	s_delay_alu instid0(SALU_CYCLE_1)
	s_and_b32 vcc_lo, exec_lo, s26
	s_cbranch_vccz .LBB92_427
; %bb.424:
	s_cmp_eq_u32 s23, 29
	s_cbranch_scc0 .LBB92_426
; %bb.425:
	s_wait_loadcnt 0x0
	global_load_b64 v[2:3], v[0:1], off
	s_mov_b32 s24, -1
	s_mov_b32 s22, 0
	s_mov_b32 s26, 0
	s_wait_loadcnt 0x0
	v_clz_i32_u32_e32 v4, v3
	s_delay_alu instid0(VALU_DEP_1) | instskip(NEXT) | instid1(VALU_DEP_1)
	v_min_u32_e32 v4, 32, v4
	v_lshlrev_b64_e32 v[2:3], v4, v[2:3]
	s_delay_alu instid0(VALU_DEP_1) | instskip(NEXT) | instid1(VALU_DEP_1)
	v_min_u32_e32 v2, 1, v2
	v_dual_sub_nc_u32 v3, 32, v4 :: v_dual_bitop2_b32 v2, v3, v2 bitop3:0x54
	s_delay_alu instid0(VALU_DEP_1) | instskip(NEXT) | instid1(VALU_DEP_1)
	v_cvt_f32_u32_e32 v2, v2
	v_ldexp_f32 v2, v2, v3
	s_delay_alu instid0(VALU_DEP_1) | instskip(NEXT) | instid1(VALU_DEP_1)
	v_bfe_u32 v3, v2, 16, 1
	v_add3_u32 v2, v2, v3, 0x7fff
	s_delay_alu instid0(VALU_DEP_1)
	v_lshrrev_b32_e32 v2, 16, v2
	s_branch .LBB92_428
.LBB92_426:
	s_mov_b32 s22, -1
                                        ; implicit-def: $vgpr2
.LBB92_427:
	s_mov_b32 s26, 0
.LBB92_428:
	s_delay_alu instid0(SALU_CYCLE_1)
	s_and_b32 vcc_lo, exec_lo, s26
	s_cbranch_vccz .LBB92_446
; %bb.429:
	s_cmp_lt_i32 s23, 27
	s_cbranch_scc1 .LBB92_432
; %bb.430:
	s_cmp_gt_i32 s23, 27
	s_cbranch_scc0 .LBB92_433
; %bb.431:
	s_wait_loadcnt 0x0
	global_load_b32 v2, v[0:1], off
	s_mov_b32 s24, 0
	s_wait_loadcnt 0x0
	v_cvt_f32_u32_e32 v2, v2
	s_delay_alu instid0(VALU_DEP_1) | instskip(NEXT) | instid1(VALU_DEP_1)
	v_bfe_u32 v3, v2, 16, 1
	v_add3_u32 v2, v2, v3, 0x7fff
	s_delay_alu instid0(VALU_DEP_1)
	v_lshrrev_b32_e32 v2, 16, v2
	s_branch .LBB92_434
.LBB92_432:
	s_mov_b32 s24, -1
                                        ; implicit-def: $vgpr2
	s_branch .LBB92_437
.LBB92_433:
	s_mov_b32 s24, -1
                                        ; implicit-def: $vgpr2
.LBB92_434:
	s_delay_alu instid0(SALU_CYCLE_1)
	s_and_not1_b32 vcc_lo, exec_lo, s24
	s_cbranch_vccnz .LBB92_436
; %bb.435:
	s_wait_loadcnt 0x0
	global_load_u16 v2, v[0:1], off
	s_wait_loadcnt 0x0
	v_cvt_f32_u32_e32 v2, v2
	s_delay_alu instid0(VALU_DEP_1) | instskip(NEXT) | instid1(VALU_DEP_1)
	v_bfe_u32 v3, v2, 16, 1
	v_add3_u32 v2, v2, v3, 0x7fff
	s_delay_alu instid0(VALU_DEP_1)
	v_lshrrev_b32_e32 v2, 16, v2
.LBB92_436:
	s_mov_b32 s24, 0
.LBB92_437:
	s_delay_alu instid0(SALU_CYCLE_1)
	s_and_not1_b32 vcc_lo, exec_lo, s24
	s_cbranch_vccnz .LBB92_445
; %bb.438:
	s_wait_loadcnt 0x0
	global_load_u8 v2, v[0:1], off
	s_mov_b32 s24, 0
	s_mov_b32 s26, exec_lo
	s_wait_loadcnt 0x0
	v_cmpx_lt_i16_e32 0x7f, v2
	s_xor_b32 s26, exec_lo, s26
	s_cbranch_execz .LBB92_459
; %bb.439:
	s_mov_b32 s24, -1
	s_mov_b32 s27, exec_lo
	v_cmpx_eq_u16_e32 0x80, v2
; %bb.440:
	s_xor_b32 s24, exec_lo, -1
; %bb.441:
	s_or_b32 exec_lo, exec_lo, s27
	s_delay_alu instid0(SALU_CYCLE_1)
	s_and_b32 s24, s24, exec_lo
	s_or_saveexec_b32 s26, s26
	v_mov_b32_e32 v3, 0x7f800001
	s_xor_b32 exec_lo, exec_lo, s26
	s_cbranch_execnz .LBB92_460
.LBB92_442:
	s_or_b32 exec_lo, exec_lo, s26
	s_and_saveexec_b32 s26, s24
	s_cbranch_execz .LBB92_444
.LBB92_443:
	v_and_b32_e32 v3, 0xffff, v2
	s_delay_alu instid0(VALU_DEP_1) | instskip(SKIP_1) | instid1(VALU_DEP_2)
	v_and_b32_e32 v4, 7, v3
	v_bfe_u32 v8, v3, 3, 4
	v_clz_i32_u32_e32 v5, v4
	s_delay_alu instid0(VALU_DEP_2) | instskip(NEXT) | instid1(VALU_DEP_2)
	v_cmp_eq_u32_e32 vcc_lo, 0, v8
	v_min_u32_e32 v5, 32, v5
	s_delay_alu instid0(VALU_DEP_1) | instskip(NEXT) | instid1(VALU_DEP_1)
	v_subrev_nc_u32_e32 v7, 28, v5
	v_dual_lshlrev_b32 v3, v7, v3 :: v_dual_sub_nc_u32 v5, 29, v5
	s_delay_alu instid0(VALU_DEP_1) | instskip(NEXT) | instid1(VALU_DEP_2)
	v_dual_lshlrev_b32 v2, 24, v2 :: v_dual_bitop2_b32 v3, 7, v3 bitop3:0x40
	v_cndmask_b32_e32 v5, v8, v5, vcc_lo
	s_delay_alu instid0(VALU_DEP_2) | instskip(NEXT) | instid1(VALU_DEP_3)
	v_cndmask_b32_e32 v3, v4, v3, vcc_lo
	v_and_b32_e32 v2, 0x80000000, v2
	s_delay_alu instid0(VALU_DEP_3) | instskip(NEXT) | instid1(VALU_DEP_3)
	v_lshl_add_u32 v4, v5, 23, 0x3b800000
	v_lshlrev_b32_e32 v3, 20, v3
	s_delay_alu instid0(VALU_DEP_1)
	v_or3_b32 v3, v2, v4, v3
.LBB92_444:
	s_or_b32 exec_lo, exec_lo, s26
	s_delay_alu instid0(VALU_DEP_1) | instskip(SKIP_1) | instid1(VALU_DEP_2)
	v_bfe_u32 v2, v3, 16, 1
	v_cmp_o_f32_e32 vcc_lo, v3, v3
	v_add3_u32 v2, v3, v2, 0x7fff
	s_delay_alu instid0(VALU_DEP_1) | instskip(NEXT) | instid1(VALU_DEP_1)
	v_lshrrev_b32_e32 v2, 16, v2
	v_cndmask_b32_e32 v2, 0x7fc0, v2, vcc_lo
.LBB92_445:
	s_mov_b32 s24, -1
.LBB92_446:
	s_mov_b32 s26, 0
.LBB92_447:
	s_delay_alu instid0(SALU_CYCLE_1)
	s_and_b32 vcc_lo, exec_lo, s26
	s_cbranch_vccz .LBB92_482
; %bb.448:
	s_cmp_gt_i32 s23, 22
	s_cbranch_scc0 .LBB92_458
; %bb.449:
	s_cmp_lt_i32 s23, 24
	s_cbranch_scc1 .LBB92_461
; %bb.450:
	s_cmp_gt_i32 s23, 24
	s_cbranch_scc0 .LBB92_462
; %bb.451:
	s_wait_loadcnt 0x0
	global_load_u8 v2, v[0:1], off
	s_mov_b32 s24, 0
	s_mov_b32 s26, exec_lo
	s_wait_loadcnt 0x0
	v_cmpx_lt_i16_e32 0x7f, v2
	s_xor_b32 s26, exec_lo, s26
	s_cbranch_execz .LBB92_474
; %bb.452:
	s_mov_b32 s24, -1
	s_mov_b32 s27, exec_lo
	v_cmpx_eq_u16_e32 0x80, v2
; %bb.453:
	s_xor_b32 s24, exec_lo, -1
; %bb.454:
	s_or_b32 exec_lo, exec_lo, s27
	s_delay_alu instid0(SALU_CYCLE_1)
	s_and_b32 s24, s24, exec_lo
	s_or_saveexec_b32 s26, s26
	v_mov_b32_e32 v3, 0x7f800001
	s_xor_b32 exec_lo, exec_lo, s26
	s_cbranch_execnz .LBB92_475
.LBB92_455:
	s_or_b32 exec_lo, exec_lo, s26
	s_and_saveexec_b32 s26, s24
	s_cbranch_execz .LBB92_457
.LBB92_456:
	v_and_b32_e32 v3, 0xffff, v2
	s_delay_alu instid0(VALU_DEP_1) | instskip(SKIP_1) | instid1(VALU_DEP_2)
	v_and_b32_e32 v4, 3, v3
	v_bfe_u32 v8, v3, 2, 5
	v_clz_i32_u32_e32 v5, v4
	s_delay_alu instid0(VALU_DEP_2) | instskip(NEXT) | instid1(VALU_DEP_2)
	v_cmp_eq_u32_e32 vcc_lo, 0, v8
	v_min_u32_e32 v5, 32, v5
	s_delay_alu instid0(VALU_DEP_1) | instskip(NEXT) | instid1(VALU_DEP_1)
	v_subrev_nc_u32_e32 v7, 29, v5
	v_dual_lshlrev_b32 v3, v7, v3 :: v_dual_sub_nc_u32 v5, 30, v5
	s_delay_alu instid0(VALU_DEP_1) | instskip(NEXT) | instid1(VALU_DEP_2)
	v_dual_lshlrev_b32 v2, 24, v2 :: v_dual_bitop2_b32 v3, 3, v3 bitop3:0x40
	v_cndmask_b32_e32 v5, v8, v5, vcc_lo
	s_delay_alu instid0(VALU_DEP_2) | instskip(NEXT) | instid1(VALU_DEP_3)
	v_cndmask_b32_e32 v3, v4, v3, vcc_lo
	v_and_b32_e32 v2, 0x80000000, v2
	s_delay_alu instid0(VALU_DEP_3) | instskip(NEXT) | instid1(VALU_DEP_3)
	v_lshl_add_u32 v4, v5, 23, 0x37800000
	v_lshlrev_b32_e32 v3, 21, v3
	s_delay_alu instid0(VALU_DEP_1)
	v_or3_b32 v3, v2, v4, v3
.LBB92_457:
	s_or_b32 exec_lo, exec_lo, s26
	s_delay_alu instid0(VALU_DEP_1) | instskip(SKIP_2) | instid1(VALU_DEP_2)
	v_bfe_u32 v2, v3, 16, 1
	v_cmp_o_f32_e32 vcc_lo, v3, v3
	s_mov_b32 s24, 0
	v_add3_u32 v2, v3, v2, 0x7fff
	s_delay_alu instid0(VALU_DEP_1) | instskip(NEXT) | instid1(VALU_DEP_1)
	v_lshrrev_b32_e32 v2, 16, v2
	v_cndmask_b32_e32 v2, 0x7fc0, v2, vcc_lo
	s_branch .LBB92_463
.LBB92_458:
	s_mov_b32 s26, -1
                                        ; implicit-def: $vgpr2
	s_branch .LBB92_469
.LBB92_459:
	s_or_saveexec_b32 s26, s26
	v_mov_b32_e32 v3, 0x7f800001
	s_xor_b32 exec_lo, exec_lo, s26
	s_cbranch_execz .LBB92_442
.LBB92_460:
	v_cmp_ne_u16_e32 vcc_lo, 0, v2
	v_mov_b32_e32 v3, 0
	s_and_not1_b32 s24, s24, exec_lo
	s_and_b32 s27, vcc_lo, exec_lo
	s_delay_alu instid0(SALU_CYCLE_1)
	s_or_b32 s24, s24, s27
	s_or_b32 exec_lo, exec_lo, s26
	s_and_saveexec_b32 s26, s24
	s_cbranch_execnz .LBB92_443
	s_branch .LBB92_444
.LBB92_461:
	s_mov_b32 s24, -1
                                        ; implicit-def: $vgpr2
	s_branch .LBB92_466
.LBB92_462:
	s_mov_b32 s24, -1
                                        ; implicit-def: $vgpr2
.LBB92_463:
	s_delay_alu instid0(SALU_CYCLE_1)
	s_and_b32 vcc_lo, exec_lo, s24
	s_cbranch_vccz .LBB92_465
; %bb.464:
	s_wait_loadcnt 0x0
	global_load_u8 v2, v[0:1], off
	s_wait_loadcnt 0x0
	v_lshlrev_b32_e32 v2, 24, v2
	s_delay_alu instid0(VALU_DEP_1) | instskip(NEXT) | instid1(VALU_DEP_1)
	v_and_b32_e32 v3, 0x7f000000, v2
	v_clz_i32_u32_e32 v4, v3
	v_add_nc_u32_e32 v7, 0x1000000, v3
	v_cmp_ne_u32_e32 vcc_lo, 0, v3
	s_delay_alu instid0(VALU_DEP_3) | instskip(NEXT) | instid1(VALU_DEP_1)
	v_min_u32_e32 v4, 32, v4
	v_sub_nc_u32_e64 v4, v4, 4 clamp
	s_delay_alu instid0(VALU_DEP_1) | instskip(NEXT) | instid1(VALU_DEP_1)
	v_dual_lshlrev_b32 v5, v4, v3 :: v_dual_lshlrev_b32 v4, 23, v4
	v_lshrrev_b32_e32 v5, 4, v5
	s_delay_alu instid0(VALU_DEP_1) | instskip(NEXT) | instid1(VALU_DEP_1)
	v_dual_sub_nc_u32 v4, v5, v4 :: v_dual_ashrrev_i32 v5, 8, v7
	v_add_nc_u32_e32 v4, 0x3c000000, v4
	s_delay_alu instid0(VALU_DEP_1) | instskip(NEXT) | instid1(VALU_DEP_1)
	v_and_or_b32 v4, 0x7f800000, v5, v4
	v_cndmask_b32_e32 v3, 0, v4, vcc_lo
	s_delay_alu instid0(VALU_DEP_1) | instskip(SKIP_1) | instid1(VALU_DEP_2)
	v_and_or_b32 v2, 0x80000000, v2, v3
	v_bfe_u32 v3, v3, 16, 1
	v_cmp_o_f32_e32 vcc_lo, v2, v2
	s_delay_alu instid0(VALU_DEP_2) | instskip(NEXT) | instid1(VALU_DEP_1)
	v_add3_u32 v3, v2, v3, 0x7fff
	v_lshrrev_b32_e32 v3, 16, v3
	s_delay_alu instid0(VALU_DEP_1)
	v_cndmask_b32_e32 v2, 0x7fc0, v3, vcc_lo
.LBB92_465:
	s_mov_b32 s24, 0
.LBB92_466:
	s_delay_alu instid0(SALU_CYCLE_1)
	s_and_not1_b32 vcc_lo, exec_lo, s24
	s_cbranch_vccnz .LBB92_468
; %bb.467:
	s_wait_loadcnt 0x0
	global_load_u8 v2, v[0:1], off
	s_wait_loadcnt 0x0
	v_lshlrev_b32_e32 v3, 25, v2
	v_lshlrev_b16 v2, 8, v2
	s_delay_alu instid0(VALU_DEP_1) | instskip(SKIP_1) | instid1(VALU_DEP_2)
	v_and_or_b32 v5, 0x7f00, v2, 0.5
	v_bfe_i32 v2, v2, 0, 16
	v_dual_add_f32 v5, -0.5, v5 :: v_dual_lshrrev_b32 v4, 4, v3
	v_cmp_gt_u32_e32 vcc_lo, 0x8000000, v3
	s_delay_alu instid0(VALU_DEP_2) | instskip(NEXT) | instid1(VALU_DEP_1)
	v_or_b32_e32 v4, 0x70000000, v4
	v_mul_f32_e32 v4, 0x7800000, v4
	s_delay_alu instid0(VALU_DEP_1) | instskip(NEXT) | instid1(VALU_DEP_1)
	v_cndmask_b32_e32 v3, v4, v5, vcc_lo
	v_and_or_b32 v2, 0x80000000, v2, v3
	v_bfe_u32 v3, v3, 16, 1
	s_delay_alu instid0(VALU_DEP_2) | instskip(NEXT) | instid1(VALU_DEP_2)
	v_cmp_o_f32_e32 vcc_lo, v2, v2
	v_add3_u32 v3, v2, v3, 0x7fff
	s_delay_alu instid0(VALU_DEP_1) | instskip(NEXT) | instid1(VALU_DEP_1)
	v_lshrrev_b32_e32 v3, 16, v3
	v_cndmask_b32_e32 v2, 0x7fc0, v3, vcc_lo
.LBB92_468:
	s_mov_b32 s26, 0
	s_mov_b32 s24, -1
.LBB92_469:
	s_and_not1_b32 vcc_lo, exec_lo, s26
	s_cbranch_vccnz .LBB92_482
; %bb.470:
	s_cmp_gt_i32 s23, 14
	s_cbranch_scc0 .LBB92_473
; %bb.471:
	s_cmp_eq_u32 s23, 15
	s_cbranch_scc0 .LBB92_476
; %bb.472:
	s_wait_loadcnt 0x0
	global_load_u16 v2, v[0:1], off
	s_mov_b32 s24, -1
	s_mov_b32 s22, 0
	s_branch .LBB92_477
.LBB92_473:
	s_mov_b32 s26, -1
                                        ; implicit-def: $vgpr2
	s_branch .LBB92_478
.LBB92_474:
	s_or_saveexec_b32 s26, s26
	v_mov_b32_e32 v3, 0x7f800001
	s_xor_b32 exec_lo, exec_lo, s26
	s_cbranch_execz .LBB92_455
.LBB92_475:
	v_cmp_ne_u16_e32 vcc_lo, 0, v2
	v_mov_b32_e32 v3, 0
	s_and_not1_b32 s24, s24, exec_lo
	s_and_b32 s27, vcc_lo, exec_lo
	s_delay_alu instid0(SALU_CYCLE_1)
	s_or_b32 s24, s24, s27
	s_or_b32 exec_lo, exec_lo, s26
	s_and_saveexec_b32 s26, s24
	s_cbranch_execnz .LBB92_456
	s_branch .LBB92_457
.LBB92_476:
	s_mov_b32 s22, -1
                                        ; implicit-def: $vgpr2
.LBB92_477:
	s_mov_b32 s26, 0
.LBB92_478:
	s_delay_alu instid0(SALU_CYCLE_1)
	s_and_b32 vcc_lo, exec_lo, s26
	s_cbranch_vccz .LBB92_482
; %bb.479:
	s_cmp_eq_u32 s23, 11
	s_cbranch_scc0 .LBB92_481
; %bb.480:
	s_wait_loadcnt 0x0
	global_load_u8 v2, v[0:1], off
	s_mov_b32 s22, 0
	s_mov_b32 s24, -1
	s_wait_loadcnt 0x0
	v_cmp_ne_u16_e32 vcc_lo, 0, v2
	v_cndmask_b32_e64 v2, 0, 1.0, vcc_lo
	s_delay_alu instid0(VALU_DEP_1)
	v_lshrrev_b32_e32 v2, 16, v2
	s_branch .LBB92_482
.LBB92_481:
	s_mov_b32 s22, -1
                                        ; implicit-def: $vgpr2
.LBB92_482:
	s_branch .LBB92_397
.LBB92_483:
	s_and_b32 s0, 0xffff, s0
	s_delay_alu instid0(SALU_CYCLE_1)
	s_cmp_lt_i32 s0, 5
	s_cbranch_scc1 .LBB92_488
; %bb.484:
	s_cmp_lt_i32 s0, 8
	s_cbranch_scc1 .LBB92_489
; %bb.485:
	;; [unrolled: 3-line block ×3, first 2 shown]
	s_cmp_gt_i32 s0, 9
	s_cbranch_scc0 .LBB92_491
; %bb.487:
	s_wait_loadcnt 0x0
	global_load_b64 v[2:3], v[0:1], off
	s_mov_b32 s23, 0
	s_wait_loadcnt 0x0
	v_cvt_f32_f64_e32 v2, v[2:3]
	s_delay_alu instid0(VALU_DEP_1) | instskip(SKIP_1) | instid1(VALU_DEP_2)
	v_bfe_u32 v3, v2, 16, 1
	v_cmp_o_f32_e32 vcc_lo, v2, v2
	v_add3_u32 v3, v2, v3, 0x7fff
	s_delay_alu instid0(VALU_DEP_1) | instskip(NEXT) | instid1(VALU_DEP_1)
	v_lshrrev_b32_e32 v3, 16, v3
	v_cndmask_b32_e32 v2, 0x7fc0, v3, vcc_lo
	s_branch .LBB92_492
.LBB92_488:
	s_mov_b32 s23, -1
                                        ; implicit-def: $vgpr2
	s_branch .LBB92_510
.LBB92_489:
	s_mov_b32 s23, -1
                                        ; implicit-def: $vgpr2
	s_branch .LBB92_498
.LBB92_490:
	s_mov_b32 s23, -1
                                        ; implicit-def: $vgpr2
	s_branch .LBB92_495
.LBB92_491:
	s_mov_b32 s23, -1
                                        ; implicit-def: $vgpr2
.LBB92_492:
	s_delay_alu instid0(SALU_CYCLE_1)
	s_and_not1_b32 vcc_lo, exec_lo, s23
	s_cbranch_vccnz .LBB92_494
; %bb.493:
	s_wait_loadcnt 0x0
	global_load_b32 v2, v[0:1], off
	s_wait_loadcnt 0x0
	v_bfe_u32 v3, v2, 16, 1
	v_cmp_o_f32_e32 vcc_lo, v2, v2
	s_delay_alu instid0(VALU_DEP_2) | instskip(NEXT) | instid1(VALU_DEP_1)
	v_add3_u32 v3, v2, v3, 0x7fff
	v_lshrrev_b32_e32 v3, 16, v3
	s_delay_alu instid0(VALU_DEP_1)
	v_cndmask_b32_e32 v2, 0x7fc0, v3, vcc_lo
.LBB92_494:
	s_mov_b32 s23, 0
.LBB92_495:
	s_delay_alu instid0(SALU_CYCLE_1)
	s_and_not1_b32 vcc_lo, exec_lo, s23
	s_cbranch_vccnz .LBB92_497
; %bb.496:
	s_wait_loadcnt 0x0
	global_load_b32 v2, v[0:1], off
	s_wait_loadcnt 0x0
	v_cvt_f32_f16_e32 v3, v2
	v_cmp_o_f16_e32 vcc_lo, v2, v2
	s_delay_alu instid0(VALU_DEP_2) | instskip(NEXT) | instid1(VALU_DEP_1)
	v_bfe_u32 v4, v3, 16, 1
	v_add3_u32 v3, v3, v4, 0x7fff
	s_delay_alu instid0(VALU_DEP_1) | instskip(NEXT) | instid1(VALU_DEP_1)
	v_lshrrev_b32_e32 v3, 16, v3
	v_cndmask_b32_e32 v2, 0x7fc0, v3, vcc_lo
.LBB92_497:
	s_mov_b32 s23, 0
.LBB92_498:
	s_delay_alu instid0(SALU_CYCLE_1)
	s_and_not1_b32 vcc_lo, exec_lo, s23
	s_cbranch_vccnz .LBB92_509
; %bb.499:
	s_cmp_lt_i32 s0, 6
	s_cbranch_scc1 .LBB92_502
; %bb.500:
	s_cmp_gt_i32 s0, 6
	s_cbranch_scc0 .LBB92_503
; %bb.501:
	s_wait_loadcnt 0x0
	global_load_b64 v[2:3], v[0:1], off
	s_mov_b32 s23, 0
	s_wait_loadcnt 0x0
	v_cvt_f32_f64_e32 v2, v[2:3]
	s_delay_alu instid0(VALU_DEP_1) | instskip(SKIP_1) | instid1(VALU_DEP_2)
	v_bfe_u32 v3, v2, 16, 1
	v_cmp_o_f32_e32 vcc_lo, v2, v2
	v_add3_u32 v3, v2, v3, 0x7fff
	s_delay_alu instid0(VALU_DEP_1) | instskip(NEXT) | instid1(VALU_DEP_1)
	v_lshrrev_b32_e32 v3, 16, v3
	v_cndmask_b32_e32 v2, 0x7fc0, v3, vcc_lo
	s_branch .LBB92_504
.LBB92_502:
	s_mov_b32 s23, -1
                                        ; implicit-def: $vgpr2
	s_branch .LBB92_507
.LBB92_503:
	s_mov_b32 s23, -1
                                        ; implicit-def: $vgpr2
.LBB92_504:
	s_delay_alu instid0(SALU_CYCLE_1)
	s_and_not1_b32 vcc_lo, exec_lo, s23
	s_cbranch_vccnz .LBB92_506
; %bb.505:
	s_wait_loadcnt 0x0
	global_load_b32 v2, v[0:1], off
	s_wait_loadcnt 0x0
	v_bfe_u32 v3, v2, 16, 1
	v_cmp_o_f32_e32 vcc_lo, v2, v2
	s_delay_alu instid0(VALU_DEP_2) | instskip(NEXT) | instid1(VALU_DEP_1)
	v_add3_u32 v3, v2, v3, 0x7fff
	v_lshrrev_b32_e32 v3, 16, v3
	s_delay_alu instid0(VALU_DEP_1)
	v_cndmask_b32_e32 v2, 0x7fc0, v3, vcc_lo
.LBB92_506:
	s_mov_b32 s23, 0
.LBB92_507:
	s_delay_alu instid0(SALU_CYCLE_1)
	s_and_not1_b32 vcc_lo, exec_lo, s23
	s_cbranch_vccnz .LBB92_509
; %bb.508:
	s_wait_loadcnt 0x0
	global_load_u16 v2, v[0:1], off
	s_wait_loadcnt 0x0
	v_cvt_f32_f16_e32 v3, v2
	v_cmp_o_f16_e32 vcc_lo, v2, v2
	s_delay_alu instid0(VALU_DEP_2) | instskip(NEXT) | instid1(VALU_DEP_1)
	v_bfe_u32 v4, v3, 16, 1
	v_add3_u32 v3, v3, v4, 0x7fff
	s_delay_alu instid0(VALU_DEP_1) | instskip(NEXT) | instid1(VALU_DEP_1)
	v_lshrrev_b32_e32 v3, 16, v3
	v_cndmask_b32_e32 v2, 0x7fc0, v3, vcc_lo
.LBB92_509:
	s_mov_b32 s23, 0
.LBB92_510:
	s_delay_alu instid0(SALU_CYCLE_1)
	s_and_not1_b32 vcc_lo, exec_lo, s23
	s_cbranch_vccnz .LBB92_530
; %bb.511:
	s_cmp_lt_i32 s0, 2
	s_cbranch_scc1 .LBB92_515
; %bb.512:
	s_cmp_lt_i32 s0, 3
	s_cbranch_scc1 .LBB92_516
; %bb.513:
	s_cmp_gt_i32 s0, 3
	s_cbranch_scc0 .LBB92_517
; %bb.514:
	s_wait_loadcnt 0x0
	global_load_b64 v[2:3], v[0:1], off
	s_mov_b32 s23, 0
	s_wait_loadcnt 0x0
	v_xor_b32_e32 v4, v2, v3
	v_cls_i32_e32 v5, v3
	s_delay_alu instid0(VALU_DEP_2) | instskip(NEXT) | instid1(VALU_DEP_1)
	v_ashrrev_i32_e32 v4, 31, v4
	v_add_nc_u32_e32 v4, 32, v4
	s_delay_alu instid0(VALU_DEP_1) | instskip(NEXT) | instid1(VALU_DEP_1)
	v_add_min_u32_e64 v4, v5, -1, v4
	v_lshlrev_b64_e32 v[2:3], v4, v[2:3]
	s_delay_alu instid0(VALU_DEP_1) | instskip(NEXT) | instid1(VALU_DEP_1)
	v_min_u32_e32 v2, 1, v2
	v_dual_sub_nc_u32 v3, 32, v4 :: v_dual_bitop2_b32 v2, v3, v2 bitop3:0x54
	s_delay_alu instid0(VALU_DEP_1) | instskip(NEXT) | instid1(VALU_DEP_1)
	v_cvt_f32_i32_e32 v2, v2
	v_ldexp_f32 v2, v2, v3
	s_delay_alu instid0(VALU_DEP_1) | instskip(NEXT) | instid1(VALU_DEP_1)
	v_bfe_u32 v3, v2, 16, 1
	v_add3_u32 v2, v2, v3, 0x7fff
	s_delay_alu instid0(VALU_DEP_1)
	v_lshrrev_b32_e32 v2, 16, v2
	s_branch .LBB92_518
.LBB92_515:
	s_mov_b32 s23, -1
                                        ; implicit-def: $vgpr2
	s_branch .LBB92_524
.LBB92_516:
	s_mov_b32 s23, -1
                                        ; implicit-def: $vgpr2
	s_branch .LBB92_521
.LBB92_517:
	s_mov_b32 s23, -1
                                        ; implicit-def: $vgpr2
.LBB92_518:
	s_delay_alu instid0(SALU_CYCLE_1)
	s_and_not1_b32 vcc_lo, exec_lo, s23
	s_cbranch_vccnz .LBB92_520
; %bb.519:
	s_wait_loadcnt 0x0
	global_load_b32 v2, v[0:1], off
	s_wait_loadcnt 0x0
	v_cvt_f32_i32_e32 v2, v2
	s_delay_alu instid0(VALU_DEP_1) | instskip(NEXT) | instid1(VALU_DEP_1)
	v_bfe_u32 v3, v2, 16, 1
	v_add3_u32 v2, v2, v3, 0x7fff
	s_delay_alu instid0(VALU_DEP_1)
	v_lshrrev_b32_e32 v2, 16, v2
.LBB92_520:
	s_mov_b32 s23, 0
.LBB92_521:
	s_delay_alu instid0(SALU_CYCLE_1)
	s_and_not1_b32 vcc_lo, exec_lo, s23
	s_cbranch_vccnz .LBB92_523
; %bb.522:
	s_wait_loadcnt 0x0
	global_load_i16 v2, v[0:1], off
	s_wait_loadcnt 0x0
	v_cvt_f32_i32_e32 v2, v2
	s_delay_alu instid0(VALU_DEP_1) | instskip(NEXT) | instid1(VALU_DEP_1)
	v_bfe_u32 v3, v2, 16, 1
	v_add3_u32 v2, v2, v3, 0x7fff
	s_delay_alu instid0(VALU_DEP_1)
	v_lshrrev_b32_e32 v2, 16, v2
.LBB92_523:
	s_mov_b32 s23, 0
.LBB92_524:
	s_delay_alu instid0(SALU_CYCLE_1)
	s_and_not1_b32 vcc_lo, exec_lo, s23
	s_cbranch_vccnz .LBB92_530
; %bb.525:
	s_cmp_gt_i32 s0, 0
	s_mov_b32 s0, 0
	s_cbranch_scc0 .LBB92_527
; %bb.526:
	s_wait_loadcnt 0x0
	global_load_i8 v2, v[0:1], off
	s_wait_loadcnt 0x0
	v_cvt_f32_i32_e32 v2, v2
	s_delay_alu instid0(VALU_DEP_1) | instskip(NEXT) | instid1(VALU_DEP_1)
	v_bfe_u32 v3, v2, 16, 1
	v_add3_u32 v2, v2, v3, 0x7fff
	s_delay_alu instid0(VALU_DEP_1)
	v_lshrrev_b32_e32 v2, 16, v2
	s_branch .LBB92_528
.LBB92_527:
	s_mov_b32 s0, -1
                                        ; implicit-def: $vgpr2
.LBB92_528:
	s_delay_alu instid0(SALU_CYCLE_1)
	s_and_not1_b32 vcc_lo, exec_lo, s0
	s_cbranch_vccnz .LBB92_530
; %bb.529:
	global_load_u8 v0, v[0:1], off
	s_wait_loadcnt 0x0
	v_cvt_f32_ubyte0_e32 v0, v0
	s_delay_alu instid0(VALU_DEP_1) | instskip(NEXT) | instid1(VALU_DEP_1)
	v_bfe_u32 v1, v0, 16, 1
	v_add3_u32 v0, v0, v1, 0x7fff
	s_delay_alu instid0(VALU_DEP_1)
	v_lshrrev_b32_e32 v2, 16, v0
.LBB92_530:
	s_branch .LBB92_398
.LBB92_531:
	s_mov_b32 s26, 0
	s_mov_b32 s0, s17
	;; [unrolled: 1-line block ×3, first 2 shown]
	s_branch .LBB92_777
.LBB92_532:
	s_and_not1_saveexec_b32 s26, s26
	s_cbranch_execz .LBB92_195
.LBB92_533:
	v_add_f32_e64 v4, 0x42800000, |v5|
	s_and_not1_b32 s25, s25, exec_lo
	s_delay_alu instid0(VALU_DEP_1) | instskip(NEXT) | instid1(VALU_DEP_1)
	v_and_b32_e32 v4, 0xff, v4
	v_cmp_ne_u32_e32 vcc_lo, 0, v4
	s_and_b32 s27, vcc_lo, exec_lo
	s_delay_alu instid0(SALU_CYCLE_1)
	s_or_b32 s25, s25, s27
	s_or_b32 exec_lo, exec_lo, s26
	v_mov_b32_e32 v7, 0
	s_and_saveexec_b32 s26, s25
	s_cbranch_execnz .LBB92_196
	s_branch .LBB92_197
.LBB92_534:
	s_mov_b32 s24, -1
	s_mov_b32 s26, 0
.LBB92_535:
                                        ; implicit-def: $vgpr3
.LBB92_536:
	s_and_b32 vcc_lo, exec_lo, s27
	s_cbranch_vccz .LBB92_540
; %bb.537:
	s_cmp_eq_u32 s23, 44
	s_cbranch_scc0 .LBB92_539
; %bb.538:
	s_wait_loadcnt 0x0
	global_load_u8 v3, v[0:1], off
	s_mov_b32 s24, 0
	s_mov_b32 s26, -1
	s_wait_loadcnt 0x0
	v_lshlrev_b32_e32 v4, 23, v3
	v_cmp_ne_u32_e32 vcc_lo, 0xff, v3
	s_delay_alu instid0(VALU_DEP_2) | instskip(SKIP_1) | instid1(VALU_DEP_2)
	v_cndmask_b32_e32 v4, 0x7f800001, v4, vcc_lo
	v_cmp_ne_u32_e32 vcc_lo, 0, v3
	v_cndmask_b32_e32 v3, 0x400000, v4, vcc_lo
	s_delay_alu instid0(VALU_DEP_1) | instskip(NEXT) | instid1(VALU_DEP_1)
	v_add_nc_u32_e32 v4, 0x7fff, v3
	v_lshrrev_b32_e32 v4, 16, v4
	v_cmp_o_f32_e32 vcc_lo, v3, v3
	s_delay_alu instid0(VALU_DEP_2)
	v_cndmask_b32_e32 v3, 0x7fc0, v4, vcc_lo
	s_branch .LBB92_540
.LBB92_539:
	s_mov_b32 s24, -1
                                        ; implicit-def: $vgpr3
.LBB92_540:
	s_mov_b32 s27, 0
.LBB92_541:
	s_delay_alu instid0(SALU_CYCLE_1)
	s_and_b32 vcc_lo, exec_lo, s27
	s_cbranch_vccz .LBB92_545
; %bb.542:
	s_cmp_eq_u32 s23, 29
	s_cbranch_scc0 .LBB92_544
; %bb.543:
	global_load_b64 v[4:5], v[0:1], off
	s_mov_b32 s26, -1
	s_mov_b32 s24, 0
	s_mov_b32 s27, 0
	s_wait_loadcnt 0x0
	v_clz_i32_u32_e32 v3, v5
	s_delay_alu instid0(VALU_DEP_1) | instskip(NEXT) | instid1(VALU_DEP_1)
	v_min_u32_e32 v3, 32, v3
	v_lshlrev_b64_e32 v[4:5], v3, v[4:5]
	v_sub_nc_u32_e32 v3, 32, v3
	s_delay_alu instid0(VALU_DEP_2) | instskip(NEXT) | instid1(VALU_DEP_1)
	v_min_u32_e32 v4, 1, v4
	v_or_b32_e32 v4, v5, v4
	s_delay_alu instid0(VALU_DEP_1) | instskip(NEXT) | instid1(VALU_DEP_1)
	v_cvt_f32_u32_e32 v4, v4
	v_ldexp_f32 v3, v4, v3
	s_delay_alu instid0(VALU_DEP_1) | instskip(NEXT) | instid1(VALU_DEP_1)
	v_bfe_u32 v4, v3, 16, 1
	v_add3_u32 v3, v3, v4, 0x7fff
	s_delay_alu instid0(VALU_DEP_1)
	v_lshrrev_b32_e32 v3, 16, v3
	s_branch .LBB92_546
.LBB92_544:
	s_mov_b32 s24, -1
                                        ; implicit-def: $vgpr3
.LBB92_545:
	s_mov_b32 s27, 0
.LBB92_546:
	s_delay_alu instid0(SALU_CYCLE_1)
	s_and_b32 vcc_lo, exec_lo, s27
	s_cbranch_vccz .LBB92_564
; %bb.547:
	s_cmp_lt_i32 s23, 27
	s_cbranch_scc1 .LBB92_550
; %bb.548:
	s_cmp_gt_i32 s23, 27
	s_cbranch_scc0 .LBB92_551
; %bb.549:
	s_wait_loadcnt 0x0
	global_load_b32 v3, v[0:1], off
	s_mov_b32 s26, 0
	s_wait_loadcnt 0x0
	v_cvt_f32_u32_e32 v3, v3
	s_delay_alu instid0(VALU_DEP_1) | instskip(NEXT) | instid1(VALU_DEP_1)
	v_bfe_u32 v4, v3, 16, 1
	v_add3_u32 v3, v3, v4, 0x7fff
	s_delay_alu instid0(VALU_DEP_1)
	v_lshrrev_b32_e32 v3, 16, v3
	s_branch .LBB92_552
.LBB92_550:
	s_mov_b32 s26, -1
                                        ; implicit-def: $vgpr3
	s_branch .LBB92_555
.LBB92_551:
	s_mov_b32 s26, -1
                                        ; implicit-def: $vgpr3
.LBB92_552:
	s_delay_alu instid0(SALU_CYCLE_1)
	s_and_not1_b32 vcc_lo, exec_lo, s26
	s_cbranch_vccnz .LBB92_554
; %bb.553:
	s_wait_loadcnt 0x0
	global_load_u16 v3, v[0:1], off
	s_wait_loadcnt 0x0
	v_cvt_f32_u32_e32 v3, v3
	s_delay_alu instid0(VALU_DEP_1) | instskip(NEXT) | instid1(VALU_DEP_1)
	v_bfe_u32 v4, v3, 16, 1
	v_add3_u32 v3, v3, v4, 0x7fff
	s_delay_alu instid0(VALU_DEP_1)
	v_lshrrev_b32_e32 v3, 16, v3
.LBB92_554:
	s_mov_b32 s26, 0
.LBB92_555:
	s_delay_alu instid0(SALU_CYCLE_1)
	s_and_not1_b32 vcc_lo, exec_lo, s26
	s_cbranch_vccnz .LBB92_563
; %bb.556:
	s_wait_loadcnt 0x0
	global_load_u8 v3, v[0:1], off
	s_mov_b32 s26, 0
	s_mov_b32 s27, exec_lo
	s_wait_loadcnt 0x0
	v_cmpx_lt_i16_e32 0x7f, v3
	s_xor_b32 s27, exec_lo, s27
	s_cbranch_execz .LBB92_577
; %bb.557:
	s_mov_b32 s26, -1
	s_mov_b32 s28, exec_lo
	v_cmpx_eq_u16_e32 0x80, v3
; %bb.558:
	s_xor_b32 s26, exec_lo, -1
; %bb.559:
	s_or_b32 exec_lo, exec_lo, s28
	s_delay_alu instid0(SALU_CYCLE_1)
	s_and_b32 s26, s26, exec_lo
	s_or_saveexec_b32 s27, s27
	v_mov_b32_e32 v4, 0x7f800001
	s_xor_b32 exec_lo, exec_lo, s27
	s_cbranch_execnz .LBB92_578
.LBB92_560:
	s_or_b32 exec_lo, exec_lo, s27
	s_and_saveexec_b32 s27, s26
	s_cbranch_execz .LBB92_562
.LBB92_561:
	v_and_b32_e32 v4, 0xffff, v3
	s_delay_alu instid0(VALU_DEP_1) | instskip(SKIP_1) | instid1(VALU_DEP_2)
	v_and_b32_e32 v5, 7, v4
	v_bfe_u32 v9, v4, 3, 4
	v_clz_i32_u32_e32 v7, v5
	s_delay_alu instid0(VALU_DEP_2) | instskip(NEXT) | instid1(VALU_DEP_2)
	v_cmp_eq_u32_e32 vcc_lo, 0, v9
	v_min_u32_e32 v7, 32, v7
	s_delay_alu instid0(VALU_DEP_1) | instskip(NEXT) | instid1(VALU_DEP_1)
	v_subrev_nc_u32_e32 v8, 28, v7
	v_dual_lshlrev_b32 v4, v8, v4 :: v_dual_sub_nc_u32 v7, 29, v7
	s_delay_alu instid0(VALU_DEP_1) | instskip(NEXT) | instid1(VALU_DEP_1)
	v_dual_lshlrev_b32 v3, 24, v3 :: v_dual_bitop2_b32 v4, 7, v4 bitop3:0x40
	v_cndmask_b32_e32 v4, v5, v4, vcc_lo
	s_delay_alu instid0(VALU_DEP_3) | instskip(NEXT) | instid1(VALU_DEP_3)
	v_cndmask_b32_e32 v7, v9, v7, vcc_lo
	v_and_b32_e32 v3, 0x80000000, v3
	s_delay_alu instid0(VALU_DEP_3) | instskip(NEXT) | instid1(VALU_DEP_3)
	v_lshlrev_b32_e32 v4, 20, v4
	v_lshl_add_u32 v5, v7, 23, 0x3b800000
	s_delay_alu instid0(VALU_DEP_1)
	v_or3_b32 v4, v3, v5, v4
.LBB92_562:
	s_or_b32 exec_lo, exec_lo, s27
	s_delay_alu instid0(VALU_DEP_1) | instskip(SKIP_1) | instid1(VALU_DEP_2)
	v_bfe_u32 v3, v4, 16, 1
	v_cmp_o_f32_e32 vcc_lo, v4, v4
	v_add3_u32 v3, v4, v3, 0x7fff
	s_delay_alu instid0(VALU_DEP_1) | instskip(NEXT) | instid1(VALU_DEP_1)
	v_lshrrev_b32_e32 v3, 16, v3
	v_cndmask_b32_e32 v3, 0x7fc0, v3, vcc_lo
.LBB92_563:
	s_mov_b32 s26, -1
.LBB92_564:
	s_mov_b32 s27, 0
.LBB92_565:
	s_delay_alu instid0(SALU_CYCLE_1)
	s_and_b32 vcc_lo, exec_lo, s27
	s_cbranch_vccz .LBB92_600
; %bb.566:
	s_cmp_gt_i32 s23, 22
	s_cbranch_scc0 .LBB92_576
; %bb.567:
	s_cmp_lt_i32 s23, 24
	s_cbranch_scc1 .LBB92_579
; %bb.568:
	s_cmp_gt_i32 s23, 24
	s_cbranch_scc0 .LBB92_580
; %bb.569:
	s_wait_loadcnt 0x0
	global_load_u8 v3, v[0:1], off
	s_mov_b32 s26, 0
	s_mov_b32 s27, exec_lo
	s_wait_loadcnt 0x0
	v_cmpx_lt_i16_e32 0x7f, v3
	s_xor_b32 s27, exec_lo, s27
	s_cbranch_execz .LBB92_592
; %bb.570:
	s_mov_b32 s26, -1
	s_mov_b32 s28, exec_lo
	v_cmpx_eq_u16_e32 0x80, v3
; %bb.571:
	s_xor_b32 s26, exec_lo, -1
; %bb.572:
	s_or_b32 exec_lo, exec_lo, s28
	s_delay_alu instid0(SALU_CYCLE_1)
	s_and_b32 s26, s26, exec_lo
	s_or_saveexec_b32 s27, s27
	v_mov_b32_e32 v4, 0x7f800001
	s_xor_b32 exec_lo, exec_lo, s27
	s_cbranch_execnz .LBB92_593
.LBB92_573:
	s_or_b32 exec_lo, exec_lo, s27
	s_and_saveexec_b32 s27, s26
	s_cbranch_execz .LBB92_575
.LBB92_574:
	v_and_b32_e32 v4, 0xffff, v3
	s_delay_alu instid0(VALU_DEP_1) | instskip(SKIP_1) | instid1(VALU_DEP_2)
	v_and_b32_e32 v5, 3, v4
	v_bfe_u32 v9, v4, 2, 5
	v_clz_i32_u32_e32 v7, v5
	s_delay_alu instid0(VALU_DEP_2) | instskip(NEXT) | instid1(VALU_DEP_2)
	v_cmp_eq_u32_e32 vcc_lo, 0, v9
	v_min_u32_e32 v7, 32, v7
	s_delay_alu instid0(VALU_DEP_1) | instskip(NEXT) | instid1(VALU_DEP_1)
	v_subrev_nc_u32_e32 v8, 29, v7
	v_dual_lshlrev_b32 v4, v8, v4 :: v_dual_sub_nc_u32 v7, 30, v7
	s_delay_alu instid0(VALU_DEP_1) | instskip(NEXT) | instid1(VALU_DEP_1)
	v_dual_lshlrev_b32 v3, 24, v3 :: v_dual_bitop2_b32 v4, 3, v4 bitop3:0x40
	v_cndmask_b32_e32 v4, v5, v4, vcc_lo
	s_delay_alu instid0(VALU_DEP_3) | instskip(NEXT) | instid1(VALU_DEP_3)
	v_cndmask_b32_e32 v7, v9, v7, vcc_lo
	v_and_b32_e32 v3, 0x80000000, v3
	s_delay_alu instid0(VALU_DEP_3) | instskip(NEXT) | instid1(VALU_DEP_3)
	v_lshlrev_b32_e32 v4, 21, v4
	v_lshl_add_u32 v5, v7, 23, 0x37800000
	s_delay_alu instid0(VALU_DEP_1)
	v_or3_b32 v4, v3, v5, v4
.LBB92_575:
	s_or_b32 exec_lo, exec_lo, s27
	s_delay_alu instid0(VALU_DEP_1) | instskip(SKIP_2) | instid1(VALU_DEP_2)
	v_bfe_u32 v3, v4, 16, 1
	v_cmp_o_f32_e32 vcc_lo, v4, v4
	s_mov_b32 s26, 0
	v_add3_u32 v3, v4, v3, 0x7fff
	s_delay_alu instid0(VALU_DEP_1) | instskip(NEXT) | instid1(VALU_DEP_1)
	v_lshrrev_b32_e32 v3, 16, v3
	v_cndmask_b32_e32 v3, 0x7fc0, v3, vcc_lo
	s_branch .LBB92_581
.LBB92_576:
	s_mov_b32 s27, -1
                                        ; implicit-def: $vgpr3
	s_branch .LBB92_587
.LBB92_577:
	s_or_saveexec_b32 s27, s27
	v_mov_b32_e32 v4, 0x7f800001
	s_xor_b32 exec_lo, exec_lo, s27
	s_cbranch_execz .LBB92_560
.LBB92_578:
	v_cmp_ne_u16_e32 vcc_lo, 0, v3
	v_mov_b32_e32 v4, 0
	s_and_not1_b32 s26, s26, exec_lo
	s_and_b32 s28, vcc_lo, exec_lo
	s_delay_alu instid0(SALU_CYCLE_1)
	s_or_b32 s26, s26, s28
	s_or_b32 exec_lo, exec_lo, s27
	s_and_saveexec_b32 s27, s26
	s_cbranch_execnz .LBB92_561
	s_branch .LBB92_562
.LBB92_579:
	s_mov_b32 s26, -1
                                        ; implicit-def: $vgpr3
	s_branch .LBB92_584
.LBB92_580:
	s_mov_b32 s26, -1
                                        ; implicit-def: $vgpr3
.LBB92_581:
	s_delay_alu instid0(SALU_CYCLE_1)
	s_and_b32 vcc_lo, exec_lo, s26
	s_cbranch_vccz .LBB92_583
; %bb.582:
	s_wait_loadcnt 0x0
	global_load_u8 v3, v[0:1], off
	s_wait_loadcnt 0x0
	v_lshlrev_b32_e32 v3, 24, v3
	s_delay_alu instid0(VALU_DEP_1) | instskip(NEXT) | instid1(VALU_DEP_1)
	v_and_b32_e32 v4, 0x7f000000, v3
	v_clz_i32_u32_e32 v5, v4
	v_add_nc_u32_e32 v8, 0x1000000, v4
	v_cmp_ne_u32_e32 vcc_lo, 0, v4
	s_delay_alu instid0(VALU_DEP_3) | instskip(NEXT) | instid1(VALU_DEP_1)
	v_min_u32_e32 v5, 32, v5
	v_sub_nc_u32_e64 v5, v5, 4 clamp
	s_delay_alu instid0(VALU_DEP_1) | instskip(NEXT) | instid1(VALU_DEP_1)
	v_dual_lshlrev_b32 v7, v5, v4 :: v_dual_lshlrev_b32 v5, 23, v5
	v_lshrrev_b32_e32 v7, 4, v7
	s_delay_alu instid0(VALU_DEP_1) | instskip(NEXT) | instid1(VALU_DEP_1)
	v_dual_sub_nc_u32 v5, v7, v5 :: v_dual_ashrrev_i32 v7, 8, v8
	v_add_nc_u32_e32 v5, 0x3c000000, v5
	s_delay_alu instid0(VALU_DEP_1) | instskip(NEXT) | instid1(VALU_DEP_1)
	v_and_or_b32 v5, 0x7f800000, v7, v5
	v_cndmask_b32_e32 v4, 0, v5, vcc_lo
	s_delay_alu instid0(VALU_DEP_1) | instskip(SKIP_1) | instid1(VALU_DEP_2)
	v_and_or_b32 v3, 0x80000000, v3, v4
	v_bfe_u32 v4, v4, 16, 1
	v_cmp_o_f32_e32 vcc_lo, v3, v3
	s_delay_alu instid0(VALU_DEP_2) | instskip(NEXT) | instid1(VALU_DEP_1)
	v_add3_u32 v4, v3, v4, 0x7fff
	v_lshrrev_b32_e32 v4, 16, v4
	s_delay_alu instid0(VALU_DEP_1)
	v_cndmask_b32_e32 v3, 0x7fc0, v4, vcc_lo
.LBB92_583:
	s_mov_b32 s26, 0
.LBB92_584:
	s_delay_alu instid0(SALU_CYCLE_1)
	s_and_not1_b32 vcc_lo, exec_lo, s26
	s_cbranch_vccnz .LBB92_586
; %bb.585:
	s_wait_loadcnt 0x0
	global_load_u8 v3, v[0:1], off
	s_wait_loadcnt 0x0
	v_lshlrev_b32_e32 v4, 25, v3
	v_lshlrev_b16 v3, 8, v3
	s_delay_alu instid0(VALU_DEP_1) | instskip(NEXT) | instid1(VALU_DEP_3)
	v_and_or_b32 v7, 0x7f00, v3, 0.5
	v_lshrrev_b32_e32 v5, 4, v4
	v_bfe_i32 v3, v3, 0, 16
	s_delay_alu instid0(VALU_DEP_3) | instskip(NEXT) | instid1(VALU_DEP_3)
	v_add_f32_e32 v7, -0.5, v7
	v_or_b32_e32 v5, 0x70000000, v5
	s_delay_alu instid0(VALU_DEP_1) | instskip(SKIP_1) | instid1(VALU_DEP_2)
	v_mul_f32_e32 v5, 0x7800000, v5
	v_cmp_gt_u32_e32 vcc_lo, 0x8000000, v4
	v_cndmask_b32_e32 v4, v5, v7, vcc_lo
	s_delay_alu instid0(VALU_DEP_1) | instskip(SKIP_1) | instid1(VALU_DEP_2)
	v_and_or_b32 v3, 0x80000000, v3, v4
	v_bfe_u32 v4, v4, 16, 1
	v_cmp_o_f32_e32 vcc_lo, v3, v3
	s_delay_alu instid0(VALU_DEP_2) | instskip(NEXT) | instid1(VALU_DEP_1)
	v_add3_u32 v4, v3, v4, 0x7fff
	v_lshrrev_b32_e32 v4, 16, v4
	s_delay_alu instid0(VALU_DEP_1)
	v_cndmask_b32_e32 v3, 0x7fc0, v4, vcc_lo
.LBB92_586:
	s_mov_b32 s27, 0
	s_mov_b32 s26, -1
.LBB92_587:
	s_and_not1_b32 vcc_lo, exec_lo, s27
	s_cbranch_vccnz .LBB92_600
; %bb.588:
	s_cmp_gt_i32 s23, 14
	s_cbranch_scc0 .LBB92_591
; %bb.589:
	s_cmp_eq_u32 s23, 15
	s_cbranch_scc0 .LBB92_594
; %bb.590:
	s_wait_loadcnt 0x0
	global_load_u16 v3, v[0:1], off
	s_mov_b32 s26, -1
	s_mov_b32 s24, 0
	s_branch .LBB92_595
.LBB92_591:
	s_mov_b32 s27, -1
                                        ; implicit-def: $vgpr3
	s_branch .LBB92_596
.LBB92_592:
	s_or_saveexec_b32 s27, s27
	v_mov_b32_e32 v4, 0x7f800001
	s_xor_b32 exec_lo, exec_lo, s27
	s_cbranch_execz .LBB92_573
.LBB92_593:
	v_cmp_ne_u16_e32 vcc_lo, 0, v3
	v_mov_b32_e32 v4, 0
	s_and_not1_b32 s26, s26, exec_lo
	s_and_b32 s28, vcc_lo, exec_lo
	s_delay_alu instid0(SALU_CYCLE_1)
	s_or_b32 s26, s26, s28
	s_or_b32 exec_lo, exec_lo, s27
	s_and_saveexec_b32 s27, s26
	s_cbranch_execnz .LBB92_574
	s_branch .LBB92_575
.LBB92_594:
	s_mov_b32 s24, -1
                                        ; implicit-def: $vgpr3
.LBB92_595:
	s_mov_b32 s27, 0
.LBB92_596:
	s_delay_alu instid0(SALU_CYCLE_1)
	s_and_b32 vcc_lo, exec_lo, s27
	s_cbranch_vccz .LBB92_600
; %bb.597:
	s_cmp_eq_u32 s23, 11
	s_cbranch_scc0 .LBB92_599
; %bb.598:
	s_wait_loadcnt 0x0
	global_load_u8 v3, v[0:1], off
	s_mov_b32 s24, 0
	s_mov_b32 s26, -1
	s_wait_loadcnt 0x0
	v_cmp_ne_u16_e32 vcc_lo, 0, v3
	v_cndmask_b32_e64 v3, 0, 1.0, vcc_lo
	s_delay_alu instid0(VALU_DEP_1)
	v_lshrrev_b32_e32 v3, 16, v3
	s_branch .LBB92_600
.LBB92_599:
	s_mov_b32 s24, -1
                                        ; implicit-def: $vgpr3
.LBB92_600:
	s_mov_b32 s23, 0
.LBB92_601:
	s_delay_alu instid0(SALU_CYCLE_1)
	s_and_b32 vcc_lo, exec_lo, s23
	s_cbranch_vccz .LBB92_650
; %bb.602:
	s_and_b32 s0, 0xffff, s0
	s_delay_alu instid0(SALU_CYCLE_1)
	s_cmp_lt_i32 s0, 5
	s_cbranch_scc1 .LBB92_607
; %bb.603:
	s_cmp_lt_i32 s0, 8
	s_cbranch_scc1 .LBB92_608
; %bb.604:
	;; [unrolled: 3-line block ×3, first 2 shown]
	s_cmp_gt_i32 s0, 9
	s_cbranch_scc0 .LBB92_610
; %bb.606:
	global_load_b64 v[4:5], v[0:1], off
	s_mov_b32 s23, 0
	s_wait_loadcnt 0x0
	v_cvt_f32_f64_e32 v3, v[4:5]
	s_delay_alu instid0(VALU_DEP_1) | instskip(SKIP_1) | instid1(VALU_DEP_2)
	v_bfe_u32 v4, v3, 16, 1
	v_cmp_o_f32_e32 vcc_lo, v3, v3
	v_add3_u32 v4, v3, v4, 0x7fff
	s_delay_alu instid0(VALU_DEP_1) | instskip(NEXT) | instid1(VALU_DEP_1)
	v_lshrrev_b32_e32 v4, 16, v4
	v_cndmask_b32_e32 v3, 0x7fc0, v4, vcc_lo
	s_branch .LBB92_611
.LBB92_607:
	s_mov_b32 s23, -1
                                        ; implicit-def: $vgpr3
	s_branch .LBB92_629
.LBB92_608:
	s_mov_b32 s23, -1
                                        ; implicit-def: $vgpr3
	s_branch .LBB92_617
.LBB92_609:
	s_mov_b32 s23, -1
                                        ; implicit-def: $vgpr3
	s_branch .LBB92_614
.LBB92_610:
	s_mov_b32 s23, -1
                                        ; implicit-def: $vgpr3
.LBB92_611:
	s_delay_alu instid0(SALU_CYCLE_1)
	s_and_not1_b32 vcc_lo, exec_lo, s23
	s_cbranch_vccnz .LBB92_613
; %bb.612:
	s_wait_loadcnt 0x0
	global_load_b32 v3, v[0:1], off
	s_wait_loadcnt 0x0
	v_bfe_u32 v4, v3, 16, 1
	v_cmp_o_f32_e32 vcc_lo, v3, v3
	s_delay_alu instid0(VALU_DEP_2) | instskip(NEXT) | instid1(VALU_DEP_1)
	v_add3_u32 v4, v3, v4, 0x7fff
	v_lshrrev_b32_e32 v4, 16, v4
	s_delay_alu instid0(VALU_DEP_1)
	v_cndmask_b32_e32 v3, 0x7fc0, v4, vcc_lo
.LBB92_613:
	s_mov_b32 s23, 0
.LBB92_614:
	s_delay_alu instid0(SALU_CYCLE_1)
	s_and_not1_b32 vcc_lo, exec_lo, s23
	s_cbranch_vccnz .LBB92_616
; %bb.615:
	s_wait_loadcnt 0x0
	global_load_b32 v3, v[0:1], off
	s_wait_loadcnt 0x0
	v_cvt_f32_f16_e32 v4, v3
	v_cmp_o_f16_e32 vcc_lo, v3, v3
	s_delay_alu instid0(VALU_DEP_2) | instskip(NEXT) | instid1(VALU_DEP_1)
	v_bfe_u32 v5, v4, 16, 1
	v_add3_u32 v4, v4, v5, 0x7fff
	s_delay_alu instid0(VALU_DEP_1) | instskip(NEXT) | instid1(VALU_DEP_1)
	v_lshrrev_b32_e32 v4, 16, v4
	v_cndmask_b32_e32 v3, 0x7fc0, v4, vcc_lo
.LBB92_616:
	s_mov_b32 s23, 0
.LBB92_617:
	s_delay_alu instid0(SALU_CYCLE_1)
	s_and_not1_b32 vcc_lo, exec_lo, s23
	s_cbranch_vccnz .LBB92_628
; %bb.618:
	s_cmp_lt_i32 s0, 6
	s_cbranch_scc1 .LBB92_621
; %bb.619:
	s_cmp_gt_i32 s0, 6
	s_cbranch_scc0 .LBB92_622
; %bb.620:
	global_load_b64 v[4:5], v[0:1], off
	s_mov_b32 s23, 0
	s_wait_loadcnt 0x0
	v_cvt_f32_f64_e32 v3, v[4:5]
	s_delay_alu instid0(VALU_DEP_1) | instskip(SKIP_1) | instid1(VALU_DEP_2)
	v_bfe_u32 v4, v3, 16, 1
	v_cmp_o_f32_e32 vcc_lo, v3, v3
	v_add3_u32 v4, v3, v4, 0x7fff
	s_delay_alu instid0(VALU_DEP_1) | instskip(NEXT) | instid1(VALU_DEP_1)
	v_lshrrev_b32_e32 v4, 16, v4
	v_cndmask_b32_e32 v3, 0x7fc0, v4, vcc_lo
	s_branch .LBB92_623
.LBB92_621:
	s_mov_b32 s23, -1
                                        ; implicit-def: $vgpr3
	s_branch .LBB92_626
.LBB92_622:
	s_mov_b32 s23, -1
                                        ; implicit-def: $vgpr3
.LBB92_623:
	s_delay_alu instid0(SALU_CYCLE_1)
	s_and_not1_b32 vcc_lo, exec_lo, s23
	s_cbranch_vccnz .LBB92_625
; %bb.624:
	s_wait_loadcnt 0x0
	global_load_b32 v3, v[0:1], off
	s_wait_loadcnt 0x0
	v_bfe_u32 v4, v3, 16, 1
	v_cmp_o_f32_e32 vcc_lo, v3, v3
	s_delay_alu instid0(VALU_DEP_2) | instskip(NEXT) | instid1(VALU_DEP_1)
	v_add3_u32 v4, v3, v4, 0x7fff
	v_lshrrev_b32_e32 v4, 16, v4
	s_delay_alu instid0(VALU_DEP_1)
	v_cndmask_b32_e32 v3, 0x7fc0, v4, vcc_lo
.LBB92_625:
	s_mov_b32 s23, 0
.LBB92_626:
	s_delay_alu instid0(SALU_CYCLE_1)
	s_and_not1_b32 vcc_lo, exec_lo, s23
	s_cbranch_vccnz .LBB92_628
; %bb.627:
	s_wait_loadcnt 0x0
	global_load_u16 v3, v[0:1], off
	s_wait_loadcnt 0x0
	v_cvt_f32_f16_e32 v4, v3
	v_cmp_o_f16_e32 vcc_lo, v3, v3
	s_delay_alu instid0(VALU_DEP_2) | instskip(NEXT) | instid1(VALU_DEP_1)
	v_bfe_u32 v5, v4, 16, 1
	v_add3_u32 v4, v4, v5, 0x7fff
	s_delay_alu instid0(VALU_DEP_1) | instskip(NEXT) | instid1(VALU_DEP_1)
	v_lshrrev_b32_e32 v4, 16, v4
	v_cndmask_b32_e32 v3, 0x7fc0, v4, vcc_lo
.LBB92_628:
	s_mov_b32 s23, 0
.LBB92_629:
	s_delay_alu instid0(SALU_CYCLE_1)
	s_and_not1_b32 vcc_lo, exec_lo, s23
	s_cbranch_vccnz .LBB92_649
; %bb.630:
	s_cmp_lt_i32 s0, 2
	s_cbranch_scc1 .LBB92_634
; %bb.631:
	s_cmp_lt_i32 s0, 3
	s_cbranch_scc1 .LBB92_635
; %bb.632:
	s_cmp_gt_i32 s0, 3
	s_cbranch_scc0 .LBB92_636
; %bb.633:
	global_load_b64 v[4:5], v[0:1], off
	s_mov_b32 s23, 0
	s_wait_loadcnt 0x0
	v_xor_b32_e32 v3, v4, v5
	v_cls_i32_e32 v7, v5
	s_delay_alu instid0(VALU_DEP_2) | instskip(NEXT) | instid1(VALU_DEP_1)
	v_ashrrev_i32_e32 v3, 31, v3
	v_add_nc_u32_e32 v3, 32, v3
	s_delay_alu instid0(VALU_DEP_1) | instskip(NEXT) | instid1(VALU_DEP_1)
	v_add_min_u32_e64 v3, v7, -1, v3
	v_lshlrev_b64_e32 v[4:5], v3, v[4:5]
	v_sub_nc_u32_e32 v3, 32, v3
	s_delay_alu instid0(VALU_DEP_2) | instskip(NEXT) | instid1(VALU_DEP_1)
	v_min_u32_e32 v4, 1, v4
	v_or_b32_e32 v4, v5, v4
	s_delay_alu instid0(VALU_DEP_1) | instskip(NEXT) | instid1(VALU_DEP_1)
	v_cvt_f32_i32_e32 v4, v4
	v_ldexp_f32 v3, v4, v3
	s_delay_alu instid0(VALU_DEP_1) | instskip(NEXT) | instid1(VALU_DEP_1)
	v_bfe_u32 v4, v3, 16, 1
	v_add3_u32 v3, v3, v4, 0x7fff
	s_delay_alu instid0(VALU_DEP_1)
	v_lshrrev_b32_e32 v3, 16, v3
	s_branch .LBB92_637
.LBB92_634:
	s_mov_b32 s23, -1
                                        ; implicit-def: $vgpr3
	s_branch .LBB92_643
.LBB92_635:
	s_mov_b32 s23, -1
                                        ; implicit-def: $vgpr3
	s_branch .LBB92_640
.LBB92_636:
	s_mov_b32 s23, -1
                                        ; implicit-def: $vgpr3
.LBB92_637:
	s_delay_alu instid0(SALU_CYCLE_1)
	s_and_not1_b32 vcc_lo, exec_lo, s23
	s_cbranch_vccnz .LBB92_639
; %bb.638:
	s_wait_loadcnt 0x0
	global_load_b32 v3, v[0:1], off
	s_wait_loadcnt 0x0
	v_cvt_f32_i32_e32 v3, v3
	s_delay_alu instid0(VALU_DEP_1) | instskip(NEXT) | instid1(VALU_DEP_1)
	v_bfe_u32 v4, v3, 16, 1
	v_add3_u32 v3, v3, v4, 0x7fff
	s_delay_alu instid0(VALU_DEP_1)
	v_lshrrev_b32_e32 v3, 16, v3
.LBB92_639:
	s_mov_b32 s23, 0
.LBB92_640:
	s_delay_alu instid0(SALU_CYCLE_1)
	s_and_not1_b32 vcc_lo, exec_lo, s23
	s_cbranch_vccnz .LBB92_642
; %bb.641:
	s_wait_loadcnt 0x0
	global_load_i16 v3, v[0:1], off
	s_wait_loadcnt 0x0
	v_cvt_f32_i32_e32 v3, v3
	s_delay_alu instid0(VALU_DEP_1) | instskip(NEXT) | instid1(VALU_DEP_1)
	v_bfe_u32 v4, v3, 16, 1
	v_add3_u32 v3, v3, v4, 0x7fff
	s_delay_alu instid0(VALU_DEP_1)
	v_lshrrev_b32_e32 v3, 16, v3
.LBB92_642:
	s_mov_b32 s23, 0
.LBB92_643:
	s_delay_alu instid0(SALU_CYCLE_1)
	s_and_not1_b32 vcc_lo, exec_lo, s23
	s_cbranch_vccnz .LBB92_649
; %bb.644:
	s_cmp_gt_i32 s0, 0
	s_mov_b32 s0, 0
	s_cbranch_scc0 .LBB92_646
; %bb.645:
	s_wait_loadcnt 0x0
	global_load_i8 v3, v[0:1], off
	s_wait_loadcnt 0x0
	v_cvt_f32_i32_e32 v3, v3
	s_delay_alu instid0(VALU_DEP_1) | instskip(NEXT) | instid1(VALU_DEP_1)
	v_bfe_u32 v4, v3, 16, 1
	v_add3_u32 v3, v3, v4, 0x7fff
	s_delay_alu instid0(VALU_DEP_1)
	v_lshrrev_b32_e32 v3, 16, v3
	s_branch .LBB92_647
.LBB92_646:
	s_mov_b32 s0, -1
                                        ; implicit-def: $vgpr3
.LBB92_647:
	s_delay_alu instid0(SALU_CYCLE_1)
	s_and_not1_b32 vcc_lo, exec_lo, s0
	s_cbranch_vccnz .LBB92_649
; %bb.648:
	global_load_u8 v0, v[0:1], off
	s_wait_loadcnt 0x0
	v_cvt_f32_ubyte0_e32 v0, v0
	s_delay_alu instid0(VALU_DEP_1) | instskip(NEXT) | instid1(VALU_DEP_1)
	v_bfe_u32 v1, v0, 16, 1
	v_add3_u32 v0, v0, v1, 0x7fff
	s_delay_alu instid0(VALU_DEP_1)
	v_lshrrev_b32_e32 v3, 16, v0
.LBB92_649:
	s_mov_b32 s26, -1
.LBB92_650:
	s_delay_alu instid0(SALU_CYCLE_1)
	s_and_not1_b32 vcc_lo, exec_lo, s26
	s_cbranch_vccnz .LBB92_660
; %bb.651:
	s_wait_loadcnt 0x0
	v_dual_lshlrev_b32 v0, 16, v3 :: v_dual_lshlrev_b32 v2, 16, v2
	s_mov_b32 s0, exec_lo
	s_delay_alu instid0(VALU_DEP_1) | instskip(NEXT) | instid1(VALU_DEP_1)
	v_mul_f32_e32 v0, s11, v0
	v_cmpx_nlt_f32_e32 s2, v0
	s_cbranch_execz .LBB92_653
; %bb.652:
	v_mul_f32_e32 v1, 0x3fb8aa3b, v0
	v_cmp_ngt_f32_e32 vcc_lo, 0xc2ce8ed0, v0
	s_delay_alu instid0(VALU_DEP_2) | instskip(SKIP_1) | instid1(VALU_DEP_1)
	v_rndne_f32_e32 v3, v1
	v_fma_f32 v4, 0x3fb8aa3b, v0, -v1
	v_dual_sub_f32 v1, v1, v3 :: v_dual_fmamk_f32 v4, v0, 0x32a5705f, v4
	v_cvt_i32_f32_e32 v3, v3
	s_delay_alu instid0(VALU_DEP_2) | instskip(NEXT) | instid1(VALU_DEP_1)
	v_add_f32_e32 v1, v1, v4
	v_exp_f32_e32 v1, v1
	v_nop
	s_delay_alu instid0(TRANS32_DEP_1) | instskip(NEXT) | instid1(VALU_DEP_1)
	v_ldexp_f32 v1, v1, v3
	v_cndmask_b32_e32 v1, 0, v1, vcc_lo
	v_cmp_nlt_f32_e32 vcc_lo, 0x42b17218, v0
	s_delay_alu instid0(VALU_DEP_2) | instskip(NEXT) | instid1(VALU_DEP_1)
	v_cndmask_b32_e32 v0, 0x7f800000, v1, vcc_lo
	v_dual_mul_f32 v1, v0, v2 :: v_dual_add_f32 v0, 1.0, v0
	s_delay_alu instid0(VALU_DEP_1) | instskip(NEXT) | instid1(VALU_DEP_1)
	v_div_scale_f32 v2, null, v0, v0, v1
	v_rcp_f32_e32 v3, v2
	v_nop
	s_delay_alu instid0(TRANS32_DEP_1) | instskip(NEXT) | instid1(VALU_DEP_1)
	v_fma_f32 v4, -v2, v3, 1.0
	v_fmac_f32_e32 v3, v4, v3
	v_div_scale_f32 v4, vcc_lo, v1, v0, v1
	s_delay_alu instid0(VALU_DEP_1) | instskip(NEXT) | instid1(VALU_DEP_1)
	v_mul_f32_e32 v5, v4, v3
	v_fma_f32 v7, -v2, v5, v4
	s_delay_alu instid0(VALU_DEP_1) | instskip(NEXT) | instid1(VALU_DEP_1)
	v_fmac_f32_e32 v5, v7, v3
	v_fma_f32 v2, -v2, v5, v4
	s_delay_alu instid0(VALU_DEP_1) | instskip(NEXT) | instid1(VALU_DEP_1)
	v_div_fmas_f32 v2, v2, v3, v5
	v_div_fixup_f32 v2, v2, v0, v1
.LBB92_653:
	s_or_b32 exec_lo, exec_lo, s0
	v_mul_lo_u32 v0, v6, s8
	s_delay_alu instid0(VALU_DEP_2) | instskip(SKIP_2) | instid1(SALU_CYCLE_1)
	v_bfe_u32 v1, v2, 16, 1
	v_cmp_o_f32_e32 vcc_lo, v2, v2
	s_and_b32 s23, s3, 0xff
	s_cmp_lt_i32 s23, 11
	s_delay_alu instid0(VALU_DEP_2) | instskip(NEXT) | instid1(VALU_DEP_1)
	v_add3_u32 v3, v2, v1, 0x7fff
	v_dual_ashrrev_i32 v1, 31, v0 :: v_dual_lshrrev_b32 v3, 16, v3
	s_delay_alu instid0(VALU_DEP_1) | instskip(NEXT) | instid1(VALU_DEP_2)
	v_add_nc_u64_e32 v[0:1], s[4:5], v[0:1]
	v_cndmask_b32_e32 v2, 0x7fc0, v3, vcc_lo
	s_cbranch_scc1 .LBB92_661
; %bb.654:
	s_and_b32 s26, 0xffff, s23
	s_delay_alu instid0(SALU_CYCLE_1)
	s_cmp_gt_i32 s26, 25
	s_cbranch_scc0 .LBB92_662
; %bb.655:
	s_cmp_gt_i32 s26, 28
	s_cbranch_scc0 .LBB92_663
; %bb.656:
	;; [unrolled: 3-line block ×4, first 2 shown]
	s_mov_b32 s28, 0
	s_mov_b32 s0, -1
	s_cmp_eq_u32 s26, 46
	s_mov_b32 s27, 0
	s_cbranch_scc0 .LBB92_666
; %bb.659:
	v_and_b32_e32 v3, 0xffff, v2
	s_mov_b32 s27, -1
	s_mov_b32 s0, 0
	global_store_b32 v[0:1], v3, off
	s_branch .LBB92_666
.LBB92_660:
	s_mov_b32 s26, 0
	s_mov_b32 s0, s17
	s_branch .LBB92_777
.LBB92_661:
	s_mov_b32 s26, -1
	s_mov_b32 s27, 0
	s_mov_b32 s0, s17
	s_branch .LBB92_735
.LBB92_662:
	s_mov_b32 s28, -1
	s_mov_b32 s27, 0
	s_mov_b32 s0, s17
	s_branch .LBB92_693
.LBB92_663:
	s_mov_b32 s28, -1
	s_mov_b32 s27, 0
	s_mov_b32 s0, s17
	s_branch .LBB92_676
.LBB92_664:
	s_mov_b32 s28, -1
	s_mov_b32 s27, 0
	s_mov_b32 s0, s17
	s_branch .LBB92_672
.LBB92_665:
	s_mov_b32 s28, -1
	s_mov_b32 s27, 0
	s_mov_b32 s0, s17
.LBB92_666:
	s_and_b32 vcc_lo, exec_lo, s28
	s_cbranch_vccz .LBB92_671
; %bb.667:
	s_cmp_eq_u32 s26, 44
	s_mov_b32 s0, -1
	s_cbranch_scc0 .LBB92_671
; %bb.668:
	s_wait_xcnt 0x0
	v_and_b32_e32 v3, 0xffff, v2
	v_mov_b32_e32 v4, 0xff
	s_mov_b32 s27, exec_lo
	s_delay_alu instid0(VALU_DEP_2) | instskip(NEXT) | instid1(VALU_DEP_1)
	v_bfe_u32 v5, v3, 7, 8
	v_cmpx_ne_u32_e32 0xff, v5
	s_cbranch_execz .LBB92_670
; %bb.669:
	v_dual_lshlrev_b32 v4, 16, v3 :: v_dual_bitop2_b32 v7, 64, v3 bitop3:0x40
	v_lshrrev_b32_e32 v3, 7, v3
	s_delay_alu instid0(VALU_DEP_2) | instskip(NEXT) | instid1(VALU_DEP_3)
	v_and_or_b32 v4, 0x3f0000, v4, v5
	v_cmp_ne_u32_e32 vcc_lo, 0, v7
	s_delay_alu instid0(VALU_DEP_2) | instskip(SKIP_1) | instid1(SALU_CYCLE_1)
	v_cmp_ne_u32_e64 s0, 0, v4
	s_and_b32 s0, vcc_lo, s0
	v_cndmask_b32_e64 v4, 0, 1, s0
	s_delay_alu instid0(VALU_DEP_1)
	v_add_nc_u32_e32 v4, v3, v4
.LBB92_670:
	s_or_b32 exec_lo, exec_lo, s27
	s_mov_b32 s27, -1
	s_mov_b32 s0, 0
	global_store_b8 v[0:1], v4, off
.LBB92_671:
	s_mov_b32 s28, 0
.LBB92_672:
	s_delay_alu instid0(SALU_CYCLE_1)
	s_and_b32 vcc_lo, exec_lo, s28
	s_cbranch_vccz .LBB92_675
; %bb.673:
	s_cmp_eq_u32 s26, 29
	s_mov_b32 s0, -1
	s_cbranch_scc0 .LBB92_675
; %bb.674:
	s_wait_xcnt 0x0
	v_lshlrev_b32_e32 v3, 16, v2
	s_mov_b32 s27, -1
	s_mov_b32 s0, 0
	s_mov_b32 s28, 0
	s_delay_alu instid0(VALU_DEP_1) | instskip(NEXT) | instid1(VALU_DEP_1)
	v_trunc_f32_e32 v3, v3
	v_mul_f32_e32 v4, 0x2f800000, v3
	s_delay_alu instid0(VALU_DEP_1) | instskip(NEXT) | instid1(VALU_DEP_1)
	v_floor_f32_e32 v4, v4
	v_fmamk_f32 v3, v4, 0xcf800000, v3
	v_cvt_u32_f32_e32 v5, v4
	s_delay_alu instid0(VALU_DEP_2)
	v_cvt_u32_f32_e32 v4, v3
	global_store_b64 v[0:1], v[4:5], off
	s_branch .LBB92_676
.LBB92_675:
	s_mov_b32 s28, 0
.LBB92_676:
	s_delay_alu instid0(SALU_CYCLE_1)
	s_and_b32 vcc_lo, exec_lo, s28
	s_cbranch_vccz .LBB92_692
; %bb.677:
	s_cmp_lt_i32 s26, 27
	s_mov_b32 s27, -1
	s_cbranch_scc1 .LBB92_683
; %bb.678:
	s_cmp_gt_i32 s26, 27
	s_cbranch_scc0 .LBB92_680
; %bb.679:
	s_wait_xcnt 0x0
	v_lshlrev_b32_e32 v3, 16, v2
	s_mov_b32 s27, 0
	s_delay_alu instid0(VALU_DEP_1)
	v_cvt_u32_f32_e32 v3, v3
	global_store_b32 v[0:1], v3, off
.LBB92_680:
	s_and_not1_b32 vcc_lo, exec_lo, s27
	s_cbranch_vccnz .LBB92_682
; %bb.681:
	s_wait_xcnt 0x0
	v_lshlrev_b32_e32 v3, 16, v2
	s_delay_alu instid0(VALU_DEP_1)
	v_cvt_u32_f32_e32 v3, v3
	global_store_b16 v[0:1], v3, off
.LBB92_682:
	s_mov_b32 s27, 0
.LBB92_683:
	s_delay_alu instid0(SALU_CYCLE_1)
	s_and_not1_b32 vcc_lo, exec_lo, s27
	s_cbranch_vccnz .LBB92_691
; %bb.684:
	s_wait_xcnt 0x0
	v_lshlrev_b32_e32 v5, 16, v2
	v_mov_b32_e32 v7, 0x80
	s_mov_b32 s27, exec_lo
	s_delay_alu instid0(VALU_DEP_2) | instskip(NEXT) | instid1(VALU_DEP_1)
	v_and_b32_e32 v4, 0x7fffffff, v5
	v_cmpx_gt_u32_e32 0x43800000, v4
	s_cbranch_execz .LBB92_690
; %bb.685:
	v_and_b32_e32 v3, 0xffff, v2
	v_cmp_lt_u32_e32 vcc_lo, 0x3bffffff, v4
	s_mov_b32 s28, 0
                                        ; implicit-def: $vgpr4
	s_and_saveexec_b32 s29, vcc_lo
	s_delay_alu instid0(SALU_CYCLE_1)
	s_xor_b32 s29, exec_lo, s29
	s_cbranch_execz .LBB92_793
; %bb.686:
	v_bfe_u32 v4, v3, 4, 1
	s_mov_b32 s28, exec_lo
	s_delay_alu instid0(VALU_DEP_1) | instskip(NEXT) | instid1(VALU_DEP_1)
	v_add3_u32 v4, v5, v4, 0x487ffff
                                        ; implicit-def: $vgpr5
	v_lshrrev_b32_e32 v4, 20, v4
	s_and_not1_saveexec_b32 s29, s29
	s_cbranch_execnz .LBB92_794
.LBB92_687:
	s_or_b32 exec_lo, exec_lo, s29
	v_mov_b32_e32 v7, 0
	s_and_saveexec_b32 s29, s28
.LBB92_688:
	v_lshrrev_b32_e32 v3, 8, v3
	s_delay_alu instid0(VALU_DEP_1)
	v_and_or_b32 v7, 0x80, v3, v4
.LBB92_689:
	s_or_b32 exec_lo, exec_lo, s29
.LBB92_690:
	s_delay_alu instid0(SALU_CYCLE_1)
	s_or_b32 exec_lo, exec_lo, s27
	global_store_b8 v[0:1], v7, off
.LBB92_691:
	s_mov_b32 s27, -1
.LBB92_692:
	s_mov_b32 s28, 0
.LBB92_693:
	s_delay_alu instid0(SALU_CYCLE_1)
	s_and_b32 vcc_lo, exec_lo, s28
	s_cbranch_vccz .LBB92_734
; %bb.694:
	s_cmp_gt_i32 s26, 22
	s_mov_b32 s28, -1
	s_cbranch_scc0 .LBB92_726
; %bb.695:
	s_cmp_lt_i32 s26, 24
	s_mov_b32 s27, -1
	s_cbranch_scc1 .LBB92_715
; %bb.696:
	s_cmp_gt_i32 s26, 24
	s_cbranch_scc0 .LBB92_704
; %bb.697:
	s_wait_xcnt 0x0
	v_lshlrev_b32_e32 v5, 16, v2
	v_mov_b32_e32 v7, 0x80
	s_mov_b32 s27, exec_lo
	s_delay_alu instid0(VALU_DEP_2) | instskip(NEXT) | instid1(VALU_DEP_1)
	v_and_b32_e32 v4, 0x7fffffff, v5
	v_cmpx_gt_u32_e32 0x47800000, v4
	s_cbranch_execz .LBB92_703
; %bb.698:
	v_and_b32_e32 v3, 0xffff, v2
	v_cmp_lt_u32_e32 vcc_lo, 0x37ffffff, v4
	s_mov_b32 s28, 0
                                        ; implicit-def: $vgpr4
	s_and_saveexec_b32 s29, vcc_lo
	s_delay_alu instid0(SALU_CYCLE_1)
	s_xor_b32 s29, exec_lo, s29
	s_cbranch_execz .LBB92_925
; %bb.699:
	v_bfe_u32 v4, v3, 5, 1
	s_mov_b32 s28, exec_lo
	s_delay_alu instid0(VALU_DEP_1) | instskip(NEXT) | instid1(VALU_DEP_1)
	v_add3_u32 v4, v5, v4, 0x88fffff
                                        ; implicit-def: $vgpr5
	v_lshrrev_b32_e32 v4, 21, v4
	s_and_not1_saveexec_b32 s29, s29
	s_cbranch_execnz .LBB92_926
.LBB92_700:
	s_or_b32 exec_lo, exec_lo, s29
	v_mov_b32_e32 v7, 0
	s_and_saveexec_b32 s29, s28
.LBB92_701:
	v_lshrrev_b32_e32 v3, 8, v3
	s_delay_alu instid0(VALU_DEP_1)
	v_and_or_b32 v7, 0x80, v3, v4
.LBB92_702:
	s_or_b32 exec_lo, exec_lo, s29
.LBB92_703:
	s_delay_alu instid0(SALU_CYCLE_1)
	s_or_b32 exec_lo, exec_lo, s27
	s_mov_b32 s27, 0
	global_store_b8 v[0:1], v7, off
.LBB92_704:
	s_and_b32 vcc_lo, exec_lo, s27
	s_cbranch_vccz .LBB92_714
; %bb.705:
	s_wait_xcnt 0x0
	v_lshlrev_b32_e32 v5, 16, v2
	v_and_b32_e32 v3, 0xffff, v2
	s_mov_b32 s27, exec_lo
                                        ; implicit-def: $vgpr4
	s_delay_alu instid0(VALU_DEP_2) | instskip(NEXT) | instid1(VALU_DEP_1)
	v_and_b32_e32 v7, 0x7fffffff, v5
	v_cmpx_gt_u32_e32 0x43f00000, v7
	s_xor_b32 s27, exec_lo, s27
	s_cbranch_execz .LBB92_711
; %bb.706:
	s_mov_b32 s28, exec_lo
                                        ; implicit-def: $vgpr4
	v_cmpx_lt_u32_e32 0x3c7fffff, v7
	s_xor_b32 s28, exec_lo, s28
; %bb.707:
	v_bfe_u32 v4, v3, 4, 1
	s_delay_alu instid0(VALU_DEP_1) | instskip(NEXT) | instid1(VALU_DEP_1)
	v_add3_u32 v4, v5, v4, 0x407ffff
	v_and_b32_e32 v5, 0xff00000, v4
	v_lshrrev_b32_e32 v4, 20, v4
	s_delay_alu instid0(VALU_DEP_2) | instskip(NEXT) | instid1(VALU_DEP_2)
	v_cmp_ne_u32_e32 vcc_lo, 0x7f00000, v5
                                        ; implicit-def: $vgpr5
	v_cndmask_b32_e32 v4, 0x7e, v4, vcc_lo
; %bb.708:
	s_and_not1_saveexec_b32 s28, s28
; %bb.709:
	v_add_f32_e64 v4, 0x46800000, |v5|
; %bb.710:
	s_or_b32 exec_lo, exec_lo, s28
                                        ; implicit-def: $vgpr7
.LBB92_711:
	s_and_not1_saveexec_b32 s27, s27
; %bb.712:
	v_mov_b32_e32 v4, 0x7f
	v_cmp_lt_u32_e32 vcc_lo, 0x7f800000, v7
	s_delay_alu instid0(VALU_DEP_2)
	v_cndmask_b32_e32 v4, 0x7e, v4, vcc_lo
; %bb.713:
	s_or_b32 exec_lo, exec_lo, s27
	v_lshrrev_b32_e32 v3, 8, v3
	s_delay_alu instid0(VALU_DEP_1)
	v_and_or_b32 v3, 0x80, v3, v4
	global_store_b8 v[0:1], v3, off
.LBB92_714:
	s_mov_b32 s27, 0
.LBB92_715:
	s_delay_alu instid0(SALU_CYCLE_1)
	s_and_not1_b32 vcc_lo, exec_lo, s27
	s_cbranch_vccnz .LBB92_725
; %bb.716:
	s_wait_xcnt 0x0
	v_lshlrev_b32_e32 v5, 16, v2
	v_and_b32_e32 v3, 0xffff, v2
	s_mov_b32 s27, exec_lo
                                        ; implicit-def: $vgpr4
	s_delay_alu instid0(VALU_DEP_2) | instskip(NEXT) | instid1(VALU_DEP_1)
	v_and_b32_e32 v7, 0x7fffffff, v5
	v_cmpx_gt_u32_e32 0x47800000, v7
	s_xor_b32 s27, exec_lo, s27
	s_cbranch_execz .LBB92_722
; %bb.717:
	s_mov_b32 s28, exec_lo
                                        ; implicit-def: $vgpr4
	v_cmpx_lt_u32_e32 0x387fffff, v7
	s_xor_b32 s28, exec_lo, s28
; %bb.718:
	v_bfe_u32 v4, v3, 5, 1
	s_delay_alu instid0(VALU_DEP_1) | instskip(NEXT) | instid1(VALU_DEP_1)
	v_add3_u32 v4, v5, v4, 0x80fffff
                                        ; implicit-def: $vgpr5
	v_lshrrev_b32_e32 v4, 21, v4
; %bb.719:
	s_and_not1_saveexec_b32 s28, s28
; %bb.720:
	v_add_f32_e64 v4, 0x43000000, |v5|
; %bb.721:
	s_or_b32 exec_lo, exec_lo, s28
                                        ; implicit-def: $vgpr7
.LBB92_722:
	s_and_not1_saveexec_b32 s27, s27
; %bb.723:
	v_mov_b32_e32 v4, 0x7f
	v_cmp_lt_u32_e32 vcc_lo, 0x7f800000, v7
	s_delay_alu instid0(VALU_DEP_2)
	v_cndmask_b32_e32 v4, 0x7c, v4, vcc_lo
; %bb.724:
	s_or_b32 exec_lo, exec_lo, s27
	v_lshrrev_b32_e32 v3, 8, v3
	s_delay_alu instid0(VALU_DEP_1)
	v_and_or_b32 v3, 0x80, v3, v4
	global_store_b8 v[0:1], v3, off
.LBB92_725:
	s_mov_b32 s28, 0
	s_mov_b32 s27, -1
.LBB92_726:
	s_and_not1_b32 vcc_lo, exec_lo, s28
	s_cbranch_vccnz .LBB92_734
; %bb.727:
	s_cmp_gt_i32 s26, 14
	s_mov_b32 s28, -1
	s_cbranch_scc0 .LBB92_731
; %bb.728:
	s_cmp_eq_u32 s26, 15
	s_mov_b32 s0, -1
	s_cbranch_scc0 .LBB92_730
; %bb.729:
	s_mov_b32 s27, -1
	s_mov_b32 s0, 0
	global_store_b16 v[0:1], v2, off
.LBB92_730:
	s_mov_b32 s28, 0
.LBB92_731:
	s_delay_alu instid0(SALU_CYCLE_1)
	s_and_b32 vcc_lo, exec_lo, s28
	s_cbranch_vccz .LBB92_734
; %bb.732:
	s_cmp_eq_u32 s26, 11
	s_mov_b32 s0, -1
	s_cbranch_scc0 .LBB92_734
; %bb.733:
	s_wait_xcnt 0x0
	v_and_b32_e32 v3, 0x7fff, v2
	s_mov_b32 s0, 0
	s_mov_b32 s27, -1
	s_delay_alu instid0(VALU_DEP_1)
	v_cmp_ne_u16_e32 vcc_lo, 0, v3
	v_cndmask_b32_e64 v3, 0, 1, vcc_lo
	global_store_b8 v[0:1], v3, off
.LBB92_734:
	s_mov_b32 s26, 0
.LBB92_735:
	s_delay_alu instid0(SALU_CYCLE_1)
	s_and_b32 vcc_lo, exec_lo, s26
	s_cbranch_vccz .LBB92_774
; %bb.736:
	s_and_b32 s23, 0xffff, s23
	s_mov_b32 s26, -1
	s_cmp_lt_i32 s23, 5
	s_cbranch_scc1 .LBB92_757
; %bb.737:
	s_cmp_lt_i32 s23, 8
	s_cbranch_scc1 .LBB92_747
; %bb.738:
	;; [unrolled: 3-line block ×3, first 2 shown]
	s_cmp_gt_i32 s23, 9
	s_cbranch_scc0 .LBB92_741
; %bb.740:
	s_wait_xcnt 0x0
	v_dual_mov_b32 v10, 0 :: v_dual_lshlrev_b32 v3, 16, v2
	s_mov_b32 s26, 0
	s_delay_alu instid0(VALU_DEP_1) | instskip(NEXT) | instid1(VALU_DEP_2)
	v_cvt_f64_f32_e32 v[8:9], v3
	v_mov_b32_e32 v11, v10
	global_store_b128 v[0:1], v[8:11], off
.LBB92_741:
	s_and_not1_b32 vcc_lo, exec_lo, s26
	s_cbranch_vccnz .LBB92_743
; %bb.742:
	s_wait_xcnt 0x0
	v_dual_mov_b32 v5, 0 :: v_dual_lshlrev_b32 v4, 16, v2
	global_store_b64 v[0:1], v[4:5], off
.LBB92_743:
	s_mov_b32 s26, 0
.LBB92_744:
	s_delay_alu instid0(SALU_CYCLE_1)
	s_and_not1_b32 vcc_lo, exec_lo, s26
	s_cbranch_vccnz .LBB92_746
; %bb.745:
	s_wait_xcnt 0x0
	v_lshlrev_b32_e32 v3, 16, v2
	s_delay_alu instid0(VALU_DEP_1) | instskip(NEXT) | instid1(VALU_DEP_1)
	v_cvt_f16_f32_e32 v3, v3
	v_and_b32_e32 v3, 0xffff, v3
	global_store_b32 v[0:1], v3, off
.LBB92_746:
	s_mov_b32 s26, 0
.LBB92_747:
	s_delay_alu instid0(SALU_CYCLE_1)
	s_and_not1_b32 vcc_lo, exec_lo, s26
	s_cbranch_vccnz .LBB92_756
; %bb.748:
	s_cmp_lt_i32 s23, 6
	s_mov_b32 s26, -1
	s_cbranch_scc1 .LBB92_754
; %bb.749:
	s_cmp_gt_i32 s23, 6
	s_cbranch_scc0 .LBB92_751
; %bb.750:
	s_wait_xcnt 0x0
	v_lshlrev_b32_e32 v3, 16, v2
	s_mov_b32 s26, 0
	s_delay_alu instid0(VALU_DEP_1)
	v_cvt_f64_f32_e32 v[4:5], v3
	global_store_b64 v[0:1], v[4:5], off
.LBB92_751:
	s_and_not1_b32 vcc_lo, exec_lo, s26
	s_cbranch_vccnz .LBB92_753
; %bb.752:
	s_wait_xcnt 0x0
	v_lshlrev_b32_e32 v3, 16, v2
	global_store_b32 v[0:1], v3, off
.LBB92_753:
	s_mov_b32 s26, 0
.LBB92_754:
	s_delay_alu instid0(SALU_CYCLE_1)
	s_and_not1_b32 vcc_lo, exec_lo, s26
	s_cbranch_vccnz .LBB92_756
; %bb.755:
	s_wait_xcnt 0x0
	v_lshlrev_b32_e32 v3, 16, v2
	s_delay_alu instid0(VALU_DEP_1)
	v_cvt_f16_f32_e32 v3, v3
	global_store_b16 v[0:1], v3, off
.LBB92_756:
	s_mov_b32 s26, 0
.LBB92_757:
	s_delay_alu instid0(SALU_CYCLE_1)
	s_and_not1_b32 vcc_lo, exec_lo, s26
	s_cbranch_vccnz .LBB92_773
; %bb.758:
	s_cmp_lt_i32 s23, 2
	s_mov_b32 s26, -1
	s_cbranch_scc1 .LBB92_768
; %bb.759:
	s_cmp_lt_i32 s23, 3
	s_cbranch_scc1 .LBB92_765
; %bb.760:
	s_cmp_gt_i32 s23, 3
	s_cbranch_scc0 .LBB92_762
; %bb.761:
	s_wait_xcnt 0x0
	v_lshlrev_b32_e32 v3, 16, v2
	s_mov_b32 s26, 0
	s_delay_alu instid0(VALU_DEP_1) | instskip(NEXT) | instid1(VALU_DEP_1)
	v_trunc_f32_e32 v3, v3
	v_mul_f32_e64 v4, 0x2f800000, |v3|
	s_delay_alu instid0(VALU_DEP_1) | instskip(SKIP_1) | instid1(VALU_DEP_2)
	v_floor_f32_e32 v5, v4
	v_ashrrev_i32_e32 v4, 31, v3
	v_fma_f32 v7, 0xcf800000, v5, |v3|
	v_cvt_u32_f32_e32 v3, v5
	s_delay_alu instid0(VALU_DEP_3) | instskip(NEXT) | instid1(VALU_DEP_3)
	v_mov_b32_e32 v5, v4
	v_cvt_u32_f32_e32 v7, v7
	s_delay_alu instid0(VALU_DEP_3) | instskip(NEXT) | instid1(VALU_DEP_2)
	v_xor_b32_e32 v9, v3, v4
	v_xor_b32_e32 v8, v7, v4
	s_delay_alu instid0(VALU_DEP_1)
	v_sub_nc_u64_e32 v[4:5], v[8:9], v[4:5]
	global_store_b64 v[0:1], v[4:5], off
.LBB92_762:
	s_and_not1_b32 vcc_lo, exec_lo, s26
	s_cbranch_vccnz .LBB92_764
; %bb.763:
	s_wait_xcnt 0x0
	v_lshlrev_b32_e32 v3, 16, v2
	s_delay_alu instid0(VALU_DEP_1)
	v_cvt_i32_f32_e32 v3, v3
	global_store_b32 v[0:1], v3, off
.LBB92_764:
	s_mov_b32 s26, 0
.LBB92_765:
	s_delay_alu instid0(SALU_CYCLE_1)
	s_and_not1_b32 vcc_lo, exec_lo, s26
	s_cbranch_vccnz .LBB92_767
; %bb.766:
	s_wait_xcnt 0x0
	v_lshlrev_b32_e32 v3, 16, v2
	s_delay_alu instid0(VALU_DEP_1)
	v_cvt_i32_f32_e32 v3, v3
	global_store_b16 v[0:1], v3, off
.LBB92_767:
	s_mov_b32 s26, 0
.LBB92_768:
	s_delay_alu instid0(SALU_CYCLE_1)
	s_and_not1_b32 vcc_lo, exec_lo, s26
	s_cbranch_vccnz .LBB92_773
; %bb.769:
	s_wait_xcnt 0x0
	v_lshlrev_b32_e32 v2, 16, v2
	s_cmp_gt_i32 s23, 0
	s_mov_b32 s23, -1
	s_cbranch_scc0 .LBB92_771
; %bb.770:
	s_delay_alu instid0(VALU_DEP_1)
	v_cvt_i32_f32_e32 v3, v2
	s_mov_b32 s23, 0
	global_store_b8 v[0:1], v3, off
.LBB92_771:
	s_and_not1_b32 vcc_lo, exec_lo, s23
	s_cbranch_vccnz .LBB92_773
; %bb.772:
	v_trunc_f32_e32 v2, v2
	s_wait_xcnt 0x0
	s_delay_alu instid0(VALU_DEP_1) | instskip(NEXT) | instid1(VALU_DEP_1)
	v_mul_f32_e64 v3, 0x2f800000, |v2|
	v_floor_f32_e32 v3, v3
	s_delay_alu instid0(VALU_DEP_1) | instskip(SKIP_1) | instid1(VALU_DEP_2)
	v_fma_f32 v3, 0xcf800000, v3, |v2|
	v_ashrrev_i32_e32 v2, 31, v2
	v_cvt_u32_f32_e32 v3, v3
	s_delay_alu instid0(VALU_DEP_1) | instskip(NEXT) | instid1(VALU_DEP_1)
	v_xor_b32_e32 v3, v3, v2
	v_sub_nc_u32_e32 v2, v3, v2
	global_store_b8 v[0:1], v2, off
.LBB92_773:
	s_mov_b32 s27, -1
.LBB92_774:
	s_delay_alu instid0(SALU_CYCLE_1)
	s_and_not1_b32 vcc_lo, exec_lo, s27
	s_cbranch_vccnz .LBB92_776
; %bb.775:
	v_add_nc_u32_e32 v6, 0x80, v6
	s_mov_b32 s26, -1
	s_branch .LBB92_778
.LBB92_776:
	s_mov_b32 s26, 0
.LBB92_777:
                                        ; implicit-def: $vgpr6
.LBB92_778:
	s_and_not1_b32 s23, s17, exec_lo
	s_and_b32 s0, s0, exec_lo
	s_and_b32 s24, s24, exec_lo
	s_or_b32 s23, s23, s0
	s_and_not1_b32 s0, s19, exec_lo
	s_and_not1_b32 s27, s20, exec_lo
	s_and_b32 s22, s22, exec_lo
	s_or_b32 s24, s0, s24
	s_or_b32 s22, s27, s22
	s_or_not1_b32 s27, s26, exec_lo
.LBB92_779:
	s_wait_xcnt 0x0
	s_or_b32 exec_lo, exec_lo, s25
	s_mov_b32 s26, 0
	s_mov_b32 s28, 0
	;; [unrolled: 1-line block ×3, first 2 shown]
                                        ; implicit-def: $sgpr0
                                        ; implicit-def: $vgpr0_vgpr1
                                        ; implicit-def: $vgpr2
	s_and_saveexec_b32 s25, s27
	s_cbranch_execz .LBB92_1256
; %bb.780:
	s_mov_b32 s34, -1
	s_mov_b32 s27, s22
	s_mov_b32 s28, s24
	;; [unrolled: 1-line block ×3, first 2 shown]
	s_mov_b32 s26, exec_lo
	v_cmpx_gt_i32_e64 s18, v6
	s_cbranch_execz .LBB92_1172
; %bb.781:
	v_mul_lo_u32 v0, v6, s9
	s_and_b32 s0, s15, 0xff
	s_delay_alu instid0(SALU_CYCLE_1) | instskip(NEXT) | instid1(VALU_DEP_1)
	s_cmp_lt_i32 s0, 11
	v_ashrrev_i32_e32 v1, 31, v0
	s_delay_alu instid0(VALU_DEP_1)
	v_add_nc_u64_e32 v[0:1], s[6:7], v[0:1]
	s_cbranch_scc1 .LBB92_788
; %bb.782:
	s_and_b32 s28, 0xffff, s0
	s_delay_alu instid0(SALU_CYCLE_1)
	s_cmp_gt_i32 s28, 25
	s_cbranch_scc0 .LBB92_789
; %bb.783:
	s_cmp_gt_i32 s28, 28
	s_cbranch_scc0 .LBB92_790
; %bb.784:
	;; [unrolled: 3-line block ×4, first 2 shown]
	s_cmp_eq_u32 s28, 46
	s_mov_b32 s30, 0
	s_cbranch_scc0 .LBB92_795
; %bb.787:
	s_wait_loadcnt 0x0
	global_load_b32 v2, v[0:1], off
	s_mov_b32 s29, -1
	s_mov_b32 s27, 0
	s_branch .LBB92_797
.LBB92_788:
	s_mov_b32 s28, -1
	s_mov_b32 s29, 0
	s_mov_b32 s27, s22
                                        ; implicit-def: $vgpr2
	s_branch .LBB92_862
.LBB92_789:
	s_mov_b32 s30, -1
	s_mov_b32 s29, 0
	s_mov_b32 s27, s22
                                        ; implicit-def: $vgpr2
	s_branch .LBB92_826
.LBB92_790:
	s_mov_b32 s30, -1
	s_mov_b32 s29, 0
	s_mov_b32 s27, s22
                                        ; implicit-def: $vgpr2
	s_branch .LBB92_807
.LBB92_791:
	s_mov_b32 s30, -1
	s_mov_b32 s29, 0
	s_mov_b32 s27, s22
                                        ; implicit-def: $vgpr2
	s_branch .LBB92_802
.LBB92_792:
	s_mov_b32 s30, -1
	s_mov_b32 s29, 0
	s_mov_b32 s27, s22
	s_branch .LBB92_796
.LBB92_793:
	s_and_not1_saveexec_b32 s29, s29
	s_cbranch_execz .LBB92_687
.LBB92_794:
	v_add_f32_e64 v4, 0x46000000, |v5|
	s_and_not1_b32 s28, s28, exec_lo
	s_delay_alu instid0(VALU_DEP_1) | instskip(NEXT) | instid1(VALU_DEP_1)
	v_and_b32_e32 v4, 0xff, v4
	v_cmp_ne_u32_e32 vcc_lo, 0, v4
	s_and_b32 s30, vcc_lo, exec_lo
	s_delay_alu instid0(SALU_CYCLE_1)
	s_or_b32 s28, s28, s30
	s_or_b32 exec_lo, exec_lo, s29
	v_mov_b32_e32 v7, 0
	s_and_saveexec_b32 s29, s28
	s_cbranch_execnz .LBB92_688
	s_branch .LBB92_689
.LBB92_795:
	s_mov_b32 s27, -1
	s_mov_b32 s29, 0
.LBB92_796:
                                        ; implicit-def: $vgpr2
.LBB92_797:
	s_and_b32 vcc_lo, exec_lo, s30
	s_cbranch_vccz .LBB92_801
; %bb.798:
	s_cmp_eq_u32 s28, 44
	s_cbranch_scc0 .LBB92_800
; %bb.799:
	s_wait_loadcnt 0x0
	global_load_u8 v2, v[0:1], off
	s_mov_b32 s27, 0
	s_mov_b32 s29, -1
	s_wait_loadcnt 0x0
	v_lshlrev_b32_e32 v3, 23, v2
	v_cmp_ne_u32_e32 vcc_lo, 0xff, v2
	s_delay_alu instid0(VALU_DEP_2) | instskip(SKIP_1) | instid1(VALU_DEP_2)
	v_cndmask_b32_e32 v3, 0x7f800001, v3, vcc_lo
	v_cmp_ne_u32_e32 vcc_lo, 0, v2
	v_cndmask_b32_e32 v2, 0x400000, v3, vcc_lo
	s_delay_alu instid0(VALU_DEP_1) | instskip(NEXT) | instid1(VALU_DEP_1)
	v_add_nc_u32_e32 v3, 0x7fff, v2
	v_lshrrev_b32_e32 v3, 16, v3
	v_cmp_o_f32_e32 vcc_lo, v2, v2
	s_delay_alu instid0(VALU_DEP_2)
	v_cndmask_b32_e32 v2, 0x7fc0, v3, vcc_lo
	s_branch .LBB92_801
.LBB92_800:
	s_mov_b32 s27, -1
                                        ; implicit-def: $vgpr2
.LBB92_801:
	s_mov_b32 s30, 0
.LBB92_802:
	s_delay_alu instid0(SALU_CYCLE_1)
	s_and_b32 vcc_lo, exec_lo, s30
	s_cbranch_vccz .LBB92_806
; %bb.803:
	s_cmp_eq_u32 s28, 29
	s_cbranch_scc0 .LBB92_805
; %bb.804:
	s_wait_loadcnt 0x0
	global_load_b64 v[2:3], v[0:1], off
	s_mov_b32 s29, -1
	s_mov_b32 s27, 0
	s_mov_b32 s30, 0
	s_wait_loadcnt 0x0
	v_clz_i32_u32_e32 v4, v3
	s_delay_alu instid0(VALU_DEP_1) | instskip(NEXT) | instid1(VALU_DEP_1)
	v_min_u32_e32 v4, 32, v4
	v_lshlrev_b64_e32 v[2:3], v4, v[2:3]
	s_delay_alu instid0(VALU_DEP_1) | instskip(NEXT) | instid1(VALU_DEP_1)
	v_min_u32_e32 v2, 1, v2
	v_dual_sub_nc_u32 v3, 32, v4 :: v_dual_bitop2_b32 v2, v3, v2 bitop3:0x54
	s_delay_alu instid0(VALU_DEP_1) | instskip(NEXT) | instid1(VALU_DEP_1)
	v_cvt_f32_u32_e32 v2, v2
	v_ldexp_f32 v2, v2, v3
	s_delay_alu instid0(VALU_DEP_1) | instskip(NEXT) | instid1(VALU_DEP_1)
	v_bfe_u32 v3, v2, 16, 1
	v_add3_u32 v2, v2, v3, 0x7fff
	s_delay_alu instid0(VALU_DEP_1)
	v_lshrrev_b32_e32 v2, 16, v2
	s_branch .LBB92_807
.LBB92_805:
	s_mov_b32 s27, -1
                                        ; implicit-def: $vgpr2
.LBB92_806:
	s_mov_b32 s30, 0
.LBB92_807:
	s_delay_alu instid0(SALU_CYCLE_1)
	s_and_b32 vcc_lo, exec_lo, s30
	s_cbranch_vccz .LBB92_825
; %bb.808:
	s_cmp_lt_i32 s28, 27
	s_cbranch_scc1 .LBB92_811
; %bb.809:
	s_cmp_gt_i32 s28, 27
	s_cbranch_scc0 .LBB92_812
; %bb.810:
	s_wait_loadcnt 0x0
	global_load_b32 v2, v[0:1], off
	s_mov_b32 s29, 0
	s_wait_loadcnt 0x0
	v_cvt_f32_u32_e32 v2, v2
	s_delay_alu instid0(VALU_DEP_1) | instskip(NEXT) | instid1(VALU_DEP_1)
	v_bfe_u32 v3, v2, 16, 1
	v_add3_u32 v2, v2, v3, 0x7fff
	s_delay_alu instid0(VALU_DEP_1)
	v_lshrrev_b32_e32 v2, 16, v2
	s_branch .LBB92_813
.LBB92_811:
	s_mov_b32 s29, -1
                                        ; implicit-def: $vgpr2
	s_branch .LBB92_816
.LBB92_812:
	s_mov_b32 s29, -1
                                        ; implicit-def: $vgpr2
.LBB92_813:
	s_delay_alu instid0(SALU_CYCLE_1)
	s_and_not1_b32 vcc_lo, exec_lo, s29
	s_cbranch_vccnz .LBB92_815
; %bb.814:
	s_wait_loadcnt 0x0
	global_load_u16 v2, v[0:1], off
	s_wait_loadcnt 0x0
	v_cvt_f32_u32_e32 v2, v2
	s_delay_alu instid0(VALU_DEP_1) | instskip(NEXT) | instid1(VALU_DEP_1)
	v_bfe_u32 v3, v2, 16, 1
	v_add3_u32 v2, v2, v3, 0x7fff
	s_delay_alu instid0(VALU_DEP_1)
	v_lshrrev_b32_e32 v2, 16, v2
.LBB92_815:
	s_mov_b32 s29, 0
.LBB92_816:
	s_delay_alu instid0(SALU_CYCLE_1)
	s_and_not1_b32 vcc_lo, exec_lo, s29
	s_cbranch_vccnz .LBB92_824
; %bb.817:
	s_wait_loadcnt 0x0
	global_load_u8 v2, v[0:1], off
	s_mov_b32 s29, 0
	s_mov_b32 s30, exec_lo
	s_wait_loadcnt 0x0
	v_cmpx_lt_i16_e32 0x7f, v2
	s_xor_b32 s30, exec_lo, s30
	s_cbranch_execz .LBB92_838
; %bb.818:
	s_mov_b32 s29, -1
	s_mov_b32 s31, exec_lo
	v_cmpx_eq_u16_e32 0x80, v2
; %bb.819:
	s_xor_b32 s29, exec_lo, -1
; %bb.820:
	s_or_b32 exec_lo, exec_lo, s31
	s_delay_alu instid0(SALU_CYCLE_1)
	s_and_b32 s29, s29, exec_lo
	s_or_saveexec_b32 s30, s30
	v_mov_b32_e32 v3, 0x7f800001
	s_xor_b32 exec_lo, exec_lo, s30
	s_cbranch_execnz .LBB92_839
.LBB92_821:
	s_or_b32 exec_lo, exec_lo, s30
	s_and_saveexec_b32 s30, s29
	s_cbranch_execz .LBB92_823
.LBB92_822:
	v_and_b32_e32 v3, 0xffff, v2
	s_delay_alu instid0(VALU_DEP_1) | instskip(SKIP_1) | instid1(VALU_DEP_2)
	v_and_b32_e32 v4, 7, v3
	v_bfe_u32 v8, v3, 3, 4
	v_clz_i32_u32_e32 v5, v4
	s_delay_alu instid0(VALU_DEP_2) | instskip(NEXT) | instid1(VALU_DEP_2)
	v_cmp_eq_u32_e32 vcc_lo, 0, v8
	v_min_u32_e32 v5, 32, v5
	s_delay_alu instid0(VALU_DEP_1) | instskip(NEXT) | instid1(VALU_DEP_1)
	v_subrev_nc_u32_e32 v7, 28, v5
	v_dual_lshlrev_b32 v3, v7, v3 :: v_dual_sub_nc_u32 v5, 29, v5
	s_delay_alu instid0(VALU_DEP_1) | instskip(NEXT) | instid1(VALU_DEP_2)
	v_dual_lshlrev_b32 v2, 24, v2 :: v_dual_bitop2_b32 v3, 7, v3 bitop3:0x40
	v_cndmask_b32_e32 v5, v8, v5, vcc_lo
	s_delay_alu instid0(VALU_DEP_2) | instskip(NEXT) | instid1(VALU_DEP_3)
	v_cndmask_b32_e32 v3, v4, v3, vcc_lo
	v_and_b32_e32 v2, 0x80000000, v2
	s_delay_alu instid0(VALU_DEP_3) | instskip(NEXT) | instid1(VALU_DEP_3)
	v_lshl_add_u32 v4, v5, 23, 0x3b800000
	v_lshlrev_b32_e32 v3, 20, v3
	s_delay_alu instid0(VALU_DEP_1)
	v_or3_b32 v3, v2, v4, v3
.LBB92_823:
	s_or_b32 exec_lo, exec_lo, s30
	s_delay_alu instid0(VALU_DEP_1) | instskip(SKIP_1) | instid1(VALU_DEP_2)
	v_bfe_u32 v2, v3, 16, 1
	v_cmp_o_f32_e32 vcc_lo, v3, v3
	v_add3_u32 v2, v3, v2, 0x7fff
	s_delay_alu instid0(VALU_DEP_1) | instskip(NEXT) | instid1(VALU_DEP_1)
	v_lshrrev_b32_e32 v2, 16, v2
	v_cndmask_b32_e32 v2, 0x7fc0, v2, vcc_lo
.LBB92_824:
	s_mov_b32 s29, -1
.LBB92_825:
	s_mov_b32 s30, 0
.LBB92_826:
	s_delay_alu instid0(SALU_CYCLE_1)
	s_and_b32 vcc_lo, exec_lo, s30
	s_cbranch_vccz .LBB92_861
; %bb.827:
	s_cmp_gt_i32 s28, 22
	s_cbranch_scc0 .LBB92_837
; %bb.828:
	s_cmp_lt_i32 s28, 24
	s_cbranch_scc1 .LBB92_840
; %bb.829:
	s_cmp_gt_i32 s28, 24
	s_cbranch_scc0 .LBB92_841
; %bb.830:
	s_wait_loadcnt 0x0
	global_load_u8 v2, v[0:1], off
	s_mov_b32 s29, 0
	s_mov_b32 s30, exec_lo
	s_wait_loadcnt 0x0
	v_cmpx_lt_i16_e32 0x7f, v2
	s_xor_b32 s30, exec_lo, s30
	s_cbranch_execz .LBB92_853
; %bb.831:
	s_mov_b32 s29, -1
	s_mov_b32 s31, exec_lo
	v_cmpx_eq_u16_e32 0x80, v2
; %bb.832:
	s_xor_b32 s29, exec_lo, -1
; %bb.833:
	s_or_b32 exec_lo, exec_lo, s31
	s_delay_alu instid0(SALU_CYCLE_1)
	s_and_b32 s29, s29, exec_lo
	s_or_saveexec_b32 s30, s30
	v_mov_b32_e32 v3, 0x7f800001
	s_xor_b32 exec_lo, exec_lo, s30
	s_cbranch_execnz .LBB92_854
.LBB92_834:
	s_or_b32 exec_lo, exec_lo, s30
	s_and_saveexec_b32 s30, s29
	s_cbranch_execz .LBB92_836
.LBB92_835:
	v_and_b32_e32 v3, 0xffff, v2
	s_delay_alu instid0(VALU_DEP_1) | instskip(SKIP_1) | instid1(VALU_DEP_2)
	v_and_b32_e32 v4, 3, v3
	v_bfe_u32 v8, v3, 2, 5
	v_clz_i32_u32_e32 v5, v4
	s_delay_alu instid0(VALU_DEP_2) | instskip(NEXT) | instid1(VALU_DEP_2)
	v_cmp_eq_u32_e32 vcc_lo, 0, v8
	v_min_u32_e32 v5, 32, v5
	s_delay_alu instid0(VALU_DEP_1) | instskip(NEXT) | instid1(VALU_DEP_1)
	v_subrev_nc_u32_e32 v7, 29, v5
	v_dual_lshlrev_b32 v3, v7, v3 :: v_dual_sub_nc_u32 v5, 30, v5
	s_delay_alu instid0(VALU_DEP_1) | instskip(NEXT) | instid1(VALU_DEP_2)
	v_dual_lshlrev_b32 v2, 24, v2 :: v_dual_bitop2_b32 v3, 3, v3 bitop3:0x40
	v_cndmask_b32_e32 v5, v8, v5, vcc_lo
	s_delay_alu instid0(VALU_DEP_2) | instskip(NEXT) | instid1(VALU_DEP_3)
	v_cndmask_b32_e32 v3, v4, v3, vcc_lo
	v_and_b32_e32 v2, 0x80000000, v2
	s_delay_alu instid0(VALU_DEP_3) | instskip(NEXT) | instid1(VALU_DEP_3)
	v_lshl_add_u32 v4, v5, 23, 0x37800000
	v_lshlrev_b32_e32 v3, 21, v3
	s_delay_alu instid0(VALU_DEP_1)
	v_or3_b32 v3, v2, v4, v3
.LBB92_836:
	s_or_b32 exec_lo, exec_lo, s30
	s_delay_alu instid0(VALU_DEP_1) | instskip(SKIP_2) | instid1(VALU_DEP_2)
	v_bfe_u32 v2, v3, 16, 1
	v_cmp_o_f32_e32 vcc_lo, v3, v3
	s_mov_b32 s29, 0
	v_add3_u32 v2, v3, v2, 0x7fff
	s_delay_alu instid0(VALU_DEP_1) | instskip(NEXT) | instid1(VALU_DEP_1)
	v_lshrrev_b32_e32 v2, 16, v2
	v_cndmask_b32_e32 v2, 0x7fc0, v2, vcc_lo
	s_branch .LBB92_842
.LBB92_837:
	s_mov_b32 s30, -1
                                        ; implicit-def: $vgpr2
	s_branch .LBB92_848
.LBB92_838:
	s_or_saveexec_b32 s30, s30
	v_mov_b32_e32 v3, 0x7f800001
	s_xor_b32 exec_lo, exec_lo, s30
	s_cbranch_execz .LBB92_821
.LBB92_839:
	v_cmp_ne_u16_e32 vcc_lo, 0, v2
	v_mov_b32_e32 v3, 0
	s_and_not1_b32 s29, s29, exec_lo
	s_and_b32 s31, vcc_lo, exec_lo
	s_delay_alu instid0(SALU_CYCLE_1)
	s_or_b32 s29, s29, s31
	s_or_b32 exec_lo, exec_lo, s30
	s_and_saveexec_b32 s30, s29
	s_cbranch_execnz .LBB92_822
	s_branch .LBB92_823
.LBB92_840:
	s_mov_b32 s29, -1
                                        ; implicit-def: $vgpr2
	s_branch .LBB92_845
.LBB92_841:
	s_mov_b32 s29, -1
                                        ; implicit-def: $vgpr2
.LBB92_842:
	s_delay_alu instid0(SALU_CYCLE_1)
	s_and_b32 vcc_lo, exec_lo, s29
	s_cbranch_vccz .LBB92_844
; %bb.843:
	s_wait_loadcnt 0x0
	global_load_u8 v2, v[0:1], off
	s_wait_loadcnt 0x0
	v_lshlrev_b32_e32 v2, 24, v2
	s_delay_alu instid0(VALU_DEP_1) | instskip(NEXT) | instid1(VALU_DEP_1)
	v_and_b32_e32 v3, 0x7f000000, v2
	v_clz_i32_u32_e32 v4, v3
	v_add_nc_u32_e32 v7, 0x1000000, v3
	v_cmp_ne_u32_e32 vcc_lo, 0, v3
	s_delay_alu instid0(VALU_DEP_3) | instskip(NEXT) | instid1(VALU_DEP_1)
	v_min_u32_e32 v4, 32, v4
	v_sub_nc_u32_e64 v4, v4, 4 clamp
	s_delay_alu instid0(VALU_DEP_1) | instskip(NEXT) | instid1(VALU_DEP_1)
	v_dual_lshlrev_b32 v5, v4, v3 :: v_dual_lshlrev_b32 v4, 23, v4
	v_lshrrev_b32_e32 v5, 4, v5
	s_delay_alu instid0(VALU_DEP_1) | instskip(NEXT) | instid1(VALU_DEP_1)
	v_dual_sub_nc_u32 v4, v5, v4 :: v_dual_ashrrev_i32 v5, 8, v7
	v_add_nc_u32_e32 v4, 0x3c000000, v4
	s_delay_alu instid0(VALU_DEP_1) | instskip(NEXT) | instid1(VALU_DEP_1)
	v_and_or_b32 v4, 0x7f800000, v5, v4
	v_cndmask_b32_e32 v3, 0, v4, vcc_lo
	s_delay_alu instid0(VALU_DEP_1) | instskip(SKIP_1) | instid1(VALU_DEP_2)
	v_and_or_b32 v2, 0x80000000, v2, v3
	v_bfe_u32 v3, v3, 16, 1
	v_cmp_o_f32_e32 vcc_lo, v2, v2
	s_delay_alu instid0(VALU_DEP_2) | instskip(NEXT) | instid1(VALU_DEP_1)
	v_add3_u32 v3, v2, v3, 0x7fff
	v_lshrrev_b32_e32 v3, 16, v3
	s_delay_alu instid0(VALU_DEP_1)
	v_cndmask_b32_e32 v2, 0x7fc0, v3, vcc_lo
.LBB92_844:
	s_mov_b32 s29, 0
.LBB92_845:
	s_delay_alu instid0(SALU_CYCLE_1)
	s_and_not1_b32 vcc_lo, exec_lo, s29
	s_cbranch_vccnz .LBB92_847
; %bb.846:
	s_wait_loadcnt 0x0
	global_load_u8 v2, v[0:1], off
	s_wait_loadcnt 0x0
	v_lshlrev_b32_e32 v3, 25, v2
	v_lshlrev_b16 v2, 8, v2
	s_delay_alu instid0(VALU_DEP_1) | instskip(SKIP_1) | instid1(VALU_DEP_2)
	v_and_or_b32 v5, 0x7f00, v2, 0.5
	v_bfe_i32 v2, v2, 0, 16
	v_dual_add_f32 v5, -0.5, v5 :: v_dual_lshrrev_b32 v4, 4, v3
	v_cmp_gt_u32_e32 vcc_lo, 0x8000000, v3
	s_delay_alu instid0(VALU_DEP_2) | instskip(NEXT) | instid1(VALU_DEP_1)
	v_or_b32_e32 v4, 0x70000000, v4
	v_mul_f32_e32 v4, 0x7800000, v4
	s_delay_alu instid0(VALU_DEP_1) | instskip(NEXT) | instid1(VALU_DEP_1)
	v_cndmask_b32_e32 v3, v4, v5, vcc_lo
	v_and_or_b32 v2, 0x80000000, v2, v3
	v_bfe_u32 v3, v3, 16, 1
	s_delay_alu instid0(VALU_DEP_2) | instskip(NEXT) | instid1(VALU_DEP_2)
	v_cmp_o_f32_e32 vcc_lo, v2, v2
	v_add3_u32 v3, v2, v3, 0x7fff
	s_delay_alu instid0(VALU_DEP_1) | instskip(NEXT) | instid1(VALU_DEP_1)
	v_lshrrev_b32_e32 v3, 16, v3
	v_cndmask_b32_e32 v2, 0x7fc0, v3, vcc_lo
.LBB92_847:
	s_mov_b32 s30, 0
	s_mov_b32 s29, -1
.LBB92_848:
	s_and_not1_b32 vcc_lo, exec_lo, s30
	s_cbranch_vccnz .LBB92_861
; %bb.849:
	s_cmp_gt_i32 s28, 14
	s_cbranch_scc0 .LBB92_852
; %bb.850:
	s_cmp_eq_u32 s28, 15
	s_cbranch_scc0 .LBB92_855
; %bb.851:
	s_wait_loadcnt 0x0
	global_load_u16 v2, v[0:1], off
	s_mov_b32 s29, -1
	s_mov_b32 s27, 0
	s_branch .LBB92_856
.LBB92_852:
	s_mov_b32 s30, -1
                                        ; implicit-def: $vgpr2
	s_branch .LBB92_857
.LBB92_853:
	s_or_saveexec_b32 s30, s30
	v_mov_b32_e32 v3, 0x7f800001
	s_xor_b32 exec_lo, exec_lo, s30
	s_cbranch_execz .LBB92_834
.LBB92_854:
	v_cmp_ne_u16_e32 vcc_lo, 0, v2
	v_mov_b32_e32 v3, 0
	s_and_not1_b32 s29, s29, exec_lo
	s_and_b32 s31, vcc_lo, exec_lo
	s_delay_alu instid0(SALU_CYCLE_1)
	s_or_b32 s29, s29, s31
	s_or_b32 exec_lo, exec_lo, s30
	s_and_saveexec_b32 s30, s29
	s_cbranch_execnz .LBB92_835
	s_branch .LBB92_836
.LBB92_855:
	s_mov_b32 s27, -1
                                        ; implicit-def: $vgpr2
.LBB92_856:
	s_mov_b32 s30, 0
.LBB92_857:
	s_delay_alu instid0(SALU_CYCLE_1)
	s_and_b32 vcc_lo, exec_lo, s30
	s_cbranch_vccz .LBB92_861
; %bb.858:
	s_cmp_eq_u32 s28, 11
	s_cbranch_scc0 .LBB92_860
; %bb.859:
	s_wait_loadcnt 0x0
	global_load_u8 v2, v[0:1], off
	s_mov_b32 s27, 0
	s_mov_b32 s29, -1
	s_wait_loadcnt 0x0
	v_cmp_ne_u16_e32 vcc_lo, 0, v2
	v_cndmask_b32_e64 v2, 0, 1.0, vcc_lo
	s_delay_alu instid0(VALU_DEP_1)
	v_lshrrev_b32_e32 v2, 16, v2
	s_branch .LBB92_861
.LBB92_860:
	s_mov_b32 s27, -1
                                        ; implicit-def: $vgpr2
.LBB92_861:
	s_mov_b32 s28, 0
.LBB92_862:
	s_delay_alu instid0(SALU_CYCLE_1)
	s_and_b32 vcc_lo, exec_lo, s28
	s_cbranch_vccz .LBB92_911
; %bb.863:
	s_and_b32 s0, 0xffff, s0
	s_delay_alu instid0(SALU_CYCLE_1)
	s_cmp_lt_i32 s0, 5
	s_cbranch_scc1 .LBB92_868
; %bb.864:
	s_cmp_lt_i32 s0, 8
	s_cbranch_scc1 .LBB92_869
; %bb.865:
	;; [unrolled: 3-line block ×3, first 2 shown]
	s_cmp_gt_i32 s0, 9
	s_cbranch_scc0 .LBB92_871
; %bb.867:
	s_wait_loadcnt 0x0
	global_load_b64 v[2:3], v[0:1], off
	s_mov_b32 s28, 0
	s_wait_loadcnt 0x0
	v_cvt_f32_f64_e32 v2, v[2:3]
	s_delay_alu instid0(VALU_DEP_1) | instskip(SKIP_1) | instid1(VALU_DEP_2)
	v_bfe_u32 v3, v2, 16, 1
	v_cmp_o_f32_e32 vcc_lo, v2, v2
	v_add3_u32 v3, v2, v3, 0x7fff
	s_delay_alu instid0(VALU_DEP_1) | instskip(NEXT) | instid1(VALU_DEP_1)
	v_lshrrev_b32_e32 v3, 16, v3
	v_cndmask_b32_e32 v2, 0x7fc0, v3, vcc_lo
	s_branch .LBB92_872
.LBB92_868:
	s_mov_b32 s28, -1
                                        ; implicit-def: $vgpr2
	s_branch .LBB92_890
.LBB92_869:
	s_mov_b32 s28, -1
                                        ; implicit-def: $vgpr2
	s_branch .LBB92_878
.LBB92_870:
	s_mov_b32 s28, -1
                                        ; implicit-def: $vgpr2
	s_branch .LBB92_875
.LBB92_871:
	s_mov_b32 s28, -1
                                        ; implicit-def: $vgpr2
.LBB92_872:
	s_delay_alu instid0(SALU_CYCLE_1)
	s_and_not1_b32 vcc_lo, exec_lo, s28
	s_cbranch_vccnz .LBB92_874
; %bb.873:
	s_wait_loadcnt 0x0
	global_load_b32 v2, v[0:1], off
	s_wait_loadcnt 0x0
	v_bfe_u32 v3, v2, 16, 1
	v_cmp_o_f32_e32 vcc_lo, v2, v2
	s_delay_alu instid0(VALU_DEP_2) | instskip(NEXT) | instid1(VALU_DEP_1)
	v_add3_u32 v3, v2, v3, 0x7fff
	v_lshrrev_b32_e32 v3, 16, v3
	s_delay_alu instid0(VALU_DEP_1)
	v_cndmask_b32_e32 v2, 0x7fc0, v3, vcc_lo
.LBB92_874:
	s_mov_b32 s28, 0
.LBB92_875:
	s_delay_alu instid0(SALU_CYCLE_1)
	s_and_not1_b32 vcc_lo, exec_lo, s28
	s_cbranch_vccnz .LBB92_877
; %bb.876:
	s_wait_loadcnt 0x0
	global_load_b32 v2, v[0:1], off
	s_wait_loadcnt 0x0
	v_cvt_f32_f16_e32 v3, v2
	v_cmp_o_f16_e32 vcc_lo, v2, v2
	s_delay_alu instid0(VALU_DEP_2) | instskip(NEXT) | instid1(VALU_DEP_1)
	v_bfe_u32 v4, v3, 16, 1
	v_add3_u32 v3, v3, v4, 0x7fff
	s_delay_alu instid0(VALU_DEP_1) | instskip(NEXT) | instid1(VALU_DEP_1)
	v_lshrrev_b32_e32 v3, 16, v3
	v_cndmask_b32_e32 v2, 0x7fc0, v3, vcc_lo
.LBB92_877:
	s_mov_b32 s28, 0
.LBB92_878:
	s_delay_alu instid0(SALU_CYCLE_1)
	s_and_not1_b32 vcc_lo, exec_lo, s28
	s_cbranch_vccnz .LBB92_889
; %bb.879:
	s_cmp_lt_i32 s0, 6
	s_cbranch_scc1 .LBB92_882
; %bb.880:
	s_cmp_gt_i32 s0, 6
	s_cbranch_scc0 .LBB92_883
; %bb.881:
	s_wait_loadcnt 0x0
	global_load_b64 v[2:3], v[0:1], off
	s_mov_b32 s28, 0
	s_wait_loadcnt 0x0
	v_cvt_f32_f64_e32 v2, v[2:3]
	s_delay_alu instid0(VALU_DEP_1) | instskip(SKIP_1) | instid1(VALU_DEP_2)
	v_bfe_u32 v3, v2, 16, 1
	v_cmp_o_f32_e32 vcc_lo, v2, v2
	v_add3_u32 v3, v2, v3, 0x7fff
	s_delay_alu instid0(VALU_DEP_1) | instskip(NEXT) | instid1(VALU_DEP_1)
	v_lshrrev_b32_e32 v3, 16, v3
	v_cndmask_b32_e32 v2, 0x7fc0, v3, vcc_lo
	s_branch .LBB92_884
.LBB92_882:
	s_mov_b32 s28, -1
                                        ; implicit-def: $vgpr2
	s_branch .LBB92_887
.LBB92_883:
	s_mov_b32 s28, -1
                                        ; implicit-def: $vgpr2
.LBB92_884:
	s_delay_alu instid0(SALU_CYCLE_1)
	s_and_not1_b32 vcc_lo, exec_lo, s28
	s_cbranch_vccnz .LBB92_886
; %bb.885:
	s_wait_loadcnt 0x0
	global_load_b32 v2, v[0:1], off
	s_wait_loadcnt 0x0
	v_bfe_u32 v3, v2, 16, 1
	v_cmp_o_f32_e32 vcc_lo, v2, v2
	s_delay_alu instid0(VALU_DEP_2) | instskip(NEXT) | instid1(VALU_DEP_1)
	v_add3_u32 v3, v2, v3, 0x7fff
	v_lshrrev_b32_e32 v3, 16, v3
	s_delay_alu instid0(VALU_DEP_1)
	v_cndmask_b32_e32 v2, 0x7fc0, v3, vcc_lo
.LBB92_886:
	s_mov_b32 s28, 0
.LBB92_887:
	s_delay_alu instid0(SALU_CYCLE_1)
	s_and_not1_b32 vcc_lo, exec_lo, s28
	s_cbranch_vccnz .LBB92_889
; %bb.888:
	s_wait_loadcnt 0x0
	global_load_u16 v2, v[0:1], off
	s_wait_loadcnt 0x0
	v_cvt_f32_f16_e32 v3, v2
	v_cmp_o_f16_e32 vcc_lo, v2, v2
	s_delay_alu instid0(VALU_DEP_2) | instskip(NEXT) | instid1(VALU_DEP_1)
	v_bfe_u32 v4, v3, 16, 1
	v_add3_u32 v3, v3, v4, 0x7fff
	s_delay_alu instid0(VALU_DEP_1) | instskip(NEXT) | instid1(VALU_DEP_1)
	v_lshrrev_b32_e32 v3, 16, v3
	v_cndmask_b32_e32 v2, 0x7fc0, v3, vcc_lo
.LBB92_889:
	s_mov_b32 s28, 0
.LBB92_890:
	s_delay_alu instid0(SALU_CYCLE_1)
	s_and_not1_b32 vcc_lo, exec_lo, s28
	s_cbranch_vccnz .LBB92_910
; %bb.891:
	s_cmp_lt_i32 s0, 2
	s_cbranch_scc1 .LBB92_895
; %bb.892:
	s_cmp_lt_i32 s0, 3
	s_cbranch_scc1 .LBB92_896
; %bb.893:
	s_cmp_gt_i32 s0, 3
	s_cbranch_scc0 .LBB92_897
; %bb.894:
	s_wait_loadcnt 0x0
	global_load_b64 v[2:3], v[0:1], off
	s_mov_b32 s28, 0
	s_wait_loadcnt 0x0
	v_xor_b32_e32 v4, v2, v3
	v_cls_i32_e32 v5, v3
	s_delay_alu instid0(VALU_DEP_2) | instskip(NEXT) | instid1(VALU_DEP_1)
	v_ashrrev_i32_e32 v4, 31, v4
	v_add_nc_u32_e32 v4, 32, v4
	s_delay_alu instid0(VALU_DEP_1) | instskip(NEXT) | instid1(VALU_DEP_1)
	v_add_min_u32_e64 v4, v5, -1, v4
	v_lshlrev_b64_e32 v[2:3], v4, v[2:3]
	s_delay_alu instid0(VALU_DEP_1) | instskip(NEXT) | instid1(VALU_DEP_1)
	v_min_u32_e32 v2, 1, v2
	v_dual_sub_nc_u32 v3, 32, v4 :: v_dual_bitop2_b32 v2, v3, v2 bitop3:0x54
	s_delay_alu instid0(VALU_DEP_1) | instskip(NEXT) | instid1(VALU_DEP_1)
	v_cvt_f32_i32_e32 v2, v2
	v_ldexp_f32 v2, v2, v3
	s_delay_alu instid0(VALU_DEP_1) | instskip(NEXT) | instid1(VALU_DEP_1)
	v_bfe_u32 v3, v2, 16, 1
	v_add3_u32 v2, v2, v3, 0x7fff
	s_delay_alu instid0(VALU_DEP_1)
	v_lshrrev_b32_e32 v2, 16, v2
	s_branch .LBB92_898
.LBB92_895:
	s_mov_b32 s28, -1
                                        ; implicit-def: $vgpr2
	s_branch .LBB92_904
.LBB92_896:
	s_mov_b32 s28, -1
                                        ; implicit-def: $vgpr2
	s_branch .LBB92_901
.LBB92_897:
	s_mov_b32 s28, -1
                                        ; implicit-def: $vgpr2
.LBB92_898:
	s_delay_alu instid0(SALU_CYCLE_1)
	s_and_not1_b32 vcc_lo, exec_lo, s28
	s_cbranch_vccnz .LBB92_900
; %bb.899:
	s_wait_loadcnt 0x0
	global_load_b32 v2, v[0:1], off
	s_wait_loadcnt 0x0
	v_cvt_f32_i32_e32 v2, v2
	s_delay_alu instid0(VALU_DEP_1) | instskip(NEXT) | instid1(VALU_DEP_1)
	v_bfe_u32 v3, v2, 16, 1
	v_add3_u32 v2, v2, v3, 0x7fff
	s_delay_alu instid0(VALU_DEP_1)
	v_lshrrev_b32_e32 v2, 16, v2
.LBB92_900:
	s_mov_b32 s28, 0
.LBB92_901:
	s_delay_alu instid0(SALU_CYCLE_1)
	s_and_not1_b32 vcc_lo, exec_lo, s28
	s_cbranch_vccnz .LBB92_903
; %bb.902:
	s_wait_loadcnt 0x0
	global_load_i16 v2, v[0:1], off
	s_wait_loadcnt 0x0
	v_cvt_f32_i32_e32 v2, v2
	s_delay_alu instid0(VALU_DEP_1) | instskip(NEXT) | instid1(VALU_DEP_1)
	v_bfe_u32 v3, v2, 16, 1
	v_add3_u32 v2, v2, v3, 0x7fff
	s_delay_alu instid0(VALU_DEP_1)
	v_lshrrev_b32_e32 v2, 16, v2
.LBB92_903:
	s_mov_b32 s28, 0
.LBB92_904:
	s_delay_alu instid0(SALU_CYCLE_1)
	s_and_not1_b32 vcc_lo, exec_lo, s28
	s_cbranch_vccnz .LBB92_910
; %bb.905:
	s_cmp_gt_i32 s0, 0
	s_mov_b32 s0, 0
	s_cbranch_scc0 .LBB92_907
; %bb.906:
	s_wait_loadcnt 0x0
	global_load_i8 v2, v[0:1], off
	s_wait_loadcnt 0x0
	v_cvt_f32_i32_e32 v2, v2
	s_delay_alu instid0(VALU_DEP_1) | instskip(NEXT) | instid1(VALU_DEP_1)
	v_bfe_u32 v3, v2, 16, 1
	v_add3_u32 v2, v2, v3, 0x7fff
	s_delay_alu instid0(VALU_DEP_1)
	v_lshrrev_b32_e32 v2, 16, v2
	s_branch .LBB92_908
.LBB92_907:
	s_mov_b32 s0, -1
                                        ; implicit-def: $vgpr2
.LBB92_908:
	s_delay_alu instid0(SALU_CYCLE_1)
	s_and_not1_b32 vcc_lo, exec_lo, s0
	s_cbranch_vccnz .LBB92_910
; %bb.909:
	global_load_u8 v0, v[0:1], off
	s_wait_loadcnt 0x0
	v_cvt_f32_ubyte0_e32 v0, v0
	s_delay_alu instid0(VALU_DEP_1) | instskip(NEXT) | instid1(VALU_DEP_1)
	v_bfe_u32 v1, v0, 16, 1
	v_add3_u32 v0, v0, v1, 0x7fff
	s_delay_alu instid0(VALU_DEP_1)
	v_lshrrev_b32_e32 v2, 16, v0
.LBB92_910:
	s_mov_b32 s29, -1
.LBB92_911:
	s_delay_alu instid0(SALU_CYCLE_1)
	s_and_not1_b32 vcc_lo, exec_lo, s29
	s_cbranch_vccnz .LBB92_919
; %bb.912:
	s_wait_xcnt 0x0
	v_mul_lo_u32 v0, v6, s10
	s_and_b32 s0, s1, 0xff
	s_delay_alu instid0(SALU_CYCLE_1) | instskip(NEXT) | instid1(VALU_DEP_1)
	s_cmp_lt_i32 s0, 11
	v_ashrrev_i32_e32 v1, 31, v0
	s_delay_alu instid0(VALU_DEP_1)
	v_add_nc_u64_e32 v[0:1], s[12:13], v[0:1]
	s_cbranch_scc1 .LBB92_920
; %bb.913:
	s_and_b32 s29, 0xffff, s0
	s_delay_alu instid0(SALU_CYCLE_1)
	s_cmp_gt_i32 s29, 25
	s_cbranch_scc0 .LBB92_921
; %bb.914:
	s_cmp_gt_i32 s29, 28
	s_cbranch_scc0 .LBB92_922
; %bb.915:
	;; [unrolled: 3-line block ×4, first 2 shown]
	s_cmp_eq_u32 s29, 46
	s_mov_b32 s31, 0
	s_cbranch_scc0 .LBB92_927
; %bb.918:
	s_wait_loadcnt 0x0
	global_load_b32 v3, v[0:1], off
	s_mov_b32 s30, -1
	s_mov_b32 s28, 0
	s_branch .LBB92_929
.LBB92_919:
	s_mov_b32 s30, 0
	s_mov_b32 s0, s23
	s_mov_b32 s28, s24
	s_branch .LBB92_1170
.LBB92_920:
	s_mov_b32 s29, -1
	s_mov_b32 s30, 0
	s_mov_b32 s28, s24
                                        ; implicit-def: $vgpr3
	s_branch .LBB92_994
.LBB92_921:
	s_mov_b32 s31, -1
	s_mov_b32 s30, 0
	s_mov_b32 s28, s24
                                        ; implicit-def: $vgpr3
	s_branch .LBB92_958
.LBB92_922:
	s_mov_b32 s31, -1
	s_mov_b32 s30, 0
	s_mov_b32 s28, s24
                                        ; implicit-def: $vgpr3
	s_branch .LBB92_939
.LBB92_923:
	s_mov_b32 s31, -1
	s_mov_b32 s30, 0
	s_mov_b32 s28, s24
                                        ; implicit-def: $vgpr3
	s_branch .LBB92_934
.LBB92_924:
	s_mov_b32 s31, -1
	s_mov_b32 s30, 0
	s_mov_b32 s28, s24
	s_branch .LBB92_928
.LBB92_925:
	s_and_not1_saveexec_b32 s29, s29
	s_cbranch_execz .LBB92_700
.LBB92_926:
	v_add_f32_e64 v4, 0x42800000, |v5|
	s_and_not1_b32 s28, s28, exec_lo
	s_delay_alu instid0(VALU_DEP_1) | instskip(NEXT) | instid1(VALU_DEP_1)
	v_and_b32_e32 v4, 0xff, v4
	v_cmp_ne_u32_e32 vcc_lo, 0, v4
	s_and_b32 s30, vcc_lo, exec_lo
	s_delay_alu instid0(SALU_CYCLE_1)
	s_or_b32 s28, s28, s30
	s_or_b32 exec_lo, exec_lo, s29
	v_mov_b32_e32 v7, 0
	s_and_saveexec_b32 s29, s28
	s_cbranch_execnz .LBB92_701
	s_branch .LBB92_702
.LBB92_927:
	s_mov_b32 s28, -1
	s_mov_b32 s30, 0
.LBB92_928:
                                        ; implicit-def: $vgpr3
.LBB92_929:
	s_and_b32 vcc_lo, exec_lo, s31
	s_cbranch_vccz .LBB92_933
; %bb.930:
	s_cmp_eq_u32 s29, 44
	s_cbranch_scc0 .LBB92_932
; %bb.931:
	s_wait_loadcnt 0x0
	global_load_u8 v3, v[0:1], off
	s_mov_b32 s28, 0
	s_mov_b32 s30, -1
	s_wait_loadcnt 0x0
	v_lshlrev_b32_e32 v4, 23, v3
	v_cmp_ne_u32_e32 vcc_lo, 0xff, v3
	s_delay_alu instid0(VALU_DEP_2) | instskip(SKIP_1) | instid1(VALU_DEP_2)
	v_cndmask_b32_e32 v4, 0x7f800001, v4, vcc_lo
	v_cmp_ne_u32_e32 vcc_lo, 0, v3
	v_cndmask_b32_e32 v3, 0x400000, v4, vcc_lo
	s_delay_alu instid0(VALU_DEP_1) | instskip(NEXT) | instid1(VALU_DEP_1)
	v_add_nc_u32_e32 v4, 0x7fff, v3
	v_lshrrev_b32_e32 v4, 16, v4
	v_cmp_o_f32_e32 vcc_lo, v3, v3
	s_delay_alu instid0(VALU_DEP_2)
	v_cndmask_b32_e32 v3, 0x7fc0, v4, vcc_lo
	s_branch .LBB92_933
.LBB92_932:
	s_mov_b32 s28, -1
                                        ; implicit-def: $vgpr3
.LBB92_933:
	s_mov_b32 s31, 0
.LBB92_934:
	s_delay_alu instid0(SALU_CYCLE_1)
	s_and_b32 vcc_lo, exec_lo, s31
	s_cbranch_vccz .LBB92_938
; %bb.935:
	s_cmp_eq_u32 s29, 29
	s_cbranch_scc0 .LBB92_937
; %bb.936:
	global_load_b64 v[4:5], v[0:1], off
	s_mov_b32 s30, -1
	s_mov_b32 s28, 0
	s_mov_b32 s31, 0
	s_wait_loadcnt 0x0
	v_clz_i32_u32_e32 v3, v5
	s_delay_alu instid0(VALU_DEP_1) | instskip(NEXT) | instid1(VALU_DEP_1)
	v_min_u32_e32 v3, 32, v3
	v_lshlrev_b64_e32 v[4:5], v3, v[4:5]
	v_sub_nc_u32_e32 v3, 32, v3
	s_delay_alu instid0(VALU_DEP_2) | instskip(NEXT) | instid1(VALU_DEP_1)
	v_min_u32_e32 v4, 1, v4
	v_or_b32_e32 v4, v5, v4
	s_delay_alu instid0(VALU_DEP_1) | instskip(NEXT) | instid1(VALU_DEP_1)
	v_cvt_f32_u32_e32 v4, v4
	v_ldexp_f32 v3, v4, v3
	s_delay_alu instid0(VALU_DEP_1) | instskip(NEXT) | instid1(VALU_DEP_1)
	v_bfe_u32 v4, v3, 16, 1
	v_add3_u32 v3, v3, v4, 0x7fff
	s_delay_alu instid0(VALU_DEP_1)
	v_lshrrev_b32_e32 v3, 16, v3
	s_branch .LBB92_939
.LBB92_937:
	s_mov_b32 s28, -1
                                        ; implicit-def: $vgpr3
.LBB92_938:
	s_mov_b32 s31, 0
.LBB92_939:
	s_delay_alu instid0(SALU_CYCLE_1)
	s_and_b32 vcc_lo, exec_lo, s31
	s_cbranch_vccz .LBB92_957
; %bb.940:
	s_cmp_lt_i32 s29, 27
	s_cbranch_scc1 .LBB92_943
; %bb.941:
	s_cmp_gt_i32 s29, 27
	s_cbranch_scc0 .LBB92_944
; %bb.942:
	s_wait_loadcnt 0x0
	global_load_b32 v3, v[0:1], off
	s_mov_b32 s30, 0
	s_wait_loadcnt 0x0
	v_cvt_f32_u32_e32 v3, v3
	s_delay_alu instid0(VALU_DEP_1) | instskip(NEXT) | instid1(VALU_DEP_1)
	v_bfe_u32 v4, v3, 16, 1
	v_add3_u32 v3, v3, v4, 0x7fff
	s_delay_alu instid0(VALU_DEP_1)
	v_lshrrev_b32_e32 v3, 16, v3
	s_branch .LBB92_945
.LBB92_943:
	s_mov_b32 s30, -1
                                        ; implicit-def: $vgpr3
	s_branch .LBB92_948
.LBB92_944:
	s_mov_b32 s30, -1
                                        ; implicit-def: $vgpr3
.LBB92_945:
	s_delay_alu instid0(SALU_CYCLE_1)
	s_and_not1_b32 vcc_lo, exec_lo, s30
	s_cbranch_vccnz .LBB92_947
; %bb.946:
	s_wait_loadcnt 0x0
	global_load_u16 v3, v[0:1], off
	s_wait_loadcnt 0x0
	v_cvt_f32_u32_e32 v3, v3
	s_delay_alu instid0(VALU_DEP_1) | instskip(NEXT) | instid1(VALU_DEP_1)
	v_bfe_u32 v4, v3, 16, 1
	v_add3_u32 v3, v3, v4, 0x7fff
	s_delay_alu instid0(VALU_DEP_1)
	v_lshrrev_b32_e32 v3, 16, v3
.LBB92_947:
	s_mov_b32 s30, 0
.LBB92_948:
	s_delay_alu instid0(SALU_CYCLE_1)
	s_and_not1_b32 vcc_lo, exec_lo, s30
	s_cbranch_vccnz .LBB92_956
; %bb.949:
	s_wait_loadcnt 0x0
	global_load_u8 v3, v[0:1], off
	s_mov_b32 s30, 0
	s_mov_b32 s31, exec_lo
	s_wait_loadcnt 0x0
	v_cmpx_lt_i16_e32 0x7f, v3
	s_xor_b32 s31, exec_lo, s31
	s_cbranch_execz .LBB92_970
; %bb.950:
	s_mov_b32 s30, -1
	s_mov_b32 s33, exec_lo
	v_cmpx_eq_u16_e32 0x80, v3
; %bb.951:
	s_xor_b32 s30, exec_lo, -1
; %bb.952:
	s_or_b32 exec_lo, exec_lo, s33
	s_delay_alu instid0(SALU_CYCLE_1)
	s_and_b32 s30, s30, exec_lo
	s_or_saveexec_b32 s31, s31
	v_mov_b32_e32 v4, 0x7f800001
	s_xor_b32 exec_lo, exec_lo, s31
	s_cbranch_execnz .LBB92_971
.LBB92_953:
	s_or_b32 exec_lo, exec_lo, s31
	s_and_saveexec_b32 s31, s30
	s_cbranch_execz .LBB92_955
.LBB92_954:
	v_and_b32_e32 v4, 0xffff, v3
	s_delay_alu instid0(VALU_DEP_1) | instskip(SKIP_1) | instid1(VALU_DEP_2)
	v_and_b32_e32 v5, 7, v4
	v_bfe_u32 v9, v4, 3, 4
	v_clz_i32_u32_e32 v7, v5
	s_delay_alu instid0(VALU_DEP_2) | instskip(NEXT) | instid1(VALU_DEP_2)
	v_cmp_eq_u32_e32 vcc_lo, 0, v9
	v_min_u32_e32 v7, 32, v7
	s_delay_alu instid0(VALU_DEP_1) | instskip(NEXT) | instid1(VALU_DEP_1)
	v_subrev_nc_u32_e32 v8, 28, v7
	v_dual_lshlrev_b32 v4, v8, v4 :: v_dual_sub_nc_u32 v7, 29, v7
	s_delay_alu instid0(VALU_DEP_1) | instskip(NEXT) | instid1(VALU_DEP_1)
	v_dual_lshlrev_b32 v3, 24, v3 :: v_dual_bitop2_b32 v4, 7, v4 bitop3:0x40
	v_cndmask_b32_e32 v4, v5, v4, vcc_lo
	s_delay_alu instid0(VALU_DEP_3) | instskip(NEXT) | instid1(VALU_DEP_3)
	v_cndmask_b32_e32 v7, v9, v7, vcc_lo
	v_and_b32_e32 v3, 0x80000000, v3
	s_delay_alu instid0(VALU_DEP_3) | instskip(NEXT) | instid1(VALU_DEP_3)
	v_lshlrev_b32_e32 v4, 20, v4
	v_lshl_add_u32 v5, v7, 23, 0x3b800000
	s_delay_alu instid0(VALU_DEP_1)
	v_or3_b32 v4, v3, v5, v4
.LBB92_955:
	s_or_b32 exec_lo, exec_lo, s31
	s_delay_alu instid0(VALU_DEP_1) | instskip(SKIP_1) | instid1(VALU_DEP_2)
	v_bfe_u32 v3, v4, 16, 1
	v_cmp_o_f32_e32 vcc_lo, v4, v4
	v_add3_u32 v3, v4, v3, 0x7fff
	s_delay_alu instid0(VALU_DEP_1) | instskip(NEXT) | instid1(VALU_DEP_1)
	v_lshrrev_b32_e32 v3, 16, v3
	v_cndmask_b32_e32 v3, 0x7fc0, v3, vcc_lo
.LBB92_956:
	s_mov_b32 s30, -1
.LBB92_957:
	s_mov_b32 s31, 0
.LBB92_958:
	s_delay_alu instid0(SALU_CYCLE_1)
	s_and_b32 vcc_lo, exec_lo, s31
	s_cbranch_vccz .LBB92_993
; %bb.959:
	s_cmp_gt_i32 s29, 22
	s_cbranch_scc0 .LBB92_969
; %bb.960:
	s_cmp_lt_i32 s29, 24
	s_cbranch_scc1 .LBB92_972
; %bb.961:
	s_cmp_gt_i32 s29, 24
	s_cbranch_scc0 .LBB92_973
; %bb.962:
	s_wait_loadcnt 0x0
	global_load_u8 v3, v[0:1], off
	s_mov_b32 s30, 0
	s_mov_b32 s31, exec_lo
	s_wait_loadcnt 0x0
	v_cmpx_lt_i16_e32 0x7f, v3
	s_xor_b32 s31, exec_lo, s31
	s_cbranch_execz .LBB92_985
; %bb.963:
	s_mov_b32 s30, -1
	s_mov_b32 s33, exec_lo
	v_cmpx_eq_u16_e32 0x80, v3
; %bb.964:
	s_xor_b32 s30, exec_lo, -1
; %bb.965:
	s_or_b32 exec_lo, exec_lo, s33
	s_delay_alu instid0(SALU_CYCLE_1)
	s_and_b32 s30, s30, exec_lo
	s_or_saveexec_b32 s31, s31
	v_mov_b32_e32 v4, 0x7f800001
	s_xor_b32 exec_lo, exec_lo, s31
	s_cbranch_execnz .LBB92_986
.LBB92_966:
	s_or_b32 exec_lo, exec_lo, s31
	s_and_saveexec_b32 s31, s30
	s_cbranch_execz .LBB92_968
.LBB92_967:
	v_and_b32_e32 v4, 0xffff, v3
	s_delay_alu instid0(VALU_DEP_1) | instskip(SKIP_1) | instid1(VALU_DEP_2)
	v_and_b32_e32 v5, 3, v4
	v_bfe_u32 v9, v4, 2, 5
	v_clz_i32_u32_e32 v7, v5
	s_delay_alu instid0(VALU_DEP_2) | instskip(NEXT) | instid1(VALU_DEP_2)
	v_cmp_eq_u32_e32 vcc_lo, 0, v9
	v_min_u32_e32 v7, 32, v7
	s_delay_alu instid0(VALU_DEP_1) | instskip(NEXT) | instid1(VALU_DEP_1)
	v_subrev_nc_u32_e32 v8, 29, v7
	v_dual_lshlrev_b32 v4, v8, v4 :: v_dual_sub_nc_u32 v7, 30, v7
	s_delay_alu instid0(VALU_DEP_1) | instskip(NEXT) | instid1(VALU_DEP_1)
	v_dual_lshlrev_b32 v3, 24, v3 :: v_dual_bitop2_b32 v4, 3, v4 bitop3:0x40
	v_cndmask_b32_e32 v4, v5, v4, vcc_lo
	s_delay_alu instid0(VALU_DEP_3) | instskip(NEXT) | instid1(VALU_DEP_3)
	v_cndmask_b32_e32 v7, v9, v7, vcc_lo
	v_and_b32_e32 v3, 0x80000000, v3
	s_delay_alu instid0(VALU_DEP_3) | instskip(NEXT) | instid1(VALU_DEP_3)
	v_lshlrev_b32_e32 v4, 21, v4
	v_lshl_add_u32 v5, v7, 23, 0x37800000
	s_delay_alu instid0(VALU_DEP_1)
	v_or3_b32 v4, v3, v5, v4
.LBB92_968:
	s_or_b32 exec_lo, exec_lo, s31
	s_delay_alu instid0(VALU_DEP_1) | instskip(SKIP_2) | instid1(VALU_DEP_2)
	v_bfe_u32 v3, v4, 16, 1
	v_cmp_o_f32_e32 vcc_lo, v4, v4
	s_mov_b32 s30, 0
	v_add3_u32 v3, v4, v3, 0x7fff
	s_delay_alu instid0(VALU_DEP_1) | instskip(NEXT) | instid1(VALU_DEP_1)
	v_lshrrev_b32_e32 v3, 16, v3
	v_cndmask_b32_e32 v3, 0x7fc0, v3, vcc_lo
	s_branch .LBB92_974
.LBB92_969:
	s_mov_b32 s31, -1
                                        ; implicit-def: $vgpr3
	s_branch .LBB92_980
.LBB92_970:
	s_or_saveexec_b32 s31, s31
	v_mov_b32_e32 v4, 0x7f800001
	s_xor_b32 exec_lo, exec_lo, s31
	s_cbranch_execz .LBB92_953
.LBB92_971:
	v_cmp_ne_u16_e32 vcc_lo, 0, v3
	v_mov_b32_e32 v4, 0
	s_and_not1_b32 s30, s30, exec_lo
	s_and_b32 s33, vcc_lo, exec_lo
	s_delay_alu instid0(SALU_CYCLE_1)
	s_or_b32 s30, s30, s33
	s_or_b32 exec_lo, exec_lo, s31
	s_and_saveexec_b32 s31, s30
	s_cbranch_execnz .LBB92_954
	s_branch .LBB92_955
.LBB92_972:
	s_mov_b32 s30, -1
                                        ; implicit-def: $vgpr3
	s_branch .LBB92_977
.LBB92_973:
	s_mov_b32 s30, -1
                                        ; implicit-def: $vgpr3
.LBB92_974:
	s_delay_alu instid0(SALU_CYCLE_1)
	s_and_b32 vcc_lo, exec_lo, s30
	s_cbranch_vccz .LBB92_976
; %bb.975:
	s_wait_loadcnt 0x0
	global_load_u8 v3, v[0:1], off
	s_wait_loadcnt 0x0
	v_lshlrev_b32_e32 v3, 24, v3
	s_delay_alu instid0(VALU_DEP_1) | instskip(NEXT) | instid1(VALU_DEP_1)
	v_and_b32_e32 v4, 0x7f000000, v3
	v_clz_i32_u32_e32 v5, v4
	v_add_nc_u32_e32 v8, 0x1000000, v4
	v_cmp_ne_u32_e32 vcc_lo, 0, v4
	s_delay_alu instid0(VALU_DEP_3) | instskip(NEXT) | instid1(VALU_DEP_1)
	v_min_u32_e32 v5, 32, v5
	v_sub_nc_u32_e64 v5, v5, 4 clamp
	s_delay_alu instid0(VALU_DEP_1) | instskip(NEXT) | instid1(VALU_DEP_1)
	v_dual_lshlrev_b32 v7, v5, v4 :: v_dual_lshlrev_b32 v5, 23, v5
	v_lshrrev_b32_e32 v7, 4, v7
	s_delay_alu instid0(VALU_DEP_1) | instskip(NEXT) | instid1(VALU_DEP_1)
	v_dual_sub_nc_u32 v5, v7, v5 :: v_dual_ashrrev_i32 v7, 8, v8
	v_add_nc_u32_e32 v5, 0x3c000000, v5
	s_delay_alu instid0(VALU_DEP_1) | instskip(NEXT) | instid1(VALU_DEP_1)
	v_and_or_b32 v5, 0x7f800000, v7, v5
	v_cndmask_b32_e32 v4, 0, v5, vcc_lo
	s_delay_alu instid0(VALU_DEP_1) | instskip(SKIP_1) | instid1(VALU_DEP_2)
	v_and_or_b32 v3, 0x80000000, v3, v4
	v_bfe_u32 v4, v4, 16, 1
	v_cmp_o_f32_e32 vcc_lo, v3, v3
	s_delay_alu instid0(VALU_DEP_2) | instskip(NEXT) | instid1(VALU_DEP_1)
	v_add3_u32 v4, v3, v4, 0x7fff
	v_lshrrev_b32_e32 v4, 16, v4
	s_delay_alu instid0(VALU_DEP_1)
	v_cndmask_b32_e32 v3, 0x7fc0, v4, vcc_lo
.LBB92_976:
	s_mov_b32 s30, 0
.LBB92_977:
	s_delay_alu instid0(SALU_CYCLE_1)
	s_and_not1_b32 vcc_lo, exec_lo, s30
	s_cbranch_vccnz .LBB92_979
; %bb.978:
	s_wait_loadcnt 0x0
	global_load_u8 v3, v[0:1], off
	s_wait_loadcnt 0x0
	v_lshlrev_b32_e32 v4, 25, v3
	v_lshlrev_b16 v3, 8, v3
	s_delay_alu instid0(VALU_DEP_1) | instskip(NEXT) | instid1(VALU_DEP_3)
	v_and_or_b32 v7, 0x7f00, v3, 0.5
	v_lshrrev_b32_e32 v5, 4, v4
	v_bfe_i32 v3, v3, 0, 16
	s_delay_alu instid0(VALU_DEP_3) | instskip(NEXT) | instid1(VALU_DEP_3)
	v_add_f32_e32 v7, -0.5, v7
	v_or_b32_e32 v5, 0x70000000, v5
	s_delay_alu instid0(VALU_DEP_1) | instskip(SKIP_1) | instid1(VALU_DEP_2)
	v_mul_f32_e32 v5, 0x7800000, v5
	v_cmp_gt_u32_e32 vcc_lo, 0x8000000, v4
	v_cndmask_b32_e32 v4, v5, v7, vcc_lo
	s_delay_alu instid0(VALU_DEP_1) | instskip(SKIP_1) | instid1(VALU_DEP_2)
	v_and_or_b32 v3, 0x80000000, v3, v4
	v_bfe_u32 v4, v4, 16, 1
	v_cmp_o_f32_e32 vcc_lo, v3, v3
	s_delay_alu instid0(VALU_DEP_2) | instskip(NEXT) | instid1(VALU_DEP_1)
	v_add3_u32 v4, v3, v4, 0x7fff
	v_lshrrev_b32_e32 v4, 16, v4
	s_delay_alu instid0(VALU_DEP_1)
	v_cndmask_b32_e32 v3, 0x7fc0, v4, vcc_lo
.LBB92_979:
	s_mov_b32 s31, 0
	s_mov_b32 s30, -1
.LBB92_980:
	s_and_not1_b32 vcc_lo, exec_lo, s31
	s_cbranch_vccnz .LBB92_993
; %bb.981:
	s_cmp_gt_i32 s29, 14
	s_cbranch_scc0 .LBB92_984
; %bb.982:
	s_cmp_eq_u32 s29, 15
	s_cbranch_scc0 .LBB92_987
; %bb.983:
	s_wait_loadcnt 0x0
	global_load_u16 v3, v[0:1], off
	s_mov_b32 s30, -1
	s_mov_b32 s28, 0
	s_branch .LBB92_988
.LBB92_984:
	s_mov_b32 s31, -1
                                        ; implicit-def: $vgpr3
	s_branch .LBB92_989
.LBB92_985:
	s_or_saveexec_b32 s31, s31
	v_mov_b32_e32 v4, 0x7f800001
	s_xor_b32 exec_lo, exec_lo, s31
	s_cbranch_execz .LBB92_966
.LBB92_986:
	v_cmp_ne_u16_e32 vcc_lo, 0, v3
	v_mov_b32_e32 v4, 0
	s_and_not1_b32 s30, s30, exec_lo
	s_and_b32 s33, vcc_lo, exec_lo
	s_delay_alu instid0(SALU_CYCLE_1)
	s_or_b32 s30, s30, s33
	s_or_b32 exec_lo, exec_lo, s31
	s_and_saveexec_b32 s31, s30
	s_cbranch_execnz .LBB92_967
	s_branch .LBB92_968
.LBB92_987:
	s_mov_b32 s28, -1
                                        ; implicit-def: $vgpr3
.LBB92_988:
	s_mov_b32 s31, 0
.LBB92_989:
	s_delay_alu instid0(SALU_CYCLE_1)
	s_and_b32 vcc_lo, exec_lo, s31
	s_cbranch_vccz .LBB92_993
; %bb.990:
	s_cmp_eq_u32 s29, 11
	s_cbranch_scc0 .LBB92_992
; %bb.991:
	s_wait_loadcnt 0x0
	global_load_u8 v3, v[0:1], off
	s_mov_b32 s28, 0
	s_mov_b32 s30, -1
	s_wait_loadcnt 0x0
	v_cmp_ne_u16_e32 vcc_lo, 0, v3
	v_cndmask_b32_e64 v3, 0, 1.0, vcc_lo
	s_delay_alu instid0(VALU_DEP_1)
	v_lshrrev_b32_e32 v3, 16, v3
	s_branch .LBB92_993
.LBB92_992:
	s_mov_b32 s28, -1
                                        ; implicit-def: $vgpr3
.LBB92_993:
	s_mov_b32 s29, 0
.LBB92_994:
	s_delay_alu instid0(SALU_CYCLE_1)
	s_and_b32 vcc_lo, exec_lo, s29
	s_cbranch_vccz .LBB92_1043
; %bb.995:
	s_and_b32 s0, 0xffff, s0
	s_delay_alu instid0(SALU_CYCLE_1)
	s_cmp_lt_i32 s0, 5
	s_cbranch_scc1 .LBB92_1000
; %bb.996:
	s_cmp_lt_i32 s0, 8
	s_cbranch_scc1 .LBB92_1001
; %bb.997:
	;; [unrolled: 3-line block ×3, first 2 shown]
	s_cmp_gt_i32 s0, 9
	s_cbranch_scc0 .LBB92_1003
; %bb.999:
	global_load_b64 v[4:5], v[0:1], off
	s_mov_b32 s29, 0
	s_wait_loadcnt 0x0
	v_cvt_f32_f64_e32 v3, v[4:5]
	s_delay_alu instid0(VALU_DEP_1) | instskip(SKIP_1) | instid1(VALU_DEP_2)
	v_bfe_u32 v4, v3, 16, 1
	v_cmp_o_f32_e32 vcc_lo, v3, v3
	v_add3_u32 v4, v3, v4, 0x7fff
	s_delay_alu instid0(VALU_DEP_1) | instskip(NEXT) | instid1(VALU_DEP_1)
	v_lshrrev_b32_e32 v4, 16, v4
	v_cndmask_b32_e32 v3, 0x7fc0, v4, vcc_lo
	s_branch .LBB92_1004
.LBB92_1000:
	s_mov_b32 s29, -1
                                        ; implicit-def: $vgpr3
	s_branch .LBB92_1022
.LBB92_1001:
	s_mov_b32 s29, -1
                                        ; implicit-def: $vgpr3
	s_branch .LBB92_1010
.LBB92_1002:
	s_mov_b32 s29, -1
                                        ; implicit-def: $vgpr3
	s_branch .LBB92_1007
.LBB92_1003:
	s_mov_b32 s29, -1
                                        ; implicit-def: $vgpr3
.LBB92_1004:
	s_delay_alu instid0(SALU_CYCLE_1)
	s_and_not1_b32 vcc_lo, exec_lo, s29
	s_cbranch_vccnz .LBB92_1006
; %bb.1005:
	s_wait_loadcnt 0x0
	global_load_b32 v3, v[0:1], off
	s_wait_loadcnt 0x0
	v_bfe_u32 v4, v3, 16, 1
	v_cmp_o_f32_e32 vcc_lo, v3, v3
	s_delay_alu instid0(VALU_DEP_2) | instskip(NEXT) | instid1(VALU_DEP_1)
	v_add3_u32 v4, v3, v4, 0x7fff
	v_lshrrev_b32_e32 v4, 16, v4
	s_delay_alu instid0(VALU_DEP_1)
	v_cndmask_b32_e32 v3, 0x7fc0, v4, vcc_lo
.LBB92_1006:
	s_mov_b32 s29, 0
.LBB92_1007:
	s_delay_alu instid0(SALU_CYCLE_1)
	s_and_not1_b32 vcc_lo, exec_lo, s29
	s_cbranch_vccnz .LBB92_1009
; %bb.1008:
	s_wait_loadcnt 0x0
	global_load_b32 v3, v[0:1], off
	s_wait_loadcnt 0x0
	v_cvt_f32_f16_e32 v4, v3
	v_cmp_o_f16_e32 vcc_lo, v3, v3
	s_delay_alu instid0(VALU_DEP_2) | instskip(NEXT) | instid1(VALU_DEP_1)
	v_bfe_u32 v5, v4, 16, 1
	v_add3_u32 v4, v4, v5, 0x7fff
	s_delay_alu instid0(VALU_DEP_1) | instskip(NEXT) | instid1(VALU_DEP_1)
	v_lshrrev_b32_e32 v4, 16, v4
	v_cndmask_b32_e32 v3, 0x7fc0, v4, vcc_lo
.LBB92_1009:
	s_mov_b32 s29, 0
.LBB92_1010:
	s_delay_alu instid0(SALU_CYCLE_1)
	s_and_not1_b32 vcc_lo, exec_lo, s29
	s_cbranch_vccnz .LBB92_1021
; %bb.1011:
	s_cmp_lt_i32 s0, 6
	s_cbranch_scc1 .LBB92_1014
; %bb.1012:
	s_cmp_gt_i32 s0, 6
	s_cbranch_scc0 .LBB92_1015
; %bb.1013:
	global_load_b64 v[4:5], v[0:1], off
	s_mov_b32 s29, 0
	s_wait_loadcnt 0x0
	v_cvt_f32_f64_e32 v3, v[4:5]
	s_delay_alu instid0(VALU_DEP_1) | instskip(SKIP_1) | instid1(VALU_DEP_2)
	v_bfe_u32 v4, v3, 16, 1
	v_cmp_o_f32_e32 vcc_lo, v3, v3
	v_add3_u32 v4, v3, v4, 0x7fff
	s_delay_alu instid0(VALU_DEP_1) | instskip(NEXT) | instid1(VALU_DEP_1)
	v_lshrrev_b32_e32 v4, 16, v4
	v_cndmask_b32_e32 v3, 0x7fc0, v4, vcc_lo
	s_branch .LBB92_1016
.LBB92_1014:
	s_mov_b32 s29, -1
                                        ; implicit-def: $vgpr3
	s_branch .LBB92_1019
.LBB92_1015:
	s_mov_b32 s29, -1
                                        ; implicit-def: $vgpr3
.LBB92_1016:
	s_delay_alu instid0(SALU_CYCLE_1)
	s_and_not1_b32 vcc_lo, exec_lo, s29
	s_cbranch_vccnz .LBB92_1018
; %bb.1017:
	s_wait_loadcnt 0x0
	global_load_b32 v3, v[0:1], off
	s_wait_loadcnt 0x0
	v_bfe_u32 v4, v3, 16, 1
	v_cmp_o_f32_e32 vcc_lo, v3, v3
	s_delay_alu instid0(VALU_DEP_2) | instskip(NEXT) | instid1(VALU_DEP_1)
	v_add3_u32 v4, v3, v4, 0x7fff
	v_lshrrev_b32_e32 v4, 16, v4
	s_delay_alu instid0(VALU_DEP_1)
	v_cndmask_b32_e32 v3, 0x7fc0, v4, vcc_lo
.LBB92_1018:
	s_mov_b32 s29, 0
.LBB92_1019:
	s_delay_alu instid0(SALU_CYCLE_1)
	s_and_not1_b32 vcc_lo, exec_lo, s29
	s_cbranch_vccnz .LBB92_1021
; %bb.1020:
	s_wait_loadcnt 0x0
	global_load_u16 v3, v[0:1], off
	s_wait_loadcnt 0x0
	v_cvt_f32_f16_e32 v4, v3
	v_cmp_o_f16_e32 vcc_lo, v3, v3
	s_delay_alu instid0(VALU_DEP_2) | instskip(NEXT) | instid1(VALU_DEP_1)
	v_bfe_u32 v5, v4, 16, 1
	v_add3_u32 v4, v4, v5, 0x7fff
	s_delay_alu instid0(VALU_DEP_1) | instskip(NEXT) | instid1(VALU_DEP_1)
	v_lshrrev_b32_e32 v4, 16, v4
	v_cndmask_b32_e32 v3, 0x7fc0, v4, vcc_lo
.LBB92_1021:
	s_mov_b32 s29, 0
.LBB92_1022:
	s_delay_alu instid0(SALU_CYCLE_1)
	s_and_not1_b32 vcc_lo, exec_lo, s29
	s_cbranch_vccnz .LBB92_1042
; %bb.1023:
	s_cmp_lt_i32 s0, 2
	s_cbranch_scc1 .LBB92_1027
; %bb.1024:
	s_cmp_lt_i32 s0, 3
	s_cbranch_scc1 .LBB92_1028
; %bb.1025:
	s_cmp_gt_i32 s0, 3
	s_cbranch_scc0 .LBB92_1029
; %bb.1026:
	global_load_b64 v[4:5], v[0:1], off
	s_mov_b32 s29, 0
	s_wait_loadcnt 0x0
	v_xor_b32_e32 v3, v4, v5
	v_cls_i32_e32 v7, v5
	s_delay_alu instid0(VALU_DEP_2) | instskip(NEXT) | instid1(VALU_DEP_1)
	v_ashrrev_i32_e32 v3, 31, v3
	v_add_nc_u32_e32 v3, 32, v3
	s_delay_alu instid0(VALU_DEP_1) | instskip(NEXT) | instid1(VALU_DEP_1)
	v_add_min_u32_e64 v3, v7, -1, v3
	v_lshlrev_b64_e32 v[4:5], v3, v[4:5]
	v_sub_nc_u32_e32 v3, 32, v3
	s_delay_alu instid0(VALU_DEP_2) | instskip(NEXT) | instid1(VALU_DEP_1)
	v_min_u32_e32 v4, 1, v4
	v_or_b32_e32 v4, v5, v4
	s_delay_alu instid0(VALU_DEP_1) | instskip(NEXT) | instid1(VALU_DEP_1)
	v_cvt_f32_i32_e32 v4, v4
	v_ldexp_f32 v3, v4, v3
	s_delay_alu instid0(VALU_DEP_1) | instskip(NEXT) | instid1(VALU_DEP_1)
	v_bfe_u32 v4, v3, 16, 1
	v_add3_u32 v3, v3, v4, 0x7fff
	s_delay_alu instid0(VALU_DEP_1)
	v_lshrrev_b32_e32 v3, 16, v3
	s_branch .LBB92_1030
.LBB92_1027:
	s_mov_b32 s29, -1
                                        ; implicit-def: $vgpr3
	s_branch .LBB92_1036
.LBB92_1028:
	s_mov_b32 s29, -1
                                        ; implicit-def: $vgpr3
	s_branch .LBB92_1033
.LBB92_1029:
	s_mov_b32 s29, -1
                                        ; implicit-def: $vgpr3
.LBB92_1030:
	s_delay_alu instid0(SALU_CYCLE_1)
	s_and_not1_b32 vcc_lo, exec_lo, s29
	s_cbranch_vccnz .LBB92_1032
; %bb.1031:
	s_wait_loadcnt 0x0
	global_load_b32 v3, v[0:1], off
	s_wait_loadcnt 0x0
	v_cvt_f32_i32_e32 v3, v3
	s_delay_alu instid0(VALU_DEP_1) | instskip(NEXT) | instid1(VALU_DEP_1)
	v_bfe_u32 v4, v3, 16, 1
	v_add3_u32 v3, v3, v4, 0x7fff
	s_delay_alu instid0(VALU_DEP_1)
	v_lshrrev_b32_e32 v3, 16, v3
.LBB92_1032:
	s_mov_b32 s29, 0
.LBB92_1033:
	s_delay_alu instid0(SALU_CYCLE_1)
	s_and_not1_b32 vcc_lo, exec_lo, s29
	s_cbranch_vccnz .LBB92_1035
; %bb.1034:
	s_wait_loadcnt 0x0
	global_load_i16 v3, v[0:1], off
	s_wait_loadcnt 0x0
	v_cvt_f32_i32_e32 v3, v3
	s_delay_alu instid0(VALU_DEP_1) | instskip(NEXT) | instid1(VALU_DEP_1)
	v_bfe_u32 v4, v3, 16, 1
	v_add3_u32 v3, v3, v4, 0x7fff
	s_delay_alu instid0(VALU_DEP_1)
	v_lshrrev_b32_e32 v3, 16, v3
.LBB92_1035:
	s_mov_b32 s29, 0
.LBB92_1036:
	s_delay_alu instid0(SALU_CYCLE_1)
	s_and_not1_b32 vcc_lo, exec_lo, s29
	s_cbranch_vccnz .LBB92_1042
; %bb.1037:
	s_cmp_gt_i32 s0, 0
	s_mov_b32 s0, 0
	s_cbranch_scc0 .LBB92_1039
; %bb.1038:
	s_wait_loadcnt 0x0
	global_load_i8 v3, v[0:1], off
	s_wait_loadcnt 0x0
	v_cvt_f32_i32_e32 v3, v3
	s_delay_alu instid0(VALU_DEP_1) | instskip(NEXT) | instid1(VALU_DEP_1)
	v_bfe_u32 v4, v3, 16, 1
	v_add3_u32 v3, v3, v4, 0x7fff
	s_delay_alu instid0(VALU_DEP_1)
	v_lshrrev_b32_e32 v3, 16, v3
	s_branch .LBB92_1040
.LBB92_1039:
	s_mov_b32 s0, -1
                                        ; implicit-def: $vgpr3
.LBB92_1040:
	s_delay_alu instid0(SALU_CYCLE_1)
	s_and_not1_b32 vcc_lo, exec_lo, s0
	s_cbranch_vccnz .LBB92_1042
; %bb.1041:
	global_load_u8 v0, v[0:1], off
	s_wait_loadcnt 0x0
	v_cvt_f32_ubyte0_e32 v0, v0
	s_delay_alu instid0(VALU_DEP_1) | instskip(NEXT) | instid1(VALU_DEP_1)
	v_bfe_u32 v1, v0, 16, 1
	v_add3_u32 v0, v0, v1, 0x7fff
	s_delay_alu instid0(VALU_DEP_1)
	v_lshrrev_b32_e32 v3, 16, v0
.LBB92_1042:
	s_mov_b32 s30, -1
.LBB92_1043:
	s_delay_alu instid0(SALU_CYCLE_1)
	s_and_not1_b32 vcc_lo, exec_lo, s30
	s_cbranch_vccnz .LBB92_1053
; %bb.1044:
	s_wait_loadcnt 0x0
	v_dual_lshlrev_b32 v0, 16, v3 :: v_dual_lshlrev_b32 v2, 16, v2
	s_mov_b32 s0, exec_lo
	s_delay_alu instid0(VALU_DEP_1) | instskip(NEXT) | instid1(VALU_DEP_1)
	v_mul_f32_e32 v0, s11, v0
	v_cmpx_nlt_f32_e32 s2, v0
	s_cbranch_execz .LBB92_1046
; %bb.1045:
	v_mul_f32_e32 v1, 0x3fb8aa3b, v0
	v_cmp_ngt_f32_e32 vcc_lo, 0xc2ce8ed0, v0
	s_delay_alu instid0(VALU_DEP_2) | instskip(SKIP_1) | instid1(VALU_DEP_1)
	v_rndne_f32_e32 v3, v1
	v_fma_f32 v4, 0x3fb8aa3b, v0, -v1
	v_dual_sub_f32 v1, v1, v3 :: v_dual_fmamk_f32 v4, v0, 0x32a5705f, v4
	v_cvt_i32_f32_e32 v3, v3
	s_delay_alu instid0(VALU_DEP_2) | instskip(NEXT) | instid1(VALU_DEP_1)
	v_add_f32_e32 v1, v1, v4
	v_exp_f32_e32 v1, v1
	v_nop
	s_delay_alu instid0(TRANS32_DEP_1) | instskip(NEXT) | instid1(VALU_DEP_1)
	v_ldexp_f32 v1, v1, v3
	v_cndmask_b32_e32 v1, 0, v1, vcc_lo
	v_cmp_nlt_f32_e32 vcc_lo, 0x42b17218, v0
	s_delay_alu instid0(VALU_DEP_2) | instskip(NEXT) | instid1(VALU_DEP_1)
	v_cndmask_b32_e32 v0, 0x7f800000, v1, vcc_lo
	v_dual_mul_f32 v1, v0, v2 :: v_dual_add_f32 v0, 1.0, v0
	s_delay_alu instid0(VALU_DEP_1) | instskip(NEXT) | instid1(VALU_DEP_1)
	v_div_scale_f32 v2, null, v0, v0, v1
	v_rcp_f32_e32 v3, v2
	v_nop
	s_delay_alu instid0(TRANS32_DEP_1) | instskip(NEXT) | instid1(VALU_DEP_1)
	v_fma_f32 v4, -v2, v3, 1.0
	v_fmac_f32_e32 v3, v4, v3
	v_div_scale_f32 v4, vcc_lo, v1, v0, v1
	s_delay_alu instid0(VALU_DEP_1) | instskip(NEXT) | instid1(VALU_DEP_1)
	v_mul_f32_e32 v5, v4, v3
	v_fma_f32 v7, -v2, v5, v4
	s_delay_alu instid0(VALU_DEP_1) | instskip(NEXT) | instid1(VALU_DEP_1)
	v_fmac_f32_e32 v5, v7, v3
	v_fma_f32 v2, -v2, v5, v4
	s_delay_alu instid0(VALU_DEP_1) | instskip(NEXT) | instid1(VALU_DEP_1)
	v_div_fmas_f32 v2, v2, v3, v5
	v_div_fixup_f32 v2, v2, v0, v1
.LBB92_1046:
	s_or_b32 exec_lo, exec_lo, s0
	v_mul_lo_u32 v0, v6, s8
	s_delay_alu instid0(VALU_DEP_2) | instskip(SKIP_2) | instid1(SALU_CYCLE_1)
	v_bfe_u32 v1, v2, 16, 1
	v_cmp_o_f32_e32 vcc_lo, v2, v2
	s_and_b32 s29, s3, 0xff
	s_cmp_lt_i32 s29, 11
	s_delay_alu instid0(VALU_DEP_2) | instskip(NEXT) | instid1(VALU_DEP_1)
	v_add3_u32 v3, v2, v1, 0x7fff
	v_dual_ashrrev_i32 v1, 31, v0 :: v_dual_lshrrev_b32 v3, 16, v3
	s_delay_alu instid0(VALU_DEP_1) | instskip(NEXT) | instid1(VALU_DEP_2)
	v_add_nc_u64_e32 v[0:1], s[4:5], v[0:1]
	v_cndmask_b32_e32 v2, 0x7fc0, v3, vcc_lo
	s_cbranch_scc1 .LBB92_1054
; %bb.1047:
	s_and_b32 s30, 0xffff, s29
	s_delay_alu instid0(SALU_CYCLE_1)
	s_cmp_gt_i32 s30, 25
	s_cbranch_scc0 .LBB92_1055
; %bb.1048:
	s_cmp_gt_i32 s30, 28
	s_cbranch_scc0 .LBB92_1056
; %bb.1049:
	;; [unrolled: 3-line block ×4, first 2 shown]
	s_mov_b32 s33, 0
	s_mov_b32 s0, -1
	s_cmp_eq_u32 s30, 46
	s_mov_b32 s31, 0
	s_cbranch_scc0 .LBB92_1059
; %bb.1052:
	v_and_b32_e32 v3, 0xffff, v2
	s_mov_b32 s31, -1
	s_mov_b32 s0, 0
	global_store_b32 v[0:1], v3, off
	s_branch .LBB92_1059
.LBB92_1053:
	s_mov_b32 s30, 0
	s_mov_b32 s0, s23
	s_branch .LBB92_1170
.LBB92_1054:
	s_mov_b32 s30, -1
	s_mov_b32 s31, 0
	s_mov_b32 s0, s23
	s_branch .LBB92_1128
.LBB92_1055:
	s_mov_b32 s33, -1
	s_mov_b32 s31, 0
	s_mov_b32 s0, s23
	s_branch .LBB92_1086
.LBB92_1056:
	s_mov_b32 s33, -1
	s_mov_b32 s31, 0
	s_mov_b32 s0, s23
	s_branch .LBB92_1069
.LBB92_1057:
	s_mov_b32 s33, -1
	s_mov_b32 s31, 0
	s_mov_b32 s0, s23
	s_branch .LBB92_1065
.LBB92_1058:
	s_mov_b32 s33, -1
	s_mov_b32 s31, 0
	s_mov_b32 s0, s23
.LBB92_1059:
	s_and_b32 vcc_lo, exec_lo, s33
	s_cbranch_vccz .LBB92_1064
; %bb.1060:
	s_cmp_eq_u32 s30, 44
	s_mov_b32 s0, -1
	s_cbranch_scc0 .LBB92_1064
; %bb.1061:
	s_wait_xcnt 0x0
	v_and_b32_e32 v3, 0xffff, v2
	v_mov_b32_e32 v4, 0xff
	s_mov_b32 s31, exec_lo
	s_delay_alu instid0(VALU_DEP_2) | instskip(NEXT) | instid1(VALU_DEP_1)
	v_bfe_u32 v5, v3, 7, 8
	v_cmpx_ne_u32_e32 0xff, v5
	s_cbranch_execz .LBB92_1063
; %bb.1062:
	v_dual_lshlrev_b32 v4, 16, v3 :: v_dual_bitop2_b32 v7, 64, v3 bitop3:0x40
	v_lshrrev_b32_e32 v3, 7, v3
	s_delay_alu instid0(VALU_DEP_2) | instskip(NEXT) | instid1(VALU_DEP_3)
	v_and_or_b32 v4, 0x3f0000, v4, v5
	v_cmp_ne_u32_e32 vcc_lo, 0, v7
	s_delay_alu instid0(VALU_DEP_2) | instskip(SKIP_1) | instid1(SALU_CYCLE_1)
	v_cmp_ne_u32_e64 s0, 0, v4
	s_and_b32 s0, vcc_lo, s0
	v_cndmask_b32_e64 v4, 0, 1, s0
	s_delay_alu instid0(VALU_DEP_1)
	v_add_nc_u32_e32 v4, v3, v4
.LBB92_1063:
	s_or_b32 exec_lo, exec_lo, s31
	s_mov_b32 s31, -1
	s_mov_b32 s0, 0
	global_store_b8 v[0:1], v4, off
.LBB92_1064:
	s_mov_b32 s33, 0
.LBB92_1065:
	s_delay_alu instid0(SALU_CYCLE_1)
	s_and_b32 vcc_lo, exec_lo, s33
	s_cbranch_vccz .LBB92_1068
; %bb.1066:
	s_cmp_eq_u32 s30, 29
	s_mov_b32 s0, -1
	s_cbranch_scc0 .LBB92_1068
; %bb.1067:
	s_wait_xcnt 0x0
	v_lshlrev_b32_e32 v3, 16, v2
	s_mov_b32 s31, -1
	s_mov_b32 s0, 0
	s_mov_b32 s33, 0
	s_delay_alu instid0(VALU_DEP_1) | instskip(NEXT) | instid1(VALU_DEP_1)
	v_trunc_f32_e32 v3, v3
	v_mul_f32_e32 v4, 0x2f800000, v3
	s_delay_alu instid0(VALU_DEP_1) | instskip(NEXT) | instid1(VALU_DEP_1)
	v_floor_f32_e32 v4, v4
	v_fmamk_f32 v3, v4, 0xcf800000, v3
	v_cvt_u32_f32_e32 v5, v4
	s_delay_alu instid0(VALU_DEP_2)
	v_cvt_u32_f32_e32 v4, v3
	global_store_b64 v[0:1], v[4:5], off
	s_branch .LBB92_1069
.LBB92_1068:
	s_mov_b32 s33, 0
.LBB92_1069:
	s_delay_alu instid0(SALU_CYCLE_1)
	s_and_b32 vcc_lo, exec_lo, s33
	s_cbranch_vccz .LBB92_1085
; %bb.1070:
	s_cmp_lt_i32 s30, 27
	s_mov_b32 s31, -1
	s_cbranch_scc1 .LBB92_1076
; %bb.1071:
	s_cmp_gt_i32 s30, 27
	s_cbranch_scc0 .LBB92_1073
; %bb.1072:
	s_wait_xcnt 0x0
	v_lshlrev_b32_e32 v3, 16, v2
	s_mov_b32 s31, 0
	s_delay_alu instid0(VALU_DEP_1)
	v_cvt_u32_f32_e32 v3, v3
	global_store_b32 v[0:1], v3, off
.LBB92_1073:
	s_and_not1_b32 vcc_lo, exec_lo, s31
	s_cbranch_vccnz .LBB92_1075
; %bb.1074:
	s_wait_xcnt 0x0
	v_lshlrev_b32_e32 v3, 16, v2
	s_delay_alu instid0(VALU_DEP_1)
	v_cvt_u32_f32_e32 v3, v3
	global_store_b16 v[0:1], v3, off
.LBB92_1075:
	s_mov_b32 s31, 0
.LBB92_1076:
	s_delay_alu instid0(SALU_CYCLE_1)
	s_and_not1_b32 vcc_lo, exec_lo, s31
	s_cbranch_vccnz .LBB92_1084
; %bb.1077:
	s_wait_xcnt 0x0
	v_lshlrev_b32_e32 v5, 16, v2
	v_mov_b32_e32 v7, 0x80
	s_mov_b32 s31, exec_lo
	s_delay_alu instid0(VALU_DEP_2) | instskip(NEXT) | instid1(VALU_DEP_1)
	v_and_b32_e32 v4, 0x7fffffff, v5
	v_cmpx_gt_u32_e32 0x43800000, v4
	s_cbranch_execz .LBB92_1083
; %bb.1078:
	v_and_b32_e32 v3, 0xffff, v2
	v_cmp_lt_u32_e32 vcc_lo, 0x3bffffff, v4
	s_mov_b32 s33, 0
                                        ; implicit-def: $vgpr4
	s_and_saveexec_b32 s34, vcc_lo
	s_delay_alu instid0(SALU_CYCLE_1)
	s_xor_b32 s34, exec_lo, s34
	s_cbranch_execz .LBB92_1186
; %bb.1079:
	v_bfe_u32 v4, v3, 4, 1
	s_mov_b32 s33, exec_lo
	s_delay_alu instid0(VALU_DEP_1) | instskip(NEXT) | instid1(VALU_DEP_1)
	v_add3_u32 v4, v5, v4, 0x487ffff
                                        ; implicit-def: $vgpr5
	v_lshrrev_b32_e32 v4, 20, v4
	s_and_not1_saveexec_b32 s34, s34
	s_cbranch_execnz .LBB92_1187
.LBB92_1080:
	s_or_b32 exec_lo, exec_lo, s34
	v_mov_b32_e32 v7, 0
	s_and_saveexec_b32 s34, s33
.LBB92_1081:
	v_lshrrev_b32_e32 v3, 8, v3
	s_delay_alu instid0(VALU_DEP_1)
	v_and_or_b32 v7, 0x80, v3, v4
.LBB92_1082:
	s_or_b32 exec_lo, exec_lo, s34
.LBB92_1083:
	s_delay_alu instid0(SALU_CYCLE_1)
	s_or_b32 exec_lo, exec_lo, s31
	global_store_b8 v[0:1], v7, off
.LBB92_1084:
	s_mov_b32 s31, -1
.LBB92_1085:
	s_mov_b32 s33, 0
.LBB92_1086:
	s_delay_alu instid0(SALU_CYCLE_1)
	s_and_b32 vcc_lo, exec_lo, s33
	s_cbranch_vccz .LBB92_1127
; %bb.1087:
	s_cmp_gt_i32 s30, 22
	s_mov_b32 s33, -1
	s_cbranch_scc0 .LBB92_1119
; %bb.1088:
	s_cmp_lt_i32 s30, 24
	s_mov_b32 s31, -1
	s_cbranch_scc1 .LBB92_1108
; %bb.1089:
	s_cmp_gt_i32 s30, 24
	s_cbranch_scc0 .LBB92_1097
; %bb.1090:
	s_wait_xcnt 0x0
	v_lshlrev_b32_e32 v5, 16, v2
	v_mov_b32_e32 v7, 0x80
	s_mov_b32 s31, exec_lo
	s_delay_alu instid0(VALU_DEP_2) | instskip(NEXT) | instid1(VALU_DEP_1)
	v_and_b32_e32 v4, 0x7fffffff, v5
	v_cmpx_gt_u32_e32 0x47800000, v4
	s_cbranch_execz .LBB92_1096
; %bb.1091:
	v_and_b32_e32 v3, 0xffff, v2
	v_cmp_lt_u32_e32 vcc_lo, 0x37ffffff, v4
	s_mov_b32 s33, 0
                                        ; implicit-def: $vgpr4
	s_and_saveexec_b32 s34, vcc_lo
	s_delay_alu instid0(SALU_CYCLE_1)
	s_xor_b32 s34, exec_lo, s34
	s_cbranch_execz .LBB92_2220
; %bb.1092:
	v_bfe_u32 v4, v3, 5, 1
	s_mov_b32 s33, exec_lo
	s_delay_alu instid0(VALU_DEP_1) | instskip(NEXT) | instid1(VALU_DEP_1)
	v_add3_u32 v4, v5, v4, 0x88fffff
                                        ; implicit-def: $vgpr5
	v_lshrrev_b32_e32 v4, 21, v4
	s_and_not1_saveexec_b32 s34, s34
	s_cbranch_execnz .LBB92_2221
.LBB92_1093:
	s_or_b32 exec_lo, exec_lo, s34
	v_mov_b32_e32 v7, 0
	s_and_saveexec_b32 s34, s33
.LBB92_1094:
	v_lshrrev_b32_e32 v3, 8, v3
	s_delay_alu instid0(VALU_DEP_1)
	v_and_or_b32 v7, 0x80, v3, v4
.LBB92_1095:
	s_or_b32 exec_lo, exec_lo, s34
.LBB92_1096:
	s_delay_alu instid0(SALU_CYCLE_1)
	s_or_b32 exec_lo, exec_lo, s31
	s_mov_b32 s31, 0
	global_store_b8 v[0:1], v7, off
.LBB92_1097:
	s_and_b32 vcc_lo, exec_lo, s31
	s_cbranch_vccz .LBB92_1107
; %bb.1098:
	s_wait_xcnt 0x0
	v_lshlrev_b32_e32 v5, 16, v2
	v_and_b32_e32 v3, 0xffff, v2
	s_mov_b32 s31, exec_lo
                                        ; implicit-def: $vgpr4
	s_delay_alu instid0(VALU_DEP_2) | instskip(NEXT) | instid1(VALU_DEP_1)
	v_and_b32_e32 v7, 0x7fffffff, v5
	v_cmpx_gt_u32_e32 0x43f00000, v7
	s_xor_b32 s31, exec_lo, s31
	s_cbranch_execz .LBB92_1104
; %bb.1099:
	s_mov_b32 s33, exec_lo
                                        ; implicit-def: $vgpr4
	v_cmpx_lt_u32_e32 0x3c7fffff, v7
	s_xor_b32 s33, exec_lo, s33
; %bb.1100:
	v_bfe_u32 v4, v3, 4, 1
	s_delay_alu instid0(VALU_DEP_1) | instskip(NEXT) | instid1(VALU_DEP_1)
	v_add3_u32 v4, v5, v4, 0x407ffff
	v_and_b32_e32 v5, 0xff00000, v4
	v_lshrrev_b32_e32 v4, 20, v4
	s_delay_alu instid0(VALU_DEP_2) | instskip(NEXT) | instid1(VALU_DEP_2)
	v_cmp_ne_u32_e32 vcc_lo, 0x7f00000, v5
                                        ; implicit-def: $vgpr5
	v_cndmask_b32_e32 v4, 0x7e, v4, vcc_lo
; %bb.1101:
	s_and_not1_saveexec_b32 s33, s33
; %bb.1102:
	v_add_f32_e64 v4, 0x46800000, |v5|
; %bb.1103:
	s_or_b32 exec_lo, exec_lo, s33
                                        ; implicit-def: $vgpr7
.LBB92_1104:
	s_and_not1_saveexec_b32 s31, s31
; %bb.1105:
	v_mov_b32_e32 v4, 0x7f
	v_cmp_lt_u32_e32 vcc_lo, 0x7f800000, v7
	s_delay_alu instid0(VALU_DEP_2)
	v_cndmask_b32_e32 v4, 0x7e, v4, vcc_lo
; %bb.1106:
	s_or_b32 exec_lo, exec_lo, s31
	v_lshrrev_b32_e32 v3, 8, v3
	s_delay_alu instid0(VALU_DEP_1)
	v_and_or_b32 v3, 0x80, v3, v4
	global_store_b8 v[0:1], v3, off
.LBB92_1107:
	s_mov_b32 s31, 0
.LBB92_1108:
	s_delay_alu instid0(SALU_CYCLE_1)
	s_and_not1_b32 vcc_lo, exec_lo, s31
	s_cbranch_vccnz .LBB92_1118
; %bb.1109:
	s_wait_xcnt 0x0
	v_lshlrev_b32_e32 v5, 16, v2
	v_and_b32_e32 v3, 0xffff, v2
	s_mov_b32 s31, exec_lo
                                        ; implicit-def: $vgpr4
	s_delay_alu instid0(VALU_DEP_2) | instskip(NEXT) | instid1(VALU_DEP_1)
	v_and_b32_e32 v7, 0x7fffffff, v5
	v_cmpx_gt_u32_e32 0x47800000, v7
	s_xor_b32 s31, exec_lo, s31
	s_cbranch_execz .LBB92_1115
; %bb.1110:
	s_mov_b32 s33, exec_lo
                                        ; implicit-def: $vgpr4
	v_cmpx_lt_u32_e32 0x387fffff, v7
	s_xor_b32 s33, exec_lo, s33
; %bb.1111:
	v_bfe_u32 v4, v3, 5, 1
	s_delay_alu instid0(VALU_DEP_1) | instskip(NEXT) | instid1(VALU_DEP_1)
	v_add3_u32 v4, v5, v4, 0x80fffff
                                        ; implicit-def: $vgpr5
	v_lshrrev_b32_e32 v4, 21, v4
; %bb.1112:
	s_and_not1_saveexec_b32 s33, s33
; %bb.1113:
	v_add_f32_e64 v4, 0x43000000, |v5|
; %bb.1114:
	s_or_b32 exec_lo, exec_lo, s33
                                        ; implicit-def: $vgpr7
.LBB92_1115:
	s_and_not1_saveexec_b32 s31, s31
; %bb.1116:
	v_mov_b32_e32 v4, 0x7f
	v_cmp_lt_u32_e32 vcc_lo, 0x7f800000, v7
	s_delay_alu instid0(VALU_DEP_2)
	v_cndmask_b32_e32 v4, 0x7c, v4, vcc_lo
; %bb.1117:
	s_or_b32 exec_lo, exec_lo, s31
	v_lshrrev_b32_e32 v3, 8, v3
	s_delay_alu instid0(VALU_DEP_1)
	v_and_or_b32 v3, 0x80, v3, v4
	global_store_b8 v[0:1], v3, off
.LBB92_1118:
	s_mov_b32 s33, 0
	s_mov_b32 s31, -1
.LBB92_1119:
	s_and_not1_b32 vcc_lo, exec_lo, s33
	s_cbranch_vccnz .LBB92_1127
; %bb.1120:
	s_cmp_gt_i32 s30, 14
	s_mov_b32 s33, -1
	s_cbranch_scc0 .LBB92_1124
; %bb.1121:
	s_cmp_eq_u32 s30, 15
	s_mov_b32 s0, -1
	s_cbranch_scc0 .LBB92_1123
; %bb.1122:
	s_mov_b32 s31, -1
	s_mov_b32 s0, 0
	global_store_b16 v[0:1], v2, off
.LBB92_1123:
	s_mov_b32 s33, 0
.LBB92_1124:
	s_delay_alu instid0(SALU_CYCLE_1)
	s_and_b32 vcc_lo, exec_lo, s33
	s_cbranch_vccz .LBB92_1127
; %bb.1125:
	s_cmp_eq_u32 s30, 11
	s_mov_b32 s0, -1
	s_cbranch_scc0 .LBB92_1127
; %bb.1126:
	s_wait_xcnt 0x0
	v_and_b32_e32 v3, 0x7fff, v2
	s_mov_b32 s0, 0
	s_mov_b32 s31, -1
	s_delay_alu instid0(VALU_DEP_1)
	v_cmp_ne_u16_e32 vcc_lo, 0, v3
	v_cndmask_b32_e64 v3, 0, 1, vcc_lo
	global_store_b8 v[0:1], v3, off
.LBB92_1127:
	s_mov_b32 s30, 0
.LBB92_1128:
	s_delay_alu instid0(SALU_CYCLE_1)
	s_and_b32 vcc_lo, exec_lo, s30
	s_cbranch_vccz .LBB92_1167
; %bb.1129:
	s_and_b32 s29, 0xffff, s29
	s_mov_b32 s30, -1
	s_cmp_lt_i32 s29, 5
	s_cbranch_scc1 .LBB92_1150
; %bb.1130:
	s_cmp_lt_i32 s29, 8
	s_cbranch_scc1 .LBB92_1140
; %bb.1131:
	;; [unrolled: 3-line block ×3, first 2 shown]
	s_cmp_gt_i32 s29, 9
	s_cbranch_scc0 .LBB92_1134
; %bb.1133:
	s_wait_xcnt 0x0
	v_dual_mov_b32 v10, 0 :: v_dual_lshlrev_b32 v3, 16, v2
	s_mov_b32 s30, 0
	s_delay_alu instid0(VALU_DEP_1) | instskip(NEXT) | instid1(VALU_DEP_2)
	v_cvt_f64_f32_e32 v[8:9], v3
	v_mov_b32_e32 v11, v10
	global_store_b128 v[0:1], v[8:11], off
.LBB92_1134:
	s_and_not1_b32 vcc_lo, exec_lo, s30
	s_cbranch_vccnz .LBB92_1136
; %bb.1135:
	s_wait_xcnt 0x0
	v_dual_mov_b32 v5, 0 :: v_dual_lshlrev_b32 v4, 16, v2
	global_store_b64 v[0:1], v[4:5], off
.LBB92_1136:
	s_mov_b32 s30, 0
.LBB92_1137:
	s_delay_alu instid0(SALU_CYCLE_1)
	s_and_not1_b32 vcc_lo, exec_lo, s30
	s_cbranch_vccnz .LBB92_1139
; %bb.1138:
	s_wait_xcnt 0x0
	v_lshlrev_b32_e32 v3, 16, v2
	s_delay_alu instid0(VALU_DEP_1) | instskip(NEXT) | instid1(VALU_DEP_1)
	v_cvt_f16_f32_e32 v3, v3
	v_and_b32_e32 v3, 0xffff, v3
	global_store_b32 v[0:1], v3, off
.LBB92_1139:
	s_mov_b32 s30, 0
.LBB92_1140:
	s_delay_alu instid0(SALU_CYCLE_1)
	s_and_not1_b32 vcc_lo, exec_lo, s30
	s_cbranch_vccnz .LBB92_1149
; %bb.1141:
	s_cmp_lt_i32 s29, 6
	s_mov_b32 s30, -1
	s_cbranch_scc1 .LBB92_1147
; %bb.1142:
	s_cmp_gt_i32 s29, 6
	s_cbranch_scc0 .LBB92_1144
; %bb.1143:
	s_wait_xcnt 0x0
	v_lshlrev_b32_e32 v3, 16, v2
	s_mov_b32 s30, 0
	s_delay_alu instid0(VALU_DEP_1)
	v_cvt_f64_f32_e32 v[4:5], v3
	global_store_b64 v[0:1], v[4:5], off
.LBB92_1144:
	s_and_not1_b32 vcc_lo, exec_lo, s30
	s_cbranch_vccnz .LBB92_1146
; %bb.1145:
	s_wait_xcnt 0x0
	v_lshlrev_b32_e32 v3, 16, v2
	global_store_b32 v[0:1], v3, off
.LBB92_1146:
	s_mov_b32 s30, 0
.LBB92_1147:
	s_delay_alu instid0(SALU_CYCLE_1)
	s_and_not1_b32 vcc_lo, exec_lo, s30
	s_cbranch_vccnz .LBB92_1149
; %bb.1148:
	s_wait_xcnt 0x0
	v_lshlrev_b32_e32 v3, 16, v2
	s_delay_alu instid0(VALU_DEP_1)
	v_cvt_f16_f32_e32 v3, v3
	global_store_b16 v[0:1], v3, off
.LBB92_1149:
	s_mov_b32 s30, 0
.LBB92_1150:
	s_delay_alu instid0(SALU_CYCLE_1)
	s_and_not1_b32 vcc_lo, exec_lo, s30
	s_cbranch_vccnz .LBB92_1166
; %bb.1151:
	s_cmp_lt_i32 s29, 2
	s_mov_b32 s30, -1
	s_cbranch_scc1 .LBB92_1161
; %bb.1152:
	s_cmp_lt_i32 s29, 3
	s_cbranch_scc1 .LBB92_1158
; %bb.1153:
	s_cmp_gt_i32 s29, 3
	s_cbranch_scc0 .LBB92_1155
; %bb.1154:
	s_wait_xcnt 0x0
	v_lshlrev_b32_e32 v3, 16, v2
	s_mov_b32 s30, 0
	s_delay_alu instid0(VALU_DEP_1) | instskip(NEXT) | instid1(VALU_DEP_1)
	v_trunc_f32_e32 v3, v3
	v_mul_f32_e64 v4, 0x2f800000, |v3|
	s_delay_alu instid0(VALU_DEP_1) | instskip(SKIP_1) | instid1(VALU_DEP_2)
	v_floor_f32_e32 v5, v4
	v_ashrrev_i32_e32 v4, 31, v3
	v_fma_f32 v7, 0xcf800000, v5, |v3|
	v_cvt_u32_f32_e32 v3, v5
	s_delay_alu instid0(VALU_DEP_3) | instskip(NEXT) | instid1(VALU_DEP_3)
	v_mov_b32_e32 v5, v4
	v_cvt_u32_f32_e32 v7, v7
	s_delay_alu instid0(VALU_DEP_3) | instskip(NEXT) | instid1(VALU_DEP_2)
	v_xor_b32_e32 v9, v3, v4
	v_xor_b32_e32 v8, v7, v4
	s_delay_alu instid0(VALU_DEP_1)
	v_sub_nc_u64_e32 v[4:5], v[8:9], v[4:5]
	global_store_b64 v[0:1], v[4:5], off
.LBB92_1155:
	s_and_not1_b32 vcc_lo, exec_lo, s30
	s_cbranch_vccnz .LBB92_1157
; %bb.1156:
	s_wait_xcnt 0x0
	v_lshlrev_b32_e32 v3, 16, v2
	s_delay_alu instid0(VALU_DEP_1)
	v_cvt_i32_f32_e32 v3, v3
	global_store_b32 v[0:1], v3, off
.LBB92_1157:
	s_mov_b32 s30, 0
.LBB92_1158:
	s_delay_alu instid0(SALU_CYCLE_1)
	s_and_not1_b32 vcc_lo, exec_lo, s30
	s_cbranch_vccnz .LBB92_1160
; %bb.1159:
	s_wait_xcnt 0x0
	v_lshlrev_b32_e32 v3, 16, v2
	s_delay_alu instid0(VALU_DEP_1)
	v_cvt_i32_f32_e32 v3, v3
	global_store_b16 v[0:1], v3, off
.LBB92_1160:
	s_mov_b32 s30, 0
.LBB92_1161:
	s_delay_alu instid0(SALU_CYCLE_1)
	s_and_not1_b32 vcc_lo, exec_lo, s30
	s_cbranch_vccnz .LBB92_1166
; %bb.1162:
	s_wait_xcnt 0x0
	v_lshlrev_b32_e32 v2, 16, v2
	s_cmp_gt_i32 s29, 0
	s_mov_b32 s29, -1
	s_cbranch_scc0 .LBB92_1164
; %bb.1163:
	s_delay_alu instid0(VALU_DEP_1)
	v_cvt_i32_f32_e32 v3, v2
	s_mov_b32 s29, 0
	global_store_b8 v[0:1], v3, off
.LBB92_1164:
	s_and_not1_b32 vcc_lo, exec_lo, s29
	s_cbranch_vccnz .LBB92_1166
; %bb.1165:
	v_trunc_f32_e32 v2, v2
	s_wait_xcnt 0x0
	s_delay_alu instid0(VALU_DEP_1) | instskip(NEXT) | instid1(VALU_DEP_1)
	v_mul_f32_e64 v3, 0x2f800000, |v2|
	v_floor_f32_e32 v3, v3
	s_delay_alu instid0(VALU_DEP_1) | instskip(SKIP_1) | instid1(VALU_DEP_2)
	v_fma_f32 v3, 0xcf800000, v3, |v2|
	v_ashrrev_i32_e32 v2, 31, v2
	v_cvt_u32_f32_e32 v3, v3
	s_delay_alu instid0(VALU_DEP_1) | instskip(NEXT) | instid1(VALU_DEP_1)
	v_xor_b32_e32 v3, v3, v2
	v_sub_nc_u32_e32 v2, v3, v2
	global_store_b8 v[0:1], v2, off
.LBB92_1166:
	s_mov_b32 s31, -1
.LBB92_1167:
	s_delay_alu instid0(SALU_CYCLE_1)
	s_and_not1_b32 vcc_lo, exec_lo, s31
	s_cbranch_vccnz .LBB92_1169
; %bb.1168:
	v_add_nc_u32_e32 v6, 0x80, v6
	s_mov_b32 s30, -1
	s_branch .LBB92_1171
.LBB92_1169:
	s_mov_b32 s30, 0
.LBB92_1170:
                                        ; implicit-def: $vgpr6
.LBB92_1171:
	s_and_not1_b32 s29, s23, exec_lo
	s_and_b32 s0, s0, exec_lo
	s_and_b32 s28, s28, exec_lo
	s_or_b32 s29, s29, s0
	s_and_not1_b32 s0, s24, exec_lo
	s_and_not1_b32 s31, s22, exec_lo
	s_and_b32 s27, s27, exec_lo
	s_or_b32 s28, s0, s28
	s_or_b32 s27, s31, s27
	s_or_not1_b32 s34, s30, exec_lo
.LBB92_1172:
	s_wait_xcnt 0x0
	s_or_b32 exec_lo, exec_lo, s26
	s_mov_b32 s30, 0
	s_mov_b32 s31, 0
	s_mov_b32 s33, 0
                                        ; implicit-def: $sgpr0
                                        ; implicit-def: $vgpr0_vgpr1
                                        ; implicit-def: $vgpr2
	s_and_saveexec_b32 s26, s34
	s_cbranch_execz .LBB92_1255
; %bb.1173:
	v_cmp_gt_i32_e32 vcc_lo, s18, v6
	s_mov_b32 s35, s27
	s_mov_b32 s34, 0
	;; [unrolled: 1-line block ×3, first 2 shown]
                                        ; implicit-def: $sgpr0
                                        ; implicit-def: $vgpr0_vgpr1
                                        ; implicit-def: $vgpr2
	s_and_saveexec_b32 s18, vcc_lo
	s_cbranch_execz .LBB92_1254
; %bb.1174:
	v_mul_lo_u32 v0, v6, s9
	s_and_b32 s0, s15, 0xff
	s_delay_alu instid0(SALU_CYCLE_1) | instskip(NEXT) | instid1(VALU_DEP_1)
	s_cmp_lt_i32 s0, 11
	v_ashrrev_i32_e32 v1, 31, v0
	s_delay_alu instid0(VALU_DEP_1)
	v_add_nc_u64_e32 v[0:1], s[6:7], v[0:1]
	s_cbranch_scc1 .LBB92_1181
; %bb.1175:
	s_and_b32 s30, 0xffff, s0
	s_delay_alu instid0(SALU_CYCLE_1)
	s_cmp_gt_i32 s30, 25
	s_cbranch_scc0 .LBB92_1182
; %bb.1176:
	s_cmp_gt_i32 s30, 28
	s_cbranch_scc0 .LBB92_1183
; %bb.1177:
	;; [unrolled: 3-line block ×4, first 2 shown]
	s_cmp_eq_u32 s30, 46
	s_mov_b32 s35, 0
	s_cbranch_scc0 .LBB92_1188
; %bb.1180:
	s_wait_loadcnt 0x0
	global_load_b32 v2, v[0:1], off
	s_mov_b32 s34, -1
	s_branch .LBB92_1190
.LBB92_1181:
	s_mov_b32 s30, -1
	s_mov_b32 s31, s27
                                        ; implicit-def: $vgpr2
	s_branch .LBB92_1253
.LBB92_1182:
	s_mov_b32 s35, -1
	s_mov_b32 s31, s27
                                        ; implicit-def: $vgpr2
	s_branch .LBB92_1219
.LBB92_1183:
	s_mov_b32 s35, -1
	s_mov_b32 s31, s27
                                        ; implicit-def: $vgpr2
	s_branch .LBB92_1200
.LBB92_1184:
	s_mov_b32 s35, -1
	s_mov_b32 s31, s27
                                        ; implicit-def: $vgpr2
	s_branch .LBB92_1195
.LBB92_1185:
	s_mov_b32 s35, -1
	s_mov_b32 s31, s27
	s_branch .LBB92_1189
.LBB92_1186:
	s_and_not1_saveexec_b32 s34, s34
	s_cbranch_execz .LBB92_1080
.LBB92_1187:
	v_add_f32_e64 v4, 0x46000000, |v5|
	s_and_not1_b32 s33, s33, exec_lo
	s_delay_alu instid0(VALU_DEP_1) | instskip(NEXT) | instid1(VALU_DEP_1)
	v_and_b32_e32 v4, 0xff, v4
	v_cmp_ne_u32_e32 vcc_lo, 0, v4
	s_and_b32 s35, vcc_lo, exec_lo
	s_delay_alu instid0(SALU_CYCLE_1)
	s_or_b32 s33, s33, s35
	s_or_b32 exec_lo, exec_lo, s34
	v_mov_b32_e32 v7, 0
	s_and_saveexec_b32 s34, s33
	s_cbranch_execnz .LBB92_1081
	s_branch .LBB92_1082
.LBB92_1188:
	s_mov_b32 s31, -1
.LBB92_1189:
                                        ; implicit-def: $vgpr2
.LBB92_1190:
	s_and_b32 vcc_lo, exec_lo, s35
	s_cbranch_vccz .LBB92_1194
; %bb.1191:
	s_cmp_eq_u32 s30, 44
	s_cbranch_scc0 .LBB92_1193
; %bb.1192:
	s_wait_loadcnt 0x0
	global_load_u8 v2, v[0:1], off
	s_mov_b32 s31, 0
	s_mov_b32 s34, -1
	s_wait_loadcnt 0x0
	v_lshlrev_b32_e32 v3, 23, v2
	v_cmp_ne_u32_e32 vcc_lo, 0xff, v2
	s_delay_alu instid0(VALU_DEP_2) | instskip(SKIP_1) | instid1(VALU_DEP_2)
	v_cndmask_b32_e32 v3, 0x7f800001, v3, vcc_lo
	v_cmp_ne_u32_e32 vcc_lo, 0, v2
	v_cndmask_b32_e32 v2, 0x400000, v3, vcc_lo
	s_delay_alu instid0(VALU_DEP_1) | instskip(NEXT) | instid1(VALU_DEP_1)
	v_add_nc_u32_e32 v3, 0x7fff, v2
	v_lshrrev_b32_e32 v3, 16, v3
	v_cmp_o_f32_e32 vcc_lo, v2, v2
	s_delay_alu instid0(VALU_DEP_2)
	v_cndmask_b32_e32 v2, 0x7fc0, v3, vcc_lo
	s_branch .LBB92_1194
.LBB92_1193:
	s_mov_b32 s31, -1
                                        ; implicit-def: $vgpr2
.LBB92_1194:
	s_mov_b32 s35, 0
.LBB92_1195:
	s_delay_alu instid0(SALU_CYCLE_1)
	s_and_b32 vcc_lo, exec_lo, s35
	s_cbranch_vccz .LBB92_1199
; %bb.1196:
	s_cmp_eq_u32 s30, 29
	s_cbranch_scc0 .LBB92_1198
; %bb.1197:
	s_wait_loadcnt 0x0
	global_load_b64 v[2:3], v[0:1], off
	s_mov_b32 s31, 0
	s_mov_b32 s34, -1
	s_mov_b32 s35, 0
	s_wait_loadcnt 0x0
	v_clz_i32_u32_e32 v4, v3
	s_delay_alu instid0(VALU_DEP_1) | instskip(NEXT) | instid1(VALU_DEP_1)
	v_min_u32_e32 v4, 32, v4
	v_lshlrev_b64_e32 v[2:3], v4, v[2:3]
	s_delay_alu instid0(VALU_DEP_1) | instskip(NEXT) | instid1(VALU_DEP_1)
	v_min_u32_e32 v2, 1, v2
	v_dual_sub_nc_u32 v3, 32, v4 :: v_dual_bitop2_b32 v2, v3, v2 bitop3:0x54
	s_delay_alu instid0(VALU_DEP_1) | instskip(NEXT) | instid1(VALU_DEP_1)
	v_cvt_f32_u32_e32 v2, v2
	v_ldexp_f32 v2, v2, v3
	s_delay_alu instid0(VALU_DEP_1) | instskip(NEXT) | instid1(VALU_DEP_1)
	v_bfe_u32 v3, v2, 16, 1
	v_add3_u32 v2, v2, v3, 0x7fff
	s_delay_alu instid0(VALU_DEP_1)
	v_lshrrev_b32_e32 v2, 16, v2
	s_branch .LBB92_1200
.LBB92_1198:
	s_mov_b32 s31, -1
                                        ; implicit-def: $vgpr2
.LBB92_1199:
	s_mov_b32 s35, 0
.LBB92_1200:
	s_delay_alu instid0(SALU_CYCLE_1)
	s_and_b32 vcc_lo, exec_lo, s35
	s_cbranch_vccz .LBB92_1218
; %bb.1201:
	s_cmp_lt_i32 s30, 27
	s_cbranch_scc1 .LBB92_1204
; %bb.1202:
	s_cmp_gt_i32 s30, 27
	s_cbranch_scc0 .LBB92_1205
; %bb.1203:
	s_wait_loadcnt 0x0
	global_load_b32 v2, v[0:1], off
	s_mov_b32 s34, 0
	s_wait_loadcnt 0x0
	v_cvt_f32_u32_e32 v2, v2
	s_delay_alu instid0(VALU_DEP_1) | instskip(NEXT) | instid1(VALU_DEP_1)
	v_bfe_u32 v3, v2, 16, 1
	v_add3_u32 v2, v2, v3, 0x7fff
	s_delay_alu instid0(VALU_DEP_1)
	v_lshrrev_b32_e32 v2, 16, v2
	s_branch .LBB92_1206
.LBB92_1204:
	s_mov_b32 s34, -1
                                        ; implicit-def: $vgpr2
	s_branch .LBB92_1209
.LBB92_1205:
	s_mov_b32 s34, -1
                                        ; implicit-def: $vgpr2
.LBB92_1206:
	s_delay_alu instid0(SALU_CYCLE_1)
	s_and_not1_b32 vcc_lo, exec_lo, s34
	s_cbranch_vccnz .LBB92_1208
; %bb.1207:
	s_wait_loadcnt 0x0
	global_load_u16 v2, v[0:1], off
	s_wait_loadcnt 0x0
	v_cvt_f32_u32_e32 v2, v2
	s_delay_alu instid0(VALU_DEP_1) | instskip(NEXT) | instid1(VALU_DEP_1)
	v_bfe_u32 v3, v2, 16, 1
	v_add3_u32 v2, v2, v3, 0x7fff
	s_delay_alu instid0(VALU_DEP_1)
	v_lshrrev_b32_e32 v2, 16, v2
.LBB92_1208:
	s_mov_b32 s34, 0
.LBB92_1209:
	s_delay_alu instid0(SALU_CYCLE_1)
	s_and_not1_b32 vcc_lo, exec_lo, s34
	s_cbranch_vccnz .LBB92_1217
; %bb.1210:
	s_wait_loadcnt 0x0
	global_load_u8 v2, v[0:1], off
	s_mov_b32 s34, 0
	s_mov_b32 s35, exec_lo
	s_wait_loadcnt 0x0
	v_cmpx_lt_i16_e32 0x7f, v2
	s_xor_b32 s35, exec_lo, s35
	s_cbranch_execz .LBB92_1231
; %bb.1211:
	s_mov_b32 s34, -1
	s_mov_b32 s36, exec_lo
	v_cmpx_eq_u16_e32 0x80, v2
; %bb.1212:
	s_xor_b32 s34, exec_lo, -1
; %bb.1213:
	s_or_b32 exec_lo, exec_lo, s36
	s_delay_alu instid0(SALU_CYCLE_1)
	s_and_b32 s34, s34, exec_lo
	s_or_saveexec_b32 s35, s35
	v_mov_b32_e32 v3, 0x7f800001
	s_xor_b32 exec_lo, exec_lo, s35
	s_cbranch_execnz .LBB92_1232
.LBB92_1214:
	s_or_b32 exec_lo, exec_lo, s35
	s_and_saveexec_b32 s35, s34
	s_cbranch_execz .LBB92_1216
.LBB92_1215:
	v_and_b32_e32 v3, 0xffff, v2
	s_delay_alu instid0(VALU_DEP_1) | instskip(SKIP_1) | instid1(VALU_DEP_2)
	v_and_b32_e32 v4, 7, v3
	v_bfe_u32 v8, v3, 3, 4
	v_clz_i32_u32_e32 v5, v4
	s_delay_alu instid0(VALU_DEP_2) | instskip(NEXT) | instid1(VALU_DEP_2)
	v_cmp_eq_u32_e32 vcc_lo, 0, v8
	v_min_u32_e32 v5, 32, v5
	s_delay_alu instid0(VALU_DEP_1) | instskip(NEXT) | instid1(VALU_DEP_1)
	v_subrev_nc_u32_e32 v7, 28, v5
	v_dual_lshlrev_b32 v3, v7, v3 :: v_dual_sub_nc_u32 v5, 29, v5
	s_delay_alu instid0(VALU_DEP_1) | instskip(NEXT) | instid1(VALU_DEP_2)
	v_dual_lshlrev_b32 v2, 24, v2 :: v_dual_bitop2_b32 v3, 7, v3 bitop3:0x40
	v_cndmask_b32_e32 v5, v8, v5, vcc_lo
	s_delay_alu instid0(VALU_DEP_2) | instskip(NEXT) | instid1(VALU_DEP_3)
	v_cndmask_b32_e32 v3, v4, v3, vcc_lo
	v_and_b32_e32 v2, 0x80000000, v2
	s_delay_alu instid0(VALU_DEP_3) | instskip(NEXT) | instid1(VALU_DEP_3)
	v_lshl_add_u32 v4, v5, 23, 0x3b800000
	v_lshlrev_b32_e32 v3, 20, v3
	s_delay_alu instid0(VALU_DEP_1)
	v_or3_b32 v3, v2, v4, v3
.LBB92_1216:
	s_or_b32 exec_lo, exec_lo, s35
	s_delay_alu instid0(VALU_DEP_1) | instskip(SKIP_1) | instid1(VALU_DEP_2)
	v_bfe_u32 v2, v3, 16, 1
	v_cmp_o_f32_e32 vcc_lo, v3, v3
	v_add3_u32 v2, v3, v2, 0x7fff
	s_delay_alu instid0(VALU_DEP_1) | instskip(NEXT) | instid1(VALU_DEP_1)
	v_lshrrev_b32_e32 v2, 16, v2
	v_cndmask_b32_e32 v2, 0x7fc0, v2, vcc_lo
.LBB92_1217:
	s_mov_b32 s34, -1
.LBB92_1218:
	s_mov_b32 s35, 0
.LBB92_1219:
	s_delay_alu instid0(SALU_CYCLE_1)
	s_and_b32 vcc_lo, exec_lo, s35
	s_cbranch_vccz .LBB92_1252
; %bb.1220:
	s_cmp_gt_i32 s30, 22
	s_cbranch_scc0 .LBB92_1230
; %bb.1221:
	s_cmp_lt_i32 s30, 24
	s_cbranch_scc1 .LBB92_1233
; %bb.1222:
	s_cmp_gt_i32 s30, 24
	s_cbranch_scc0 .LBB92_1234
; %bb.1223:
	s_wait_loadcnt 0x0
	global_load_u8 v2, v[0:1], off
	s_mov_b32 s34, exec_lo
	s_wait_loadcnt 0x0
	v_cmpx_lt_i16_e32 0x7f, v2
	s_xor_b32 s34, exec_lo, s34
	s_cbranch_execz .LBB92_1246
; %bb.1224:
	s_mov_b32 s33, -1
	s_mov_b32 s35, exec_lo
	v_cmpx_eq_u16_e32 0x80, v2
; %bb.1225:
	s_xor_b32 s33, exec_lo, -1
; %bb.1226:
	s_or_b32 exec_lo, exec_lo, s35
	s_delay_alu instid0(SALU_CYCLE_1)
	s_and_b32 s33, s33, exec_lo
	s_or_saveexec_b32 s34, s34
	v_mov_b32_e32 v3, 0x7f800001
	s_xor_b32 exec_lo, exec_lo, s34
	s_cbranch_execnz .LBB92_1247
.LBB92_1227:
	s_or_b32 exec_lo, exec_lo, s34
	s_and_saveexec_b32 s34, s33
	s_cbranch_execz .LBB92_1229
.LBB92_1228:
	v_and_b32_e32 v3, 0xffff, v2
	s_delay_alu instid0(VALU_DEP_1) | instskip(SKIP_1) | instid1(VALU_DEP_2)
	v_and_b32_e32 v4, 3, v3
	v_bfe_u32 v8, v3, 2, 5
	v_clz_i32_u32_e32 v5, v4
	s_delay_alu instid0(VALU_DEP_2) | instskip(NEXT) | instid1(VALU_DEP_2)
	v_cmp_eq_u32_e32 vcc_lo, 0, v8
	v_min_u32_e32 v5, 32, v5
	s_delay_alu instid0(VALU_DEP_1) | instskip(NEXT) | instid1(VALU_DEP_1)
	v_subrev_nc_u32_e32 v7, 29, v5
	v_dual_lshlrev_b32 v3, v7, v3 :: v_dual_sub_nc_u32 v5, 30, v5
	s_delay_alu instid0(VALU_DEP_1) | instskip(NEXT) | instid1(VALU_DEP_2)
	v_dual_lshlrev_b32 v2, 24, v2 :: v_dual_bitop2_b32 v3, 3, v3 bitop3:0x40
	v_cndmask_b32_e32 v5, v8, v5, vcc_lo
	s_delay_alu instid0(VALU_DEP_2) | instskip(NEXT) | instid1(VALU_DEP_3)
	v_cndmask_b32_e32 v3, v4, v3, vcc_lo
	v_and_b32_e32 v2, 0x80000000, v2
	s_delay_alu instid0(VALU_DEP_3) | instskip(NEXT) | instid1(VALU_DEP_3)
	v_lshl_add_u32 v4, v5, 23, 0x37800000
	v_lshlrev_b32_e32 v3, 21, v3
	s_delay_alu instid0(VALU_DEP_1)
	v_or3_b32 v3, v2, v4, v3
.LBB92_1229:
	s_or_b32 exec_lo, exec_lo, s34
	s_delay_alu instid0(VALU_DEP_1) | instskip(SKIP_2) | instid1(VALU_DEP_2)
	v_bfe_u32 v2, v3, 16, 1
	v_cmp_o_f32_e32 vcc_lo, v3, v3
	s_mov_b32 s33, 0
	v_add3_u32 v2, v3, v2, 0x7fff
	s_delay_alu instid0(VALU_DEP_1) | instskip(NEXT) | instid1(VALU_DEP_1)
	v_lshrrev_b32_e32 v2, 16, v2
	v_cndmask_b32_e32 v2, 0x7fc0, v2, vcc_lo
	s_branch .LBB92_1235
.LBB92_1230:
	s_mov_b32 s33, -1
                                        ; implicit-def: $vgpr2
	s_branch .LBB92_1241
.LBB92_1231:
	s_or_saveexec_b32 s35, s35
	v_mov_b32_e32 v3, 0x7f800001
	s_xor_b32 exec_lo, exec_lo, s35
	s_cbranch_execz .LBB92_1214
.LBB92_1232:
	v_cmp_ne_u16_e32 vcc_lo, 0, v2
	v_mov_b32_e32 v3, 0
	s_and_not1_b32 s34, s34, exec_lo
	s_and_b32 s36, vcc_lo, exec_lo
	s_delay_alu instid0(SALU_CYCLE_1)
	s_or_b32 s34, s34, s36
	s_or_b32 exec_lo, exec_lo, s35
	s_and_saveexec_b32 s35, s34
	s_cbranch_execnz .LBB92_1215
	s_branch .LBB92_1216
.LBB92_1233:
	s_mov_b32 s33, -1
                                        ; implicit-def: $vgpr2
	s_branch .LBB92_1238
.LBB92_1234:
	s_mov_b32 s33, -1
                                        ; implicit-def: $vgpr2
.LBB92_1235:
	s_delay_alu instid0(SALU_CYCLE_1)
	s_and_b32 vcc_lo, exec_lo, s33
	s_cbranch_vccz .LBB92_1237
; %bb.1236:
	s_wait_loadcnt 0x0
	global_load_u8 v2, v[0:1], off
	s_wait_loadcnt 0x0
	v_lshlrev_b32_e32 v2, 24, v2
	s_delay_alu instid0(VALU_DEP_1) | instskip(NEXT) | instid1(VALU_DEP_1)
	v_and_b32_e32 v3, 0x7f000000, v2
	v_clz_i32_u32_e32 v4, v3
	v_add_nc_u32_e32 v7, 0x1000000, v3
	v_cmp_ne_u32_e32 vcc_lo, 0, v3
	s_delay_alu instid0(VALU_DEP_3) | instskip(NEXT) | instid1(VALU_DEP_1)
	v_min_u32_e32 v4, 32, v4
	v_sub_nc_u32_e64 v4, v4, 4 clamp
	s_delay_alu instid0(VALU_DEP_1) | instskip(NEXT) | instid1(VALU_DEP_1)
	v_dual_lshlrev_b32 v5, v4, v3 :: v_dual_lshlrev_b32 v4, 23, v4
	v_lshrrev_b32_e32 v5, 4, v5
	s_delay_alu instid0(VALU_DEP_1) | instskip(NEXT) | instid1(VALU_DEP_1)
	v_dual_sub_nc_u32 v4, v5, v4 :: v_dual_ashrrev_i32 v5, 8, v7
	v_add_nc_u32_e32 v4, 0x3c000000, v4
	s_delay_alu instid0(VALU_DEP_1) | instskip(NEXT) | instid1(VALU_DEP_1)
	v_and_or_b32 v4, 0x7f800000, v5, v4
	v_cndmask_b32_e32 v3, 0, v4, vcc_lo
	s_delay_alu instid0(VALU_DEP_1) | instskip(SKIP_1) | instid1(VALU_DEP_2)
	v_and_or_b32 v2, 0x80000000, v2, v3
	v_bfe_u32 v3, v3, 16, 1
	v_cmp_o_f32_e32 vcc_lo, v2, v2
	s_delay_alu instid0(VALU_DEP_2) | instskip(NEXT) | instid1(VALU_DEP_1)
	v_add3_u32 v3, v2, v3, 0x7fff
	v_lshrrev_b32_e32 v3, 16, v3
	s_delay_alu instid0(VALU_DEP_1)
	v_cndmask_b32_e32 v2, 0x7fc0, v3, vcc_lo
.LBB92_1237:
	s_mov_b32 s33, 0
.LBB92_1238:
	s_delay_alu instid0(SALU_CYCLE_1)
	s_and_not1_b32 vcc_lo, exec_lo, s33
	s_cbranch_vccnz .LBB92_1240
; %bb.1239:
	s_wait_loadcnt 0x0
	global_load_u8 v2, v[0:1], off
	s_wait_loadcnt 0x0
	v_lshlrev_b32_e32 v3, 25, v2
	v_lshlrev_b16 v2, 8, v2
	s_delay_alu instid0(VALU_DEP_1) | instskip(SKIP_1) | instid1(VALU_DEP_2)
	v_and_or_b32 v5, 0x7f00, v2, 0.5
	v_bfe_i32 v2, v2, 0, 16
	v_dual_add_f32 v5, -0.5, v5 :: v_dual_lshrrev_b32 v4, 4, v3
	v_cmp_gt_u32_e32 vcc_lo, 0x8000000, v3
	s_delay_alu instid0(VALU_DEP_2) | instskip(NEXT) | instid1(VALU_DEP_1)
	v_or_b32_e32 v4, 0x70000000, v4
	v_mul_f32_e32 v4, 0x7800000, v4
	s_delay_alu instid0(VALU_DEP_1) | instskip(NEXT) | instid1(VALU_DEP_1)
	v_cndmask_b32_e32 v3, v4, v5, vcc_lo
	v_and_or_b32 v2, 0x80000000, v2, v3
	v_bfe_u32 v3, v3, 16, 1
	s_delay_alu instid0(VALU_DEP_2) | instskip(NEXT) | instid1(VALU_DEP_2)
	v_cmp_o_f32_e32 vcc_lo, v2, v2
	v_add3_u32 v3, v2, v3, 0x7fff
	s_delay_alu instid0(VALU_DEP_1) | instskip(NEXT) | instid1(VALU_DEP_1)
	v_lshrrev_b32_e32 v3, 16, v3
	v_cndmask_b32_e32 v2, 0x7fc0, v3, vcc_lo
.LBB92_1240:
	s_mov_b32 s33, 0
	s_mov_b32 s34, -1
.LBB92_1241:
	s_and_not1_b32 vcc_lo, exec_lo, s33
	s_mov_b32 s33, 0
	s_cbranch_vccnz .LBB92_1252
; %bb.1242:
	s_cmp_gt_i32 s30, 14
	s_cbranch_scc0 .LBB92_1245
; %bb.1243:
	s_cmp_eq_u32 s30, 15
	s_cbranch_scc0 .LBB92_1248
; %bb.1244:
	s_wait_loadcnt 0x0
	global_load_u16 v2, v[0:1], off
	s_mov_b32 s31, 0
	s_mov_b32 s34, -1
	s_branch .LBB92_1250
.LBB92_1245:
	s_mov_b32 s33, -1
	s_branch .LBB92_1249
.LBB92_1246:
	s_or_saveexec_b32 s34, s34
	v_mov_b32_e32 v3, 0x7f800001
	s_xor_b32 exec_lo, exec_lo, s34
	s_cbranch_execz .LBB92_1227
.LBB92_1247:
	v_cmp_ne_u16_e32 vcc_lo, 0, v2
	v_mov_b32_e32 v3, 0
	s_and_not1_b32 s33, s33, exec_lo
	s_and_b32 s35, vcc_lo, exec_lo
	s_delay_alu instid0(SALU_CYCLE_1)
	s_or_b32 s33, s33, s35
	s_or_b32 exec_lo, exec_lo, s34
	s_and_saveexec_b32 s34, s33
	s_cbranch_execnz .LBB92_1228
	s_branch .LBB92_1229
.LBB92_1248:
	s_mov_b32 s31, -1
.LBB92_1249:
                                        ; implicit-def: $vgpr2
.LBB92_1250:
	s_and_b32 vcc_lo, exec_lo, s33
	s_mov_b32 s33, 0
	s_cbranch_vccz .LBB92_1252
; %bb.1251:
	s_cmp_lg_u32 s30, 11
	s_mov_b32 s33, -1
	s_cselect_b32 s30, -1, 0
	s_and_not1_b32 s31, s31, exec_lo
	s_and_b32 s30, s30, exec_lo
	s_delay_alu instid0(SALU_CYCLE_1)
	s_or_b32 s31, s31, s30
.LBB92_1252:
	s_mov_b32 s30, 0
.LBB92_1253:
	s_and_not1_b32 s35, s27, exec_lo
	s_and_b32 s31, s31, exec_lo
	s_and_b32 s36, s34, exec_lo
	;; [unrolled: 1-line block ×4, first 2 shown]
	s_or_b32 s35, s35, s31
.LBB92_1254:
	s_wait_xcnt 0x0
	s_or_b32 exec_lo, exec_lo, s18
	s_delay_alu instid0(SALU_CYCLE_1)
	s_and_not1_b32 s18, s27, exec_lo
	s_and_b32 s27, s35, exec_lo
	s_and_b32 s33, s36, exec_lo
	;; [unrolled: 1-line block ×4, first 2 shown]
	s_or_b32 s27, s18, s27
.LBB92_1255:
	s_or_b32 exec_lo, exec_lo, s26
	s_delay_alu instid0(SALU_CYCLE_1)
	s_and_not1_b32 s18, s23, exec_lo
	s_and_b32 s23, s29, exec_lo
	s_and_not1_b32 s24, s24, exec_lo
	s_and_b32 s26, s28, exec_lo
	s_or_b32 s23, s18, s23
	s_and_not1_b32 s18, s22, exec_lo
	s_and_b32 s22, s27, exec_lo
	s_or_b32 s24, s24, s26
	s_and_b32 s29, s33, exec_lo
	s_and_b32 s28, s31, exec_lo
	;; [unrolled: 1-line block ×3, first 2 shown]
	s_or_b32 s22, s18, s22
.LBB92_1256:
	s_or_b32 exec_lo, exec_lo, s25
	s_delay_alu instid0(SALU_CYCLE_1)
	s_and_not1_b32 s17, s17, exec_lo
	s_and_b32 s18, s23, exec_lo
	s_and_not1_b32 s19, s19, exec_lo
	s_and_b32 s23, s24, exec_lo
	s_or_b32 s17, s17, s18
	s_and_not1_b32 s18, s20, exec_lo
	s_and_b32 s20, s22, exec_lo
	s_or_b32 s19, s19, s23
	s_and_b32 s23, s29, exec_lo
	s_and_b32 s24, s28, exec_lo
	;; [unrolled: 1-line block ×3, first 2 shown]
	s_or_b32 s20, s18, s20
	s_or_b32 exec_lo, exec_lo, s21
	s_mov_b32 s18, 0
	s_and_saveexec_b32 s21, s20
	s_cbranch_execz .LBB92_394
.LBB92_1257:
	s_mov_b32 s18, exec_lo
	s_and_not1_b32 s22, s22, exec_lo
	s_trap 2
	s_or_b32 exec_lo, exec_lo, s21
	s_and_saveexec_b32 s20, s22
	s_delay_alu instid0(SALU_CYCLE_1)
	s_xor_b32 s20, exec_lo, s20
	s_cbranch_execnz .LBB92_395
.LBB92_1258:
	s_or_b32 exec_lo, exec_lo, s20
	s_and_saveexec_b32 s20, s24
	s_cbranch_execz .LBB92_1304
.LBB92_1259:
	s_sext_i32_i16 s21, s0
	s_delay_alu instid0(SALU_CYCLE_1)
	s_cmp_lt_i32 s21, 5
	s_cbranch_scc1 .LBB92_1264
; %bb.1260:
	s_cmp_lt_i32 s21, 8
	s_cbranch_scc1 .LBB92_1265
; %bb.1261:
	;; [unrolled: 3-line block ×3, first 2 shown]
	s_cmp_gt_i32 s21, 9
	s_cbranch_scc0 .LBB92_1267
; %bb.1263:
	s_wait_loadcnt 0x0
	global_load_b64 v[2:3], v[0:1], off
	s_mov_b32 s21, 0
	s_wait_loadcnt 0x0
	v_cvt_f32_f64_e32 v2, v[2:3]
	s_delay_alu instid0(VALU_DEP_1) | instskip(SKIP_1) | instid1(VALU_DEP_2)
	v_bfe_u32 v3, v2, 16, 1
	v_cmp_o_f32_e32 vcc_lo, v2, v2
	v_add3_u32 v3, v2, v3, 0x7fff
	s_delay_alu instid0(VALU_DEP_1) | instskip(NEXT) | instid1(VALU_DEP_1)
	v_lshrrev_b32_e32 v3, 16, v3
	v_cndmask_b32_e32 v2, 0x7fc0, v3, vcc_lo
	s_branch .LBB92_1268
.LBB92_1264:
                                        ; implicit-def: $vgpr2
	s_branch .LBB92_1285
.LBB92_1265:
                                        ; implicit-def: $vgpr2
	s_branch .LBB92_1274
.LBB92_1266:
	s_mov_b32 s21, -1
                                        ; implicit-def: $vgpr2
	s_branch .LBB92_1271
.LBB92_1267:
	s_mov_b32 s21, -1
                                        ; implicit-def: $vgpr2
.LBB92_1268:
	s_delay_alu instid0(SALU_CYCLE_1)
	s_and_not1_b32 vcc_lo, exec_lo, s21
	s_cbranch_vccnz .LBB92_1270
; %bb.1269:
	s_wait_loadcnt 0x0
	global_load_b32 v2, v[0:1], off
	s_wait_loadcnt 0x0
	v_bfe_u32 v3, v2, 16, 1
	v_cmp_o_f32_e32 vcc_lo, v2, v2
	s_delay_alu instid0(VALU_DEP_2) | instskip(NEXT) | instid1(VALU_DEP_1)
	v_add3_u32 v3, v2, v3, 0x7fff
	v_lshrrev_b32_e32 v3, 16, v3
	s_delay_alu instid0(VALU_DEP_1)
	v_cndmask_b32_e32 v2, 0x7fc0, v3, vcc_lo
.LBB92_1270:
	s_mov_b32 s21, 0
.LBB92_1271:
	s_delay_alu instid0(SALU_CYCLE_1)
	s_and_not1_b32 vcc_lo, exec_lo, s21
	s_cbranch_vccnz .LBB92_1273
; %bb.1272:
	s_wait_loadcnt 0x0
	global_load_b32 v2, v[0:1], off
	s_wait_loadcnt 0x0
	v_cvt_f32_f16_e32 v3, v2
	v_cmp_o_f16_e32 vcc_lo, v2, v2
	s_delay_alu instid0(VALU_DEP_2) | instskip(NEXT) | instid1(VALU_DEP_1)
	v_bfe_u32 v4, v3, 16, 1
	v_add3_u32 v3, v3, v4, 0x7fff
	s_delay_alu instid0(VALU_DEP_1) | instskip(NEXT) | instid1(VALU_DEP_1)
	v_lshrrev_b32_e32 v3, 16, v3
	v_cndmask_b32_e32 v2, 0x7fc0, v3, vcc_lo
.LBB92_1273:
	s_cbranch_execnz .LBB92_1284
.LBB92_1274:
	s_sext_i32_i16 s21, s0
	s_delay_alu instid0(SALU_CYCLE_1)
	s_cmp_lt_i32 s21, 6
	s_cbranch_scc1 .LBB92_1277
; %bb.1275:
	s_cmp_gt_i32 s21, 6
	s_cbranch_scc0 .LBB92_1278
; %bb.1276:
	s_wait_loadcnt 0x0
	global_load_b64 v[2:3], v[0:1], off
	s_mov_b32 s21, 0
	s_wait_loadcnt 0x0
	v_cvt_f32_f64_e32 v2, v[2:3]
	s_delay_alu instid0(VALU_DEP_1) | instskip(SKIP_1) | instid1(VALU_DEP_2)
	v_bfe_u32 v3, v2, 16, 1
	v_cmp_o_f32_e32 vcc_lo, v2, v2
	v_add3_u32 v3, v2, v3, 0x7fff
	s_delay_alu instid0(VALU_DEP_1) | instskip(NEXT) | instid1(VALU_DEP_1)
	v_lshrrev_b32_e32 v3, 16, v3
	v_cndmask_b32_e32 v2, 0x7fc0, v3, vcc_lo
	s_branch .LBB92_1279
.LBB92_1277:
	s_mov_b32 s21, -1
                                        ; implicit-def: $vgpr2
	s_branch .LBB92_1282
.LBB92_1278:
	s_mov_b32 s21, -1
                                        ; implicit-def: $vgpr2
.LBB92_1279:
	s_delay_alu instid0(SALU_CYCLE_1)
	s_and_not1_b32 vcc_lo, exec_lo, s21
	s_cbranch_vccnz .LBB92_1281
; %bb.1280:
	s_wait_loadcnt 0x0
	global_load_b32 v2, v[0:1], off
	s_wait_loadcnt 0x0
	v_bfe_u32 v3, v2, 16, 1
	v_cmp_o_f32_e32 vcc_lo, v2, v2
	s_delay_alu instid0(VALU_DEP_2) | instskip(NEXT) | instid1(VALU_DEP_1)
	v_add3_u32 v3, v2, v3, 0x7fff
	v_lshrrev_b32_e32 v3, 16, v3
	s_delay_alu instid0(VALU_DEP_1)
	v_cndmask_b32_e32 v2, 0x7fc0, v3, vcc_lo
.LBB92_1281:
	s_mov_b32 s21, 0
.LBB92_1282:
	s_delay_alu instid0(SALU_CYCLE_1)
	s_and_not1_b32 vcc_lo, exec_lo, s21
	s_cbranch_vccnz .LBB92_1284
; %bb.1283:
	s_wait_loadcnt 0x0
	global_load_u16 v2, v[0:1], off
	s_wait_loadcnt 0x0
	v_cvt_f32_f16_e32 v3, v2
	v_cmp_o_f16_e32 vcc_lo, v2, v2
	s_delay_alu instid0(VALU_DEP_2) | instskip(NEXT) | instid1(VALU_DEP_1)
	v_bfe_u32 v4, v3, 16, 1
	v_add3_u32 v3, v3, v4, 0x7fff
	s_delay_alu instid0(VALU_DEP_1) | instskip(NEXT) | instid1(VALU_DEP_1)
	v_lshrrev_b32_e32 v3, 16, v3
	v_cndmask_b32_e32 v2, 0x7fc0, v3, vcc_lo
.LBB92_1284:
	s_cbranch_execnz .LBB92_1303
.LBB92_1285:
	s_sext_i32_i16 s21, s0
	s_delay_alu instid0(SALU_CYCLE_1)
	s_cmp_lt_i32 s21, 2
	s_cbranch_scc1 .LBB92_1289
; %bb.1286:
	s_cmp_lt_i32 s21, 3
	s_cbranch_scc1 .LBB92_1290
; %bb.1287:
	s_cmp_gt_i32 s21, 3
	s_cbranch_scc0 .LBB92_1291
; %bb.1288:
	s_wait_loadcnt 0x0
	global_load_b64 v[2:3], v[0:1], off
	s_mov_b32 s21, 0
	s_wait_loadcnt 0x0
	v_xor_b32_e32 v4, v2, v3
	v_cls_i32_e32 v5, v3
	s_delay_alu instid0(VALU_DEP_2) | instskip(NEXT) | instid1(VALU_DEP_1)
	v_ashrrev_i32_e32 v4, 31, v4
	v_add_nc_u32_e32 v4, 32, v4
	s_delay_alu instid0(VALU_DEP_1) | instskip(NEXT) | instid1(VALU_DEP_1)
	v_add_min_u32_e64 v4, v5, -1, v4
	v_lshlrev_b64_e32 v[2:3], v4, v[2:3]
	s_delay_alu instid0(VALU_DEP_1) | instskip(NEXT) | instid1(VALU_DEP_1)
	v_min_u32_e32 v2, 1, v2
	v_dual_sub_nc_u32 v3, 32, v4 :: v_dual_bitop2_b32 v2, v3, v2 bitop3:0x54
	s_delay_alu instid0(VALU_DEP_1) | instskip(NEXT) | instid1(VALU_DEP_1)
	v_cvt_f32_i32_e32 v2, v2
	v_ldexp_f32 v2, v2, v3
	s_delay_alu instid0(VALU_DEP_1) | instskip(NEXT) | instid1(VALU_DEP_1)
	v_bfe_u32 v3, v2, 16, 1
	v_add3_u32 v2, v2, v3, 0x7fff
	s_delay_alu instid0(VALU_DEP_1)
	v_lshrrev_b32_e32 v2, 16, v2
	s_branch .LBB92_1292
.LBB92_1289:
                                        ; implicit-def: $vgpr2
	s_branch .LBB92_1298
.LBB92_1290:
	s_mov_b32 s21, -1
                                        ; implicit-def: $vgpr2
	s_branch .LBB92_1295
.LBB92_1291:
	s_mov_b32 s21, -1
                                        ; implicit-def: $vgpr2
.LBB92_1292:
	s_delay_alu instid0(SALU_CYCLE_1)
	s_and_not1_b32 vcc_lo, exec_lo, s21
	s_cbranch_vccnz .LBB92_1294
; %bb.1293:
	s_wait_loadcnt 0x0
	global_load_b32 v2, v[0:1], off
	s_wait_loadcnt 0x0
	v_cvt_f32_i32_e32 v2, v2
	s_delay_alu instid0(VALU_DEP_1) | instskip(NEXT) | instid1(VALU_DEP_1)
	v_bfe_u32 v3, v2, 16, 1
	v_add3_u32 v2, v2, v3, 0x7fff
	s_delay_alu instid0(VALU_DEP_1)
	v_lshrrev_b32_e32 v2, 16, v2
.LBB92_1294:
	s_mov_b32 s21, 0
.LBB92_1295:
	s_delay_alu instid0(SALU_CYCLE_1)
	s_and_not1_b32 vcc_lo, exec_lo, s21
	s_cbranch_vccnz .LBB92_1297
; %bb.1296:
	s_wait_loadcnt 0x0
	global_load_i16 v2, v[0:1], off
	s_wait_loadcnt 0x0
	v_cvt_f32_i32_e32 v2, v2
	s_delay_alu instid0(VALU_DEP_1) | instskip(NEXT) | instid1(VALU_DEP_1)
	v_bfe_u32 v3, v2, 16, 1
	v_add3_u32 v2, v2, v3, 0x7fff
	s_delay_alu instid0(VALU_DEP_1)
	v_lshrrev_b32_e32 v2, 16, v2
.LBB92_1297:
	s_cbranch_execnz .LBB92_1303
.LBB92_1298:
	s_sext_i32_i16 s0, s0
	s_delay_alu instid0(SALU_CYCLE_1)
	s_cmp_gt_i32 s0, 0
	s_mov_b32 s0, 0
	s_cbranch_scc0 .LBB92_1300
; %bb.1299:
	s_wait_loadcnt 0x0
	global_load_i8 v2, v[0:1], off
	s_wait_loadcnt 0x0
	v_cvt_f32_i32_e32 v2, v2
	s_delay_alu instid0(VALU_DEP_1) | instskip(NEXT) | instid1(VALU_DEP_1)
	v_bfe_u32 v3, v2, 16, 1
	v_add3_u32 v2, v2, v3, 0x7fff
	s_delay_alu instid0(VALU_DEP_1)
	v_lshrrev_b32_e32 v2, 16, v2
	s_branch .LBB92_1301
.LBB92_1300:
	s_mov_b32 s0, -1
                                        ; implicit-def: $vgpr2
.LBB92_1301:
	s_delay_alu instid0(SALU_CYCLE_1)
	s_and_not1_b32 vcc_lo, exec_lo, s0
	s_cbranch_vccnz .LBB92_1303
; %bb.1302:
	global_load_u8 v0, v[0:1], off
	s_wait_loadcnt 0x0
	v_cvt_f32_ubyte0_e32 v0, v0
	s_delay_alu instid0(VALU_DEP_1) | instskip(NEXT) | instid1(VALU_DEP_1)
	v_bfe_u32 v1, v0, 16, 1
	v_add3_u32 v0, v0, v1, 0x7fff
	s_delay_alu instid0(VALU_DEP_1)
	v_lshrrev_b32_e32 v2, 16, v0
.LBB92_1303:
	s_or_b32 s23, s23, exec_lo
.LBB92_1304:
	s_wait_xcnt 0x0
	s_or_b32 exec_lo, exec_lo, s20
	s_mov_b32 s22, 0
	s_mov_b32 s24, 0
	;; [unrolled: 1-line block ×3, first 2 shown]
                                        ; implicit-def: $sgpr0
                                        ; implicit-def: $vgpr0_vgpr1
                                        ; implicit-def: $vgpr4
	s_and_saveexec_b32 s20, s23
	s_cbranch_execz .LBB92_1312
; %bb.1305:
	v_mul_lo_u32 v0, v6, s10
	s_and_b32 s0, s1, 0xff
	s_delay_alu instid0(SALU_CYCLE_1) | instskip(NEXT) | instid1(VALU_DEP_1)
	s_cmp_lt_i32 s0, 11
	v_ashrrev_i32_e32 v1, 31, v0
	s_delay_alu instid0(VALU_DEP_1)
	v_add_nc_u64_e32 v[0:1], s[12:13], v[0:1]
	s_cbranch_scc1 .LBB92_1315
; %bb.1306:
	s_and_b32 s21, 0xffff, s0
	s_mov_b32 s23, 0
	s_cmp_gt_i32 s21, 25
	s_cbranch_scc0 .LBB92_1316
; %bb.1307:
	s_cmp_gt_i32 s21, 28
	s_cbranch_scc0 .LBB92_1317
; %bb.1308:
	;; [unrolled: 3-line block ×4, first 2 shown]
	s_cmp_eq_u32 s21, 46
	s_mov_b32 s25, 0
	s_cbranch_scc0 .LBB92_1320
; %bb.1311:
	global_load_b32 v4, v[0:1], off
	s_mov_b32 s24, -1
	s_branch .LBB92_1322
.LBB92_1312:
	s_or_b32 exec_lo, exec_lo, s20
	s_and_saveexec_b32 s20, s19
	s_cbranch_execnz .LBB92_1385
.LBB92_1313:
	s_or_b32 exec_lo, exec_lo, s20
	s_and_saveexec_b32 s19, s22
	s_delay_alu instid0(SALU_CYCLE_1)
	s_xor_b32 s19, exec_lo, s19
	s_cbranch_execz .LBB92_1386
.LBB92_1314:
	s_wait_loadcnt 0x0
	global_load_u8 v3, v[0:1], off
	s_or_b32 s21, s21, exec_lo
	s_wait_loadcnt 0x0
	v_cmp_ne_u16_e32 vcc_lo, 0, v3
	v_cndmask_b32_e64 v3, 0, 1.0, vcc_lo
	s_delay_alu instid0(VALU_DEP_1)
	v_lshrrev_b32_e32 v4, 16, v3
	s_wait_xcnt 0x0
	s_or_b32 exec_lo, exec_lo, s19
	s_and_saveexec_b32 s19, s24
	s_cbranch_execz .LBB92_1432
	s_branch .LBB92_1387
.LBB92_1315:
	s_mov_b32 s25, -1
	s_mov_b32 s23, 0
	s_mov_b32 s22, s19
                                        ; implicit-def: $vgpr4
	s_branch .LBB92_1384
.LBB92_1316:
	s_mov_b32 s22, s19
                                        ; implicit-def: $vgpr4
	s_cbranch_execnz .LBB92_1351
	s_branch .LBB92_1383
.LBB92_1317:
	s_mov_b32 s25, -1
	s_mov_b32 s22, s19
                                        ; implicit-def: $vgpr4
	s_branch .LBB92_1332
.LBB92_1318:
	s_mov_b32 s25, -1
	s_mov_b32 s22, s19
                                        ; implicit-def: $vgpr4
	s_branch .LBB92_1327
.LBB92_1319:
	s_mov_b32 s25, -1
	s_mov_b32 s22, s19
	s_branch .LBB92_1321
.LBB92_1320:
	s_mov_b32 s22, -1
.LBB92_1321:
                                        ; implicit-def: $vgpr4
.LBB92_1322:
	s_and_b32 vcc_lo, exec_lo, s25
	s_cbranch_vccz .LBB92_1326
; %bb.1323:
	s_cmp_eq_u32 s21, 44
	s_cbranch_scc0 .LBB92_1325
; %bb.1324:
	s_wait_loadcnt 0x0
	global_load_u8 v3, v[0:1], off
	s_mov_b32 s22, 0
	s_mov_b32 s24, -1
	s_wait_loadcnt 0x0
	v_lshlrev_b32_e32 v4, 23, v3
	v_cmp_ne_u32_e32 vcc_lo, 0xff, v3
	s_delay_alu instid0(VALU_DEP_2) | instskip(SKIP_1) | instid1(VALU_DEP_2)
	v_cndmask_b32_e32 v4, 0x7f800001, v4, vcc_lo
	v_cmp_ne_u32_e32 vcc_lo, 0, v3
	v_cndmask_b32_e32 v3, 0x400000, v4, vcc_lo
	s_delay_alu instid0(VALU_DEP_1) | instskip(NEXT) | instid1(VALU_DEP_1)
	v_add_nc_u32_e32 v4, 0x7fff, v3
	v_lshrrev_b32_e32 v4, 16, v4
	v_cmp_o_f32_e32 vcc_lo, v3, v3
	s_delay_alu instid0(VALU_DEP_2)
	v_cndmask_b32_e32 v4, 0x7fc0, v4, vcc_lo
	s_branch .LBB92_1326
.LBB92_1325:
	s_mov_b32 s22, -1
                                        ; implicit-def: $vgpr4
.LBB92_1326:
	s_mov_b32 s25, 0
.LBB92_1327:
	s_delay_alu instid0(SALU_CYCLE_1)
	s_and_b32 vcc_lo, exec_lo, s25
	s_cbranch_vccz .LBB92_1331
; %bb.1328:
	s_cmp_eq_u32 s21, 29
	s_cbranch_scc0 .LBB92_1330
; %bb.1329:
	s_wait_loadcnt 0x0
	global_load_b64 v[4:5], v[0:1], off
	s_mov_b32 s22, 0
	s_mov_b32 s24, -1
	s_mov_b32 s25, 0
	s_wait_loadcnt 0x0
	v_clz_i32_u32_e32 v3, v5
	s_delay_alu instid0(VALU_DEP_1) | instskip(NEXT) | instid1(VALU_DEP_1)
	v_min_u32_e32 v3, 32, v3
	v_lshlrev_b64_e32 v[4:5], v3, v[4:5]
	v_sub_nc_u32_e32 v3, 32, v3
	s_delay_alu instid0(VALU_DEP_2) | instskip(NEXT) | instid1(VALU_DEP_1)
	v_min_u32_e32 v4, 1, v4
	v_or_b32_e32 v4, v5, v4
	s_delay_alu instid0(VALU_DEP_1) | instskip(NEXT) | instid1(VALU_DEP_1)
	v_cvt_f32_u32_e32 v4, v4
	v_ldexp_f32 v3, v4, v3
	s_delay_alu instid0(VALU_DEP_1) | instskip(NEXT) | instid1(VALU_DEP_1)
	v_bfe_u32 v4, v3, 16, 1
	v_add3_u32 v3, v3, v4, 0x7fff
	s_delay_alu instid0(VALU_DEP_1)
	v_lshrrev_b32_e32 v4, 16, v3
	s_branch .LBB92_1332
.LBB92_1330:
	s_mov_b32 s22, -1
                                        ; implicit-def: $vgpr4
.LBB92_1331:
	s_mov_b32 s25, 0
.LBB92_1332:
	s_delay_alu instid0(SALU_CYCLE_1)
	s_and_b32 vcc_lo, exec_lo, s25
	s_cbranch_vccz .LBB92_1350
; %bb.1333:
	s_cmp_lt_i32 s21, 27
	s_cbranch_scc1 .LBB92_1336
; %bb.1334:
	s_cmp_gt_i32 s21, 27
	s_cbranch_scc0 .LBB92_1337
; %bb.1335:
	s_wait_loadcnt 0x0
	global_load_b32 v3, v[0:1], off
	s_mov_b32 s24, 0
	s_wait_loadcnt 0x0
	v_cvt_f32_u32_e32 v3, v3
	s_delay_alu instid0(VALU_DEP_1) | instskip(NEXT) | instid1(VALU_DEP_1)
	v_bfe_u32 v4, v3, 16, 1
	v_add3_u32 v3, v3, v4, 0x7fff
	s_delay_alu instid0(VALU_DEP_1)
	v_lshrrev_b32_e32 v4, 16, v3
	s_branch .LBB92_1338
.LBB92_1336:
	s_mov_b32 s24, -1
                                        ; implicit-def: $vgpr4
	s_branch .LBB92_1341
.LBB92_1337:
	s_mov_b32 s24, -1
                                        ; implicit-def: $vgpr4
.LBB92_1338:
	s_delay_alu instid0(SALU_CYCLE_1)
	s_and_not1_b32 vcc_lo, exec_lo, s24
	s_cbranch_vccnz .LBB92_1340
; %bb.1339:
	s_wait_loadcnt 0x0
	global_load_u16 v3, v[0:1], off
	s_wait_loadcnt 0x0
	v_cvt_f32_u32_e32 v3, v3
	s_delay_alu instid0(VALU_DEP_1) | instskip(NEXT) | instid1(VALU_DEP_1)
	v_bfe_u32 v4, v3, 16, 1
	v_add3_u32 v3, v3, v4, 0x7fff
	s_delay_alu instid0(VALU_DEP_1)
	v_lshrrev_b32_e32 v4, 16, v3
.LBB92_1340:
	s_mov_b32 s24, 0
.LBB92_1341:
	s_delay_alu instid0(SALU_CYCLE_1)
	s_and_not1_b32 vcc_lo, exec_lo, s24
	s_cbranch_vccnz .LBB92_1349
; %bb.1342:
	s_wait_loadcnt 0x0
	global_load_u8 v3, v[0:1], off
	s_mov_b32 s24, 0
	s_mov_b32 s25, exec_lo
	s_wait_loadcnt 0x0
	v_cmpx_lt_i16_e32 0x7f, v3
	s_xor_b32 s25, exec_lo, s25
	s_cbranch_execz .LBB92_1362
; %bb.1343:
	s_mov_b32 s24, -1
	s_mov_b32 s26, exec_lo
	v_cmpx_eq_u16_e32 0x80, v3
; %bb.1344:
	s_xor_b32 s24, exec_lo, -1
; %bb.1345:
	s_or_b32 exec_lo, exec_lo, s26
	s_delay_alu instid0(SALU_CYCLE_1)
	s_and_b32 s24, s24, exec_lo
	s_or_saveexec_b32 s25, s25
	v_mov_b32_e32 v4, 0x7f800001
	s_xor_b32 exec_lo, exec_lo, s25
	s_cbranch_execnz .LBB92_1363
.LBB92_1346:
	s_or_b32 exec_lo, exec_lo, s25
	s_and_saveexec_b32 s25, s24
	s_cbranch_execz .LBB92_1348
.LBB92_1347:
	v_and_b32_e32 v4, 0xffff, v3
	s_delay_alu instid0(VALU_DEP_1) | instskip(SKIP_1) | instid1(VALU_DEP_2)
	v_and_b32_e32 v5, 7, v4
	v_bfe_u32 v9, v4, 3, 4
	v_clz_i32_u32_e32 v7, v5
	s_delay_alu instid0(VALU_DEP_2) | instskip(NEXT) | instid1(VALU_DEP_2)
	v_cmp_eq_u32_e32 vcc_lo, 0, v9
	v_min_u32_e32 v7, 32, v7
	s_delay_alu instid0(VALU_DEP_1) | instskip(NEXT) | instid1(VALU_DEP_1)
	v_subrev_nc_u32_e32 v8, 28, v7
	v_dual_lshlrev_b32 v4, v8, v4 :: v_dual_sub_nc_u32 v7, 29, v7
	s_delay_alu instid0(VALU_DEP_1) | instskip(NEXT) | instid1(VALU_DEP_1)
	v_dual_lshlrev_b32 v3, 24, v3 :: v_dual_bitop2_b32 v4, 7, v4 bitop3:0x40
	v_cndmask_b32_e32 v4, v5, v4, vcc_lo
	s_delay_alu instid0(VALU_DEP_3) | instskip(NEXT) | instid1(VALU_DEP_3)
	v_cndmask_b32_e32 v7, v9, v7, vcc_lo
	v_and_b32_e32 v3, 0x80000000, v3
	s_delay_alu instid0(VALU_DEP_3) | instskip(NEXT) | instid1(VALU_DEP_3)
	v_lshlrev_b32_e32 v4, 20, v4
	v_lshl_add_u32 v5, v7, 23, 0x3b800000
	s_delay_alu instid0(VALU_DEP_1)
	v_or3_b32 v4, v3, v5, v4
.LBB92_1348:
	s_or_b32 exec_lo, exec_lo, s25
	s_delay_alu instid0(VALU_DEP_1) | instskip(SKIP_1) | instid1(VALU_DEP_2)
	v_bfe_u32 v3, v4, 16, 1
	v_cmp_o_f32_e32 vcc_lo, v4, v4
	v_add3_u32 v3, v4, v3, 0x7fff
	s_delay_alu instid0(VALU_DEP_1) | instskip(NEXT) | instid1(VALU_DEP_1)
	v_lshrrev_b32_e32 v3, 16, v3
	v_cndmask_b32_e32 v4, 0x7fc0, v3, vcc_lo
.LBB92_1349:
	s_mov_b32 s24, -1
.LBB92_1350:
	s_branch .LBB92_1383
.LBB92_1351:
	s_cmp_gt_i32 s21, 22
	s_cbranch_scc0 .LBB92_1361
; %bb.1352:
	s_cmp_lt_i32 s21, 24
	s_cbranch_scc1 .LBB92_1364
; %bb.1353:
	s_cmp_gt_i32 s21, 24
	s_cbranch_scc0 .LBB92_1365
; %bb.1354:
	s_wait_loadcnt 0x0
	global_load_u8 v3, v[0:1], off
	s_mov_b32 s24, exec_lo
	s_wait_loadcnt 0x0
	v_cmpx_lt_i16_e32 0x7f, v3
	s_xor_b32 s24, exec_lo, s24
	s_cbranch_execz .LBB92_1377
; %bb.1355:
	s_mov_b32 s23, -1
	s_mov_b32 s25, exec_lo
	v_cmpx_eq_u16_e32 0x80, v3
; %bb.1356:
	s_xor_b32 s23, exec_lo, -1
; %bb.1357:
	s_or_b32 exec_lo, exec_lo, s25
	s_delay_alu instid0(SALU_CYCLE_1)
	s_and_b32 s23, s23, exec_lo
	s_or_saveexec_b32 s24, s24
	v_mov_b32_e32 v4, 0x7f800001
	s_xor_b32 exec_lo, exec_lo, s24
	s_cbranch_execnz .LBB92_1378
.LBB92_1358:
	s_or_b32 exec_lo, exec_lo, s24
	s_and_saveexec_b32 s24, s23
	s_cbranch_execz .LBB92_1360
.LBB92_1359:
	v_and_b32_e32 v4, 0xffff, v3
	s_delay_alu instid0(VALU_DEP_1) | instskip(SKIP_1) | instid1(VALU_DEP_2)
	v_and_b32_e32 v5, 3, v4
	v_bfe_u32 v9, v4, 2, 5
	v_clz_i32_u32_e32 v7, v5
	s_delay_alu instid0(VALU_DEP_2) | instskip(NEXT) | instid1(VALU_DEP_2)
	v_cmp_eq_u32_e32 vcc_lo, 0, v9
	v_min_u32_e32 v7, 32, v7
	s_delay_alu instid0(VALU_DEP_1) | instskip(NEXT) | instid1(VALU_DEP_1)
	v_subrev_nc_u32_e32 v8, 29, v7
	v_dual_lshlrev_b32 v4, v8, v4 :: v_dual_sub_nc_u32 v7, 30, v7
	s_delay_alu instid0(VALU_DEP_1) | instskip(NEXT) | instid1(VALU_DEP_1)
	v_dual_lshlrev_b32 v3, 24, v3 :: v_dual_bitop2_b32 v4, 3, v4 bitop3:0x40
	v_cndmask_b32_e32 v4, v5, v4, vcc_lo
	s_delay_alu instid0(VALU_DEP_3) | instskip(NEXT) | instid1(VALU_DEP_3)
	v_cndmask_b32_e32 v7, v9, v7, vcc_lo
	v_and_b32_e32 v3, 0x80000000, v3
	s_delay_alu instid0(VALU_DEP_3) | instskip(NEXT) | instid1(VALU_DEP_3)
	v_lshlrev_b32_e32 v4, 21, v4
	v_lshl_add_u32 v5, v7, 23, 0x37800000
	s_delay_alu instid0(VALU_DEP_1)
	v_or3_b32 v4, v3, v5, v4
.LBB92_1360:
	s_or_b32 exec_lo, exec_lo, s24
	s_delay_alu instid0(VALU_DEP_1) | instskip(SKIP_2) | instid1(VALU_DEP_2)
	v_bfe_u32 v3, v4, 16, 1
	v_cmp_o_f32_e32 vcc_lo, v4, v4
	s_mov_b32 s23, 0
	v_add3_u32 v3, v4, v3, 0x7fff
	s_delay_alu instid0(VALU_DEP_1) | instskip(NEXT) | instid1(VALU_DEP_1)
	v_lshrrev_b32_e32 v3, 16, v3
	v_cndmask_b32_e32 v4, 0x7fc0, v3, vcc_lo
	s_branch .LBB92_1366
.LBB92_1361:
	s_mov_b32 s23, -1
                                        ; implicit-def: $vgpr4
	s_branch .LBB92_1372
.LBB92_1362:
	s_or_saveexec_b32 s25, s25
	v_mov_b32_e32 v4, 0x7f800001
	s_xor_b32 exec_lo, exec_lo, s25
	s_cbranch_execz .LBB92_1346
.LBB92_1363:
	v_cmp_ne_u16_e32 vcc_lo, 0, v3
	v_mov_b32_e32 v4, 0
	s_and_not1_b32 s24, s24, exec_lo
	s_and_b32 s26, vcc_lo, exec_lo
	s_delay_alu instid0(SALU_CYCLE_1)
	s_or_b32 s24, s24, s26
	s_or_b32 exec_lo, exec_lo, s25
	s_and_saveexec_b32 s25, s24
	s_cbranch_execnz .LBB92_1347
	s_branch .LBB92_1348
.LBB92_1364:
	s_mov_b32 s23, -1
                                        ; implicit-def: $vgpr4
	s_branch .LBB92_1369
.LBB92_1365:
	s_mov_b32 s23, -1
                                        ; implicit-def: $vgpr4
.LBB92_1366:
	s_delay_alu instid0(SALU_CYCLE_1)
	s_and_b32 vcc_lo, exec_lo, s23
	s_cbranch_vccz .LBB92_1368
; %bb.1367:
	s_wait_loadcnt 0x0
	global_load_u8 v3, v[0:1], off
	s_wait_loadcnt 0x0
	v_lshlrev_b32_e32 v3, 24, v3
	s_delay_alu instid0(VALU_DEP_1) | instskip(NEXT) | instid1(VALU_DEP_1)
	v_and_b32_e32 v4, 0x7f000000, v3
	v_clz_i32_u32_e32 v5, v4
	v_add_nc_u32_e32 v8, 0x1000000, v4
	v_cmp_ne_u32_e32 vcc_lo, 0, v4
	s_delay_alu instid0(VALU_DEP_3) | instskip(NEXT) | instid1(VALU_DEP_1)
	v_min_u32_e32 v5, 32, v5
	v_sub_nc_u32_e64 v5, v5, 4 clamp
	s_delay_alu instid0(VALU_DEP_1) | instskip(NEXT) | instid1(VALU_DEP_1)
	v_dual_lshlrev_b32 v7, v5, v4 :: v_dual_lshlrev_b32 v5, 23, v5
	v_lshrrev_b32_e32 v7, 4, v7
	s_delay_alu instid0(VALU_DEP_1) | instskip(NEXT) | instid1(VALU_DEP_1)
	v_dual_sub_nc_u32 v5, v7, v5 :: v_dual_ashrrev_i32 v7, 8, v8
	v_add_nc_u32_e32 v5, 0x3c000000, v5
	s_delay_alu instid0(VALU_DEP_1) | instskip(NEXT) | instid1(VALU_DEP_1)
	v_and_or_b32 v5, 0x7f800000, v7, v5
	v_cndmask_b32_e32 v4, 0, v5, vcc_lo
	s_delay_alu instid0(VALU_DEP_1) | instskip(SKIP_1) | instid1(VALU_DEP_2)
	v_and_or_b32 v3, 0x80000000, v3, v4
	v_bfe_u32 v4, v4, 16, 1
	v_cmp_o_f32_e32 vcc_lo, v3, v3
	s_delay_alu instid0(VALU_DEP_2) | instskip(NEXT) | instid1(VALU_DEP_1)
	v_add3_u32 v4, v3, v4, 0x7fff
	v_lshrrev_b32_e32 v4, 16, v4
	s_delay_alu instid0(VALU_DEP_1)
	v_cndmask_b32_e32 v4, 0x7fc0, v4, vcc_lo
.LBB92_1368:
	s_mov_b32 s23, 0
.LBB92_1369:
	s_delay_alu instid0(SALU_CYCLE_1)
	s_and_not1_b32 vcc_lo, exec_lo, s23
	s_cbranch_vccnz .LBB92_1371
; %bb.1370:
	s_wait_loadcnt 0x0
	global_load_u8 v3, v[0:1], off
	s_wait_loadcnt 0x0
	v_lshlrev_b32_e32 v4, 25, v3
	v_lshlrev_b16 v3, 8, v3
	s_delay_alu instid0(VALU_DEP_1) | instskip(NEXT) | instid1(VALU_DEP_3)
	v_and_or_b32 v7, 0x7f00, v3, 0.5
	v_lshrrev_b32_e32 v5, 4, v4
	v_bfe_i32 v3, v3, 0, 16
	s_delay_alu instid0(VALU_DEP_3) | instskip(NEXT) | instid1(VALU_DEP_3)
	v_add_f32_e32 v7, -0.5, v7
	v_or_b32_e32 v5, 0x70000000, v5
	s_delay_alu instid0(VALU_DEP_1) | instskip(SKIP_1) | instid1(VALU_DEP_2)
	v_mul_f32_e32 v5, 0x7800000, v5
	v_cmp_gt_u32_e32 vcc_lo, 0x8000000, v4
	v_cndmask_b32_e32 v4, v5, v7, vcc_lo
	s_delay_alu instid0(VALU_DEP_1) | instskip(SKIP_1) | instid1(VALU_DEP_2)
	v_and_or_b32 v3, 0x80000000, v3, v4
	v_bfe_u32 v4, v4, 16, 1
	v_cmp_o_f32_e32 vcc_lo, v3, v3
	s_delay_alu instid0(VALU_DEP_2) | instskip(NEXT) | instid1(VALU_DEP_1)
	v_add3_u32 v4, v3, v4, 0x7fff
	v_lshrrev_b32_e32 v4, 16, v4
	s_delay_alu instid0(VALU_DEP_1)
	v_cndmask_b32_e32 v4, 0x7fc0, v4, vcc_lo
.LBB92_1371:
	s_mov_b32 s23, 0
	s_mov_b32 s24, -1
.LBB92_1372:
	s_and_not1_b32 vcc_lo, exec_lo, s23
	s_mov_b32 s23, 0
	s_cbranch_vccnz .LBB92_1383
; %bb.1373:
	s_cmp_gt_i32 s21, 14
	s_cbranch_scc0 .LBB92_1376
; %bb.1374:
	s_cmp_eq_u32 s21, 15
	s_cbranch_scc0 .LBB92_1379
; %bb.1375:
	s_wait_loadcnt 0x0
	global_load_u16 v4, v[0:1], off
	s_mov_b32 s22, 0
	s_mov_b32 s24, -1
	s_branch .LBB92_1381
.LBB92_1376:
	s_mov_b32 s23, -1
	s_branch .LBB92_1380
.LBB92_1377:
	s_or_saveexec_b32 s24, s24
	v_mov_b32_e32 v4, 0x7f800001
	s_xor_b32 exec_lo, exec_lo, s24
	s_cbranch_execz .LBB92_1358
.LBB92_1378:
	v_cmp_ne_u16_e32 vcc_lo, 0, v3
	v_mov_b32_e32 v4, 0
	s_and_not1_b32 s23, s23, exec_lo
	s_and_b32 s25, vcc_lo, exec_lo
	s_delay_alu instid0(SALU_CYCLE_1)
	s_or_b32 s23, s23, s25
	s_or_b32 exec_lo, exec_lo, s24
	s_and_saveexec_b32 s24, s23
	s_cbranch_execnz .LBB92_1359
	s_branch .LBB92_1360
.LBB92_1379:
	s_mov_b32 s22, -1
.LBB92_1380:
                                        ; implicit-def: $vgpr4
.LBB92_1381:
	s_and_b32 vcc_lo, exec_lo, s23
	s_mov_b32 s23, 0
	s_cbranch_vccz .LBB92_1383
; %bb.1382:
	s_cmp_lg_u32 s21, 11
	s_mov_b32 s23, -1
	s_cselect_b32 s21, -1, 0
	s_and_not1_b32 s22, s22, exec_lo
	s_and_b32 s21, s21, exec_lo
	s_delay_alu instid0(SALU_CYCLE_1)
	s_or_b32 s22, s22, s21
.LBB92_1383:
	s_mov_b32 s25, 0
.LBB92_1384:
	s_and_b32 s21, s24, exec_lo
	s_and_b32 s24, s25, exec_lo
	s_and_not1_b32 s19, s19, exec_lo
	s_and_b32 s25, s22, exec_lo
	s_and_b32 s22, s23, exec_lo
	s_or_b32 s19, s19, s25
	s_wait_xcnt 0x0
	s_or_b32 exec_lo, exec_lo, s20
	s_and_saveexec_b32 s20, s19
	s_cbranch_execz .LBB92_1313
.LBB92_1385:
	s_or_b32 s18, s18, exec_lo
	s_and_not1_b32 s22, s22, exec_lo
	s_trap 2
	s_or_b32 exec_lo, exec_lo, s20
	s_and_saveexec_b32 s19, s22
	s_delay_alu instid0(SALU_CYCLE_1)
	s_xor_b32 s19, exec_lo, s19
	s_cbranch_execnz .LBB92_1314
.LBB92_1386:
	s_or_b32 exec_lo, exec_lo, s19
	s_and_saveexec_b32 s19, s24
	s_cbranch_execz .LBB92_1432
.LBB92_1387:
	s_sext_i32_i16 s20, s0
	s_delay_alu instid0(SALU_CYCLE_1)
	s_cmp_lt_i32 s20, 5
	s_cbranch_scc1 .LBB92_1392
; %bb.1388:
	s_cmp_lt_i32 s20, 8
	s_cbranch_scc1 .LBB92_1393
; %bb.1389:
	;; [unrolled: 3-line block ×3, first 2 shown]
	s_cmp_gt_i32 s20, 9
	s_cbranch_scc0 .LBB92_1395
; %bb.1391:
	s_wait_loadcnt 0x0
	global_load_b64 v[4:5], v[0:1], off
	s_mov_b32 s20, 0
	s_wait_loadcnt 0x0
	v_cvt_f32_f64_e32 v3, v[4:5]
	s_delay_alu instid0(VALU_DEP_1) | instskip(SKIP_1) | instid1(VALU_DEP_2)
	v_bfe_u32 v4, v3, 16, 1
	v_cmp_o_f32_e32 vcc_lo, v3, v3
	v_add3_u32 v4, v3, v4, 0x7fff
	s_delay_alu instid0(VALU_DEP_1) | instskip(NEXT) | instid1(VALU_DEP_1)
	v_lshrrev_b32_e32 v4, 16, v4
	v_cndmask_b32_e32 v4, 0x7fc0, v4, vcc_lo
	s_branch .LBB92_1396
.LBB92_1392:
                                        ; implicit-def: $vgpr4
	s_branch .LBB92_1413
.LBB92_1393:
                                        ; implicit-def: $vgpr4
	s_branch .LBB92_1402
.LBB92_1394:
	s_mov_b32 s20, -1
                                        ; implicit-def: $vgpr4
	s_branch .LBB92_1399
.LBB92_1395:
	s_mov_b32 s20, -1
                                        ; implicit-def: $vgpr4
.LBB92_1396:
	s_delay_alu instid0(SALU_CYCLE_1)
	s_and_not1_b32 vcc_lo, exec_lo, s20
	s_cbranch_vccnz .LBB92_1398
; %bb.1397:
	s_wait_loadcnt 0x0
	global_load_b32 v3, v[0:1], off
	s_wait_loadcnt 0x0
	v_bfe_u32 v4, v3, 16, 1
	v_cmp_o_f32_e32 vcc_lo, v3, v3
	s_delay_alu instid0(VALU_DEP_2) | instskip(NEXT) | instid1(VALU_DEP_1)
	v_add3_u32 v4, v3, v4, 0x7fff
	v_lshrrev_b32_e32 v4, 16, v4
	s_delay_alu instid0(VALU_DEP_1)
	v_cndmask_b32_e32 v4, 0x7fc0, v4, vcc_lo
.LBB92_1398:
	s_mov_b32 s20, 0
.LBB92_1399:
	s_delay_alu instid0(SALU_CYCLE_1)
	s_and_not1_b32 vcc_lo, exec_lo, s20
	s_cbranch_vccnz .LBB92_1401
; %bb.1400:
	s_wait_loadcnt 0x0
	global_load_b32 v3, v[0:1], off
	s_wait_loadcnt 0x0
	v_cvt_f32_f16_e32 v4, v3
	v_cmp_o_f16_e32 vcc_lo, v3, v3
	s_delay_alu instid0(VALU_DEP_2) | instskip(NEXT) | instid1(VALU_DEP_1)
	v_bfe_u32 v5, v4, 16, 1
	v_add3_u32 v4, v4, v5, 0x7fff
	s_delay_alu instid0(VALU_DEP_1) | instskip(NEXT) | instid1(VALU_DEP_1)
	v_lshrrev_b32_e32 v4, 16, v4
	v_cndmask_b32_e32 v4, 0x7fc0, v4, vcc_lo
.LBB92_1401:
	s_cbranch_execnz .LBB92_1412
.LBB92_1402:
	s_sext_i32_i16 s20, s0
	s_delay_alu instid0(SALU_CYCLE_1)
	s_cmp_lt_i32 s20, 6
	s_cbranch_scc1 .LBB92_1405
; %bb.1403:
	s_cmp_gt_i32 s20, 6
	s_cbranch_scc0 .LBB92_1406
; %bb.1404:
	s_wait_loadcnt 0x0
	global_load_b64 v[4:5], v[0:1], off
	s_mov_b32 s20, 0
	s_wait_loadcnt 0x0
	v_cvt_f32_f64_e32 v3, v[4:5]
	s_delay_alu instid0(VALU_DEP_1) | instskip(SKIP_1) | instid1(VALU_DEP_2)
	v_bfe_u32 v4, v3, 16, 1
	v_cmp_o_f32_e32 vcc_lo, v3, v3
	v_add3_u32 v4, v3, v4, 0x7fff
	s_delay_alu instid0(VALU_DEP_1) | instskip(NEXT) | instid1(VALU_DEP_1)
	v_lshrrev_b32_e32 v4, 16, v4
	v_cndmask_b32_e32 v4, 0x7fc0, v4, vcc_lo
	s_branch .LBB92_1407
.LBB92_1405:
	s_mov_b32 s20, -1
                                        ; implicit-def: $vgpr4
	s_branch .LBB92_1410
.LBB92_1406:
	s_mov_b32 s20, -1
                                        ; implicit-def: $vgpr4
.LBB92_1407:
	s_delay_alu instid0(SALU_CYCLE_1)
	s_and_not1_b32 vcc_lo, exec_lo, s20
	s_cbranch_vccnz .LBB92_1409
; %bb.1408:
	s_wait_loadcnt 0x0
	global_load_b32 v3, v[0:1], off
	s_wait_loadcnt 0x0
	v_bfe_u32 v4, v3, 16, 1
	v_cmp_o_f32_e32 vcc_lo, v3, v3
	s_delay_alu instid0(VALU_DEP_2) | instskip(NEXT) | instid1(VALU_DEP_1)
	v_add3_u32 v4, v3, v4, 0x7fff
	v_lshrrev_b32_e32 v4, 16, v4
	s_delay_alu instid0(VALU_DEP_1)
	v_cndmask_b32_e32 v4, 0x7fc0, v4, vcc_lo
.LBB92_1409:
	s_mov_b32 s20, 0
.LBB92_1410:
	s_delay_alu instid0(SALU_CYCLE_1)
	s_and_not1_b32 vcc_lo, exec_lo, s20
	s_cbranch_vccnz .LBB92_1412
; %bb.1411:
	s_wait_loadcnt 0x0
	global_load_u16 v3, v[0:1], off
	s_wait_loadcnt 0x0
	v_cvt_f32_f16_e32 v4, v3
	v_cmp_o_f16_e32 vcc_lo, v3, v3
	s_delay_alu instid0(VALU_DEP_2) | instskip(NEXT) | instid1(VALU_DEP_1)
	v_bfe_u32 v5, v4, 16, 1
	v_add3_u32 v4, v4, v5, 0x7fff
	s_delay_alu instid0(VALU_DEP_1) | instskip(NEXT) | instid1(VALU_DEP_1)
	v_lshrrev_b32_e32 v4, 16, v4
	v_cndmask_b32_e32 v4, 0x7fc0, v4, vcc_lo
.LBB92_1412:
	s_cbranch_execnz .LBB92_1431
.LBB92_1413:
	s_sext_i32_i16 s20, s0
	s_delay_alu instid0(SALU_CYCLE_1)
	s_cmp_lt_i32 s20, 2
	s_cbranch_scc1 .LBB92_1417
; %bb.1414:
	s_cmp_lt_i32 s20, 3
	s_cbranch_scc1 .LBB92_1418
; %bb.1415:
	s_cmp_gt_i32 s20, 3
	s_cbranch_scc0 .LBB92_1419
; %bb.1416:
	s_wait_loadcnt 0x0
	global_load_b64 v[4:5], v[0:1], off
	s_mov_b32 s20, 0
	s_wait_loadcnt 0x0
	v_xor_b32_e32 v3, v4, v5
	v_cls_i32_e32 v7, v5
	s_delay_alu instid0(VALU_DEP_2) | instskip(NEXT) | instid1(VALU_DEP_1)
	v_ashrrev_i32_e32 v3, 31, v3
	v_add_nc_u32_e32 v3, 32, v3
	s_delay_alu instid0(VALU_DEP_1) | instskip(NEXT) | instid1(VALU_DEP_1)
	v_add_min_u32_e64 v3, v7, -1, v3
	v_lshlrev_b64_e32 v[4:5], v3, v[4:5]
	v_sub_nc_u32_e32 v3, 32, v3
	s_delay_alu instid0(VALU_DEP_2) | instskip(NEXT) | instid1(VALU_DEP_1)
	v_min_u32_e32 v4, 1, v4
	v_or_b32_e32 v4, v5, v4
	s_delay_alu instid0(VALU_DEP_1) | instskip(NEXT) | instid1(VALU_DEP_1)
	v_cvt_f32_i32_e32 v4, v4
	v_ldexp_f32 v3, v4, v3
	s_delay_alu instid0(VALU_DEP_1) | instskip(NEXT) | instid1(VALU_DEP_1)
	v_bfe_u32 v4, v3, 16, 1
	v_add3_u32 v3, v3, v4, 0x7fff
	s_delay_alu instid0(VALU_DEP_1)
	v_lshrrev_b32_e32 v4, 16, v3
	s_branch .LBB92_1420
.LBB92_1417:
                                        ; implicit-def: $vgpr4
	s_branch .LBB92_1426
.LBB92_1418:
	s_mov_b32 s20, -1
                                        ; implicit-def: $vgpr4
	s_branch .LBB92_1423
.LBB92_1419:
	s_mov_b32 s20, -1
                                        ; implicit-def: $vgpr4
.LBB92_1420:
	s_delay_alu instid0(SALU_CYCLE_1)
	s_and_not1_b32 vcc_lo, exec_lo, s20
	s_cbranch_vccnz .LBB92_1422
; %bb.1421:
	s_wait_loadcnt 0x0
	global_load_b32 v3, v[0:1], off
	s_wait_loadcnt 0x0
	v_cvt_f32_i32_e32 v3, v3
	s_delay_alu instid0(VALU_DEP_1) | instskip(NEXT) | instid1(VALU_DEP_1)
	v_bfe_u32 v4, v3, 16, 1
	v_add3_u32 v3, v3, v4, 0x7fff
	s_delay_alu instid0(VALU_DEP_1)
	v_lshrrev_b32_e32 v4, 16, v3
.LBB92_1422:
	s_mov_b32 s20, 0
.LBB92_1423:
	s_delay_alu instid0(SALU_CYCLE_1)
	s_and_not1_b32 vcc_lo, exec_lo, s20
	s_cbranch_vccnz .LBB92_1425
; %bb.1424:
	s_wait_loadcnt 0x0
	global_load_i16 v3, v[0:1], off
	s_wait_loadcnt 0x0
	v_cvt_f32_i32_e32 v3, v3
	s_delay_alu instid0(VALU_DEP_1) | instskip(NEXT) | instid1(VALU_DEP_1)
	v_bfe_u32 v4, v3, 16, 1
	v_add3_u32 v3, v3, v4, 0x7fff
	s_delay_alu instid0(VALU_DEP_1)
	v_lshrrev_b32_e32 v4, 16, v3
.LBB92_1425:
	s_cbranch_execnz .LBB92_1431
.LBB92_1426:
	s_sext_i32_i16 s0, s0
	s_delay_alu instid0(SALU_CYCLE_1)
	s_cmp_gt_i32 s0, 0
	s_mov_b32 s0, 0
	s_cbranch_scc0 .LBB92_1428
; %bb.1427:
	s_wait_loadcnt 0x0
	global_load_i8 v3, v[0:1], off
	s_wait_loadcnt 0x0
	v_cvt_f32_i32_e32 v3, v3
	s_delay_alu instid0(VALU_DEP_1) | instskip(NEXT) | instid1(VALU_DEP_1)
	v_bfe_u32 v4, v3, 16, 1
	v_add3_u32 v3, v3, v4, 0x7fff
	s_delay_alu instid0(VALU_DEP_1)
	v_lshrrev_b32_e32 v4, 16, v3
	s_branch .LBB92_1429
.LBB92_1428:
	s_mov_b32 s0, -1
                                        ; implicit-def: $vgpr4
.LBB92_1429:
	s_delay_alu instid0(SALU_CYCLE_1)
	s_and_not1_b32 vcc_lo, exec_lo, s0
	s_cbranch_vccnz .LBB92_1431
; %bb.1430:
	global_load_u8 v0, v[0:1], off
	s_wait_loadcnt 0x0
	v_cvt_f32_ubyte0_e32 v0, v0
	s_delay_alu instid0(VALU_DEP_1) | instskip(NEXT) | instid1(VALU_DEP_1)
	v_bfe_u32 v1, v0, 16, 1
	v_add3_u32 v0, v0, v1, 0x7fff
	s_delay_alu instid0(VALU_DEP_1)
	v_lshrrev_b32_e32 v4, 16, v0
.LBB92_1431:
	s_or_b32 s21, s21, exec_lo
.LBB92_1432:
	s_wait_xcnt 0x0
	s_or_b32 exec_lo, exec_lo, s19
	s_mov_b32 s0, 0
	s_mov_b32 s22, 0
                                        ; implicit-def: $sgpr19
                                        ; implicit-def: $vgpr0_vgpr1
                                        ; implicit-def: $vgpr3
	s_and_saveexec_b32 s20, s21
	s_cbranch_execz .LBB92_1442
; %bb.1433:
	s_wait_loadcnt 0x0
	v_dual_lshlrev_b32 v0, 16, v4 :: v_dual_lshlrev_b32 v2, 16, v2
	s_mov_b32 s0, exec_lo
	s_delay_alu instid0(VALU_DEP_1) | instskip(NEXT) | instid1(VALU_DEP_1)
	v_mul_f32_e32 v0, s11, v0
	v_cmpx_nlt_f32_e32 s2, v0
	s_cbranch_execz .LBB92_1435
; %bb.1434:
	v_mul_f32_e32 v1, 0x3fb8aa3b, v0
	v_cmp_ngt_f32_e32 vcc_lo, 0xc2ce8ed0, v0
	s_delay_alu instid0(VALU_DEP_2) | instskip(SKIP_1) | instid1(VALU_DEP_1)
	v_rndne_f32_e32 v3, v1
	v_fma_f32 v4, 0x3fb8aa3b, v0, -v1
	v_dual_sub_f32 v1, v1, v3 :: v_dual_fmamk_f32 v4, v0, 0x32a5705f, v4
	v_cvt_i32_f32_e32 v3, v3
	s_delay_alu instid0(VALU_DEP_2) | instskip(NEXT) | instid1(VALU_DEP_1)
	v_add_f32_e32 v1, v1, v4
	v_exp_f32_e32 v1, v1
	v_nop
	s_delay_alu instid0(TRANS32_DEP_1) | instskip(NEXT) | instid1(VALU_DEP_1)
	v_ldexp_f32 v1, v1, v3
	v_cndmask_b32_e32 v1, 0, v1, vcc_lo
	v_cmp_nlt_f32_e32 vcc_lo, 0x42b17218, v0
	s_delay_alu instid0(VALU_DEP_2) | instskip(NEXT) | instid1(VALU_DEP_1)
	v_cndmask_b32_e32 v0, 0x7f800000, v1, vcc_lo
	v_dual_mul_f32 v1, v0, v2 :: v_dual_add_f32 v0, 1.0, v0
	s_delay_alu instid0(VALU_DEP_1) | instskip(NEXT) | instid1(VALU_DEP_1)
	v_div_scale_f32 v2, null, v0, v0, v1
	v_rcp_f32_e32 v3, v2
	v_nop
	s_delay_alu instid0(TRANS32_DEP_1) | instskip(NEXT) | instid1(VALU_DEP_1)
	v_fma_f32 v4, -v2, v3, 1.0
	v_fmac_f32_e32 v3, v4, v3
	v_div_scale_f32 v4, vcc_lo, v1, v0, v1
	s_delay_alu instid0(VALU_DEP_1) | instskip(NEXT) | instid1(VALU_DEP_1)
	v_mul_f32_e32 v5, v4, v3
	v_fma_f32 v7, -v2, v5, v4
	s_delay_alu instid0(VALU_DEP_1) | instskip(NEXT) | instid1(VALU_DEP_1)
	v_fmac_f32_e32 v5, v7, v3
	v_fma_f32 v2, -v2, v5, v4
	s_delay_alu instid0(VALU_DEP_1) | instskip(NEXT) | instid1(VALU_DEP_1)
	v_div_fmas_f32 v2, v2, v3, v5
	v_div_fixup_f32 v2, v2, v0, v1
.LBB92_1435:
	s_or_b32 exec_lo, exec_lo, s0
	v_mul_lo_u32 v0, v6, s8
	s_delay_alu instid0(VALU_DEP_2) | instskip(SKIP_2) | instid1(SALU_CYCLE_1)
	v_bfe_u32 v1, v2, 16, 1
	v_cmp_o_f32_e32 vcc_lo, v2, v2
	s_and_b32 s19, s3, 0xff
	s_cmp_lt_i32 s19, 11
	s_delay_alu instid0(VALU_DEP_2) | instskip(NEXT) | instid1(VALU_DEP_1)
	v_add3_u32 v3, v2, v1, 0x7fff
	v_dual_ashrrev_i32 v1, 31, v0 :: v_dual_lshrrev_b32 v3, 16, v3
	s_delay_alu instid0(VALU_DEP_1) | instskip(NEXT) | instid1(VALU_DEP_2)
	v_add_nc_u64_e32 v[0:1], s[4:5], v[0:1]
	v_cndmask_b32_e32 v3, 0x7fc0, v3, vcc_lo
	s_cbranch_scc1 .LBB92_1445
; %bb.1436:
	s_and_b32 s21, 0xffff, s19
	s_mov_b32 s22, -1
	s_cmp_gt_i32 s21, 25
	s_mov_b32 s0, s17
	s_cbranch_scc0 .LBB92_1473
; %bb.1437:
	s_cmp_gt_i32 s21, 28
	s_mov_b32 s0, s17
	s_cbranch_scc0 .LBB92_1457
; %bb.1438:
	;; [unrolled: 4-line block ×4, first 2 shown]
	s_cmp_eq_u32 s21, 46
	s_mov_b32 s0, -1
	s_cbranch_scc0 .LBB92_1446
; %bb.1441:
	v_and_b32_e32 v2, 0xffff, v3
	s_mov_b32 s0, 0
	s_mov_b32 s22, 0
	global_store_b32 v[0:1], v2, off
	s_branch .LBB92_1447
.LBB92_1442:
	s_or_b32 exec_lo, exec_lo, s20
	s_and_saveexec_b32 s20, s17
	s_cbranch_execnz .LBB92_1515
.LBB92_1443:
	s_or_b32 exec_lo, exec_lo, s20
	s_and_saveexec_b32 s17, s0
	s_delay_alu instid0(SALU_CYCLE_1)
	s_xor_b32 s0, exec_lo, s17
	s_cbranch_execz .LBB92_1516
.LBB92_1444:
	s_wait_loadcnt 0x0
	v_and_b32_e32 v2, 0x7fff, v3
	s_delay_alu instid0(VALU_DEP_1)
	v_cmp_ne_u16_e32 vcc_lo, 0, v2
	v_cndmask_b32_e64 v2, 0, 1, vcc_lo
	global_store_b8 v[0:1], v2, off
	s_wait_xcnt 0x0
	s_or_b32 exec_lo, exec_lo, s0
	s_and_saveexec_b32 s0, s22
	s_delay_alu instid0(SALU_CYCLE_1)
	s_xor_b32 s0, exec_lo, s0
	s_cbranch_execz .LBB92_1554
	s_branch .LBB92_1517
.LBB92_1445:
	s_mov_b32 s23, 0
	s_mov_b32 s22, -1
	s_mov_b32 s0, s17
	s_branch .LBB92_1514
.LBB92_1446:
	s_mov_b32 s22, 0
.LBB92_1447:
	s_delay_alu instid0(SALU_CYCLE_1)
	s_and_b32 vcc_lo, exec_lo, s22
	s_cbranch_vccz .LBB92_1452
; %bb.1448:
	s_cmp_eq_u32 s21, 44
	s_mov_b32 s0, -1
	s_cbranch_scc0 .LBB92_1452
; %bb.1449:
	s_wait_xcnt 0x0
	v_and_b32_e32 v2, 0xffff, v3
	v_mov_b32_e32 v4, 0xff
	s_mov_b32 s22, exec_lo
	s_delay_alu instid0(VALU_DEP_2) | instskip(NEXT) | instid1(VALU_DEP_1)
	v_bfe_u32 v5, v2, 7, 8
	v_cmpx_ne_u32_e32 0xff, v5
	s_cbranch_execz .LBB92_1451
; %bb.1450:
	v_dual_lshlrev_b32 v4, 16, v2 :: v_dual_bitop2_b32 v6, 64, v2 bitop3:0x40
	v_lshrrev_b32_e32 v2, 7, v2
	s_delay_alu instid0(VALU_DEP_2) | instskip(NEXT) | instid1(VALU_DEP_3)
	v_and_or_b32 v4, 0x3f0000, v4, v5
	v_cmp_ne_u32_e32 vcc_lo, 0, v6
	s_delay_alu instid0(VALU_DEP_2) | instskip(SKIP_1) | instid1(SALU_CYCLE_1)
	v_cmp_ne_u32_e64 s0, 0, v4
	s_and_b32 s0, vcc_lo, s0
	v_cndmask_b32_e64 v4, 0, 1, s0
	s_delay_alu instid0(VALU_DEP_1)
	v_add_nc_u32_e32 v4, v2, v4
.LBB92_1451:
	s_or_b32 exec_lo, exec_lo, s22
	s_mov_b32 s0, 0
	global_store_b8 v[0:1], v4, off
.LBB92_1452:
	s_mov_b32 s22, 0
.LBB92_1453:
	s_delay_alu instid0(SALU_CYCLE_1)
	s_and_b32 vcc_lo, exec_lo, s22
	s_cbranch_vccz .LBB92_1456
; %bb.1454:
	s_cmp_eq_u32 s21, 29
	s_mov_b32 s0, -1
	s_cbranch_scc0 .LBB92_1456
; %bb.1455:
	s_wait_xcnt 0x0
	v_lshlrev_b32_e32 v2, 16, v3
	s_mov_b32 s0, 0
	s_mov_b32 s22, 0
	s_delay_alu instid0(VALU_DEP_1) | instskip(NEXT) | instid1(VALU_DEP_1)
	v_trunc_f32_e32 v2, v2
	v_mul_f32_e32 v4, 0x2f800000, v2
	s_delay_alu instid0(VALU_DEP_1) | instskip(NEXT) | instid1(VALU_DEP_1)
	v_floor_f32_e32 v4, v4
	v_fmamk_f32 v2, v4, 0xcf800000, v2
	v_cvt_u32_f32_e32 v5, v4
	s_delay_alu instid0(VALU_DEP_2)
	v_cvt_u32_f32_e32 v4, v2
	global_store_b64 v[0:1], v[4:5], off
	s_branch .LBB92_1457
.LBB92_1456:
	s_mov_b32 s22, 0
.LBB92_1457:
	s_delay_alu instid0(SALU_CYCLE_1)
	s_and_b32 vcc_lo, exec_lo, s22
	s_cbranch_vccz .LBB92_1472
; %bb.1458:
	s_cmp_lt_i32 s21, 27
	s_mov_b32 s22, -1
	s_cbranch_scc1 .LBB92_1464
; %bb.1459:
	s_cmp_gt_i32 s21, 27
	s_cbranch_scc0 .LBB92_1461
; %bb.1460:
	s_wait_xcnt 0x0
	v_lshlrev_b32_e32 v2, 16, v3
	s_mov_b32 s22, 0
	s_delay_alu instid0(VALU_DEP_1)
	v_cvt_u32_f32_e32 v2, v2
	global_store_b32 v[0:1], v2, off
.LBB92_1461:
	s_and_not1_b32 vcc_lo, exec_lo, s22
	s_cbranch_vccnz .LBB92_1463
; %bb.1462:
	s_wait_xcnt 0x0
	v_lshlrev_b32_e32 v2, 16, v3
	s_delay_alu instid0(VALU_DEP_1)
	v_cvt_u32_f32_e32 v2, v2
	global_store_b16 v[0:1], v2, off
.LBB92_1463:
	s_mov_b32 s22, 0
.LBB92_1464:
	s_delay_alu instid0(SALU_CYCLE_1)
	s_and_not1_b32 vcc_lo, exec_lo, s22
	s_cbranch_vccnz .LBB92_1472
; %bb.1465:
	s_wait_xcnt 0x0
	v_dual_mov_b32 v6, 0x80 :: v_dual_lshlrev_b32 v5, 16, v3
	s_mov_b32 s22, exec_lo
	s_delay_alu instid0(VALU_DEP_1) | instskip(NEXT) | instid1(VALU_DEP_1)
	v_and_b32_e32 v4, 0x7fffffff, v5
	v_cmpx_gt_u32_e32 0x43800000, v4
	s_cbranch_execz .LBB92_1471
; %bb.1466:
	v_and_b32_e32 v2, 0xffff, v3
	v_cmp_lt_u32_e32 vcc_lo, 0x3bffffff, v4
	s_mov_b32 s23, 0
                                        ; implicit-def: $vgpr4
	s_and_saveexec_b32 s24, vcc_lo
	s_delay_alu instid0(SALU_CYCLE_1)
	s_xor_b32 s24, exec_lo, s24
	s_cbranch_execz .LBB92_1569
; %bb.1467:
	v_bfe_u32 v4, v2, 4, 1
	s_mov_b32 s23, exec_lo
	s_delay_alu instid0(VALU_DEP_1) | instskip(NEXT) | instid1(VALU_DEP_1)
	v_add3_u32 v4, v5, v4, 0x487ffff
                                        ; implicit-def: $vgpr5
	v_lshrrev_b32_e32 v4, 20, v4
	s_and_not1_saveexec_b32 s24, s24
	s_cbranch_execnz .LBB92_1570
.LBB92_1468:
	s_or_b32 exec_lo, exec_lo, s24
	v_mov_b32_e32 v6, 0
	s_and_saveexec_b32 s24, s23
.LBB92_1469:
	v_lshrrev_b32_e32 v2, 8, v2
	s_delay_alu instid0(VALU_DEP_1)
	v_and_or_b32 v6, 0x80, v2, v4
.LBB92_1470:
	s_or_b32 exec_lo, exec_lo, s24
.LBB92_1471:
	s_delay_alu instid0(SALU_CYCLE_1)
	s_or_b32 exec_lo, exec_lo, s22
	global_store_b8 v[0:1], v6, off
.LBB92_1472:
	s_mov_b32 s22, 0
.LBB92_1473:
	s_delay_alu instid0(SALU_CYCLE_1)
	s_and_b32 vcc_lo, exec_lo, s22
	s_mov_b32 s22, 0
	s_cbranch_vccz .LBB92_1513
; %bb.1474:
	s_cmp_gt_i32 s21, 22
	s_mov_b32 s23, -1
	s_cbranch_scc0 .LBB92_1506
; %bb.1475:
	s_cmp_lt_i32 s21, 24
	s_cbranch_scc1 .LBB92_1495
; %bb.1476:
	s_cmp_gt_i32 s21, 24
	s_cbranch_scc0 .LBB92_1484
; %bb.1477:
	s_wait_xcnt 0x0
	v_dual_mov_b32 v6, 0x80 :: v_dual_lshlrev_b32 v5, 16, v3
	s_mov_b32 s23, exec_lo
	s_delay_alu instid0(VALU_DEP_1) | instskip(NEXT) | instid1(VALU_DEP_1)
	v_and_b32_e32 v4, 0x7fffffff, v5
	v_cmpx_gt_u32_e32 0x47800000, v4
	s_cbranch_execz .LBB92_1483
; %bb.1478:
	v_and_b32_e32 v2, 0xffff, v3
	v_cmp_lt_u32_e32 vcc_lo, 0x37ffffff, v4
	s_mov_b32 s24, 0
                                        ; implicit-def: $vgpr4
	s_and_saveexec_b32 s25, vcc_lo
	s_delay_alu instid0(SALU_CYCLE_1)
	s_xor_b32 s25, exec_lo, s25
	s_cbranch_execz .LBB92_1695
; %bb.1479:
	v_bfe_u32 v4, v2, 5, 1
	s_mov_b32 s24, exec_lo
	s_delay_alu instid0(VALU_DEP_1) | instskip(NEXT) | instid1(VALU_DEP_1)
	v_add3_u32 v4, v5, v4, 0x88fffff
                                        ; implicit-def: $vgpr5
	v_lshrrev_b32_e32 v4, 21, v4
	s_and_not1_saveexec_b32 s25, s25
	s_cbranch_execnz .LBB92_1696
.LBB92_1480:
	s_or_b32 exec_lo, exec_lo, s25
	v_mov_b32_e32 v6, 0
	s_and_saveexec_b32 s25, s24
.LBB92_1481:
	v_lshrrev_b32_e32 v2, 8, v2
	s_delay_alu instid0(VALU_DEP_1)
	v_and_or_b32 v6, 0x80, v2, v4
.LBB92_1482:
	s_or_b32 exec_lo, exec_lo, s25
.LBB92_1483:
	s_delay_alu instid0(SALU_CYCLE_1)
	s_or_b32 exec_lo, exec_lo, s23
	s_mov_b32 s23, 0
	global_store_b8 v[0:1], v6, off
.LBB92_1484:
	s_and_b32 vcc_lo, exec_lo, s23
	s_cbranch_vccz .LBB92_1494
; %bb.1485:
	s_wait_xcnt 0x0
	v_lshlrev_b32_e32 v5, 16, v3
	v_and_b32_e32 v2, 0xffff, v3
	s_mov_b32 s23, exec_lo
                                        ; implicit-def: $vgpr4
	s_delay_alu instid0(VALU_DEP_2) | instskip(NEXT) | instid1(VALU_DEP_1)
	v_and_b32_e32 v6, 0x7fffffff, v5
	v_cmpx_gt_u32_e32 0x43f00000, v6
	s_xor_b32 s23, exec_lo, s23
	s_cbranch_execz .LBB92_1491
; %bb.1486:
	s_mov_b32 s24, exec_lo
                                        ; implicit-def: $vgpr4
	v_cmpx_lt_u32_e32 0x3c7fffff, v6
	s_xor_b32 s24, exec_lo, s24
; %bb.1487:
	v_bfe_u32 v4, v2, 4, 1
	s_delay_alu instid0(VALU_DEP_1) | instskip(NEXT) | instid1(VALU_DEP_1)
	v_add3_u32 v4, v5, v4, 0x407ffff
	v_and_b32_e32 v5, 0xff00000, v4
	v_lshrrev_b32_e32 v4, 20, v4
	s_delay_alu instid0(VALU_DEP_2) | instskip(NEXT) | instid1(VALU_DEP_2)
	v_cmp_ne_u32_e32 vcc_lo, 0x7f00000, v5
                                        ; implicit-def: $vgpr5
	v_cndmask_b32_e32 v4, 0x7e, v4, vcc_lo
; %bb.1488:
	s_and_not1_saveexec_b32 s24, s24
; %bb.1489:
	v_add_f32_e64 v4, 0x46800000, |v5|
; %bb.1490:
	s_or_b32 exec_lo, exec_lo, s24
                                        ; implicit-def: $vgpr6
.LBB92_1491:
	s_and_not1_saveexec_b32 s23, s23
; %bb.1492:
	v_mov_b32_e32 v4, 0x7f
	v_cmp_lt_u32_e32 vcc_lo, 0x7f800000, v6
	s_delay_alu instid0(VALU_DEP_2)
	v_cndmask_b32_e32 v4, 0x7e, v4, vcc_lo
; %bb.1493:
	s_or_b32 exec_lo, exec_lo, s23
	v_lshrrev_b32_e32 v2, 8, v2
	s_delay_alu instid0(VALU_DEP_1)
	v_and_or_b32 v2, 0x80, v2, v4
	global_store_b8 v[0:1], v2, off
.LBB92_1494:
	s_mov_b32 s23, 0
.LBB92_1495:
	s_delay_alu instid0(SALU_CYCLE_1)
	s_and_not1_b32 vcc_lo, exec_lo, s23
	s_cbranch_vccnz .LBB92_1505
; %bb.1496:
	s_wait_xcnt 0x0
	v_lshlrev_b32_e32 v5, 16, v3
	v_and_b32_e32 v2, 0xffff, v3
	s_mov_b32 s23, exec_lo
                                        ; implicit-def: $vgpr4
	s_delay_alu instid0(VALU_DEP_2) | instskip(NEXT) | instid1(VALU_DEP_1)
	v_and_b32_e32 v6, 0x7fffffff, v5
	v_cmpx_gt_u32_e32 0x47800000, v6
	s_xor_b32 s23, exec_lo, s23
	s_cbranch_execz .LBB92_1502
; %bb.1497:
	s_mov_b32 s24, exec_lo
                                        ; implicit-def: $vgpr4
	v_cmpx_lt_u32_e32 0x387fffff, v6
	s_xor_b32 s24, exec_lo, s24
; %bb.1498:
	v_bfe_u32 v4, v2, 5, 1
	s_delay_alu instid0(VALU_DEP_1) | instskip(NEXT) | instid1(VALU_DEP_1)
	v_add3_u32 v4, v5, v4, 0x80fffff
                                        ; implicit-def: $vgpr5
	v_lshrrev_b32_e32 v4, 21, v4
; %bb.1499:
	s_and_not1_saveexec_b32 s24, s24
; %bb.1500:
	v_add_f32_e64 v4, 0x43000000, |v5|
; %bb.1501:
	s_or_b32 exec_lo, exec_lo, s24
                                        ; implicit-def: $vgpr6
.LBB92_1502:
	s_and_not1_saveexec_b32 s23, s23
; %bb.1503:
	v_mov_b32_e32 v4, 0x7f
	v_cmp_lt_u32_e32 vcc_lo, 0x7f800000, v6
	s_delay_alu instid0(VALU_DEP_2)
	v_cndmask_b32_e32 v4, 0x7c, v4, vcc_lo
; %bb.1504:
	s_or_b32 exec_lo, exec_lo, s23
	v_lshrrev_b32_e32 v2, 8, v2
	s_delay_alu instid0(VALU_DEP_1)
	v_and_or_b32 v2, 0x80, v2, v4
	global_store_b8 v[0:1], v2, off
.LBB92_1505:
	s_mov_b32 s23, 0
.LBB92_1506:
	s_delay_alu instid0(SALU_CYCLE_1)
	s_and_not1_b32 vcc_lo, exec_lo, s23
	s_mov_b32 s23, 0
	s_cbranch_vccnz .LBB92_1514
; %bb.1507:
	s_cmp_gt_i32 s21, 14
	s_mov_b32 s23, -1
	s_cbranch_scc0 .LBB92_1511
; %bb.1508:
	s_cmp_eq_u32 s21, 15
	s_mov_b32 s0, -1
	s_cbranch_scc0 .LBB92_1510
; %bb.1509:
	s_mov_b32 s0, 0
	global_store_b16 v[0:1], v3, off
.LBB92_1510:
	s_mov_b32 s23, 0
.LBB92_1511:
	s_delay_alu instid0(SALU_CYCLE_1)
	s_and_b32 vcc_lo, exec_lo, s23
	s_mov_b32 s23, 0
	s_cbranch_vccz .LBB92_1514
; %bb.1512:
	s_cmp_lg_u32 s21, 11
	s_mov_b32 s23, -1
	s_cselect_b32 s21, -1, 0
	s_and_not1_b32 s0, s0, exec_lo
	s_and_b32 s21, s21, exec_lo
	s_delay_alu instid0(SALU_CYCLE_1)
	s_or_b32 s0, s0, s21
	s_branch .LBB92_1514
.LBB92_1513:
	s_mov_b32 s23, 0
.LBB92_1514:
	s_and_not1_b32 s17, s17, exec_lo
	s_and_b32 s21, s0, exec_lo
	s_and_b32 s22, s22, exec_lo
	;; [unrolled: 1-line block ×3, first 2 shown]
	s_or_b32 s17, s17, s21
	s_wait_xcnt 0x0
	s_or_b32 exec_lo, exec_lo, s20
	s_and_saveexec_b32 s20, s17
	s_cbranch_execz .LBB92_1443
.LBB92_1515:
	s_or_b32 s18, s18, exec_lo
	s_and_not1_b32 s0, s0, exec_lo
	s_trap 2
	s_or_b32 exec_lo, exec_lo, s20
	s_and_saveexec_b32 s17, s0
	s_delay_alu instid0(SALU_CYCLE_1)
	s_xor_b32 s0, exec_lo, s17
	s_cbranch_execnz .LBB92_1444
.LBB92_1516:
	s_or_b32 exec_lo, exec_lo, s0
	s_and_saveexec_b32 s0, s22
	s_delay_alu instid0(SALU_CYCLE_1)
	s_xor_b32 s0, exec_lo, s0
	s_cbranch_execz .LBB92_1554
.LBB92_1517:
	s_sext_i32_i16 s20, s19
	s_mov_b32 s17, -1
	s_cmp_lt_i32 s20, 5
	s_cbranch_scc1 .LBB92_1538
; %bb.1518:
	s_cmp_lt_i32 s20, 8
	s_cbranch_scc1 .LBB92_1528
; %bb.1519:
	;; [unrolled: 3-line block ×3, first 2 shown]
	s_cmp_gt_i32 s20, 9
	s_cbranch_scc0 .LBB92_1522
; %bb.1521:
	s_wait_loadcnt 0x0
	v_dual_lshlrev_b32 v2, 16, v3 :: v_dual_mov_b32 v6, 0
	s_mov_b32 s17, 0
	s_delay_alu instid0(VALU_DEP_1) | instskip(NEXT) | instid1(VALU_DEP_2)
	v_cvt_f64_f32_e32 v[4:5], v2
	v_mov_b32_e32 v7, v6
	global_store_b128 v[0:1], v[4:7], off
.LBB92_1522:
	s_and_not1_b32 vcc_lo, exec_lo, s17
	s_cbranch_vccnz .LBB92_1524
; %bb.1523:
	s_wait_loadcnt 0x0
	v_dual_mov_b32 v5, 0 :: v_dual_lshlrev_b32 v4, 16, v3
	global_store_b64 v[0:1], v[4:5], off
.LBB92_1524:
	s_mov_b32 s17, 0
.LBB92_1525:
	s_delay_alu instid0(SALU_CYCLE_1)
	s_and_not1_b32 vcc_lo, exec_lo, s17
	s_cbranch_vccnz .LBB92_1527
; %bb.1526:
	s_wait_loadcnt 0x0
	v_lshlrev_b32_e32 v2, 16, v3
	s_delay_alu instid0(VALU_DEP_1) | instskip(NEXT) | instid1(VALU_DEP_1)
	v_cvt_f16_f32_e32 v2, v2
	v_and_b32_e32 v2, 0xffff, v2
	global_store_b32 v[0:1], v2, off
.LBB92_1527:
	s_mov_b32 s17, 0
.LBB92_1528:
	s_delay_alu instid0(SALU_CYCLE_1)
	s_and_not1_b32 vcc_lo, exec_lo, s17
	s_cbranch_vccnz .LBB92_1537
; %bb.1529:
	s_sext_i32_i16 s20, s19
	s_mov_b32 s17, -1
	s_cmp_lt_i32 s20, 6
	s_cbranch_scc1 .LBB92_1535
; %bb.1530:
	s_cmp_gt_i32 s20, 6
	s_cbranch_scc0 .LBB92_1532
; %bb.1531:
	s_wait_loadcnt 0x0
	v_lshlrev_b32_e32 v2, 16, v3
	s_mov_b32 s17, 0
	s_delay_alu instid0(VALU_DEP_1)
	v_cvt_f64_f32_e32 v[4:5], v2
	global_store_b64 v[0:1], v[4:5], off
.LBB92_1532:
	s_and_not1_b32 vcc_lo, exec_lo, s17
	s_cbranch_vccnz .LBB92_1534
; %bb.1533:
	s_wait_loadcnt 0x0
	v_lshlrev_b32_e32 v2, 16, v3
	global_store_b32 v[0:1], v2, off
.LBB92_1534:
	s_mov_b32 s17, 0
.LBB92_1535:
	s_delay_alu instid0(SALU_CYCLE_1)
	s_and_not1_b32 vcc_lo, exec_lo, s17
	s_cbranch_vccnz .LBB92_1537
; %bb.1536:
	s_wait_loadcnt 0x0
	v_lshlrev_b32_e32 v2, 16, v3
	s_delay_alu instid0(VALU_DEP_1)
	v_cvt_f16_f32_e32 v2, v2
	global_store_b16 v[0:1], v2, off
.LBB92_1537:
	s_mov_b32 s17, 0
.LBB92_1538:
	s_delay_alu instid0(SALU_CYCLE_1)
	s_and_not1_b32 vcc_lo, exec_lo, s17
	s_cbranch_vccnz .LBB92_1554
; %bb.1539:
	s_sext_i32_i16 s20, s19
	s_mov_b32 s17, -1
	s_cmp_lt_i32 s20, 2
	s_cbranch_scc1 .LBB92_1549
; %bb.1540:
	s_cmp_lt_i32 s20, 3
	s_cbranch_scc1 .LBB92_1546
; %bb.1541:
	s_cmp_gt_i32 s20, 3
	s_cbranch_scc0 .LBB92_1543
; %bb.1542:
	s_wait_loadcnt 0x0
	v_lshlrev_b32_e32 v2, 16, v3
	s_mov_b32 s17, 0
	s_delay_alu instid0(VALU_DEP_1) | instskip(NEXT) | instid1(VALU_DEP_1)
	v_trunc_f32_e32 v2, v2
	v_mul_f32_e64 v4, 0x2f800000, |v2|
	s_delay_alu instid0(VALU_DEP_1) | instskip(SKIP_1) | instid1(VALU_DEP_2)
	v_floor_f32_e32 v5, v4
	v_ashrrev_i32_e32 v4, 31, v2
	v_fma_f32 v6, 0xcf800000, v5, |v2|
	v_cvt_u32_f32_e32 v2, v5
	s_delay_alu instid0(VALU_DEP_3) | instskip(NEXT) | instid1(VALU_DEP_3)
	v_mov_b32_e32 v5, v4
	v_cvt_u32_f32_e32 v6, v6
	s_delay_alu instid0(VALU_DEP_3) | instskip(NEXT) | instid1(VALU_DEP_2)
	v_xor_b32_e32 v7, v2, v4
	v_xor_b32_e32 v6, v6, v4
	s_delay_alu instid0(VALU_DEP_1)
	v_sub_nc_u64_e32 v[4:5], v[6:7], v[4:5]
	global_store_b64 v[0:1], v[4:5], off
.LBB92_1543:
	s_and_not1_b32 vcc_lo, exec_lo, s17
	s_cbranch_vccnz .LBB92_1545
; %bb.1544:
	s_wait_loadcnt 0x0
	v_lshlrev_b32_e32 v2, 16, v3
	s_delay_alu instid0(VALU_DEP_1)
	v_cvt_i32_f32_e32 v2, v2
	global_store_b32 v[0:1], v2, off
.LBB92_1545:
	s_mov_b32 s17, 0
.LBB92_1546:
	s_delay_alu instid0(SALU_CYCLE_1)
	s_and_not1_b32 vcc_lo, exec_lo, s17
	s_cbranch_vccnz .LBB92_1548
; %bb.1547:
	s_wait_loadcnt 0x0
	v_lshlrev_b32_e32 v2, 16, v3
	s_delay_alu instid0(VALU_DEP_1)
	v_cvt_i32_f32_e32 v2, v2
	global_store_b16 v[0:1], v2, off
.LBB92_1548:
	s_mov_b32 s17, 0
.LBB92_1549:
	s_delay_alu instid0(SALU_CYCLE_1)
	s_and_not1_b32 vcc_lo, exec_lo, s17
	s_cbranch_vccnz .LBB92_1554
; %bb.1550:
	s_wait_loadcnt 0x0
	v_lshlrev_b32_e32 v2, 16, v3
	s_sext_i32_i16 s17, s19
	s_delay_alu instid0(SALU_CYCLE_1)
	s_cmp_gt_i32 s17, 0
	s_mov_b32 s17, -1
	s_cbranch_scc0 .LBB92_1552
; %bb.1551:
	v_cvt_i32_f32_e32 v3, v2
	s_mov_b32 s17, 0
	global_store_b8 v[0:1], v3, off
.LBB92_1552:
	s_and_not1_b32 vcc_lo, exec_lo, s17
	s_cbranch_vccnz .LBB92_1554
; %bb.1553:
	v_trunc_f32_e32 v2, v2
	s_wait_xcnt 0x0
	s_delay_alu instid0(VALU_DEP_1) | instskip(NEXT) | instid1(VALU_DEP_1)
	v_mul_f32_e64 v3, 0x2f800000, |v2|
	v_floor_f32_e32 v3, v3
	s_delay_alu instid0(VALU_DEP_1) | instskip(SKIP_1) | instid1(VALU_DEP_2)
	v_fma_f32 v3, 0xcf800000, v3, |v2|
	v_ashrrev_i32_e32 v2, 31, v2
	v_cvt_u32_f32_e32 v3, v3
	s_delay_alu instid0(VALU_DEP_1) | instskip(NEXT) | instid1(VALU_DEP_1)
	v_xor_b32_e32 v3, v3, v2
	v_sub_nc_u32_e32 v2, v3, v2
	global_store_b8 v[0:1], v2, off
.LBB92_1554:
	s_wait_xcnt 0x0
	s_or_b32 exec_lo, exec_lo, s0
	s_delay_alu instid0(SALU_CYCLE_1)
	s_and_b32 s17, s18, exec_lo
                                        ; implicit-def: $vgpr6
.LBB92_1555:
	s_or_saveexec_b32 s16, s16
	s_mov_b32 s0, 0
                                        ; implicit-def: $sgpr18
                                        ; implicit-def: $vgpr0_vgpr1
                                        ; implicit-def: $vgpr4
	s_xor_b32 exec_lo, exec_lo, s16
	s_cbranch_execz .LBB92_3041
; %bb.1556:
	v_mul_lo_u32 v0, s9, v6
	s_and_b32 s0, s15, 0xff
	s_delay_alu instid0(SALU_CYCLE_1) | instskip(NEXT) | instid1(VALU_DEP_1)
	s_cmp_lt_i32 s0, 11
	v_ashrrev_i32_e32 v1, 31, v0
	s_wait_loadcnt 0x0
	s_delay_alu instid0(VALU_DEP_1)
	v_add_nc_u64_e32 v[2:3], s[6:7], v[0:1]
	s_cbranch_scc1 .LBB92_1563
; %bb.1557:
	s_and_b32 s14, 0xffff, s0
	s_mov_b32 s18, 0
	s_cmp_gt_i32 s14, 25
	s_cbranch_scc0 .LBB92_1565
; %bb.1558:
	s_cmp_gt_i32 s14, 28
	s_cbranch_scc0 .LBB92_1566
; %bb.1559:
	;; [unrolled: 3-line block ×4, first 2 shown]
	s_cmp_eq_u32 s14, 46
	s_mov_b32 s20, 0
	s_cbranch_scc0 .LBB92_1571
; %bb.1562:
	global_load_b32 v1, v[2:3], off
	s_mov_b32 s15, 0
	s_mov_b32 s19, -1
	s_branch .LBB92_1573
.LBB92_1563:
	s_mov_b32 s19, 0
	s_mov_b32 s14, s17
                                        ; implicit-def: $vgpr1
	s_cbranch_execnz .LBB92_1636
.LBB92_1564:
	s_and_not1_b32 vcc_lo, exec_lo, s19
	s_cbranch_vccz .LBB92_1681
	s_branch .LBB92_3039
.LBB92_1565:
	s_mov_b32 s19, 0
	s_mov_b32 s15, 0
                                        ; implicit-def: $vgpr1
	s_cbranch_execnz .LBB92_1601
	s_branch .LBB92_1632
.LBB92_1566:
	s_mov_b32 s20, -1
	s_mov_b32 s19, 0
	s_mov_b32 s15, 0
                                        ; implicit-def: $vgpr1
	s_branch .LBB92_1582
.LBB92_1567:
	s_mov_b32 s19, 0
	s_mov_b32 s15, 0
                                        ; implicit-def: $vgpr1
	s_cbranch_execnz .LBB92_1578
	s_branch .LBB92_1581
.LBB92_1568:
	s_mov_b32 s20, -1
	s_mov_b32 s19, 0
	s_mov_b32 s15, 0
	s_branch .LBB92_1572
.LBB92_1569:
	s_and_not1_saveexec_b32 s24, s24
	s_cbranch_execz .LBB92_1468
.LBB92_1570:
	v_add_f32_e64 v4, 0x46000000, |v5|
	s_and_not1_b32 s23, s23, exec_lo
	s_delay_alu instid0(VALU_DEP_1) | instskip(NEXT) | instid1(VALU_DEP_1)
	v_and_b32_e32 v4, 0xff, v4
	v_cmp_ne_u32_e32 vcc_lo, 0, v4
	s_and_b32 s25, vcc_lo, exec_lo
	s_delay_alu instid0(SALU_CYCLE_1)
	s_or_b32 s23, s23, s25
	s_or_b32 exec_lo, exec_lo, s24
	v_mov_b32_e32 v6, 0
	s_and_saveexec_b32 s24, s23
	s_cbranch_execnz .LBB92_1469
	s_branch .LBB92_1470
.LBB92_1571:
	s_mov_b32 s15, -1
	s_mov_b32 s19, 0
.LBB92_1572:
                                        ; implicit-def: $vgpr1
.LBB92_1573:
	s_and_b32 vcc_lo, exec_lo, s20
	s_cbranch_vccz .LBB92_1576
; %bb.1574:
	s_cmp_eq_u32 s14, 44
	s_cbranch_scc0 .LBB92_1577
; %bb.1575:
	s_wait_loadcnt 0x0
	global_load_u8 v1, v[2:3], off
	s_mov_b32 s15, 0
	s_mov_b32 s19, -1
	s_wait_loadcnt 0x0
	v_lshlrev_b32_e32 v4, 23, v1
	v_cmp_ne_u32_e32 vcc_lo, 0xff, v1
	s_delay_alu instid0(VALU_DEP_2) | instskip(SKIP_1) | instid1(VALU_DEP_2)
	v_cndmask_b32_e32 v4, 0x7f800001, v4, vcc_lo
	v_cmp_ne_u32_e32 vcc_lo, 0, v1
	v_cndmask_b32_e32 v1, 0x400000, v4, vcc_lo
	s_delay_alu instid0(VALU_DEP_1) | instskip(NEXT) | instid1(VALU_DEP_1)
	v_add_nc_u32_e32 v4, 0x7fff, v1
	v_lshrrev_b32_e32 v4, 16, v4
	v_cmp_o_f32_e32 vcc_lo, v1, v1
	s_delay_alu instid0(VALU_DEP_2)
	v_cndmask_b32_e32 v1, 0x7fc0, v4, vcc_lo
.LBB92_1576:
	s_branch .LBB92_1581
.LBB92_1577:
	s_mov_b32 s15, -1
                                        ; implicit-def: $vgpr1
	s_branch .LBB92_1581
.LBB92_1578:
	s_cmp_eq_u32 s14, 29
	s_cbranch_scc0 .LBB92_1580
; %bb.1579:
	global_load_b64 v[4:5], v[2:3], off
	s_mov_b32 s15, 0
	s_mov_b32 s19, -1
	s_mov_b32 s20, 0
	s_wait_loadcnt 0x0
	v_clz_i32_u32_e32 v1, v5
	s_delay_alu instid0(VALU_DEP_1) | instskip(NEXT) | instid1(VALU_DEP_1)
	v_min_u32_e32 v1, 32, v1
	v_lshlrev_b64_e32 v[4:5], v1, v[4:5]
	v_sub_nc_u32_e32 v1, 32, v1
	s_delay_alu instid0(VALU_DEP_2) | instskip(NEXT) | instid1(VALU_DEP_1)
	v_min_u32_e32 v4, 1, v4
	v_or_b32_e32 v4, v5, v4
	s_delay_alu instid0(VALU_DEP_1) | instskip(NEXT) | instid1(VALU_DEP_1)
	v_cvt_f32_u32_e32 v4, v4
	v_ldexp_f32 v1, v4, v1
	s_delay_alu instid0(VALU_DEP_1) | instskip(NEXT) | instid1(VALU_DEP_1)
	v_bfe_u32 v4, v1, 16, 1
	v_add3_u32 v1, v1, v4, 0x7fff
	s_delay_alu instid0(VALU_DEP_1)
	v_lshrrev_b32_e32 v1, 16, v1
	s_branch .LBB92_1582
.LBB92_1580:
	s_mov_b32 s15, -1
                                        ; implicit-def: $vgpr1
.LBB92_1581:
	s_mov_b32 s20, 0
.LBB92_1582:
	s_delay_alu instid0(SALU_CYCLE_1)
	s_and_b32 vcc_lo, exec_lo, s20
	s_cbranch_vccz .LBB92_1600
; %bb.1583:
	s_cmp_lt_i32 s14, 27
	s_cbranch_scc1 .LBB92_1586
; %bb.1584:
	s_cmp_gt_i32 s14, 27
	s_cbranch_scc0 .LBB92_1587
; %bb.1585:
	s_wait_loadcnt 0x0
	global_load_b32 v1, v[2:3], off
	s_mov_b32 s19, 0
	s_wait_loadcnt 0x0
	v_cvt_f32_u32_e32 v1, v1
	s_delay_alu instid0(VALU_DEP_1) | instskip(NEXT) | instid1(VALU_DEP_1)
	v_bfe_u32 v4, v1, 16, 1
	v_add3_u32 v1, v1, v4, 0x7fff
	s_delay_alu instid0(VALU_DEP_1)
	v_lshrrev_b32_e32 v1, 16, v1
	s_branch .LBB92_1588
.LBB92_1586:
	s_mov_b32 s19, -1
                                        ; implicit-def: $vgpr1
	s_branch .LBB92_1591
.LBB92_1587:
	s_mov_b32 s19, -1
                                        ; implicit-def: $vgpr1
.LBB92_1588:
	s_delay_alu instid0(SALU_CYCLE_1)
	s_and_not1_b32 vcc_lo, exec_lo, s19
	s_cbranch_vccnz .LBB92_1590
; %bb.1589:
	s_wait_loadcnt 0x0
	global_load_u16 v1, v[2:3], off
	s_wait_loadcnt 0x0
	v_cvt_f32_u32_e32 v1, v1
	s_delay_alu instid0(VALU_DEP_1) | instskip(NEXT) | instid1(VALU_DEP_1)
	v_bfe_u32 v4, v1, 16, 1
	v_add3_u32 v1, v1, v4, 0x7fff
	s_delay_alu instid0(VALU_DEP_1)
	v_lshrrev_b32_e32 v1, 16, v1
.LBB92_1590:
	s_mov_b32 s19, 0
.LBB92_1591:
	s_delay_alu instid0(SALU_CYCLE_1)
	s_and_not1_b32 vcc_lo, exec_lo, s19
	s_cbranch_vccnz .LBB92_1599
; %bb.1592:
	s_wait_loadcnt 0x0
	global_load_u8 v1, v[2:3], off
	s_mov_b32 s19, 0
	s_mov_b32 s20, exec_lo
	s_wait_loadcnt 0x0
	v_cmpx_lt_i16_e32 0x7f, v1
	s_xor_b32 s20, exec_lo, s20
	s_cbranch_execz .LBB92_1612
; %bb.1593:
	s_mov_b32 s19, -1
	s_mov_b32 s21, exec_lo
	v_cmpx_eq_u16_e32 0x80, v1
; %bb.1594:
	s_xor_b32 s19, exec_lo, -1
; %bb.1595:
	s_or_b32 exec_lo, exec_lo, s21
	s_delay_alu instid0(SALU_CYCLE_1)
	s_and_b32 s19, s19, exec_lo
	s_or_saveexec_b32 s20, s20
	v_mov_b32_e32 v4, 0x7f800001
	s_xor_b32 exec_lo, exec_lo, s20
	s_cbranch_execnz .LBB92_1613
.LBB92_1596:
	s_or_b32 exec_lo, exec_lo, s20
	s_and_saveexec_b32 s20, s19
	s_cbranch_execz .LBB92_1598
.LBB92_1597:
	v_and_b32_e32 v4, 0xffff, v1
	s_delay_alu instid0(VALU_DEP_1) | instskip(SKIP_1) | instid1(VALU_DEP_2)
	v_and_b32_e32 v5, 7, v4
	v_bfe_u32 v9, v4, 3, 4
	v_clz_i32_u32_e32 v7, v5
	s_delay_alu instid0(VALU_DEP_2) | instskip(NEXT) | instid1(VALU_DEP_2)
	v_cmp_eq_u32_e32 vcc_lo, 0, v9
	v_min_u32_e32 v7, 32, v7
	s_delay_alu instid0(VALU_DEP_1) | instskip(NEXT) | instid1(VALU_DEP_1)
	v_subrev_nc_u32_e32 v8, 28, v7
	v_dual_lshlrev_b32 v4, v8, v4 :: v_dual_sub_nc_u32 v7, 29, v7
	s_delay_alu instid0(VALU_DEP_1) | instskip(NEXT) | instid1(VALU_DEP_2)
	v_dual_lshlrev_b32 v1, 24, v1 :: v_dual_bitop2_b32 v4, 7, v4 bitop3:0x40
	v_cndmask_b32_e32 v7, v9, v7, vcc_lo
	s_delay_alu instid0(VALU_DEP_2) | instskip(NEXT) | instid1(VALU_DEP_3)
	v_cndmask_b32_e32 v4, v5, v4, vcc_lo
	v_and_b32_e32 v1, 0x80000000, v1
	s_delay_alu instid0(VALU_DEP_3) | instskip(NEXT) | instid1(VALU_DEP_3)
	v_lshl_add_u32 v5, v7, 23, 0x3b800000
	v_lshlrev_b32_e32 v4, 20, v4
	s_delay_alu instid0(VALU_DEP_1)
	v_or3_b32 v4, v1, v5, v4
.LBB92_1598:
	s_or_b32 exec_lo, exec_lo, s20
	s_delay_alu instid0(VALU_DEP_1) | instskip(SKIP_1) | instid1(VALU_DEP_2)
	v_bfe_u32 v1, v4, 16, 1
	v_cmp_o_f32_e32 vcc_lo, v4, v4
	v_add3_u32 v1, v4, v1, 0x7fff
	s_delay_alu instid0(VALU_DEP_1) | instskip(NEXT) | instid1(VALU_DEP_1)
	v_lshrrev_b32_e32 v1, 16, v1
	v_cndmask_b32_e32 v1, 0x7fc0, v1, vcc_lo
.LBB92_1599:
	s_mov_b32 s19, -1
.LBB92_1600:
	s_branch .LBB92_1632
.LBB92_1601:
	s_cmp_gt_i32 s14, 22
	s_cbranch_scc0 .LBB92_1611
; %bb.1602:
	s_cmp_lt_i32 s14, 24
	s_cbranch_scc1 .LBB92_1614
; %bb.1603:
	s_cmp_gt_i32 s14, 24
	s_cbranch_scc0 .LBB92_1615
; %bb.1604:
	s_wait_loadcnt 0x0
	global_load_u8 v1, v[2:3], off
	s_mov_b32 s19, exec_lo
	s_wait_loadcnt 0x0
	v_cmpx_lt_i16_e32 0x7f, v1
	s_xor_b32 s19, exec_lo, s19
	s_cbranch_execz .LBB92_1626
; %bb.1605:
	s_mov_b32 s18, -1
	s_mov_b32 s20, exec_lo
	v_cmpx_eq_u16_e32 0x80, v1
; %bb.1606:
	s_xor_b32 s18, exec_lo, -1
; %bb.1607:
	s_or_b32 exec_lo, exec_lo, s20
	s_delay_alu instid0(SALU_CYCLE_1)
	s_and_b32 s18, s18, exec_lo
	s_or_saveexec_b32 s19, s19
	v_mov_b32_e32 v4, 0x7f800001
	s_xor_b32 exec_lo, exec_lo, s19
	s_cbranch_execnz .LBB92_1627
.LBB92_1608:
	s_or_b32 exec_lo, exec_lo, s19
	s_and_saveexec_b32 s19, s18
	s_cbranch_execz .LBB92_1610
.LBB92_1609:
	v_and_b32_e32 v4, 0xffff, v1
	s_delay_alu instid0(VALU_DEP_1) | instskip(SKIP_1) | instid1(VALU_DEP_2)
	v_and_b32_e32 v5, 3, v4
	v_bfe_u32 v9, v4, 2, 5
	v_clz_i32_u32_e32 v7, v5
	s_delay_alu instid0(VALU_DEP_2) | instskip(NEXT) | instid1(VALU_DEP_2)
	v_cmp_eq_u32_e32 vcc_lo, 0, v9
	v_min_u32_e32 v7, 32, v7
	s_delay_alu instid0(VALU_DEP_1) | instskip(NEXT) | instid1(VALU_DEP_1)
	v_subrev_nc_u32_e32 v8, 29, v7
	v_dual_lshlrev_b32 v4, v8, v4 :: v_dual_sub_nc_u32 v7, 30, v7
	s_delay_alu instid0(VALU_DEP_1) | instskip(NEXT) | instid1(VALU_DEP_2)
	v_dual_lshlrev_b32 v1, 24, v1 :: v_dual_bitop2_b32 v4, 3, v4 bitop3:0x40
	v_cndmask_b32_e32 v7, v9, v7, vcc_lo
	s_delay_alu instid0(VALU_DEP_2) | instskip(NEXT) | instid1(VALU_DEP_3)
	v_cndmask_b32_e32 v4, v5, v4, vcc_lo
	v_and_b32_e32 v1, 0x80000000, v1
	s_delay_alu instid0(VALU_DEP_3) | instskip(NEXT) | instid1(VALU_DEP_3)
	v_lshl_add_u32 v5, v7, 23, 0x37800000
	v_lshlrev_b32_e32 v4, 21, v4
	s_delay_alu instid0(VALU_DEP_1)
	v_or3_b32 v4, v1, v5, v4
.LBB92_1610:
	s_or_b32 exec_lo, exec_lo, s19
	s_delay_alu instid0(VALU_DEP_1) | instskip(SKIP_2) | instid1(VALU_DEP_2)
	v_bfe_u32 v1, v4, 16, 1
	v_cmp_o_f32_e32 vcc_lo, v4, v4
	s_mov_b32 s18, 0
	v_add3_u32 v1, v4, v1, 0x7fff
	s_delay_alu instid0(VALU_DEP_1) | instskip(NEXT) | instid1(VALU_DEP_1)
	v_lshrrev_b32_e32 v1, 16, v1
	v_cndmask_b32_e32 v1, 0x7fc0, v1, vcc_lo
	s_branch .LBB92_1616
.LBB92_1611:
                                        ; implicit-def: $vgpr1
	s_mov_b32 s18, 0
	s_branch .LBB92_1622
.LBB92_1612:
	s_or_saveexec_b32 s20, s20
	v_mov_b32_e32 v4, 0x7f800001
	s_xor_b32 exec_lo, exec_lo, s20
	s_cbranch_execz .LBB92_1596
.LBB92_1613:
	v_cmp_ne_u16_e32 vcc_lo, 0, v1
	v_mov_b32_e32 v4, 0
	s_and_not1_b32 s19, s19, exec_lo
	s_and_b32 s21, vcc_lo, exec_lo
	s_delay_alu instid0(SALU_CYCLE_1)
	s_or_b32 s19, s19, s21
	s_or_b32 exec_lo, exec_lo, s20
	s_and_saveexec_b32 s20, s19
	s_cbranch_execnz .LBB92_1597
	s_branch .LBB92_1598
.LBB92_1614:
	s_mov_b32 s18, -1
                                        ; implicit-def: $vgpr1
	s_branch .LBB92_1619
.LBB92_1615:
	s_mov_b32 s18, -1
                                        ; implicit-def: $vgpr1
.LBB92_1616:
	s_delay_alu instid0(SALU_CYCLE_1)
	s_and_b32 vcc_lo, exec_lo, s18
	s_cbranch_vccz .LBB92_1618
; %bb.1617:
	s_wait_loadcnt 0x0
	global_load_u8 v1, v[2:3], off
	s_wait_loadcnt 0x0
	v_lshlrev_b32_e32 v1, 24, v1
	s_delay_alu instid0(VALU_DEP_1) | instskip(NEXT) | instid1(VALU_DEP_1)
	v_and_b32_e32 v4, 0x7f000000, v1
	v_clz_i32_u32_e32 v5, v4
	v_add_nc_u32_e32 v8, 0x1000000, v4
	v_cmp_ne_u32_e32 vcc_lo, 0, v4
	s_delay_alu instid0(VALU_DEP_3) | instskip(NEXT) | instid1(VALU_DEP_1)
	v_min_u32_e32 v5, 32, v5
	v_sub_nc_u32_e64 v5, v5, 4 clamp
	s_delay_alu instid0(VALU_DEP_1) | instskip(NEXT) | instid1(VALU_DEP_1)
	v_dual_lshlrev_b32 v7, v5, v4 :: v_dual_lshlrev_b32 v5, 23, v5
	v_lshrrev_b32_e32 v7, 4, v7
	s_delay_alu instid0(VALU_DEP_1) | instskip(NEXT) | instid1(VALU_DEP_1)
	v_dual_sub_nc_u32 v5, v7, v5 :: v_dual_ashrrev_i32 v7, 8, v8
	v_add_nc_u32_e32 v5, 0x3c000000, v5
	s_delay_alu instid0(VALU_DEP_1) | instskip(NEXT) | instid1(VALU_DEP_1)
	v_and_or_b32 v5, 0x7f800000, v7, v5
	v_cndmask_b32_e32 v4, 0, v5, vcc_lo
	s_delay_alu instid0(VALU_DEP_1) | instskip(SKIP_1) | instid1(VALU_DEP_2)
	v_and_or_b32 v1, 0x80000000, v1, v4
	v_bfe_u32 v4, v4, 16, 1
	v_cmp_o_f32_e32 vcc_lo, v1, v1
	s_delay_alu instid0(VALU_DEP_2) | instskip(NEXT) | instid1(VALU_DEP_1)
	v_add3_u32 v4, v1, v4, 0x7fff
	v_lshrrev_b32_e32 v4, 16, v4
	s_delay_alu instid0(VALU_DEP_1)
	v_cndmask_b32_e32 v1, 0x7fc0, v4, vcc_lo
.LBB92_1618:
	s_mov_b32 s18, 0
.LBB92_1619:
	s_delay_alu instid0(SALU_CYCLE_1)
	s_and_not1_b32 vcc_lo, exec_lo, s18
	s_cbranch_vccnz .LBB92_1621
; %bb.1620:
	s_wait_loadcnt 0x0
	global_load_u8 v1, v[2:3], off
	s_wait_loadcnt 0x0
	v_lshlrev_b32_e32 v4, 25, v1
	v_lshlrev_b16 v1, 8, v1
	s_delay_alu instid0(VALU_DEP_1) | instskip(SKIP_1) | instid1(VALU_DEP_2)
	v_and_or_b32 v7, 0x7f00, v1, 0.5
	v_bfe_i32 v1, v1, 0, 16
	v_dual_add_f32 v7, -0.5, v7 :: v_dual_lshrrev_b32 v5, 4, v4
	v_cmp_gt_u32_e32 vcc_lo, 0x8000000, v4
	s_delay_alu instid0(VALU_DEP_2) | instskip(NEXT) | instid1(VALU_DEP_1)
	v_or_b32_e32 v5, 0x70000000, v5
	v_mul_f32_e32 v5, 0x7800000, v5
	s_delay_alu instid0(VALU_DEP_1) | instskip(NEXT) | instid1(VALU_DEP_1)
	v_cndmask_b32_e32 v4, v5, v7, vcc_lo
	v_and_or_b32 v1, 0x80000000, v1, v4
	v_bfe_u32 v4, v4, 16, 1
	s_delay_alu instid0(VALU_DEP_2) | instskip(NEXT) | instid1(VALU_DEP_2)
	v_cmp_o_f32_e32 vcc_lo, v1, v1
	v_add3_u32 v4, v1, v4, 0x7fff
	s_delay_alu instid0(VALU_DEP_1) | instskip(NEXT) | instid1(VALU_DEP_1)
	v_lshrrev_b32_e32 v4, 16, v4
	v_cndmask_b32_e32 v1, 0x7fc0, v4, vcc_lo
.LBB92_1621:
	s_mov_b32 s19, -1
	s_mov_b32 s18, 0
	s_cbranch_execnz .LBB92_1632
.LBB92_1622:
	s_cmp_gt_i32 s14, 14
	s_cbranch_scc0 .LBB92_1625
; %bb.1623:
	s_cmp_eq_u32 s14, 15
	s_cbranch_scc0 .LBB92_1628
; %bb.1624:
	s_wait_loadcnt 0x0
	global_load_u16 v1, v[2:3], off
	s_mov_b32 s15, 0
	s_mov_b32 s19, -1
	s_branch .LBB92_1630
.LBB92_1625:
	s_mov_b32 s18, -1
	s_branch .LBB92_1629
.LBB92_1626:
	s_or_saveexec_b32 s19, s19
	v_mov_b32_e32 v4, 0x7f800001
	s_xor_b32 exec_lo, exec_lo, s19
	s_cbranch_execz .LBB92_1608
.LBB92_1627:
	v_cmp_ne_u16_e32 vcc_lo, 0, v1
	v_mov_b32_e32 v4, 0
	s_and_not1_b32 s18, s18, exec_lo
	s_and_b32 s20, vcc_lo, exec_lo
	s_delay_alu instid0(SALU_CYCLE_1)
	s_or_b32 s18, s18, s20
	s_or_b32 exec_lo, exec_lo, s19
	s_and_saveexec_b32 s19, s18
	s_cbranch_execnz .LBB92_1609
	s_branch .LBB92_1610
.LBB92_1628:
	s_mov_b32 s15, -1
.LBB92_1629:
                                        ; implicit-def: $vgpr1
.LBB92_1630:
	s_and_b32 vcc_lo, exec_lo, s18
	s_mov_b32 s18, 0
	s_cbranch_vccz .LBB92_1632
; %bb.1631:
	s_cmp_lg_u32 s14, 11
	s_mov_b32 s18, -1
	s_cselect_b32 s15, -1, 0
.LBB92_1632:
	s_delay_alu instid0(SALU_CYCLE_1)
	s_and_b32 vcc_lo, exec_lo, s15
	s_mov_b32 s14, s17
	s_cbranch_vccnz .LBB92_1693
; %bb.1633:
	s_and_not1_b32 vcc_lo, exec_lo, s18
	s_cbranch_vccnz .LBB92_1635
.LBB92_1634:
	s_wait_loadcnt 0x0
	global_load_u8 v1, v[2:3], off
	s_mov_b32 s19, -1
	s_wait_loadcnt 0x0
	v_cmp_ne_u16_e32 vcc_lo, 0, v1
	v_cndmask_b32_e64 v1, 0, 1.0, vcc_lo
	s_delay_alu instid0(VALU_DEP_1)
	v_lshrrev_b32_e32 v1, 16, v1
.LBB92_1635:
	s_branch .LBB92_1564
.LBB92_1636:
	s_and_b32 s15, 0xffff, s0
	s_delay_alu instid0(SALU_CYCLE_1)
	s_cmp_lt_i32 s15, 5
	s_cbranch_scc1 .LBB92_1641
; %bb.1637:
	s_cmp_lt_i32 s15, 8
	s_cbranch_scc1 .LBB92_1642
; %bb.1638:
	;; [unrolled: 3-line block ×3, first 2 shown]
	s_cmp_gt_i32 s15, 9
	s_cbranch_scc0 .LBB92_1644
; %bb.1640:
	global_load_b64 v[4:5], v[2:3], off
	s_mov_b32 s18, 0
	s_wait_loadcnt 0x0
	v_cvt_f32_f64_e32 v1, v[4:5]
	s_delay_alu instid0(VALU_DEP_1) | instskip(SKIP_1) | instid1(VALU_DEP_2)
	v_bfe_u32 v4, v1, 16, 1
	v_cmp_o_f32_e32 vcc_lo, v1, v1
	v_add3_u32 v4, v1, v4, 0x7fff
	s_delay_alu instid0(VALU_DEP_1) | instskip(NEXT) | instid1(VALU_DEP_1)
	v_lshrrev_b32_e32 v4, 16, v4
	v_cndmask_b32_e32 v1, 0x7fc0, v4, vcc_lo
	s_branch .LBB92_1645
.LBB92_1641:
                                        ; implicit-def: $vgpr1
	s_branch .LBB92_1662
.LBB92_1642:
                                        ; implicit-def: $vgpr1
	s_branch .LBB92_1651
.LBB92_1643:
	s_mov_b32 s18, -1
                                        ; implicit-def: $vgpr1
	s_branch .LBB92_1648
.LBB92_1644:
	s_mov_b32 s18, -1
                                        ; implicit-def: $vgpr1
.LBB92_1645:
	s_delay_alu instid0(SALU_CYCLE_1)
	s_and_not1_b32 vcc_lo, exec_lo, s18
	s_cbranch_vccnz .LBB92_1647
; %bb.1646:
	s_wait_loadcnt 0x0
	global_load_b32 v1, v[2:3], off
	s_wait_loadcnt 0x0
	v_bfe_u32 v4, v1, 16, 1
	v_cmp_o_f32_e32 vcc_lo, v1, v1
	s_delay_alu instid0(VALU_DEP_2) | instskip(NEXT) | instid1(VALU_DEP_1)
	v_add3_u32 v4, v1, v4, 0x7fff
	v_lshrrev_b32_e32 v4, 16, v4
	s_delay_alu instid0(VALU_DEP_1)
	v_cndmask_b32_e32 v1, 0x7fc0, v4, vcc_lo
.LBB92_1647:
	s_mov_b32 s18, 0
.LBB92_1648:
	s_delay_alu instid0(SALU_CYCLE_1)
	s_and_not1_b32 vcc_lo, exec_lo, s18
	s_cbranch_vccnz .LBB92_1650
; %bb.1649:
	s_wait_loadcnt 0x0
	global_load_b32 v1, v[2:3], off
	s_wait_loadcnt 0x0
	v_cvt_f32_f16_e32 v4, v1
	v_cmp_o_f16_e32 vcc_lo, v1, v1
	s_delay_alu instid0(VALU_DEP_2) | instskip(NEXT) | instid1(VALU_DEP_1)
	v_bfe_u32 v5, v4, 16, 1
	v_add3_u32 v4, v4, v5, 0x7fff
	s_delay_alu instid0(VALU_DEP_1) | instskip(NEXT) | instid1(VALU_DEP_1)
	v_lshrrev_b32_e32 v4, 16, v4
	v_cndmask_b32_e32 v1, 0x7fc0, v4, vcc_lo
.LBB92_1650:
	s_cbranch_execnz .LBB92_1661
.LBB92_1651:
	s_cmp_lt_i32 s15, 6
	s_cbranch_scc1 .LBB92_1654
; %bb.1652:
	s_cmp_gt_i32 s15, 6
	s_cbranch_scc0 .LBB92_1655
; %bb.1653:
	global_load_b64 v[4:5], v[2:3], off
	s_mov_b32 s18, 0
	s_wait_loadcnt 0x0
	v_cvt_f32_f64_e32 v1, v[4:5]
	s_delay_alu instid0(VALU_DEP_1) | instskip(SKIP_1) | instid1(VALU_DEP_2)
	v_bfe_u32 v4, v1, 16, 1
	v_cmp_o_f32_e32 vcc_lo, v1, v1
	v_add3_u32 v4, v1, v4, 0x7fff
	s_delay_alu instid0(VALU_DEP_1) | instskip(NEXT) | instid1(VALU_DEP_1)
	v_lshrrev_b32_e32 v4, 16, v4
	v_cndmask_b32_e32 v1, 0x7fc0, v4, vcc_lo
	s_branch .LBB92_1656
.LBB92_1654:
	s_mov_b32 s18, -1
                                        ; implicit-def: $vgpr1
	s_branch .LBB92_1659
.LBB92_1655:
	s_mov_b32 s18, -1
                                        ; implicit-def: $vgpr1
.LBB92_1656:
	s_delay_alu instid0(SALU_CYCLE_1)
	s_and_not1_b32 vcc_lo, exec_lo, s18
	s_cbranch_vccnz .LBB92_1658
; %bb.1657:
	s_wait_loadcnt 0x0
	global_load_b32 v1, v[2:3], off
	s_wait_loadcnt 0x0
	v_bfe_u32 v4, v1, 16, 1
	v_cmp_o_f32_e32 vcc_lo, v1, v1
	s_delay_alu instid0(VALU_DEP_2) | instskip(NEXT) | instid1(VALU_DEP_1)
	v_add3_u32 v4, v1, v4, 0x7fff
	v_lshrrev_b32_e32 v4, 16, v4
	s_delay_alu instid0(VALU_DEP_1)
	v_cndmask_b32_e32 v1, 0x7fc0, v4, vcc_lo
.LBB92_1658:
	s_mov_b32 s18, 0
.LBB92_1659:
	s_delay_alu instid0(SALU_CYCLE_1)
	s_and_not1_b32 vcc_lo, exec_lo, s18
	s_cbranch_vccnz .LBB92_1661
; %bb.1660:
	s_wait_loadcnt 0x0
	global_load_u16 v1, v[2:3], off
	s_wait_loadcnt 0x0
	v_cvt_f32_f16_e32 v4, v1
	v_cmp_o_f16_e32 vcc_lo, v1, v1
	s_delay_alu instid0(VALU_DEP_2) | instskip(NEXT) | instid1(VALU_DEP_1)
	v_bfe_u32 v5, v4, 16, 1
	v_add3_u32 v4, v4, v5, 0x7fff
	s_delay_alu instid0(VALU_DEP_1) | instskip(NEXT) | instid1(VALU_DEP_1)
	v_lshrrev_b32_e32 v4, 16, v4
	v_cndmask_b32_e32 v1, 0x7fc0, v4, vcc_lo
.LBB92_1661:
	s_cbranch_execnz .LBB92_1680
.LBB92_1662:
	s_cmp_lt_i32 s15, 2
	s_cbranch_scc1 .LBB92_1666
; %bb.1663:
	s_cmp_lt_i32 s15, 3
	s_cbranch_scc1 .LBB92_1667
; %bb.1664:
	s_cmp_gt_i32 s15, 3
	s_cbranch_scc0 .LBB92_1668
; %bb.1665:
	global_load_b64 v[4:5], v[2:3], off
	s_mov_b32 s18, 0
	s_wait_loadcnt 0x0
	v_xor_b32_e32 v1, v4, v5
	v_cls_i32_e32 v7, v5
	s_delay_alu instid0(VALU_DEP_2) | instskip(NEXT) | instid1(VALU_DEP_1)
	v_ashrrev_i32_e32 v1, 31, v1
	v_add_nc_u32_e32 v1, 32, v1
	s_delay_alu instid0(VALU_DEP_1) | instskip(NEXT) | instid1(VALU_DEP_1)
	v_add_min_u32_e64 v1, v7, -1, v1
	v_lshlrev_b64_e32 v[4:5], v1, v[4:5]
	v_sub_nc_u32_e32 v1, 32, v1
	s_delay_alu instid0(VALU_DEP_2) | instskip(NEXT) | instid1(VALU_DEP_1)
	v_min_u32_e32 v4, 1, v4
	v_or_b32_e32 v4, v5, v4
	s_delay_alu instid0(VALU_DEP_1) | instskip(NEXT) | instid1(VALU_DEP_1)
	v_cvt_f32_i32_e32 v4, v4
	v_ldexp_f32 v1, v4, v1
	s_delay_alu instid0(VALU_DEP_1) | instskip(NEXT) | instid1(VALU_DEP_1)
	v_bfe_u32 v4, v1, 16, 1
	v_add3_u32 v1, v1, v4, 0x7fff
	s_delay_alu instid0(VALU_DEP_1)
	v_lshrrev_b32_e32 v1, 16, v1
	s_branch .LBB92_1669
.LBB92_1666:
                                        ; implicit-def: $vgpr1
	s_branch .LBB92_1675
.LBB92_1667:
	s_mov_b32 s18, -1
                                        ; implicit-def: $vgpr1
	s_branch .LBB92_1672
.LBB92_1668:
	s_mov_b32 s18, -1
                                        ; implicit-def: $vgpr1
.LBB92_1669:
	s_delay_alu instid0(SALU_CYCLE_1)
	s_and_not1_b32 vcc_lo, exec_lo, s18
	s_cbranch_vccnz .LBB92_1671
; %bb.1670:
	s_wait_loadcnt 0x0
	global_load_b32 v1, v[2:3], off
	s_wait_loadcnt 0x0
	v_cvt_f32_i32_e32 v1, v1
	s_delay_alu instid0(VALU_DEP_1) | instskip(NEXT) | instid1(VALU_DEP_1)
	v_bfe_u32 v4, v1, 16, 1
	v_add3_u32 v1, v1, v4, 0x7fff
	s_delay_alu instid0(VALU_DEP_1)
	v_lshrrev_b32_e32 v1, 16, v1
.LBB92_1671:
	s_mov_b32 s18, 0
.LBB92_1672:
	s_delay_alu instid0(SALU_CYCLE_1)
	s_and_not1_b32 vcc_lo, exec_lo, s18
	s_cbranch_vccnz .LBB92_1674
; %bb.1673:
	s_wait_loadcnt 0x0
	global_load_i16 v1, v[2:3], off
	s_wait_loadcnt 0x0
	v_cvt_f32_i32_e32 v1, v1
	s_delay_alu instid0(VALU_DEP_1) | instskip(NEXT) | instid1(VALU_DEP_1)
	v_bfe_u32 v4, v1, 16, 1
	v_add3_u32 v1, v1, v4, 0x7fff
	s_delay_alu instid0(VALU_DEP_1)
	v_lshrrev_b32_e32 v1, 16, v1
.LBB92_1674:
	s_cbranch_execnz .LBB92_1680
.LBB92_1675:
	s_cmp_gt_i32 s15, 0
	s_mov_b32 s15, 0
	s_cbranch_scc0 .LBB92_1677
; %bb.1676:
	s_wait_loadcnt 0x0
	global_load_i8 v1, v[2:3], off
	s_wait_loadcnt 0x0
	v_cvt_f32_i32_e32 v1, v1
	s_delay_alu instid0(VALU_DEP_1) | instskip(NEXT) | instid1(VALU_DEP_1)
	v_bfe_u32 v4, v1, 16, 1
	v_add3_u32 v1, v1, v4, 0x7fff
	s_delay_alu instid0(VALU_DEP_1)
	v_lshrrev_b32_e32 v1, 16, v1
	s_branch .LBB92_1678
.LBB92_1677:
	s_mov_b32 s15, -1
                                        ; implicit-def: $vgpr1
.LBB92_1678:
	s_delay_alu instid0(SALU_CYCLE_1)
	s_and_not1_b32 vcc_lo, exec_lo, s15
	s_cbranch_vccnz .LBB92_1680
; %bb.1679:
	s_wait_loadcnt 0x0
	global_load_u8 v1, v[2:3], off
	s_wait_loadcnt 0x0
	v_cvt_f32_ubyte0_e32 v1, v1
	s_wait_xcnt 0x0
	s_delay_alu instid0(VALU_DEP_1) | instskip(NEXT) | instid1(VALU_DEP_1)
	v_bfe_u32 v2, v1, 16, 1
	v_add3_u32 v1, v1, v2, 0x7fff
	s_delay_alu instid0(VALU_DEP_1)
	v_lshrrev_b32_e32 v1, 16, v1
.LBB92_1680:
.LBB92_1681:
	s_wait_xcnt 0x0
	v_mul_lo_u32 v2, s10, v6
	s_and_b32 s1, s1, 0xff
	s_delay_alu instid0(SALU_CYCLE_1) | instskip(NEXT) | instid1(VALU_DEP_1)
	s_cmp_lt_i32 s1, 11
	v_ashrrev_i32_e32 v3, 31, v2
	s_delay_alu instid0(VALU_DEP_1)
	v_add_nc_u64_e32 v[4:5], s[12:13], v[2:3]
	s_cbranch_scc1 .LBB92_1688
; %bb.1682:
	s_and_b32 s15, 0xffff, s1
	s_mov_b32 s19, 0
	s_cmp_gt_i32 s15, 25
	s_cbranch_scc0 .LBB92_1690
; %bb.1683:
	s_cmp_gt_i32 s15, 28
	s_cbranch_scc0 .LBB92_1691
; %bb.1684:
	;; [unrolled: 3-line block ×4, first 2 shown]
	s_cmp_eq_u32 s15, 46
	s_mov_b32 s21, 0
	s_cbranch_scc0 .LBB92_1697
; %bb.1687:
	global_load_b32 v3, v[4:5], off
	s_mov_b32 s18, 0
	s_mov_b32 s20, -1
	s_branch .LBB92_1699
.LBB92_1688:
	s_mov_b32 s20, 0
                                        ; implicit-def: $vgpr3
	s_cbranch_execnz .LBB92_1764
.LBB92_1689:
	s_and_not1_b32 vcc_lo, exec_lo, s20
	s_cbranch_vccnz .LBB92_3039
	s_branch .LBB92_1811
.LBB92_1690:
	s_mov_b32 s20, 0
	s_mov_b32 s18, 0
                                        ; implicit-def: $vgpr3
	s_cbranch_execnz .LBB92_1728
	s_branch .LBB92_1760
.LBB92_1691:
	s_mov_b32 s21, -1
	s_mov_b32 s20, 0
	s_mov_b32 s18, 0
                                        ; implicit-def: $vgpr3
	s_branch .LBB92_1709
.LBB92_1692:
	s_mov_b32 s21, -1
	s_mov_b32 s20, 0
	s_mov_b32 s18, 0
                                        ; implicit-def: $vgpr3
	s_branch .LBB92_1704
.LBB92_1693:
	s_or_b32 s14, s17, exec_lo
	s_trap 2
	s_cbranch_execz .LBB92_1634
	s_branch .LBB92_1635
.LBB92_1694:
	s_mov_b32 s21, -1
	s_mov_b32 s20, 0
	s_mov_b32 s18, 0
	s_branch .LBB92_1698
.LBB92_1695:
	s_and_not1_saveexec_b32 s25, s25
	s_cbranch_execz .LBB92_1480
.LBB92_1696:
	v_add_f32_e64 v4, 0x42800000, |v5|
	s_and_not1_b32 s24, s24, exec_lo
	s_delay_alu instid0(VALU_DEP_1) | instskip(NEXT) | instid1(VALU_DEP_1)
	v_and_b32_e32 v4, 0xff, v4
	v_cmp_ne_u32_e32 vcc_lo, 0, v4
	s_and_b32 s26, vcc_lo, exec_lo
	s_delay_alu instid0(SALU_CYCLE_1)
	s_or_b32 s24, s24, s26
	s_or_b32 exec_lo, exec_lo, s25
	v_mov_b32_e32 v6, 0
	s_and_saveexec_b32 s25, s24
	s_cbranch_execnz .LBB92_1481
	s_branch .LBB92_1482
.LBB92_1697:
	s_mov_b32 s18, -1
	s_mov_b32 s20, 0
.LBB92_1698:
                                        ; implicit-def: $vgpr3
.LBB92_1699:
	s_and_b32 vcc_lo, exec_lo, s21
	s_cbranch_vccz .LBB92_1703
; %bb.1700:
	s_cmp_eq_u32 s15, 44
	s_cbranch_scc0 .LBB92_1702
; %bb.1701:
	s_wait_loadcnt 0x0
	global_load_u8 v3, v[4:5], off
	s_mov_b32 s18, 0
	s_mov_b32 s20, -1
	s_wait_loadcnt 0x0
	v_lshlrev_b32_e32 v7, 23, v3
	v_cmp_ne_u32_e32 vcc_lo, 0xff, v3
	s_delay_alu instid0(VALU_DEP_2) | instskip(SKIP_1) | instid1(VALU_DEP_2)
	v_cndmask_b32_e32 v7, 0x7f800001, v7, vcc_lo
	v_cmp_ne_u32_e32 vcc_lo, 0, v3
	v_cndmask_b32_e32 v3, 0x400000, v7, vcc_lo
	s_delay_alu instid0(VALU_DEP_1) | instskip(SKIP_1) | instid1(VALU_DEP_2)
	v_add_nc_u32_e32 v7, 0x7fff, v3
	v_cmp_o_f32_e32 vcc_lo, v3, v3
	v_lshrrev_b32_e32 v7, 16, v7
	s_delay_alu instid0(VALU_DEP_1)
	v_cndmask_b32_e32 v3, 0x7fc0, v7, vcc_lo
	s_branch .LBB92_1703
.LBB92_1702:
	s_mov_b32 s18, -1
                                        ; implicit-def: $vgpr3
.LBB92_1703:
	s_mov_b32 s21, 0
.LBB92_1704:
	s_delay_alu instid0(SALU_CYCLE_1)
	s_and_b32 vcc_lo, exec_lo, s21
	s_cbranch_vccz .LBB92_1708
; %bb.1705:
	s_cmp_eq_u32 s15, 29
	s_cbranch_scc0 .LBB92_1707
; %bb.1706:
	global_load_b64 v[8:9], v[4:5], off
	s_mov_b32 s18, 0
	s_mov_b32 s20, -1
	s_mov_b32 s21, 0
	s_wait_loadcnt 0x0
	v_clz_i32_u32_e32 v3, v9
	s_delay_alu instid0(VALU_DEP_1) | instskip(NEXT) | instid1(VALU_DEP_1)
	v_min_u32_e32 v3, 32, v3
	v_lshlrev_b64_e32 v[8:9], v3, v[8:9]
	v_sub_nc_u32_e32 v3, 32, v3
	s_delay_alu instid0(VALU_DEP_2) | instskip(NEXT) | instid1(VALU_DEP_1)
	v_min_u32_e32 v7, 1, v8
	v_or_b32_e32 v7, v9, v7
	s_delay_alu instid0(VALU_DEP_1) | instskip(NEXT) | instid1(VALU_DEP_1)
	v_cvt_f32_u32_e32 v7, v7
	v_ldexp_f32 v3, v7, v3
	s_delay_alu instid0(VALU_DEP_1) | instskip(NEXT) | instid1(VALU_DEP_1)
	v_bfe_u32 v7, v3, 16, 1
	v_add3_u32 v3, v3, v7, 0x7fff
	s_delay_alu instid0(VALU_DEP_1)
	v_lshrrev_b32_e32 v3, 16, v3
	s_branch .LBB92_1709
.LBB92_1707:
	s_mov_b32 s18, -1
                                        ; implicit-def: $vgpr3
.LBB92_1708:
	s_mov_b32 s21, 0
.LBB92_1709:
	s_delay_alu instid0(SALU_CYCLE_1)
	s_and_b32 vcc_lo, exec_lo, s21
	s_cbranch_vccz .LBB92_1727
; %bb.1710:
	s_cmp_lt_i32 s15, 27
	s_cbranch_scc1 .LBB92_1713
; %bb.1711:
	s_cmp_gt_i32 s15, 27
	s_cbranch_scc0 .LBB92_1714
; %bb.1712:
	s_wait_loadcnt 0x0
	global_load_b32 v3, v[4:5], off
	s_mov_b32 s20, 0
	s_wait_loadcnt 0x0
	v_cvt_f32_u32_e32 v3, v3
	s_delay_alu instid0(VALU_DEP_1) | instskip(NEXT) | instid1(VALU_DEP_1)
	v_bfe_u32 v7, v3, 16, 1
	v_add3_u32 v3, v3, v7, 0x7fff
	s_delay_alu instid0(VALU_DEP_1)
	v_lshrrev_b32_e32 v3, 16, v3
	s_branch .LBB92_1715
.LBB92_1713:
	s_mov_b32 s20, -1
                                        ; implicit-def: $vgpr3
	s_branch .LBB92_1718
.LBB92_1714:
	s_mov_b32 s20, -1
                                        ; implicit-def: $vgpr3
.LBB92_1715:
	s_delay_alu instid0(SALU_CYCLE_1)
	s_and_not1_b32 vcc_lo, exec_lo, s20
	s_cbranch_vccnz .LBB92_1717
; %bb.1716:
	s_wait_loadcnt 0x0
	global_load_u16 v3, v[4:5], off
	s_wait_loadcnt 0x0
	v_cvt_f32_u32_e32 v3, v3
	s_delay_alu instid0(VALU_DEP_1) | instskip(NEXT) | instid1(VALU_DEP_1)
	v_bfe_u32 v7, v3, 16, 1
	v_add3_u32 v3, v3, v7, 0x7fff
	s_delay_alu instid0(VALU_DEP_1)
	v_lshrrev_b32_e32 v3, 16, v3
.LBB92_1717:
	s_mov_b32 s20, 0
.LBB92_1718:
	s_delay_alu instid0(SALU_CYCLE_1)
	s_and_not1_b32 vcc_lo, exec_lo, s20
	s_cbranch_vccnz .LBB92_1726
; %bb.1719:
	s_wait_loadcnt 0x0
	global_load_u8 v3, v[4:5], off
	s_mov_b32 s20, 0
	s_mov_b32 s21, exec_lo
	s_wait_loadcnt 0x0
	v_cmpx_lt_i16_e32 0x7f, v3
	s_xor_b32 s21, exec_lo, s21
	s_cbranch_execz .LBB92_1739
; %bb.1720:
	s_mov_b32 s20, -1
	s_mov_b32 s22, exec_lo
	v_cmpx_eq_u16_e32 0x80, v3
; %bb.1721:
	s_xor_b32 s20, exec_lo, -1
; %bb.1722:
	s_or_b32 exec_lo, exec_lo, s22
	s_delay_alu instid0(SALU_CYCLE_1)
	s_and_b32 s20, s20, exec_lo
	s_or_saveexec_b32 s21, s21
	v_mov_b32_e32 v7, 0x7f800001
	s_xor_b32 exec_lo, exec_lo, s21
	s_cbranch_execnz .LBB92_1740
.LBB92_1723:
	s_or_b32 exec_lo, exec_lo, s21
	s_and_saveexec_b32 s21, s20
	s_cbranch_execz .LBB92_1725
.LBB92_1724:
	v_and_b32_e32 v7, 0xffff, v3
	s_delay_alu instid0(VALU_DEP_1) | instskip(SKIP_1) | instid1(VALU_DEP_2)
	v_and_b32_e32 v8, 7, v7
	v_bfe_u32 v11, v7, 3, 4
	v_clz_i32_u32_e32 v9, v8
	s_delay_alu instid0(VALU_DEP_2) | instskip(NEXT) | instid1(VALU_DEP_2)
	v_cmp_eq_u32_e32 vcc_lo, 0, v11
	v_min_u32_e32 v9, 32, v9
	s_delay_alu instid0(VALU_DEP_1) | instskip(NEXT) | instid1(VALU_DEP_1)
	v_subrev_nc_u32_e32 v10, 28, v9
	v_dual_lshlrev_b32 v7, v10, v7 :: v_dual_sub_nc_u32 v9, 29, v9
	s_delay_alu instid0(VALU_DEP_1) | instskip(NEXT) | instid1(VALU_DEP_2)
	v_and_b32_e32 v7, 7, v7
	v_dual_lshlrev_b32 v3, 24, v3 :: v_dual_cndmask_b32 v9, v11, v9, vcc_lo
	s_delay_alu instid0(VALU_DEP_2) | instskip(NEXT) | instid1(VALU_DEP_2)
	v_cndmask_b32_e32 v7, v8, v7, vcc_lo
	v_and_b32_e32 v3, 0x80000000, v3
	s_delay_alu instid0(VALU_DEP_3) | instskip(NEXT) | instid1(VALU_DEP_3)
	v_lshl_add_u32 v8, v9, 23, 0x3b800000
	v_lshlrev_b32_e32 v7, 20, v7
	s_delay_alu instid0(VALU_DEP_1)
	v_or3_b32 v7, v3, v8, v7
.LBB92_1725:
	s_or_b32 exec_lo, exec_lo, s21
	s_delay_alu instid0(VALU_DEP_1) | instskip(SKIP_1) | instid1(VALU_DEP_2)
	v_bfe_u32 v3, v7, 16, 1
	v_cmp_o_f32_e32 vcc_lo, v7, v7
	v_add3_u32 v3, v7, v3, 0x7fff
	s_delay_alu instid0(VALU_DEP_1) | instskip(NEXT) | instid1(VALU_DEP_1)
	v_lshrrev_b32_e32 v3, 16, v3
	v_cndmask_b32_e32 v3, 0x7fc0, v3, vcc_lo
.LBB92_1726:
	s_mov_b32 s20, -1
.LBB92_1727:
	s_branch .LBB92_1760
.LBB92_1728:
	s_cmp_gt_i32 s15, 22
	s_cbranch_scc0 .LBB92_1738
; %bb.1729:
	s_cmp_lt_i32 s15, 24
	s_cbranch_scc1 .LBB92_1741
; %bb.1730:
	s_cmp_gt_i32 s15, 24
	s_cbranch_scc0 .LBB92_1742
; %bb.1731:
	s_wait_loadcnt 0x0
	global_load_u8 v3, v[4:5], off
	s_mov_b32 s20, exec_lo
	s_wait_loadcnt 0x0
	v_cmpx_lt_i16_e32 0x7f, v3
	s_xor_b32 s20, exec_lo, s20
	s_cbranch_execz .LBB92_1754
; %bb.1732:
	s_mov_b32 s19, -1
	s_mov_b32 s21, exec_lo
	v_cmpx_eq_u16_e32 0x80, v3
; %bb.1733:
	s_xor_b32 s19, exec_lo, -1
; %bb.1734:
	s_or_b32 exec_lo, exec_lo, s21
	s_delay_alu instid0(SALU_CYCLE_1)
	s_and_b32 s19, s19, exec_lo
	s_or_saveexec_b32 s20, s20
	v_mov_b32_e32 v7, 0x7f800001
	s_xor_b32 exec_lo, exec_lo, s20
	s_cbranch_execnz .LBB92_1755
.LBB92_1735:
	s_or_b32 exec_lo, exec_lo, s20
	s_and_saveexec_b32 s20, s19
	s_cbranch_execz .LBB92_1737
.LBB92_1736:
	v_and_b32_e32 v7, 0xffff, v3
	s_delay_alu instid0(VALU_DEP_1) | instskip(SKIP_1) | instid1(VALU_DEP_2)
	v_and_b32_e32 v8, 3, v7
	v_bfe_u32 v11, v7, 2, 5
	v_clz_i32_u32_e32 v9, v8
	s_delay_alu instid0(VALU_DEP_2) | instskip(NEXT) | instid1(VALU_DEP_2)
	v_cmp_eq_u32_e32 vcc_lo, 0, v11
	v_min_u32_e32 v9, 32, v9
	s_delay_alu instid0(VALU_DEP_1) | instskip(NEXT) | instid1(VALU_DEP_1)
	v_subrev_nc_u32_e32 v10, 29, v9
	v_dual_lshlrev_b32 v7, v10, v7 :: v_dual_sub_nc_u32 v9, 30, v9
	s_delay_alu instid0(VALU_DEP_1) | instskip(NEXT) | instid1(VALU_DEP_2)
	v_and_b32_e32 v7, 3, v7
	v_dual_lshlrev_b32 v3, 24, v3 :: v_dual_cndmask_b32 v9, v11, v9, vcc_lo
	s_delay_alu instid0(VALU_DEP_2) | instskip(NEXT) | instid1(VALU_DEP_2)
	v_cndmask_b32_e32 v7, v8, v7, vcc_lo
	v_and_b32_e32 v3, 0x80000000, v3
	s_delay_alu instid0(VALU_DEP_3) | instskip(NEXT) | instid1(VALU_DEP_3)
	v_lshl_add_u32 v8, v9, 23, 0x37800000
	v_lshlrev_b32_e32 v7, 21, v7
	s_delay_alu instid0(VALU_DEP_1)
	v_or3_b32 v7, v3, v8, v7
.LBB92_1737:
	s_or_b32 exec_lo, exec_lo, s20
	s_delay_alu instid0(VALU_DEP_1) | instskip(SKIP_2) | instid1(VALU_DEP_2)
	v_bfe_u32 v3, v7, 16, 1
	v_cmp_o_f32_e32 vcc_lo, v7, v7
	s_mov_b32 s19, 0
	v_add3_u32 v3, v7, v3, 0x7fff
	s_delay_alu instid0(VALU_DEP_1) | instskip(NEXT) | instid1(VALU_DEP_1)
	v_lshrrev_b32_e32 v3, 16, v3
	v_cndmask_b32_e32 v3, 0x7fc0, v3, vcc_lo
	s_branch .LBB92_1743
.LBB92_1738:
	s_mov_b32 s19, -1
                                        ; implicit-def: $vgpr3
	s_branch .LBB92_1749
.LBB92_1739:
	s_or_saveexec_b32 s21, s21
	v_mov_b32_e32 v7, 0x7f800001
	s_xor_b32 exec_lo, exec_lo, s21
	s_cbranch_execz .LBB92_1723
.LBB92_1740:
	v_cmp_ne_u16_e32 vcc_lo, 0, v3
	v_mov_b32_e32 v7, 0
	s_and_not1_b32 s20, s20, exec_lo
	s_and_b32 s22, vcc_lo, exec_lo
	s_delay_alu instid0(SALU_CYCLE_1)
	s_or_b32 s20, s20, s22
	s_or_b32 exec_lo, exec_lo, s21
	s_and_saveexec_b32 s21, s20
	s_cbranch_execnz .LBB92_1724
	s_branch .LBB92_1725
.LBB92_1741:
	s_mov_b32 s19, -1
                                        ; implicit-def: $vgpr3
	s_branch .LBB92_1746
.LBB92_1742:
	s_mov_b32 s19, -1
                                        ; implicit-def: $vgpr3
.LBB92_1743:
	s_delay_alu instid0(SALU_CYCLE_1)
	s_and_b32 vcc_lo, exec_lo, s19
	s_cbranch_vccz .LBB92_1745
; %bb.1744:
	s_wait_loadcnt 0x0
	global_load_u8 v3, v[4:5], off
	s_wait_loadcnt 0x0
	v_lshlrev_b32_e32 v3, 24, v3
	s_delay_alu instid0(VALU_DEP_1) | instskip(NEXT) | instid1(VALU_DEP_1)
	v_and_b32_e32 v7, 0x7f000000, v3
	v_clz_i32_u32_e32 v8, v7
	v_cmp_ne_u32_e32 vcc_lo, 0, v7
	v_add_nc_u32_e32 v10, 0x1000000, v7
	s_delay_alu instid0(VALU_DEP_3) | instskip(NEXT) | instid1(VALU_DEP_1)
	v_min_u32_e32 v8, 32, v8
	v_sub_nc_u32_e64 v8, v8, 4 clamp
	s_delay_alu instid0(VALU_DEP_1) | instskip(NEXT) | instid1(VALU_DEP_1)
	v_dual_lshlrev_b32 v9, v8, v7 :: v_dual_lshlrev_b32 v8, 23, v8
	v_lshrrev_b32_e32 v9, 4, v9
	s_delay_alu instid0(VALU_DEP_1) | instskip(NEXT) | instid1(VALU_DEP_1)
	v_dual_sub_nc_u32 v8, v9, v8 :: v_dual_ashrrev_i32 v9, 8, v10
	v_add_nc_u32_e32 v8, 0x3c000000, v8
	s_delay_alu instid0(VALU_DEP_1) | instskip(NEXT) | instid1(VALU_DEP_1)
	v_and_or_b32 v8, 0x7f800000, v9, v8
	v_cndmask_b32_e32 v7, 0, v8, vcc_lo
	s_delay_alu instid0(VALU_DEP_1) | instskip(SKIP_1) | instid1(VALU_DEP_2)
	v_and_or_b32 v3, 0x80000000, v3, v7
	v_bfe_u32 v7, v7, 16, 1
	v_cmp_o_f32_e32 vcc_lo, v3, v3
	s_delay_alu instid0(VALU_DEP_2) | instskip(NEXT) | instid1(VALU_DEP_1)
	v_add3_u32 v7, v3, v7, 0x7fff
	v_lshrrev_b32_e32 v7, 16, v7
	s_delay_alu instid0(VALU_DEP_1)
	v_cndmask_b32_e32 v3, 0x7fc0, v7, vcc_lo
.LBB92_1745:
	s_mov_b32 s19, 0
.LBB92_1746:
	s_delay_alu instid0(SALU_CYCLE_1)
	s_and_not1_b32 vcc_lo, exec_lo, s19
	s_cbranch_vccnz .LBB92_1748
; %bb.1747:
	s_wait_loadcnt 0x0
	global_load_u8 v3, v[4:5], off
	s_wait_loadcnt 0x0
	v_lshlrev_b32_e32 v7, 25, v3
	v_lshlrev_b16 v3, 8, v3
	s_delay_alu instid0(VALU_DEP_1) | instskip(SKIP_1) | instid1(VALU_DEP_2)
	v_and_or_b32 v9, 0x7f00, v3, 0.5
	v_bfe_i32 v3, v3, 0, 16
	v_dual_add_f32 v9, -0.5, v9 :: v_dual_lshrrev_b32 v8, 4, v7
	v_cmp_gt_u32_e32 vcc_lo, 0x8000000, v7
	s_delay_alu instid0(VALU_DEP_2) | instskip(NEXT) | instid1(VALU_DEP_1)
	v_or_b32_e32 v8, 0x70000000, v8
	v_mul_f32_e32 v8, 0x7800000, v8
	s_delay_alu instid0(VALU_DEP_1) | instskip(NEXT) | instid1(VALU_DEP_1)
	v_cndmask_b32_e32 v7, v8, v9, vcc_lo
	v_and_or_b32 v3, 0x80000000, v3, v7
	v_bfe_u32 v7, v7, 16, 1
	s_delay_alu instid0(VALU_DEP_2) | instskip(NEXT) | instid1(VALU_DEP_2)
	v_cmp_o_f32_e32 vcc_lo, v3, v3
	v_add3_u32 v7, v3, v7, 0x7fff
	s_delay_alu instid0(VALU_DEP_1) | instskip(NEXT) | instid1(VALU_DEP_1)
	v_lshrrev_b32_e32 v7, 16, v7
	v_cndmask_b32_e32 v3, 0x7fc0, v7, vcc_lo
.LBB92_1748:
	s_mov_b32 s19, 0
	s_mov_b32 s20, -1
.LBB92_1749:
	s_and_not1_b32 vcc_lo, exec_lo, s19
	s_mov_b32 s19, 0
	s_cbranch_vccnz .LBB92_1760
; %bb.1750:
	s_cmp_gt_i32 s15, 14
	s_cbranch_scc0 .LBB92_1753
; %bb.1751:
	s_cmp_eq_u32 s15, 15
	s_cbranch_scc0 .LBB92_1756
; %bb.1752:
	s_wait_loadcnt 0x0
	global_load_u16 v3, v[4:5], off
	s_mov_b32 s18, 0
	s_mov_b32 s20, -1
	s_branch .LBB92_1758
.LBB92_1753:
	s_mov_b32 s19, -1
	s_branch .LBB92_1757
.LBB92_1754:
	s_or_saveexec_b32 s20, s20
	v_mov_b32_e32 v7, 0x7f800001
	s_xor_b32 exec_lo, exec_lo, s20
	s_cbranch_execz .LBB92_1735
.LBB92_1755:
	v_cmp_ne_u16_e32 vcc_lo, 0, v3
	v_mov_b32_e32 v7, 0
	s_and_not1_b32 s19, s19, exec_lo
	s_and_b32 s21, vcc_lo, exec_lo
	s_delay_alu instid0(SALU_CYCLE_1)
	s_or_b32 s19, s19, s21
	s_or_b32 exec_lo, exec_lo, s20
	s_and_saveexec_b32 s20, s19
	s_cbranch_execnz .LBB92_1736
	s_branch .LBB92_1737
.LBB92_1756:
	s_mov_b32 s18, -1
.LBB92_1757:
                                        ; implicit-def: $vgpr3
.LBB92_1758:
	s_and_b32 vcc_lo, exec_lo, s19
	s_mov_b32 s19, 0
	s_cbranch_vccz .LBB92_1760
; %bb.1759:
	s_cmp_lg_u32 s15, 11
	s_mov_b32 s19, -1
	s_cselect_b32 s18, -1, 0
.LBB92_1760:
	s_delay_alu instid0(SALU_CYCLE_1)
	s_and_b32 vcc_lo, exec_lo, s18
	s_cbranch_vccnz .LBB92_1825
; %bb.1761:
	s_and_not1_b32 vcc_lo, exec_lo, s19
	s_cbranch_vccnz .LBB92_1763
.LBB92_1762:
	s_wait_loadcnt 0x0
	global_load_u8 v3, v[4:5], off
	s_mov_b32 s20, -1
	s_wait_loadcnt 0x0
	v_cmp_ne_u16_e32 vcc_lo, 0, v3
	v_cndmask_b32_e64 v3, 0, 1.0, vcc_lo
	s_delay_alu instid0(VALU_DEP_1)
	v_lshrrev_b32_e32 v3, 16, v3
.LBB92_1763:
	s_branch .LBB92_1689
.LBB92_1764:
	s_and_b32 s15, 0xffff, s1
	s_delay_alu instid0(SALU_CYCLE_1)
	s_cmp_lt_i32 s15, 5
	s_cbranch_scc1 .LBB92_1769
; %bb.1765:
	s_cmp_lt_i32 s15, 8
	s_cbranch_scc1 .LBB92_1770
; %bb.1766:
	;; [unrolled: 3-line block ×3, first 2 shown]
	s_cmp_gt_i32 s15, 9
	s_cbranch_scc0 .LBB92_1772
; %bb.1768:
	global_load_b64 v[8:9], v[4:5], off
	s_mov_b32 s18, 0
	s_wait_loadcnt 0x0
	v_cvt_f32_f64_e32 v3, v[8:9]
	s_delay_alu instid0(VALU_DEP_1) | instskip(SKIP_1) | instid1(VALU_DEP_2)
	v_bfe_u32 v7, v3, 16, 1
	v_cmp_o_f32_e32 vcc_lo, v3, v3
	v_add3_u32 v7, v3, v7, 0x7fff
	s_delay_alu instid0(VALU_DEP_1) | instskip(NEXT) | instid1(VALU_DEP_1)
	v_lshrrev_b32_e32 v7, 16, v7
	v_cndmask_b32_e32 v3, 0x7fc0, v7, vcc_lo
	s_branch .LBB92_1773
.LBB92_1769:
                                        ; implicit-def: $vgpr3
	s_branch .LBB92_1791
.LBB92_1770:
	s_mov_b32 s18, -1
                                        ; implicit-def: $vgpr3
	s_branch .LBB92_1779
.LBB92_1771:
	s_mov_b32 s18, -1
                                        ; implicit-def: $vgpr3
	s_branch .LBB92_1776
.LBB92_1772:
	s_mov_b32 s18, -1
                                        ; implicit-def: $vgpr3
.LBB92_1773:
	s_delay_alu instid0(SALU_CYCLE_1)
	s_and_not1_b32 vcc_lo, exec_lo, s18
	s_cbranch_vccnz .LBB92_1775
; %bb.1774:
	s_wait_loadcnt 0x0
	global_load_b32 v3, v[4:5], off
	s_wait_loadcnt 0x0
	v_bfe_u32 v7, v3, 16, 1
	v_cmp_o_f32_e32 vcc_lo, v3, v3
	s_delay_alu instid0(VALU_DEP_2) | instskip(NEXT) | instid1(VALU_DEP_1)
	v_add3_u32 v7, v3, v7, 0x7fff
	v_lshrrev_b32_e32 v7, 16, v7
	s_delay_alu instid0(VALU_DEP_1)
	v_cndmask_b32_e32 v3, 0x7fc0, v7, vcc_lo
.LBB92_1775:
	s_mov_b32 s18, 0
.LBB92_1776:
	s_delay_alu instid0(SALU_CYCLE_1)
	s_and_not1_b32 vcc_lo, exec_lo, s18
	s_cbranch_vccnz .LBB92_1778
; %bb.1777:
	s_wait_loadcnt 0x0
	global_load_b32 v3, v[4:5], off
	s_wait_loadcnt 0x0
	v_cvt_f32_f16_e32 v7, v3
	v_cmp_o_f16_e32 vcc_lo, v3, v3
	s_delay_alu instid0(VALU_DEP_2) | instskip(NEXT) | instid1(VALU_DEP_1)
	v_bfe_u32 v8, v7, 16, 1
	v_add3_u32 v7, v7, v8, 0x7fff
	s_delay_alu instid0(VALU_DEP_1) | instskip(NEXT) | instid1(VALU_DEP_1)
	v_lshrrev_b32_e32 v7, 16, v7
	v_cndmask_b32_e32 v3, 0x7fc0, v7, vcc_lo
.LBB92_1778:
	s_mov_b32 s18, 0
.LBB92_1779:
	s_delay_alu instid0(SALU_CYCLE_1)
	s_and_not1_b32 vcc_lo, exec_lo, s18
	s_cbranch_vccnz .LBB92_1790
; %bb.1780:
	s_cmp_lt_i32 s15, 6
	s_cbranch_scc1 .LBB92_1783
; %bb.1781:
	s_cmp_gt_i32 s15, 6
	s_cbranch_scc0 .LBB92_1784
; %bb.1782:
	global_load_b64 v[8:9], v[4:5], off
	s_mov_b32 s18, 0
	s_wait_loadcnt 0x0
	v_cvt_f32_f64_e32 v3, v[8:9]
	s_delay_alu instid0(VALU_DEP_1) | instskip(SKIP_1) | instid1(VALU_DEP_2)
	v_bfe_u32 v7, v3, 16, 1
	v_cmp_o_f32_e32 vcc_lo, v3, v3
	v_add3_u32 v7, v3, v7, 0x7fff
	s_delay_alu instid0(VALU_DEP_1) | instskip(NEXT) | instid1(VALU_DEP_1)
	v_lshrrev_b32_e32 v7, 16, v7
	v_cndmask_b32_e32 v3, 0x7fc0, v7, vcc_lo
	s_branch .LBB92_1785
.LBB92_1783:
	s_mov_b32 s18, -1
                                        ; implicit-def: $vgpr3
	s_branch .LBB92_1788
.LBB92_1784:
	s_mov_b32 s18, -1
                                        ; implicit-def: $vgpr3
.LBB92_1785:
	s_delay_alu instid0(SALU_CYCLE_1)
	s_and_not1_b32 vcc_lo, exec_lo, s18
	s_cbranch_vccnz .LBB92_1787
; %bb.1786:
	s_wait_loadcnt 0x0
	global_load_b32 v3, v[4:5], off
	s_wait_loadcnt 0x0
	v_bfe_u32 v7, v3, 16, 1
	v_cmp_o_f32_e32 vcc_lo, v3, v3
	s_delay_alu instid0(VALU_DEP_2) | instskip(NEXT) | instid1(VALU_DEP_1)
	v_add3_u32 v7, v3, v7, 0x7fff
	v_lshrrev_b32_e32 v7, 16, v7
	s_delay_alu instid0(VALU_DEP_1)
	v_cndmask_b32_e32 v3, 0x7fc0, v7, vcc_lo
.LBB92_1787:
	s_mov_b32 s18, 0
.LBB92_1788:
	s_delay_alu instid0(SALU_CYCLE_1)
	s_and_not1_b32 vcc_lo, exec_lo, s18
	s_cbranch_vccnz .LBB92_1790
; %bb.1789:
	s_wait_loadcnt 0x0
	global_load_u16 v3, v[4:5], off
	s_wait_loadcnt 0x0
	v_cvt_f32_f16_e32 v7, v3
	v_cmp_o_f16_e32 vcc_lo, v3, v3
	s_delay_alu instid0(VALU_DEP_2) | instskip(NEXT) | instid1(VALU_DEP_1)
	v_bfe_u32 v8, v7, 16, 1
	v_add3_u32 v7, v7, v8, 0x7fff
	s_delay_alu instid0(VALU_DEP_1) | instskip(NEXT) | instid1(VALU_DEP_1)
	v_lshrrev_b32_e32 v7, 16, v7
	v_cndmask_b32_e32 v3, 0x7fc0, v7, vcc_lo
.LBB92_1790:
	s_cbranch_execnz .LBB92_1810
.LBB92_1791:
	s_cmp_lt_i32 s15, 2
	s_cbranch_scc1 .LBB92_1795
; %bb.1792:
	s_cmp_lt_i32 s15, 3
	s_cbranch_scc1 .LBB92_1796
; %bb.1793:
	s_cmp_gt_i32 s15, 3
	s_cbranch_scc0 .LBB92_1797
; %bb.1794:
	global_load_b64 v[8:9], v[4:5], off
	s_mov_b32 s18, 0
	s_wait_loadcnt 0x0
	v_xor_b32_e32 v3, v8, v9
	v_cls_i32_e32 v7, v9
	s_delay_alu instid0(VALU_DEP_2) | instskip(NEXT) | instid1(VALU_DEP_1)
	v_ashrrev_i32_e32 v3, 31, v3
	v_add_nc_u32_e32 v3, 32, v3
	s_delay_alu instid0(VALU_DEP_1) | instskip(NEXT) | instid1(VALU_DEP_1)
	v_add_min_u32_e64 v3, v7, -1, v3
	v_lshlrev_b64_e32 v[8:9], v3, v[8:9]
	v_sub_nc_u32_e32 v3, 32, v3
	s_delay_alu instid0(VALU_DEP_2) | instskip(NEXT) | instid1(VALU_DEP_1)
	v_min_u32_e32 v7, 1, v8
	v_or_b32_e32 v7, v9, v7
	s_delay_alu instid0(VALU_DEP_1) | instskip(NEXT) | instid1(VALU_DEP_1)
	v_cvt_f32_i32_e32 v7, v7
	v_ldexp_f32 v3, v7, v3
	s_delay_alu instid0(VALU_DEP_1) | instskip(NEXT) | instid1(VALU_DEP_1)
	v_bfe_u32 v7, v3, 16, 1
	v_add3_u32 v3, v3, v7, 0x7fff
	s_delay_alu instid0(VALU_DEP_1)
	v_lshrrev_b32_e32 v3, 16, v3
	s_branch .LBB92_1798
.LBB92_1795:
	s_mov_b32 s18, -1
                                        ; implicit-def: $vgpr3
	s_branch .LBB92_1804
.LBB92_1796:
	s_mov_b32 s18, -1
                                        ; implicit-def: $vgpr3
	s_branch .LBB92_1801
.LBB92_1797:
	s_mov_b32 s18, -1
                                        ; implicit-def: $vgpr3
.LBB92_1798:
	s_delay_alu instid0(SALU_CYCLE_1)
	s_and_not1_b32 vcc_lo, exec_lo, s18
	s_cbranch_vccnz .LBB92_1800
; %bb.1799:
	s_wait_loadcnt 0x0
	global_load_b32 v3, v[4:5], off
	s_wait_loadcnt 0x0
	v_cvt_f32_i32_e32 v3, v3
	s_delay_alu instid0(VALU_DEP_1) | instskip(NEXT) | instid1(VALU_DEP_1)
	v_bfe_u32 v7, v3, 16, 1
	v_add3_u32 v3, v3, v7, 0x7fff
	s_delay_alu instid0(VALU_DEP_1)
	v_lshrrev_b32_e32 v3, 16, v3
.LBB92_1800:
	s_mov_b32 s18, 0
.LBB92_1801:
	s_delay_alu instid0(SALU_CYCLE_1)
	s_and_not1_b32 vcc_lo, exec_lo, s18
	s_cbranch_vccnz .LBB92_1803
; %bb.1802:
	s_wait_loadcnt 0x0
	global_load_i16 v3, v[4:5], off
	s_wait_loadcnt 0x0
	v_cvt_f32_i32_e32 v3, v3
	s_delay_alu instid0(VALU_DEP_1) | instskip(NEXT) | instid1(VALU_DEP_1)
	v_bfe_u32 v7, v3, 16, 1
	v_add3_u32 v3, v3, v7, 0x7fff
	s_delay_alu instid0(VALU_DEP_1)
	v_lshrrev_b32_e32 v3, 16, v3
.LBB92_1803:
	s_mov_b32 s18, 0
.LBB92_1804:
	s_delay_alu instid0(SALU_CYCLE_1)
	s_and_not1_b32 vcc_lo, exec_lo, s18
	s_cbranch_vccnz .LBB92_1810
; %bb.1805:
	s_cmp_gt_i32 s15, 0
	s_mov_b32 s15, 0
	s_cbranch_scc0 .LBB92_1807
; %bb.1806:
	s_wait_loadcnt 0x0
	global_load_i8 v3, v[4:5], off
	s_wait_loadcnt 0x0
	v_cvt_f32_i32_e32 v3, v3
	s_delay_alu instid0(VALU_DEP_1) | instskip(NEXT) | instid1(VALU_DEP_1)
	v_bfe_u32 v7, v3, 16, 1
	v_add3_u32 v3, v3, v7, 0x7fff
	s_delay_alu instid0(VALU_DEP_1)
	v_lshrrev_b32_e32 v3, 16, v3
	s_branch .LBB92_1808
.LBB92_1807:
	s_mov_b32 s15, -1
                                        ; implicit-def: $vgpr3
.LBB92_1808:
	s_delay_alu instid0(SALU_CYCLE_1)
	s_and_not1_b32 vcc_lo, exec_lo, s15
	s_cbranch_vccnz .LBB92_1810
; %bb.1809:
	s_wait_loadcnt 0x0
	global_load_u8 v3, v[4:5], off
	s_wait_loadcnt 0x0
	v_cvt_f32_ubyte0_e32 v3, v3
	s_wait_xcnt 0x0
	s_delay_alu instid0(VALU_DEP_1) | instskip(NEXT) | instid1(VALU_DEP_1)
	v_bfe_u32 v4, v3, 16, 1
	v_add3_u32 v3, v3, v4, 0x7fff
	s_delay_alu instid0(VALU_DEP_1)
	v_lshrrev_b32_e32 v3, 16, v3
.LBB92_1810:
.LBB92_1811:
	s_wait_loadcnt 0x0
	s_delay_alu instid0(VALU_DEP_1) | instskip(SKIP_1) | instid1(VALU_DEP_1)
	v_dual_lshlrev_b32 v3, 16, v3 :: v_dual_lshlrev_b32 v7, 16, v1
	s_mov_b32 s15, exec_lo
	v_mul_f32_e32 v3, s11, v3
	s_wait_xcnt 0x0
	s_delay_alu instid0(VALU_DEP_1)
	v_cmpx_nlt_f32_e32 s2, v3
	s_cbranch_execz .LBB92_1813
; %bb.1812:
	v_mul_f32_e32 v1, 0x3fb8aa3b, v3
	v_cmp_ngt_f32_e32 vcc_lo, 0xc2ce8ed0, v3
	s_delay_alu instid0(VALU_DEP_2) | instskip(SKIP_1) | instid1(VALU_DEP_2)
	v_rndne_f32_e32 v4, v1
	v_fma_f32 v5, 0x3fb8aa3b, v3, -v1
	v_sub_f32_e32 v1, v1, v4
	s_delay_alu instid0(VALU_DEP_2) | instskip(SKIP_1) | instid1(VALU_DEP_2)
	v_fmamk_f32 v5, v3, 0x32a5705f, v5
	v_cvt_i32_f32_e32 v4, v4
	v_add_f32_e32 v1, v1, v5
	s_delay_alu instid0(VALU_DEP_1) | instskip(SKIP_1) | instid1(TRANS32_DEP_1)
	v_exp_f32_e32 v1, v1
	v_nop
	v_ldexp_f32 v1, v1, v4
	s_delay_alu instid0(VALU_DEP_1) | instskip(SKIP_1) | instid1(VALU_DEP_2)
	v_cndmask_b32_e32 v1, 0, v1, vcc_lo
	v_cmp_nlt_f32_e32 vcc_lo, 0x42b17218, v3
	v_cndmask_b32_e32 v1, 0x7f800000, v1, vcc_lo
	s_delay_alu instid0(VALU_DEP_1) | instskip(NEXT) | instid1(VALU_DEP_1)
	v_dual_mul_f32 v3, v1, v7 :: v_dual_add_f32 v1, 1.0, v1
	v_div_scale_f32 v4, null, v1, v1, v3
	s_delay_alu instid0(VALU_DEP_1) | instskip(SKIP_1) | instid1(TRANS32_DEP_1)
	v_rcp_f32_e32 v5, v4
	v_nop
	v_fma_f32 v7, -v4, v5, 1.0
	s_delay_alu instid0(VALU_DEP_1) | instskip(SKIP_1) | instid1(VALU_DEP_1)
	v_fmac_f32_e32 v5, v7, v5
	v_div_scale_f32 v7, vcc_lo, v3, v1, v3
	v_mul_f32_e32 v8, v7, v5
	s_delay_alu instid0(VALU_DEP_1) | instskip(NEXT) | instid1(VALU_DEP_1)
	v_fma_f32 v9, -v4, v8, v7
	v_fmac_f32_e32 v8, v9, v5
	s_delay_alu instid0(VALU_DEP_1) | instskip(NEXT) | instid1(VALU_DEP_1)
	v_fma_f32 v4, -v4, v8, v7
	v_div_fmas_f32 v4, v4, v5, v8
	s_delay_alu instid0(VALU_DEP_1)
	v_div_fixup_f32 v7, v4, v1, v3
.LBB92_1813:
	s_or_b32 exec_lo, exec_lo, s15
	s_lshl_b32 s9, s9, 7
	s_cmp_lt_i32 s0, 11
	v_add_nc_u32_e32 v0, s9, v0
	s_delay_alu instid0(VALU_DEP_1) | instskip(NEXT) | instid1(VALU_DEP_1)
	v_ashrrev_i32_e32 v1, 31, v0
	v_add_nc_u64_e32 v[4:5], s[6:7], v[0:1]
	s_cbranch_scc1 .LBB92_1820
; %bb.1814:
	s_and_b32 s15, 0xffff, s0
	s_mov_b32 s19, 0
	s_cmp_gt_i32 s15, 25
	s_cbranch_scc0 .LBB92_1822
; %bb.1815:
	s_cmp_gt_i32 s15, 28
	s_cbranch_scc0 .LBB92_1823
; %bb.1816:
	s_cmp_gt_i32 s15, 43
	s_cbranch_scc0 .LBB92_1824
; %bb.1817:
	s_cmp_gt_i32 s15, 45
	s_cbranch_scc0 .LBB92_1826
; %bb.1818:
	s_cmp_eq_u32 s15, 46
	s_mov_b32 s21, 0
	s_cbranch_scc0 .LBB92_1827
; %bb.1819:
	global_load_b32 v1, v[4:5], off
	s_mov_b32 s18, 0
	s_mov_b32 s20, -1
	s_branch .LBB92_1829
.LBB92_1820:
	s_mov_b32 s20, 0
                                        ; implicit-def: $vgpr1
	s_cbranch_execnz .LBB92_1895
.LBB92_1821:
	s_and_not1_b32 vcc_lo, exec_lo, s20
	s_cbranch_vccnz .LBB92_3039
	s_branch .LBB92_1943
.LBB92_1822:
	s_mov_b32 s21, -1
	s_mov_b32 s20, 0
	s_mov_b32 s18, 0
                                        ; implicit-def: $vgpr1
	s_branch .LBB92_1858
.LBB92_1823:
	s_mov_b32 s21, -1
	s_mov_b32 s20, 0
	s_mov_b32 s18, 0
                                        ; implicit-def: $vgpr1
	s_branch .LBB92_1839
.LBB92_1824:
	s_mov_b32 s21, -1
	s_mov_b32 s20, 0
	s_mov_b32 s18, 0
                                        ; implicit-def: $vgpr1
	s_branch .LBB92_1834
.LBB92_1825:
	s_or_b32 s14, s14, exec_lo
	s_trap 2
	s_cbranch_execz .LBB92_1762
	s_branch .LBB92_1763
.LBB92_1826:
	s_mov_b32 s21, -1
	s_mov_b32 s20, 0
	s_mov_b32 s18, 0
	s_branch .LBB92_1828
.LBB92_1827:
	s_mov_b32 s18, -1
	s_mov_b32 s20, 0
.LBB92_1828:
                                        ; implicit-def: $vgpr1
.LBB92_1829:
	s_and_b32 vcc_lo, exec_lo, s21
	s_cbranch_vccz .LBB92_1833
; %bb.1830:
	s_cmp_eq_u32 s15, 44
	s_cbranch_scc0 .LBB92_1832
; %bb.1831:
	s_wait_loadcnt 0x0
	global_load_u8 v1, v[4:5], off
	s_mov_b32 s18, 0
	s_mov_b32 s20, -1
	s_wait_loadcnt 0x0
	v_lshlrev_b32_e32 v3, 23, v1
	v_cmp_ne_u32_e32 vcc_lo, 0xff, v1
	s_delay_alu instid0(VALU_DEP_2) | instskip(SKIP_1) | instid1(VALU_DEP_2)
	v_cndmask_b32_e32 v3, 0x7f800001, v3, vcc_lo
	v_cmp_ne_u32_e32 vcc_lo, 0, v1
	v_cndmask_b32_e32 v1, 0x400000, v3, vcc_lo
	s_delay_alu instid0(VALU_DEP_1) | instskip(SKIP_1) | instid1(VALU_DEP_2)
	v_add_nc_u32_e32 v3, 0x7fff, v1
	v_cmp_o_f32_e32 vcc_lo, v1, v1
	v_lshrrev_b32_e32 v3, 16, v3
	s_delay_alu instid0(VALU_DEP_1)
	v_cndmask_b32_e32 v1, 0x7fc0, v3, vcc_lo
	s_branch .LBB92_1833
.LBB92_1832:
	s_mov_b32 s18, -1
                                        ; implicit-def: $vgpr1
.LBB92_1833:
	s_mov_b32 s21, 0
.LBB92_1834:
	s_delay_alu instid0(SALU_CYCLE_1)
	s_and_b32 vcc_lo, exec_lo, s21
	s_cbranch_vccz .LBB92_1838
; %bb.1835:
	s_cmp_eq_u32 s15, 29
	s_cbranch_scc0 .LBB92_1837
; %bb.1836:
	global_load_b64 v[8:9], v[4:5], off
	s_mov_b32 s18, 0
	s_mov_b32 s20, -1
	s_mov_b32 s21, 0
	s_wait_loadcnt 0x0
	v_clz_i32_u32_e32 v1, v9
	s_delay_alu instid0(VALU_DEP_1) | instskip(NEXT) | instid1(VALU_DEP_1)
	v_min_u32_e32 v1, 32, v1
	v_lshlrev_b64_e32 v[8:9], v1, v[8:9]
	v_sub_nc_u32_e32 v1, 32, v1
	s_delay_alu instid0(VALU_DEP_2) | instskip(NEXT) | instid1(VALU_DEP_1)
	v_min_u32_e32 v3, 1, v8
	v_or_b32_e32 v3, v9, v3
	s_delay_alu instid0(VALU_DEP_1) | instskip(NEXT) | instid1(VALU_DEP_1)
	v_cvt_f32_u32_e32 v3, v3
	v_ldexp_f32 v1, v3, v1
	s_delay_alu instid0(VALU_DEP_1) | instskip(NEXT) | instid1(VALU_DEP_1)
	v_bfe_u32 v3, v1, 16, 1
	v_add3_u32 v1, v1, v3, 0x7fff
	s_delay_alu instid0(VALU_DEP_1)
	v_lshrrev_b32_e32 v1, 16, v1
	s_branch .LBB92_1839
.LBB92_1837:
	s_mov_b32 s18, -1
                                        ; implicit-def: $vgpr1
.LBB92_1838:
	s_mov_b32 s21, 0
.LBB92_1839:
	s_delay_alu instid0(SALU_CYCLE_1)
	s_and_b32 vcc_lo, exec_lo, s21
	s_cbranch_vccz .LBB92_1857
; %bb.1840:
	s_cmp_lt_i32 s15, 27
	s_cbranch_scc1 .LBB92_1843
; %bb.1841:
	s_cmp_gt_i32 s15, 27
	s_cbranch_scc0 .LBB92_1844
; %bb.1842:
	s_wait_loadcnt 0x0
	global_load_b32 v1, v[4:5], off
	s_mov_b32 s20, 0
	s_wait_loadcnt 0x0
	v_cvt_f32_u32_e32 v1, v1
	s_delay_alu instid0(VALU_DEP_1) | instskip(NEXT) | instid1(VALU_DEP_1)
	v_bfe_u32 v3, v1, 16, 1
	v_add3_u32 v1, v1, v3, 0x7fff
	s_delay_alu instid0(VALU_DEP_1)
	v_lshrrev_b32_e32 v1, 16, v1
	s_branch .LBB92_1845
.LBB92_1843:
	s_mov_b32 s20, -1
                                        ; implicit-def: $vgpr1
	s_branch .LBB92_1848
.LBB92_1844:
	s_mov_b32 s20, -1
                                        ; implicit-def: $vgpr1
.LBB92_1845:
	s_delay_alu instid0(SALU_CYCLE_1)
	s_and_not1_b32 vcc_lo, exec_lo, s20
	s_cbranch_vccnz .LBB92_1847
; %bb.1846:
	s_wait_loadcnt 0x0
	global_load_u16 v1, v[4:5], off
	s_wait_loadcnt 0x0
	v_cvt_f32_u32_e32 v1, v1
	s_delay_alu instid0(VALU_DEP_1) | instskip(NEXT) | instid1(VALU_DEP_1)
	v_bfe_u32 v3, v1, 16, 1
	v_add3_u32 v1, v1, v3, 0x7fff
	s_delay_alu instid0(VALU_DEP_1)
	v_lshrrev_b32_e32 v1, 16, v1
.LBB92_1847:
	s_mov_b32 s20, 0
.LBB92_1848:
	s_delay_alu instid0(SALU_CYCLE_1)
	s_and_not1_b32 vcc_lo, exec_lo, s20
	s_cbranch_vccnz .LBB92_1856
; %bb.1849:
	s_wait_loadcnt 0x0
	global_load_u8 v1, v[4:5], off
	s_mov_b32 s20, 0
	s_mov_b32 s21, exec_lo
	s_wait_loadcnt 0x0
	v_cmpx_lt_i16_e32 0x7f, v1
	s_xor_b32 s21, exec_lo, s21
	s_cbranch_execz .LBB92_1870
; %bb.1850:
	s_mov_b32 s20, -1
	s_mov_b32 s22, exec_lo
	v_cmpx_eq_u16_e32 0x80, v1
; %bb.1851:
	s_xor_b32 s20, exec_lo, -1
; %bb.1852:
	s_or_b32 exec_lo, exec_lo, s22
	s_delay_alu instid0(SALU_CYCLE_1)
	s_and_b32 s20, s20, exec_lo
	s_or_saveexec_b32 s21, s21
	v_mov_b32_e32 v3, 0x7f800001
	s_xor_b32 exec_lo, exec_lo, s21
	s_cbranch_execnz .LBB92_1871
.LBB92_1853:
	s_or_b32 exec_lo, exec_lo, s21
	s_and_saveexec_b32 s21, s20
	s_cbranch_execz .LBB92_1855
.LBB92_1854:
	v_and_b32_e32 v3, 0xffff, v1
	s_delay_alu instid0(VALU_DEP_1) | instskip(SKIP_1) | instid1(VALU_DEP_2)
	v_and_b32_e32 v8, 7, v3
	v_bfe_u32 v11, v3, 3, 4
	v_clz_i32_u32_e32 v9, v8
	s_delay_alu instid0(VALU_DEP_2) | instskip(NEXT) | instid1(VALU_DEP_2)
	v_cmp_eq_u32_e32 vcc_lo, 0, v11
	v_min_u32_e32 v9, 32, v9
	s_delay_alu instid0(VALU_DEP_1) | instskip(NEXT) | instid1(VALU_DEP_1)
	v_subrev_nc_u32_e32 v10, 28, v9
	v_dual_lshlrev_b32 v3, v10, v3 :: v_dual_sub_nc_u32 v9, 29, v9
	s_delay_alu instid0(VALU_DEP_1) | instskip(NEXT) | instid1(VALU_DEP_1)
	v_dual_lshlrev_b32 v1, 24, v1 :: v_dual_bitop2_b32 v3, 7, v3 bitop3:0x40
	v_dual_cndmask_b32 v3, v8, v3, vcc_lo :: v_dual_cndmask_b32 v9, v11, v9, vcc_lo
	s_delay_alu instid0(VALU_DEP_2) | instskip(NEXT) | instid1(VALU_DEP_2)
	v_and_b32_e32 v1, 0x80000000, v1
	v_lshlrev_b32_e32 v3, 20, v3
	s_delay_alu instid0(VALU_DEP_3) | instskip(NEXT) | instid1(VALU_DEP_1)
	v_lshl_add_u32 v8, v9, 23, 0x3b800000
	v_or3_b32 v3, v1, v8, v3
.LBB92_1855:
	s_or_b32 exec_lo, exec_lo, s21
	s_delay_alu instid0(VALU_DEP_1) | instskip(SKIP_1) | instid1(VALU_DEP_2)
	v_bfe_u32 v1, v3, 16, 1
	v_cmp_o_f32_e32 vcc_lo, v3, v3
	v_add3_u32 v1, v3, v1, 0x7fff
	s_delay_alu instid0(VALU_DEP_1) | instskip(NEXT) | instid1(VALU_DEP_1)
	v_lshrrev_b32_e32 v1, 16, v1
	v_cndmask_b32_e32 v1, 0x7fc0, v1, vcc_lo
.LBB92_1856:
	s_mov_b32 s20, -1
.LBB92_1857:
	s_mov_b32 s21, 0
.LBB92_1858:
	s_delay_alu instid0(SALU_CYCLE_1)
	s_and_b32 vcc_lo, exec_lo, s21
	s_cbranch_vccz .LBB92_1891
; %bb.1859:
	s_cmp_gt_i32 s15, 22
	s_cbranch_scc0 .LBB92_1869
; %bb.1860:
	s_cmp_lt_i32 s15, 24
	s_cbranch_scc1 .LBB92_1872
; %bb.1861:
	s_cmp_gt_i32 s15, 24
	s_cbranch_scc0 .LBB92_1873
; %bb.1862:
	s_wait_loadcnt 0x0
	global_load_u8 v1, v[4:5], off
	s_mov_b32 s20, exec_lo
	s_wait_loadcnt 0x0
	v_cmpx_lt_i16_e32 0x7f, v1
	s_xor_b32 s20, exec_lo, s20
	s_cbranch_execz .LBB92_1885
; %bb.1863:
	s_mov_b32 s19, -1
	s_mov_b32 s21, exec_lo
	v_cmpx_eq_u16_e32 0x80, v1
; %bb.1864:
	s_xor_b32 s19, exec_lo, -1
; %bb.1865:
	s_or_b32 exec_lo, exec_lo, s21
	s_delay_alu instid0(SALU_CYCLE_1)
	s_and_b32 s19, s19, exec_lo
	s_or_saveexec_b32 s20, s20
	v_mov_b32_e32 v3, 0x7f800001
	s_xor_b32 exec_lo, exec_lo, s20
	s_cbranch_execnz .LBB92_1886
.LBB92_1866:
	s_or_b32 exec_lo, exec_lo, s20
	s_and_saveexec_b32 s20, s19
	s_cbranch_execz .LBB92_1868
.LBB92_1867:
	v_and_b32_e32 v3, 0xffff, v1
	s_delay_alu instid0(VALU_DEP_1) | instskip(SKIP_1) | instid1(VALU_DEP_2)
	v_and_b32_e32 v8, 3, v3
	v_bfe_u32 v11, v3, 2, 5
	v_clz_i32_u32_e32 v9, v8
	s_delay_alu instid0(VALU_DEP_2) | instskip(NEXT) | instid1(VALU_DEP_2)
	v_cmp_eq_u32_e32 vcc_lo, 0, v11
	v_min_u32_e32 v9, 32, v9
	s_delay_alu instid0(VALU_DEP_1) | instskip(NEXT) | instid1(VALU_DEP_1)
	v_subrev_nc_u32_e32 v10, 29, v9
	v_dual_lshlrev_b32 v3, v10, v3 :: v_dual_sub_nc_u32 v9, 30, v9
	s_delay_alu instid0(VALU_DEP_1) | instskip(NEXT) | instid1(VALU_DEP_1)
	v_dual_lshlrev_b32 v1, 24, v1 :: v_dual_bitop2_b32 v3, 3, v3 bitop3:0x40
	v_dual_cndmask_b32 v3, v8, v3, vcc_lo :: v_dual_cndmask_b32 v9, v11, v9, vcc_lo
	s_delay_alu instid0(VALU_DEP_2) | instskip(NEXT) | instid1(VALU_DEP_2)
	v_and_b32_e32 v1, 0x80000000, v1
	v_lshlrev_b32_e32 v3, 21, v3
	s_delay_alu instid0(VALU_DEP_3) | instskip(NEXT) | instid1(VALU_DEP_1)
	v_lshl_add_u32 v8, v9, 23, 0x37800000
	v_or3_b32 v3, v1, v8, v3
.LBB92_1868:
	s_or_b32 exec_lo, exec_lo, s20
	s_delay_alu instid0(VALU_DEP_1) | instskip(SKIP_2) | instid1(VALU_DEP_2)
	v_bfe_u32 v1, v3, 16, 1
	v_cmp_o_f32_e32 vcc_lo, v3, v3
	s_mov_b32 s19, 0
	v_add3_u32 v1, v3, v1, 0x7fff
	s_delay_alu instid0(VALU_DEP_1) | instskip(NEXT) | instid1(VALU_DEP_1)
	v_lshrrev_b32_e32 v1, 16, v1
	v_cndmask_b32_e32 v1, 0x7fc0, v1, vcc_lo
	s_branch .LBB92_1874
.LBB92_1869:
	s_mov_b32 s19, -1
                                        ; implicit-def: $vgpr1
	s_branch .LBB92_1880
.LBB92_1870:
	s_or_saveexec_b32 s21, s21
	v_mov_b32_e32 v3, 0x7f800001
	s_xor_b32 exec_lo, exec_lo, s21
	s_cbranch_execz .LBB92_1853
.LBB92_1871:
	v_cmp_ne_u16_e32 vcc_lo, 0, v1
	v_mov_b32_e32 v3, 0
	s_and_not1_b32 s20, s20, exec_lo
	s_and_b32 s22, vcc_lo, exec_lo
	s_delay_alu instid0(SALU_CYCLE_1)
	s_or_b32 s20, s20, s22
	s_or_b32 exec_lo, exec_lo, s21
	s_and_saveexec_b32 s21, s20
	s_cbranch_execnz .LBB92_1854
	s_branch .LBB92_1855
.LBB92_1872:
	s_mov_b32 s19, -1
                                        ; implicit-def: $vgpr1
	s_branch .LBB92_1877
.LBB92_1873:
	s_mov_b32 s19, -1
                                        ; implicit-def: $vgpr1
.LBB92_1874:
	s_delay_alu instid0(SALU_CYCLE_1)
	s_and_b32 vcc_lo, exec_lo, s19
	s_cbranch_vccz .LBB92_1876
; %bb.1875:
	s_wait_loadcnt 0x0
	global_load_u8 v1, v[4:5], off
	s_wait_loadcnt 0x0
	v_lshlrev_b32_e32 v1, 24, v1
	s_delay_alu instid0(VALU_DEP_1) | instskip(NEXT) | instid1(VALU_DEP_1)
	v_and_b32_e32 v3, 0x7f000000, v1
	v_clz_i32_u32_e32 v8, v3
	v_cmp_ne_u32_e32 vcc_lo, 0, v3
	v_add_nc_u32_e32 v10, 0x1000000, v3
	s_delay_alu instid0(VALU_DEP_3) | instskip(NEXT) | instid1(VALU_DEP_1)
	v_min_u32_e32 v8, 32, v8
	v_sub_nc_u32_e64 v8, v8, 4 clamp
	s_delay_alu instid0(VALU_DEP_1) | instskip(NEXT) | instid1(VALU_DEP_1)
	v_dual_lshlrev_b32 v9, v8, v3 :: v_dual_lshlrev_b32 v8, 23, v8
	v_lshrrev_b32_e32 v9, 4, v9
	s_delay_alu instid0(VALU_DEP_1) | instskip(NEXT) | instid1(VALU_DEP_1)
	v_dual_sub_nc_u32 v8, v9, v8 :: v_dual_ashrrev_i32 v9, 8, v10
	v_add_nc_u32_e32 v8, 0x3c000000, v8
	s_delay_alu instid0(VALU_DEP_1) | instskip(NEXT) | instid1(VALU_DEP_1)
	v_and_or_b32 v8, 0x7f800000, v9, v8
	v_cndmask_b32_e32 v3, 0, v8, vcc_lo
	s_delay_alu instid0(VALU_DEP_1) | instskip(SKIP_1) | instid1(VALU_DEP_2)
	v_and_or_b32 v1, 0x80000000, v1, v3
	v_bfe_u32 v3, v3, 16, 1
	v_cmp_o_f32_e32 vcc_lo, v1, v1
	s_delay_alu instid0(VALU_DEP_2) | instskip(NEXT) | instid1(VALU_DEP_1)
	v_add3_u32 v3, v1, v3, 0x7fff
	v_lshrrev_b32_e32 v3, 16, v3
	s_delay_alu instid0(VALU_DEP_1)
	v_cndmask_b32_e32 v1, 0x7fc0, v3, vcc_lo
.LBB92_1876:
	s_mov_b32 s19, 0
.LBB92_1877:
	s_delay_alu instid0(SALU_CYCLE_1)
	s_and_not1_b32 vcc_lo, exec_lo, s19
	s_cbranch_vccnz .LBB92_1879
; %bb.1878:
	s_wait_loadcnt 0x0
	global_load_u8 v1, v[4:5], off
	s_wait_loadcnt 0x0
	v_lshlrev_b32_e32 v3, 25, v1
	v_lshlrev_b16 v1, 8, v1
	s_delay_alu instid0(VALU_DEP_1) | instskip(NEXT) | instid1(VALU_DEP_3)
	v_and_or_b32 v9, 0x7f00, v1, 0.5
	v_lshrrev_b32_e32 v8, 4, v3
	v_bfe_i32 v1, v1, 0, 16
	s_delay_alu instid0(VALU_DEP_3) | instskip(NEXT) | instid1(VALU_DEP_3)
	v_add_f32_e32 v9, -0.5, v9
	v_or_b32_e32 v8, 0x70000000, v8
	s_delay_alu instid0(VALU_DEP_1) | instskip(SKIP_1) | instid1(VALU_DEP_2)
	v_mul_f32_e32 v8, 0x7800000, v8
	v_cmp_gt_u32_e32 vcc_lo, 0x8000000, v3
	v_cndmask_b32_e32 v3, v8, v9, vcc_lo
	s_delay_alu instid0(VALU_DEP_1) | instskip(SKIP_1) | instid1(VALU_DEP_2)
	v_and_or_b32 v1, 0x80000000, v1, v3
	v_bfe_u32 v3, v3, 16, 1
	v_cmp_o_f32_e32 vcc_lo, v1, v1
	s_delay_alu instid0(VALU_DEP_2) | instskip(NEXT) | instid1(VALU_DEP_1)
	v_add3_u32 v3, v1, v3, 0x7fff
	v_lshrrev_b32_e32 v3, 16, v3
	s_delay_alu instid0(VALU_DEP_1)
	v_cndmask_b32_e32 v1, 0x7fc0, v3, vcc_lo
.LBB92_1879:
	s_mov_b32 s19, 0
	s_mov_b32 s20, -1
.LBB92_1880:
	s_and_not1_b32 vcc_lo, exec_lo, s19
	s_mov_b32 s19, 0
	s_cbranch_vccnz .LBB92_1891
; %bb.1881:
	s_cmp_gt_i32 s15, 14
	s_cbranch_scc0 .LBB92_1884
; %bb.1882:
	s_cmp_eq_u32 s15, 15
	s_cbranch_scc0 .LBB92_1887
; %bb.1883:
	s_wait_loadcnt 0x0
	global_load_u16 v1, v[4:5], off
	s_mov_b32 s18, 0
	s_mov_b32 s20, -1
	s_branch .LBB92_1889
.LBB92_1884:
	s_mov_b32 s19, -1
	s_branch .LBB92_1888
.LBB92_1885:
	s_or_saveexec_b32 s20, s20
	v_mov_b32_e32 v3, 0x7f800001
	s_xor_b32 exec_lo, exec_lo, s20
	s_cbranch_execz .LBB92_1866
.LBB92_1886:
	v_cmp_ne_u16_e32 vcc_lo, 0, v1
	v_mov_b32_e32 v3, 0
	s_and_not1_b32 s19, s19, exec_lo
	s_and_b32 s21, vcc_lo, exec_lo
	s_delay_alu instid0(SALU_CYCLE_1)
	s_or_b32 s19, s19, s21
	s_or_b32 exec_lo, exec_lo, s20
	s_and_saveexec_b32 s20, s19
	s_cbranch_execnz .LBB92_1867
	s_branch .LBB92_1868
.LBB92_1887:
	s_mov_b32 s18, -1
.LBB92_1888:
                                        ; implicit-def: $vgpr1
.LBB92_1889:
	s_and_b32 vcc_lo, exec_lo, s19
	s_mov_b32 s19, 0
	s_cbranch_vccz .LBB92_1891
; %bb.1890:
	s_cmp_lg_u32 s15, 11
	s_mov_b32 s19, -1
	s_cselect_b32 s18, -1, 0
.LBB92_1891:
	s_delay_alu instid0(SALU_CYCLE_1)
	s_and_b32 vcc_lo, exec_lo, s18
	s_cbranch_vccnz .LBB92_1954
; %bb.1892:
	s_and_not1_b32 vcc_lo, exec_lo, s19
	s_cbranch_vccnz .LBB92_1894
.LBB92_1893:
	s_wait_loadcnt 0x0
	global_load_u8 v1, v[4:5], off
	s_mov_b32 s20, -1
	s_wait_loadcnt 0x0
	v_cmp_ne_u16_e32 vcc_lo, 0, v1
	v_cndmask_b32_e64 v1, 0, 1.0, vcc_lo
	s_delay_alu instid0(VALU_DEP_1)
	v_lshrrev_b32_e32 v1, 16, v1
.LBB92_1894:
	s_branch .LBB92_1821
.LBB92_1895:
	s_and_b32 s15, 0xffff, s0
	s_delay_alu instid0(SALU_CYCLE_1)
	s_cmp_lt_i32 s15, 5
	s_cbranch_scc1 .LBB92_1900
; %bb.1896:
	s_cmp_lt_i32 s15, 8
	s_cbranch_scc1 .LBB92_1901
; %bb.1897:
	;; [unrolled: 3-line block ×3, first 2 shown]
	s_cmp_gt_i32 s15, 9
	s_cbranch_scc0 .LBB92_1903
; %bb.1899:
	global_load_b64 v[8:9], v[4:5], off
	s_mov_b32 s18, 0
	s_wait_loadcnt 0x0
	v_cvt_f32_f64_e32 v1, v[8:9]
	s_delay_alu instid0(VALU_DEP_1) | instskip(SKIP_1) | instid1(VALU_DEP_2)
	v_bfe_u32 v3, v1, 16, 1
	v_cmp_o_f32_e32 vcc_lo, v1, v1
	v_add3_u32 v3, v1, v3, 0x7fff
	s_delay_alu instid0(VALU_DEP_1) | instskip(NEXT) | instid1(VALU_DEP_1)
	v_lshrrev_b32_e32 v3, 16, v3
	v_cndmask_b32_e32 v1, 0x7fc0, v3, vcc_lo
	s_branch .LBB92_1904
.LBB92_1900:
	s_mov_b32 s18, -1
                                        ; implicit-def: $vgpr1
	s_branch .LBB92_1922
.LBB92_1901:
	s_mov_b32 s18, -1
                                        ; implicit-def: $vgpr1
	s_branch .LBB92_1910
.LBB92_1902:
	s_mov_b32 s18, -1
                                        ; implicit-def: $vgpr1
	s_branch .LBB92_1907
.LBB92_1903:
	s_mov_b32 s18, -1
                                        ; implicit-def: $vgpr1
.LBB92_1904:
	s_delay_alu instid0(SALU_CYCLE_1)
	s_and_not1_b32 vcc_lo, exec_lo, s18
	s_cbranch_vccnz .LBB92_1906
; %bb.1905:
	s_wait_loadcnt 0x0
	global_load_b32 v1, v[4:5], off
	s_wait_loadcnt 0x0
	v_bfe_u32 v3, v1, 16, 1
	v_cmp_o_f32_e32 vcc_lo, v1, v1
	s_delay_alu instid0(VALU_DEP_2) | instskip(NEXT) | instid1(VALU_DEP_1)
	v_add3_u32 v3, v1, v3, 0x7fff
	v_lshrrev_b32_e32 v3, 16, v3
	s_delay_alu instid0(VALU_DEP_1)
	v_cndmask_b32_e32 v1, 0x7fc0, v3, vcc_lo
.LBB92_1906:
	s_mov_b32 s18, 0
.LBB92_1907:
	s_delay_alu instid0(SALU_CYCLE_1)
	s_and_not1_b32 vcc_lo, exec_lo, s18
	s_cbranch_vccnz .LBB92_1909
; %bb.1908:
	s_wait_loadcnt 0x0
	global_load_b32 v1, v[4:5], off
	s_wait_loadcnt 0x0
	v_cvt_f32_f16_e32 v3, v1
	v_cmp_o_f16_e32 vcc_lo, v1, v1
	s_delay_alu instid0(VALU_DEP_2) | instskip(NEXT) | instid1(VALU_DEP_1)
	v_bfe_u32 v8, v3, 16, 1
	v_add3_u32 v3, v3, v8, 0x7fff
	s_delay_alu instid0(VALU_DEP_1) | instskip(NEXT) | instid1(VALU_DEP_1)
	v_lshrrev_b32_e32 v3, 16, v3
	v_cndmask_b32_e32 v1, 0x7fc0, v3, vcc_lo
.LBB92_1909:
	s_mov_b32 s18, 0
.LBB92_1910:
	s_delay_alu instid0(SALU_CYCLE_1)
	s_and_not1_b32 vcc_lo, exec_lo, s18
	s_cbranch_vccnz .LBB92_1921
; %bb.1911:
	s_cmp_lt_i32 s15, 6
	s_cbranch_scc1 .LBB92_1914
; %bb.1912:
	s_cmp_gt_i32 s15, 6
	s_cbranch_scc0 .LBB92_1915
; %bb.1913:
	global_load_b64 v[8:9], v[4:5], off
	s_mov_b32 s18, 0
	s_wait_loadcnt 0x0
	v_cvt_f32_f64_e32 v1, v[8:9]
	s_delay_alu instid0(VALU_DEP_1) | instskip(SKIP_1) | instid1(VALU_DEP_2)
	v_bfe_u32 v3, v1, 16, 1
	v_cmp_o_f32_e32 vcc_lo, v1, v1
	v_add3_u32 v3, v1, v3, 0x7fff
	s_delay_alu instid0(VALU_DEP_1) | instskip(NEXT) | instid1(VALU_DEP_1)
	v_lshrrev_b32_e32 v3, 16, v3
	v_cndmask_b32_e32 v1, 0x7fc0, v3, vcc_lo
	s_branch .LBB92_1916
.LBB92_1914:
	s_mov_b32 s18, -1
                                        ; implicit-def: $vgpr1
	s_branch .LBB92_1919
.LBB92_1915:
	s_mov_b32 s18, -1
                                        ; implicit-def: $vgpr1
.LBB92_1916:
	s_delay_alu instid0(SALU_CYCLE_1)
	s_and_not1_b32 vcc_lo, exec_lo, s18
	s_cbranch_vccnz .LBB92_1918
; %bb.1917:
	s_wait_loadcnt 0x0
	global_load_b32 v1, v[4:5], off
	s_wait_loadcnt 0x0
	v_bfe_u32 v3, v1, 16, 1
	v_cmp_o_f32_e32 vcc_lo, v1, v1
	s_delay_alu instid0(VALU_DEP_2) | instskip(NEXT) | instid1(VALU_DEP_1)
	v_add3_u32 v3, v1, v3, 0x7fff
	v_lshrrev_b32_e32 v3, 16, v3
	s_delay_alu instid0(VALU_DEP_1)
	v_cndmask_b32_e32 v1, 0x7fc0, v3, vcc_lo
.LBB92_1918:
	s_mov_b32 s18, 0
.LBB92_1919:
	s_delay_alu instid0(SALU_CYCLE_1)
	s_and_not1_b32 vcc_lo, exec_lo, s18
	s_cbranch_vccnz .LBB92_1921
; %bb.1920:
	s_wait_loadcnt 0x0
	global_load_u16 v1, v[4:5], off
	s_wait_loadcnt 0x0
	v_cvt_f32_f16_e32 v3, v1
	v_cmp_o_f16_e32 vcc_lo, v1, v1
	s_delay_alu instid0(VALU_DEP_2) | instskip(NEXT) | instid1(VALU_DEP_1)
	v_bfe_u32 v8, v3, 16, 1
	v_add3_u32 v3, v3, v8, 0x7fff
	s_delay_alu instid0(VALU_DEP_1) | instskip(NEXT) | instid1(VALU_DEP_1)
	v_lshrrev_b32_e32 v3, 16, v3
	v_cndmask_b32_e32 v1, 0x7fc0, v3, vcc_lo
.LBB92_1921:
	s_mov_b32 s18, 0
.LBB92_1922:
	s_delay_alu instid0(SALU_CYCLE_1)
	s_and_not1_b32 vcc_lo, exec_lo, s18
	s_cbranch_vccnz .LBB92_1942
; %bb.1923:
	s_cmp_lt_i32 s15, 2
	s_cbranch_scc1 .LBB92_1927
; %bb.1924:
	s_cmp_lt_i32 s15, 3
	s_cbranch_scc1 .LBB92_1928
; %bb.1925:
	s_cmp_gt_i32 s15, 3
	s_cbranch_scc0 .LBB92_1929
; %bb.1926:
	global_load_b64 v[8:9], v[4:5], off
	s_mov_b32 s18, 0
	s_wait_loadcnt 0x0
	v_xor_b32_e32 v1, v8, v9
	v_cls_i32_e32 v3, v9
	s_delay_alu instid0(VALU_DEP_2) | instskip(NEXT) | instid1(VALU_DEP_1)
	v_ashrrev_i32_e32 v1, 31, v1
	v_add_nc_u32_e32 v1, 32, v1
	s_delay_alu instid0(VALU_DEP_1) | instskip(NEXT) | instid1(VALU_DEP_1)
	v_add_min_u32_e64 v1, v3, -1, v1
	v_lshlrev_b64_e32 v[8:9], v1, v[8:9]
	v_sub_nc_u32_e32 v1, 32, v1
	s_delay_alu instid0(VALU_DEP_2) | instskip(NEXT) | instid1(VALU_DEP_1)
	v_min_u32_e32 v3, 1, v8
	v_or_b32_e32 v3, v9, v3
	s_delay_alu instid0(VALU_DEP_1) | instskip(NEXT) | instid1(VALU_DEP_1)
	v_cvt_f32_i32_e32 v3, v3
	v_ldexp_f32 v1, v3, v1
	s_delay_alu instid0(VALU_DEP_1) | instskip(NEXT) | instid1(VALU_DEP_1)
	v_bfe_u32 v3, v1, 16, 1
	v_add3_u32 v1, v1, v3, 0x7fff
	s_delay_alu instid0(VALU_DEP_1)
	v_lshrrev_b32_e32 v1, 16, v1
	s_branch .LBB92_1930
.LBB92_1927:
	s_mov_b32 s18, -1
                                        ; implicit-def: $vgpr1
	s_branch .LBB92_1936
.LBB92_1928:
	s_mov_b32 s18, -1
                                        ; implicit-def: $vgpr1
	s_branch .LBB92_1933
.LBB92_1929:
	s_mov_b32 s18, -1
                                        ; implicit-def: $vgpr1
.LBB92_1930:
	s_delay_alu instid0(SALU_CYCLE_1)
	s_and_not1_b32 vcc_lo, exec_lo, s18
	s_cbranch_vccnz .LBB92_1932
; %bb.1931:
	s_wait_loadcnt 0x0
	global_load_b32 v1, v[4:5], off
	s_wait_loadcnt 0x0
	v_cvt_f32_i32_e32 v1, v1
	s_delay_alu instid0(VALU_DEP_1) | instskip(NEXT) | instid1(VALU_DEP_1)
	v_bfe_u32 v3, v1, 16, 1
	v_add3_u32 v1, v1, v3, 0x7fff
	s_delay_alu instid0(VALU_DEP_1)
	v_lshrrev_b32_e32 v1, 16, v1
.LBB92_1932:
	s_mov_b32 s18, 0
.LBB92_1933:
	s_delay_alu instid0(SALU_CYCLE_1)
	s_and_not1_b32 vcc_lo, exec_lo, s18
	s_cbranch_vccnz .LBB92_1935
; %bb.1934:
	s_wait_loadcnt 0x0
	global_load_i16 v1, v[4:5], off
	s_wait_loadcnt 0x0
	v_cvt_f32_i32_e32 v1, v1
	s_delay_alu instid0(VALU_DEP_1) | instskip(NEXT) | instid1(VALU_DEP_1)
	v_bfe_u32 v3, v1, 16, 1
	v_add3_u32 v1, v1, v3, 0x7fff
	s_delay_alu instid0(VALU_DEP_1)
	v_lshrrev_b32_e32 v1, 16, v1
.LBB92_1935:
	s_mov_b32 s18, 0
.LBB92_1936:
	s_delay_alu instid0(SALU_CYCLE_1)
	s_and_not1_b32 vcc_lo, exec_lo, s18
	s_cbranch_vccnz .LBB92_1942
; %bb.1937:
	s_cmp_gt_i32 s15, 0
	s_mov_b32 s15, 0
	s_cbranch_scc0 .LBB92_1939
; %bb.1938:
	s_wait_loadcnt 0x0
	global_load_i8 v1, v[4:5], off
	s_wait_loadcnt 0x0
	v_cvt_f32_i32_e32 v1, v1
	s_delay_alu instid0(VALU_DEP_1) | instskip(NEXT) | instid1(VALU_DEP_1)
	v_bfe_u32 v3, v1, 16, 1
	v_add3_u32 v1, v1, v3, 0x7fff
	s_delay_alu instid0(VALU_DEP_1)
	v_lshrrev_b32_e32 v1, 16, v1
	s_branch .LBB92_1940
.LBB92_1939:
	s_mov_b32 s15, -1
                                        ; implicit-def: $vgpr1
.LBB92_1940:
	s_delay_alu instid0(SALU_CYCLE_1)
	s_and_not1_b32 vcc_lo, exec_lo, s15
	s_cbranch_vccnz .LBB92_1942
; %bb.1941:
	s_wait_loadcnt 0x0
	global_load_u8 v1, v[4:5], off
	s_wait_loadcnt 0x0
	v_cvt_f32_ubyte0_e32 v1, v1
	s_delay_alu instid0(VALU_DEP_1) | instskip(NEXT) | instid1(VALU_DEP_1)
	v_bfe_u32 v3, v1, 16, 1
	v_add3_u32 v1, v1, v3, 0x7fff
	s_delay_alu instid0(VALU_DEP_1)
	v_lshrrev_b32_e32 v1, 16, v1
.LBB92_1942:
.LBB92_1943:
	s_lshl_b32 s10, s10, 7
	s_cmp_lt_i32 s1, 11
	v_add_nc_u32_e32 v2, s10, v2
	s_delay_alu instid0(VALU_DEP_1) | instskip(SKIP_1) | instid1(VALU_DEP_1)
	v_ashrrev_i32_e32 v3, 31, v2
	s_wait_xcnt 0x0
	v_add_nc_u64_e32 v[4:5], s[12:13], v[2:3]
	s_cbranch_scc1 .LBB92_1950
; %bb.1944:
	s_and_b32 s15, 0xffff, s1
	s_mov_b32 s19, 0
	s_cmp_gt_i32 s15, 25
	s_cbranch_scc0 .LBB92_1951
; %bb.1945:
	s_cmp_gt_i32 s15, 28
	s_cbranch_scc0 .LBB92_1952
; %bb.1946:
	s_cmp_gt_i32 s15, 43
	s_cbranch_scc0 .LBB92_1953
; %bb.1947:
	s_cmp_gt_i32 s15, 45
	s_cbranch_scc0 .LBB92_1955
; %bb.1948:
	s_cmp_eq_u32 s15, 46
	s_mov_b32 s21, 0
	s_cbranch_scc0 .LBB92_1956
; %bb.1949:
	global_load_b32 v3, v[4:5], off
	s_mov_b32 s18, 0
	s_mov_b32 s20, -1
	s_branch .LBB92_1958
.LBB92_1950:
	s_mov_b32 s15, -1
	s_mov_b32 s20, 0
                                        ; implicit-def: $vgpr3
	s_branch .LBB92_2024
.LBB92_1951:
	s_mov_b32 s21, -1
	s_mov_b32 s20, 0
	s_mov_b32 s18, 0
                                        ; implicit-def: $vgpr3
	s_branch .LBB92_1987
.LBB92_1952:
	s_mov_b32 s21, -1
	s_mov_b32 s20, 0
	s_mov_b32 s18, 0
                                        ; implicit-def: $vgpr3
	s_branch .LBB92_1968
.LBB92_1953:
	s_mov_b32 s21, -1
	s_mov_b32 s20, 0
	s_mov_b32 s18, 0
                                        ; implicit-def: $vgpr3
	s_branch .LBB92_1963
.LBB92_1954:
	s_or_b32 s14, s14, exec_lo
	s_trap 2
	s_cbranch_execz .LBB92_1893
	s_branch .LBB92_1894
.LBB92_1955:
	s_mov_b32 s21, -1
	s_mov_b32 s20, 0
	s_mov_b32 s18, 0
	s_branch .LBB92_1957
.LBB92_1956:
	s_mov_b32 s18, -1
	s_mov_b32 s20, 0
.LBB92_1957:
                                        ; implicit-def: $vgpr3
.LBB92_1958:
	s_and_b32 vcc_lo, exec_lo, s21
	s_cbranch_vccz .LBB92_1962
; %bb.1959:
	s_cmp_eq_u32 s15, 44
	s_cbranch_scc0 .LBB92_1961
; %bb.1960:
	s_wait_loadcnt 0x0
	global_load_u8 v3, v[4:5], off
	s_mov_b32 s18, 0
	s_mov_b32 s20, -1
	s_wait_loadcnt 0x0
	v_lshlrev_b32_e32 v8, 23, v3
	v_cmp_ne_u32_e32 vcc_lo, 0xff, v3
	s_delay_alu instid0(VALU_DEP_2) | instskip(SKIP_1) | instid1(VALU_DEP_2)
	v_cndmask_b32_e32 v8, 0x7f800001, v8, vcc_lo
	v_cmp_ne_u32_e32 vcc_lo, 0, v3
	v_cndmask_b32_e32 v3, 0x400000, v8, vcc_lo
	s_delay_alu instid0(VALU_DEP_1) | instskip(NEXT) | instid1(VALU_DEP_1)
	v_add_nc_u32_e32 v8, 0x7fff, v3
	v_lshrrev_b32_e32 v8, 16, v8
	v_cmp_o_f32_e32 vcc_lo, v3, v3
	s_delay_alu instid0(VALU_DEP_2)
	v_cndmask_b32_e32 v3, 0x7fc0, v8, vcc_lo
	s_branch .LBB92_1962
.LBB92_1961:
	s_mov_b32 s18, -1
                                        ; implicit-def: $vgpr3
.LBB92_1962:
	s_mov_b32 s21, 0
.LBB92_1963:
	s_delay_alu instid0(SALU_CYCLE_1)
	s_and_b32 vcc_lo, exec_lo, s21
	s_cbranch_vccz .LBB92_1967
; %bb.1964:
	s_cmp_eq_u32 s15, 29
	s_cbranch_scc0 .LBB92_1966
; %bb.1965:
	global_load_b64 v[8:9], v[4:5], off
	s_mov_b32 s18, 0
	s_mov_b32 s20, -1
	s_mov_b32 s21, 0
	s_wait_loadcnt 0x0
	v_clz_i32_u32_e32 v3, v9
	s_delay_alu instid0(VALU_DEP_1) | instskip(NEXT) | instid1(VALU_DEP_1)
	v_min_u32_e32 v3, 32, v3
	v_lshlrev_b64_e32 v[8:9], v3, v[8:9]
	v_sub_nc_u32_e32 v3, 32, v3
	s_delay_alu instid0(VALU_DEP_2) | instskip(NEXT) | instid1(VALU_DEP_1)
	v_min_u32_e32 v8, 1, v8
	v_or_b32_e32 v8, v9, v8
	s_delay_alu instid0(VALU_DEP_1) | instskip(NEXT) | instid1(VALU_DEP_1)
	v_cvt_f32_u32_e32 v8, v8
	v_ldexp_f32 v3, v8, v3
	s_delay_alu instid0(VALU_DEP_1) | instskip(NEXT) | instid1(VALU_DEP_1)
	v_bfe_u32 v8, v3, 16, 1
	v_add3_u32 v3, v3, v8, 0x7fff
	s_delay_alu instid0(VALU_DEP_1)
	v_lshrrev_b32_e32 v3, 16, v3
	s_branch .LBB92_1968
.LBB92_1966:
	s_mov_b32 s18, -1
                                        ; implicit-def: $vgpr3
.LBB92_1967:
	s_mov_b32 s21, 0
.LBB92_1968:
	s_delay_alu instid0(SALU_CYCLE_1)
	s_and_b32 vcc_lo, exec_lo, s21
	s_cbranch_vccz .LBB92_1986
; %bb.1969:
	s_cmp_lt_i32 s15, 27
	s_cbranch_scc1 .LBB92_1972
; %bb.1970:
	s_cmp_gt_i32 s15, 27
	s_cbranch_scc0 .LBB92_1973
; %bb.1971:
	s_wait_loadcnt 0x0
	global_load_b32 v3, v[4:5], off
	s_mov_b32 s20, 0
	s_wait_loadcnt 0x0
	v_cvt_f32_u32_e32 v3, v3
	s_delay_alu instid0(VALU_DEP_1) | instskip(NEXT) | instid1(VALU_DEP_1)
	v_bfe_u32 v8, v3, 16, 1
	v_add3_u32 v3, v3, v8, 0x7fff
	s_delay_alu instid0(VALU_DEP_1)
	v_lshrrev_b32_e32 v3, 16, v3
	s_branch .LBB92_1974
.LBB92_1972:
	s_mov_b32 s20, -1
                                        ; implicit-def: $vgpr3
	s_branch .LBB92_1977
.LBB92_1973:
	s_mov_b32 s20, -1
                                        ; implicit-def: $vgpr3
.LBB92_1974:
	s_delay_alu instid0(SALU_CYCLE_1)
	s_and_not1_b32 vcc_lo, exec_lo, s20
	s_cbranch_vccnz .LBB92_1976
; %bb.1975:
	s_wait_loadcnt 0x0
	global_load_u16 v3, v[4:5], off
	s_wait_loadcnt 0x0
	v_cvt_f32_u32_e32 v3, v3
	s_delay_alu instid0(VALU_DEP_1) | instskip(NEXT) | instid1(VALU_DEP_1)
	v_bfe_u32 v8, v3, 16, 1
	v_add3_u32 v3, v3, v8, 0x7fff
	s_delay_alu instid0(VALU_DEP_1)
	v_lshrrev_b32_e32 v3, 16, v3
.LBB92_1976:
	s_mov_b32 s20, 0
.LBB92_1977:
	s_delay_alu instid0(SALU_CYCLE_1)
	s_and_not1_b32 vcc_lo, exec_lo, s20
	s_cbranch_vccnz .LBB92_1985
; %bb.1978:
	s_wait_loadcnt 0x0
	global_load_u8 v3, v[4:5], off
	s_mov_b32 s20, 0
	s_mov_b32 s21, exec_lo
	s_wait_loadcnt 0x0
	v_cmpx_lt_i16_e32 0x7f, v3
	s_xor_b32 s21, exec_lo, s21
	s_cbranch_execz .LBB92_1999
; %bb.1979:
	s_mov_b32 s20, -1
	s_mov_b32 s22, exec_lo
	v_cmpx_eq_u16_e32 0x80, v3
; %bb.1980:
	s_xor_b32 s20, exec_lo, -1
; %bb.1981:
	s_or_b32 exec_lo, exec_lo, s22
	s_delay_alu instid0(SALU_CYCLE_1)
	s_and_b32 s20, s20, exec_lo
	s_or_saveexec_b32 s21, s21
	v_mov_b32_e32 v8, 0x7f800001
	s_xor_b32 exec_lo, exec_lo, s21
	s_cbranch_execnz .LBB92_2000
.LBB92_1982:
	s_or_b32 exec_lo, exec_lo, s21
	s_and_saveexec_b32 s21, s20
	s_cbranch_execz .LBB92_1984
.LBB92_1983:
	v_and_b32_e32 v8, 0xffff, v3
	s_delay_alu instid0(VALU_DEP_1) | instskip(SKIP_1) | instid1(VALU_DEP_2)
	v_and_b32_e32 v9, 7, v8
	v_bfe_u32 v12, v8, 3, 4
	v_clz_i32_u32_e32 v10, v9
	s_delay_alu instid0(VALU_DEP_2) | instskip(NEXT) | instid1(VALU_DEP_2)
	v_cmp_eq_u32_e32 vcc_lo, 0, v12
	v_min_u32_e32 v10, 32, v10
	s_delay_alu instid0(VALU_DEP_1) | instskip(NEXT) | instid1(VALU_DEP_1)
	v_subrev_nc_u32_e32 v11, 28, v10
	v_dual_lshlrev_b32 v8, v11, v8 :: v_dual_sub_nc_u32 v10, 29, v10
	s_delay_alu instid0(VALU_DEP_1) | instskip(NEXT) | instid1(VALU_DEP_1)
	v_dual_lshlrev_b32 v3, 24, v3 :: v_dual_bitop2_b32 v8, 7, v8 bitop3:0x40
	v_dual_cndmask_b32 v10, v12, v10, vcc_lo :: v_dual_cndmask_b32 v8, v9, v8, vcc_lo
	s_delay_alu instid0(VALU_DEP_2) | instskip(NEXT) | instid1(VALU_DEP_2)
	v_and_b32_e32 v3, 0x80000000, v3
	v_lshl_add_u32 v9, v10, 23, 0x3b800000
	s_delay_alu instid0(VALU_DEP_3) | instskip(NEXT) | instid1(VALU_DEP_1)
	v_lshlrev_b32_e32 v8, 20, v8
	v_or3_b32 v8, v3, v9, v8
.LBB92_1984:
	s_or_b32 exec_lo, exec_lo, s21
	s_delay_alu instid0(VALU_DEP_1) | instskip(SKIP_1) | instid1(VALU_DEP_2)
	v_bfe_u32 v3, v8, 16, 1
	v_cmp_o_f32_e32 vcc_lo, v8, v8
	v_add3_u32 v3, v8, v3, 0x7fff
	s_delay_alu instid0(VALU_DEP_1) | instskip(NEXT) | instid1(VALU_DEP_1)
	v_lshrrev_b32_e32 v3, 16, v3
	v_cndmask_b32_e32 v3, 0x7fc0, v3, vcc_lo
.LBB92_1985:
	s_mov_b32 s20, -1
.LBB92_1986:
	s_mov_b32 s21, 0
.LBB92_1987:
	s_delay_alu instid0(SALU_CYCLE_1)
	s_and_b32 vcc_lo, exec_lo, s21
	s_cbranch_vccz .LBB92_2020
; %bb.1988:
	s_cmp_gt_i32 s15, 22
	s_cbranch_scc0 .LBB92_1998
; %bb.1989:
	s_cmp_lt_i32 s15, 24
	s_cbranch_scc1 .LBB92_2001
; %bb.1990:
	s_cmp_gt_i32 s15, 24
	s_cbranch_scc0 .LBB92_2002
; %bb.1991:
	s_wait_loadcnt 0x0
	global_load_u8 v3, v[4:5], off
	s_mov_b32 s20, exec_lo
	s_wait_loadcnt 0x0
	v_cmpx_lt_i16_e32 0x7f, v3
	s_xor_b32 s20, exec_lo, s20
	s_cbranch_execz .LBB92_2014
; %bb.1992:
	s_mov_b32 s19, -1
	s_mov_b32 s21, exec_lo
	v_cmpx_eq_u16_e32 0x80, v3
; %bb.1993:
	s_xor_b32 s19, exec_lo, -1
; %bb.1994:
	s_or_b32 exec_lo, exec_lo, s21
	s_delay_alu instid0(SALU_CYCLE_1)
	s_and_b32 s19, s19, exec_lo
	s_or_saveexec_b32 s20, s20
	v_mov_b32_e32 v8, 0x7f800001
	s_xor_b32 exec_lo, exec_lo, s20
	s_cbranch_execnz .LBB92_2015
.LBB92_1995:
	s_or_b32 exec_lo, exec_lo, s20
	s_and_saveexec_b32 s20, s19
	s_cbranch_execz .LBB92_1997
.LBB92_1996:
	v_and_b32_e32 v8, 0xffff, v3
	s_delay_alu instid0(VALU_DEP_1) | instskip(SKIP_1) | instid1(VALU_DEP_2)
	v_and_b32_e32 v9, 3, v8
	v_bfe_u32 v12, v8, 2, 5
	v_clz_i32_u32_e32 v10, v9
	s_delay_alu instid0(VALU_DEP_2) | instskip(NEXT) | instid1(VALU_DEP_2)
	v_cmp_eq_u32_e32 vcc_lo, 0, v12
	v_min_u32_e32 v10, 32, v10
	s_delay_alu instid0(VALU_DEP_1) | instskip(NEXT) | instid1(VALU_DEP_1)
	v_subrev_nc_u32_e32 v11, 29, v10
	v_dual_lshlrev_b32 v8, v11, v8 :: v_dual_sub_nc_u32 v10, 30, v10
	s_delay_alu instid0(VALU_DEP_1) | instskip(NEXT) | instid1(VALU_DEP_1)
	v_dual_lshlrev_b32 v3, 24, v3 :: v_dual_bitop2_b32 v8, 3, v8 bitop3:0x40
	v_dual_cndmask_b32 v10, v12, v10, vcc_lo :: v_dual_cndmask_b32 v8, v9, v8, vcc_lo
	s_delay_alu instid0(VALU_DEP_2) | instskip(NEXT) | instid1(VALU_DEP_2)
	v_and_b32_e32 v3, 0x80000000, v3
	v_lshl_add_u32 v9, v10, 23, 0x37800000
	s_delay_alu instid0(VALU_DEP_3) | instskip(NEXT) | instid1(VALU_DEP_1)
	v_lshlrev_b32_e32 v8, 21, v8
	v_or3_b32 v8, v3, v9, v8
.LBB92_1997:
	s_or_b32 exec_lo, exec_lo, s20
	s_delay_alu instid0(VALU_DEP_1) | instskip(SKIP_2) | instid1(VALU_DEP_2)
	v_bfe_u32 v3, v8, 16, 1
	v_cmp_o_f32_e32 vcc_lo, v8, v8
	s_mov_b32 s19, 0
	v_add3_u32 v3, v8, v3, 0x7fff
	s_delay_alu instid0(VALU_DEP_1) | instskip(NEXT) | instid1(VALU_DEP_1)
	v_lshrrev_b32_e32 v3, 16, v3
	v_cndmask_b32_e32 v3, 0x7fc0, v3, vcc_lo
	s_branch .LBB92_2003
.LBB92_1998:
	s_mov_b32 s19, -1
                                        ; implicit-def: $vgpr3
	s_branch .LBB92_2009
.LBB92_1999:
	s_or_saveexec_b32 s21, s21
	v_mov_b32_e32 v8, 0x7f800001
	s_xor_b32 exec_lo, exec_lo, s21
	s_cbranch_execz .LBB92_1982
.LBB92_2000:
	v_cmp_ne_u16_e32 vcc_lo, 0, v3
	v_mov_b32_e32 v8, 0
	s_and_not1_b32 s20, s20, exec_lo
	s_and_b32 s22, vcc_lo, exec_lo
	s_delay_alu instid0(SALU_CYCLE_1)
	s_or_b32 s20, s20, s22
	s_or_b32 exec_lo, exec_lo, s21
	s_and_saveexec_b32 s21, s20
	s_cbranch_execnz .LBB92_1983
	s_branch .LBB92_1984
.LBB92_2001:
	s_mov_b32 s19, -1
                                        ; implicit-def: $vgpr3
	s_branch .LBB92_2006
.LBB92_2002:
	s_mov_b32 s19, -1
                                        ; implicit-def: $vgpr3
.LBB92_2003:
	s_delay_alu instid0(SALU_CYCLE_1)
	s_and_b32 vcc_lo, exec_lo, s19
	s_cbranch_vccz .LBB92_2005
; %bb.2004:
	s_wait_loadcnt 0x0
	global_load_u8 v3, v[4:5], off
	s_wait_loadcnt 0x0
	v_lshlrev_b32_e32 v3, 24, v3
	s_delay_alu instid0(VALU_DEP_1) | instskip(NEXT) | instid1(VALU_DEP_1)
	v_and_b32_e32 v8, 0x7f000000, v3
	v_clz_i32_u32_e32 v9, v8
	v_cmp_ne_u32_e32 vcc_lo, 0, v8
	v_add_nc_u32_e32 v11, 0x1000000, v8
	s_delay_alu instid0(VALU_DEP_3) | instskip(NEXT) | instid1(VALU_DEP_1)
	v_min_u32_e32 v9, 32, v9
	v_sub_nc_u32_e64 v9, v9, 4 clamp
	s_delay_alu instid0(VALU_DEP_1) | instskip(NEXT) | instid1(VALU_DEP_1)
	v_dual_lshlrev_b32 v10, v9, v8 :: v_dual_lshlrev_b32 v9, 23, v9
	v_lshrrev_b32_e32 v10, 4, v10
	s_delay_alu instid0(VALU_DEP_1) | instskip(NEXT) | instid1(VALU_DEP_1)
	v_dual_sub_nc_u32 v9, v10, v9 :: v_dual_ashrrev_i32 v10, 8, v11
	v_add_nc_u32_e32 v9, 0x3c000000, v9
	s_delay_alu instid0(VALU_DEP_1) | instskip(NEXT) | instid1(VALU_DEP_1)
	v_and_or_b32 v9, 0x7f800000, v10, v9
	v_cndmask_b32_e32 v8, 0, v9, vcc_lo
	s_delay_alu instid0(VALU_DEP_1) | instskip(SKIP_1) | instid1(VALU_DEP_2)
	v_and_or_b32 v3, 0x80000000, v3, v8
	v_bfe_u32 v8, v8, 16, 1
	v_cmp_o_f32_e32 vcc_lo, v3, v3
	s_delay_alu instid0(VALU_DEP_2) | instskip(NEXT) | instid1(VALU_DEP_1)
	v_add3_u32 v8, v3, v8, 0x7fff
	v_lshrrev_b32_e32 v8, 16, v8
	s_delay_alu instid0(VALU_DEP_1)
	v_cndmask_b32_e32 v3, 0x7fc0, v8, vcc_lo
.LBB92_2005:
	s_mov_b32 s19, 0
.LBB92_2006:
	s_delay_alu instid0(SALU_CYCLE_1)
	s_and_not1_b32 vcc_lo, exec_lo, s19
	s_cbranch_vccnz .LBB92_2008
; %bb.2007:
	s_wait_loadcnt 0x0
	global_load_u8 v3, v[4:5], off
	s_wait_loadcnt 0x0
	v_lshlrev_b32_e32 v8, 25, v3
	v_lshlrev_b16 v3, 8, v3
	s_delay_alu instid0(VALU_DEP_1) | instskip(SKIP_1) | instid1(VALU_DEP_2)
	v_and_or_b32 v10, 0x7f00, v3, 0.5
	v_bfe_i32 v3, v3, 0, 16
	v_dual_add_f32 v10, -0.5, v10 :: v_dual_lshrrev_b32 v9, 4, v8
	v_cmp_gt_u32_e32 vcc_lo, 0x8000000, v8
	s_delay_alu instid0(VALU_DEP_2) | instskip(NEXT) | instid1(VALU_DEP_1)
	v_or_b32_e32 v9, 0x70000000, v9
	v_mul_f32_e32 v9, 0x7800000, v9
	s_delay_alu instid0(VALU_DEP_1) | instskip(NEXT) | instid1(VALU_DEP_1)
	v_cndmask_b32_e32 v8, v9, v10, vcc_lo
	v_and_or_b32 v3, 0x80000000, v3, v8
	v_bfe_u32 v8, v8, 16, 1
	s_delay_alu instid0(VALU_DEP_2) | instskip(NEXT) | instid1(VALU_DEP_2)
	v_cmp_o_f32_e32 vcc_lo, v3, v3
	v_add3_u32 v8, v3, v8, 0x7fff
	s_delay_alu instid0(VALU_DEP_1) | instskip(NEXT) | instid1(VALU_DEP_1)
	v_lshrrev_b32_e32 v8, 16, v8
	v_cndmask_b32_e32 v3, 0x7fc0, v8, vcc_lo
.LBB92_2008:
	s_mov_b32 s19, 0
	s_mov_b32 s20, -1
.LBB92_2009:
	s_and_not1_b32 vcc_lo, exec_lo, s19
	s_mov_b32 s19, 0
	s_cbranch_vccnz .LBB92_2020
; %bb.2010:
	s_cmp_gt_i32 s15, 14
	s_cbranch_scc0 .LBB92_2013
; %bb.2011:
	s_cmp_eq_u32 s15, 15
	s_cbranch_scc0 .LBB92_2016
; %bb.2012:
	s_wait_loadcnt 0x0
	global_load_u16 v3, v[4:5], off
	s_mov_b32 s18, 0
	s_mov_b32 s20, -1
	s_branch .LBB92_2018
.LBB92_2013:
	s_mov_b32 s19, -1
	s_branch .LBB92_2017
.LBB92_2014:
	s_or_saveexec_b32 s20, s20
	v_mov_b32_e32 v8, 0x7f800001
	s_xor_b32 exec_lo, exec_lo, s20
	s_cbranch_execz .LBB92_1995
.LBB92_2015:
	v_cmp_ne_u16_e32 vcc_lo, 0, v3
	v_mov_b32_e32 v8, 0
	s_and_not1_b32 s19, s19, exec_lo
	s_and_b32 s21, vcc_lo, exec_lo
	s_delay_alu instid0(SALU_CYCLE_1)
	s_or_b32 s19, s19, s21
	s_or_b32 exec_lo, exec_lo, s20
	s_and_saveexec_b32 s20, s19
	s_cbranch_execnz .LBB92_1996
	s_branch .LBB92_1997
.LBB92_2016:
	s_mov_b32 s18, -1
.LBB92_2017:
                                        ; implicit-def: $vgpr3
.LBB92_2018:
	s_and_b32 vcc_lo, exec_lo, s19
	s_mov_b32 s19, 0
	s_cbranch_vccz .LBB92_2020
; %bb.2019:
	s_cmp_lg_u32 s15, 11
	s_mov_b32 s19, -1
	s_cselect_b32 s18, -1, 0
.LBB92_2020:
	s_delay_alu instid0(SALU_CYCLE_1)
	s_and_b32 vcc_lo, exec_lo, s18
	s_cbranch_vccnz .LBB92_2087
; %bb.2021:
	s_and_not1_b32 vcc_lo, exec_lo, s19
	s_cbranch_vccnz .LBB92_2023
.LBB92_2022:
	s_wait_loadcnt 0x0
	global_load_u8 v3, v[4:5], off
	s_mov_b32 s20, -1
	s_wait_loadcnt 0x0
	v_cmp_ne_u16_e32 vcc_lo, 0, v3
	v_cndmask_b32_e64 v3, 0, 1.0, vcc_lo
	s_delay_alu instid0(VALU_DEP_1)
	v_lshrrev_b32_e32 v3, 16, v3
.LBB92_2023:
	s_mov_b32 s15, 0
.LBB92_2024:
	s_delay_alu instid0(SALU_CYCLE_1)
	s_and_b32 vcc_lo, exec_lo, s15
	s_cbranch_vccz .LBB92_2073
; %bb.2025:
	s_and_b32 s15, 0xffff, s1
	s_delay_alu instid0(SALU_CYCLE_1)
	s_cmp_lt_i32 s15, 5
	s_cbranch_scc1 .LBB92_2030
; %bb.2026:
	s_cmp_lt_i32 s15, 8
	s_cbranch_scc1 .LBB92_2031
; %bb.2027:
	;; [unrolled: 3-line block ×3, first 2 shown]
	s_cmp_gt_i32 s15, 9
	s_cbranch_scc0 .LBB92_2033
; %bb.2029:
	global_load_b64 v[8:9], v[4:5], off
	s_mov_b32 s18, 0
	s_wait_loadcnt 0x0
	v_cvt_f32_f64_e32 v3, v[8:9]
	s_delay_alu instid0(VALU_DEP_1) | instskip(SKIP_1) | instid1(VALU_DEP_2)
	v_bfe_u32 v8, v3, 16, 1
	v_cmp_o_f32_e32 vcc_lo, v3, v3
	v_add3_u32 v8, v3, v8, 0x7fff
	s_delay_alu instid0(VALU_DEP_1) | instskip(NEXT) | instid1(VALU_DEP_1)
	v_lshrrev_b32_e32 v8, 16, v8
	v_cndmask_b32_e32 v3, 0x7fc0, v8, vcc_lo
	s_branch .LBB92_2034
.LBB92_2030:
	s_mov_b32 s18, -1
                                        ; implicit-def: $vgpr3
	s_branch .LBB92_2052
.LBB92_2031:
	s_mov_b32 s18, -1
                                        ; implicit-def: $vgpr3
	s_branch .LBB92_2040
.LBB92_2032:
	s_mov_b32 s18, -1
                                        ; implicit-def: $vgpr3
	s_branch .LBB92_2037
.LBB92_2033:
	s_mov_b32 s18, -1
                                        ; implicit-def: $vgpr3
.LBB92_2034:
	s_delay_alu instid0(SALU_CYCLE_1)
	s_and_not1_b32 vcc_lo, exec_lo, s18
	s_cbranch_vccnz .LBB92_2036
; %bb.2035:
	s_wait_loadcnt 0x0
	global_load_b32 v3, v[4:5], off
	s_wait_loadcnt 0x0
	v_bfe_u32 v8, v3, 16, 1
	v_cmp_o_f32_e32 vcc_lo, v3, v3
	s_delay_alu instid0(VALU_DEP_2) | instskip(NEXT) | instid1(VALU_DEP_1)
	v_add3_u32 v8, v3, v8, 0x7fff
	v_lshrrev_b32_e32 v8, 16, v8
	s_delay_alu instid0(VALU_DEP_1)
	v_cndmask_b32_e32 v3, 0x7fc0, v8, vcc_lo
.LBB92_2036:
	s_mov_b32 s18, 0
.LBB92_2037:
	s_delay_alu instid0(SALU_CYCLE_1)
	s_and_not1_b32 vcc_lo, exec_lo, s18
	s_cbranch_vccnz .LBB92_2039
; %bb.2038:
	s_wait_loadcnt 0x0
	global_load_b32 v3, v[4:5], off
	s_wait_loadcnt 0x0
	v_cvt_f32_f16_e32 v8, v3
	v_cmp_o_f16_e32 vcc_lo, v3, v3
	s_delay_alu instid0(VALU_DEP_2) | instskip(NEXT) | instid1(VALU_DEP_1)
	v_bfe_u32 v9, v8, 16, 1
	v_add3_u32 v8, v8, v9, 0x7fff
	s_delay_alu instid0(VALU_DEP_1) | instskip(NEXT) | instid1(VALU_DEP_1)
	v_lshrrev_b32_e32 v8, 16, v8
	v_cndmask_b32_e32 v3, 0x7fc0, v8, vcc_lo
.LBB92_2039:
	s_mov_b32 s18, 0
.LBB92_2040:
	s_delay_alu instid0(SALU_CYCLE_1)
	s_and_not1_b32 vcc_lo, exec_lo, s18
	s_cbranch_vccnz .LBB92_2051
; %bb.2041:
	s_cmp_lt_i32 s15, 6
	s_cbranch_scc1 .LBB92_2044
; %bb.2042:
	s_cmp_gt_i32 s15, 6
	s_cbranch_scc0 .LBB92_2045
; %bb.2043:
	global_load_b64 v[8:9], v[4:5], off
	s_mov_b32 s18, 0
	s_wait_loadcnt 0x0
	v_cvt_f32_f64_e32 v3, v[8:9]
	s_delay_alu instid0(VALU_DEP_1) | instskip(SKIP_1) | instid1(VALU_DEP_2)
	v_bfe_u32 v8, v3, 16, 1
	v_cmp_o_f32_e32 vcc_lo, v3, v3
	v_add3_u32 v8, v3, v8, 0x7fff
	s_delay_alu instid0(VALU_DEP_1) | instskip(NEXT) | instid1(VALU_DEP_1)
	v_lshrrev_b32_e32 v8, 16, v8
	v_cndmask_b32_e32 v3, 0x7fc0, v8, vcc_lo
	s_branch .LBB92_2046
.LBB92_2044:
	s_mov_b32 s18, -1
                                        ; implicit-def: $vgpr3
	s_branch .LBB92_2049
.LBB92_2045:
	s_mov_b32 s18, -1
                                        ; implicit-def: $vgpr3
.LBB92_2046:
	s_delay_alu instid0(SALU_CYCLE_1)
	s_and_not1_b32 vcc_lo, exec_lo, s18
	s_cbranch_vccnz .LBB92_2048
; %bb.2047:
	s_wait_loadcnt 0x0
	global_load_b32 v3, v[4:5], off
	s_wait_loadcnt 0x0
	v_bfe_u32 v8, v3, 16, 1
	v_cmp_o_f32_e32 vcc_lo, v3, v3
	s_delay_alu instid0(VALU_DEP_2) | instskip(NEXT) | instid1(VALU_DEP_1)
	v_add3_u32 v8, v3, v8, 0x7fff
	v_lshrrev_b32_e32 v8, 16, v8
	s_delay_alu instid0(VALU_DEP_1)
	v_cndmask_b32_e32 v3, 0x7fc0, v8, vcc_lo
.LBB92_2048:
	s_mov_b32 s18, 0
.LBB92_2049:
	s_delay_alu instid0(SALU_CYCLE_1)
	s_and_not1_b32 vcc_lo, exec_lo, s18
	s_cbranch_vccnz .LBB92_2051
; %bb.2050:
	s_wait_loadcnt 0x0
	global_load_u16 v3, v[4:5], off
	s_wait_loadcnt 0x0
	v_cvt_f32_f16_e32 v8, v3
	v_cmp_o_f16_e32 vcc_lo, v3, v3
	s_delay_alu instid0(VALU_DEP_2) | instskip(NEXT) | instid1(VALU_DEP_1)
	v_bfe_u32 v9, v8, 16, 1
	v_add3_u32 v8, v8, v9, 0x7fff
	s_delay_alu instid0(VALU_DEP_1) | instskip(NEXT) | instid1(VALU_DEP_1)
	v_lshrrev_b32_e32 v8, 16, v8
	v_cndmask_b32_e32 v3, 0x7fc0, v8, vcc_lo
.LBB92_2051:
	s_mov_b32 s18, 0
.LBB92_2052:
	s_delay_alu instid0(SALU_CYCLE_1)
	s_and_not1_b32 vcc_lo, exec_lo, s18
	s_cbranch_vccnz .LBB92_2072
; %bb.2053:
	s_cmp_lt_i32 s15, 2
	s_cbranch_scc1 .LBB92_2057
; %bb.2054:
	s_cmp_lt_i32 s15, 3
	s_cbranch_scc1 .LBB92_2058
; %bb.2055:
	s_cmp_gt_i32 s15, 3
	s_cbranch_scc0 .LBB92_2059
; %bb.2056:
	global_load_b64 v[8:9], v[4:5], off
	s_mov_b32 s18, 0
	s_wait_loadcnt 0x0
	v_xor_b32_e32 v3, v8, v9
	v_cls_i32_e32 v10, v9
	s_delay_alu instid0(VALU_DEP_2) | instskip(NEXT) | instid1(VALU_DEP_1)
	v_ashrrev_i32_e32 v3, 31, v3
	v_add_nc_u32_e32 v3, 32, v3
	s_delay_alu instid0(VALU_DEP_1) | instskip(NEXT) | instid1(VALU_DEP_1)
	v_add_min_u32_e64 v3, v10, -1, v3
	v_lshlrev_b64_e32 v[8:9], v3, v[8:9]
	v_sub_nc_u32_e32 v3, 32, v3
	s_delay_alu instid0(VALU_DEP_2) | instskip(NEXT) | instid1(VALU_DEP_1)
	v_min_u32_e32 v8, 1, v8
	v_or_b32_e32 v8, v9, v8
	s_delay_alu instid0(VALU_DEP_1) | instskip(NEXT) | instid1(VALU_DEP_1)
	v_cvt_f32_i32_e32 v8, v8
	v_ldexp_f32 v3, v8, v3
	s_delay_alu instid0(VALU_DEP_1) | instskip(NEXT) | instid1(VALU_DEP_1)
	v_bfe_u32 v8, v3, 16, 1
	v_add3_u32 v3, v3, v8, 0x7fff
	s_delay_alu instid0(VALU_DEP_1)
	v_lshrrev_b32_e32 v3, 16, v3
	s_branch .LBB92_2060
.LBB92_2057:
	s_mov_b32 s18, -1
                                        ; implicit-def: $vgpr3
	s_branch .LBB92_2066
.LBB92_2058:
	s_mov_b32 s18, -1
                                        ; implicit-def: $vgpr3
	s_branch .LBB92_2063
.LBB92_2059:
	s_mov_b32 s18, -1
                                        ; implicit-def: $vgpr3
.LBB92_2060:
	s_delay_alu instid0(SALU_CYCLE_1)
	s_and_not1_b32 vcc_lo, exec_lo, s18
	s_cbranch_vccnz .LBB92_2062
; %bb.2061:
	s_wait_loadcnt 0x0
	global_load_b32 v3, v[4:5], off
	s_wait_loadcnt 0x0
	v_cvt_f32_i32_e32 v3, v3
	s_delay_alu instid0(VALU_DEP_1) | instskip(NEXT) | instid1(VALU_DEP_1)
	v_bfe_u32 v8, v3, 16, 1
	v_add3_u32 v3, v3, v8, 0x7fff
	s_delay_alu instid0(VALU_DEP_1)
	v_lshrrev_b32_e32 v3, 16, v3
.LBB92_2062:
	s_mov_b32 s18, 0
.LBB92_2063:
	s_delay_alu instid0(SALU_CYCLE_1)
	s_and_not1_b32 vcc_lo, exec_lo, s18
	s_cbranch_vccnz .LBB92_2065
; %bb.2064:
	s_wait_loadcnt 0x0
	global_load_i16 v3, v[4:5], off
	s_wait_loadcnt 0x0
	v_cvt_f32_i32_e32 v3, v3
	s_delay_alu instid0(VALU_DEP_1) | instskip(NEXT) | instid1(VALU_DEP_1)
	v_bfe_u32 v8, v3, 16, 1
	v_add3_u32 v3, v3, v8, 0x7fff
	s_delay_alu instid0(VALU_DEP_1)
	v_lshrrev_b32_e32 v3, 16, v3
.LBB92_2065:
	s_mov_b32 s18, 0
.LBB92_2066:
	s_delay_alu instid0(SALU_CYCLE_1)
	s_and_not1_b32 vcc_lo, exec_lo, s18
	s_cbranch_vccnz .LBB92_2072
; %bb.2067:
	s_cmp_gt_i32 s15, 0
	s_mov_b32 s15, 0
	s_cbranch_scc0 .LBB92_2069
; %bb.2068:
	s_wait_loadcnt 0x0
	global_load_i8 v3, v[4:5], off
	s_wait_loadcnt 0x0
	v_cvt_f32_i32_e32 v3, v3
	s_delay_alu instid0(VALU_DEP_1) | instskip(NEXT) | instid1(VALU_DEP_1)
	v_bfe_u32 v8, v3, 16, 1
	v_add3_u32 v3, v3, v8, 0x7fff
	s_delay_alu instid0(VALU_DEP_1)
	v_lshrrev_b32_e32 v3, 16, v3
	s_branch .LBB92_2070
.LBB92_2069:
	s_mov_b32 s15, -1
                                        ; implicit-def: $vgpr3
.LBB92_2070:
	s_delay_alu instid0(SALU_CYCLE_1)
	s_and_not1_b32 vcc_lo, exec_lo, s15
	s_cbranch_vccnz .LBB92_2072
; %bb.2071:
	s_wait_loadcnt 0x0
	global_load_u8 v3, v[4:5], off
	s_wait_loadcnt 0x0
	v_cvt_f32_ubyte0_e32 v3, v3
	s_wait_xcnt 0x0
	s_delay_alu instid0(VALU_DEP_1) | instskip(NEXT) | instid1(VALU_DEP_1)
	v_bfe_u32 v4, v3, 16, 1
	v_add3_u32 v3, v3, v4, 0x7fff
	s_delay_alu instid0(VALU_DEP_1)
	v_lshrrev_b32_e32 v3, 16, v3
.LBB92_2072:
	s_mov_b32 s20, -1
.LBB92_2073:
	s_delay_alu instid0(SALU_CYCLE_1)
	s_and_not1_b32 vcc_lo, exec_lo, s20
	s_cbranch_vccnz .LBB92_3039
; %bb.2074:
	s_wait_loadcnt 0x0
	v_dual_lshlrev_b32 v3, 16, v3 :: v_dual_lshlrev_b32 v8, 16, v1
	s_mov_b32 s15, exec_lo
	s_delay_alu instid0(VALU_DEP_1) | instskip(SKIP_1) | instid1(VALU_DEP_1)
	v_mul_f32_e32 v3, s11, v3
	s_wait_xcnt 0x0
	v_cmpx_nlt_f32_e32 s2, v3
	s_cbranch_execz .LBB92_2076
; %bb.2075:
	v_mul_f32_e32 v1, 0x3fb8aa3b, v3
	v_cmp_ngt_f32_e32 vcc_lo, 0xc2ce8ed0, v3
	s_delay_alu instid0(VALU_DEP_2) | instskip(SKIP_1) | instid1(VALU_DEP_2)
	v_rndne_f32_e32 v4, v1
	v_fma_f32 v5, 0x3fb8aa3b, v3, -v1
	v_sub_f32_e32 v1, v1, v4
	s_delay_alu instid0(VALU_DEP_2) | instskip(SKIP_1) | instid1(VALU_DEP_2)
	v_fmamk_f32 v5, v3, 0x32a5705f, v5
	v_cvt_i32_f32_e32 v4, v4
	v_add_f32_e32 v1, v1, v5
	s_delay_alu instid0(VALU_DEP_1) | instskip(SKIP_1) | instid1(TRANS32_DEP_1)
	v_exp_f32_e32 v1, v1
	v_nop
	v_ldexp_f32 v1, v1, v4
	s_delay_alu instid0(VALU_DEP_1) | instskip(SKIP_1) | instid1(VALU_DEP_2)
	v_cndmask_b32_e32 v1, 0, v1, vcc_lo
	v_cmp_nlt_f32_e32 vcc_lo, 0x42b17218, v3
	v_cndmask_b32_e32 v1, 0x7f800000, v1, vcc_lo
	s_delay_alu instid0(VALU_DEP_1) | instskip(NEXT) | instid1(VALU_DEP_1)
	v_dual_mul_f32 v3, v1, v8 :: v_dual_add_f32 v1, 1.0, v1
	v_div_scale_f32 v4, null, v1, v1, v3
	s_delay_alu instid0(VALU_DEP_1) | instskip(SKIP_1) | instid1(TRANS32_DEP_1)
	v_rcp_f32_e32 v5, v4
	v_nop
	v_fma_f32 v8, -v4, v5, 1.0
	s_delay_alu instid0(VALU_DEP_1) | instskip(SKIP_1) | instid1(VALU_DEP_1)
	v_fmac_f32_e32 v5, v8, v5
	v_div_scale_f32 v8, vcc_lo, v3, v1, v3
	v_mul_f32_e32 v9, v8, v5
	s_delay_alu instid0(VALU_DEP_1) | instskip(NEXT) | instid1(VALU_DEP_1)
	v_fma_f32 v10, -v4, v9, v8
	v_fmac_f32_e32 v9, v10, v5
	s_delay_alu instid0(VALU_DEP_1) | instskip(NEXT) | instid1(VALU_DEP_1)
	v_fma_f32 v4, -v4, v9, v8
	v_div_fmas_f32 v4, v4, v5, v9
	s_delay_alu instid0(VALU_DEP_1)
	v_div_fixup_f32 v8, v4, v1, v3
.LBB92_2076:
	s_or_b32 exec_lo, exec_lo, s15
	v_add_nc_u32_e32 v0, s9, v0
	s_cmp_lt_i32 s0, 11
	s_delay_alu instid0(VALU_DEP_1) | instskip(NEXT) | instid1(VALU_DEP_1)
	v_ashrrev_i32_e32 v1, 31, v0
	v_add_nc_u64_e32 v[4:5], s[6:7], v[0:1]
	s_cbranch_scc1 .LBB92_2083
; %bb.2077:
	s_and_b32 s15, 0xffff, s0
	s_mov_b32 s19, 0
	s_cmp_gt_i32 s15, 25
	s_cbranch_scc0 .LBB92_2084
; %bb.2078:
	s_cmp_gt_i32 s15, 28
	s_cbranch_scc0 .LBB92_2085
; %bb.2079:
	;; [unrolled: 3-line block ×4, first 2 shown]
	s_cmp_eq_u32 s15, 46
	s_mov_b32 s21, 0
	s_cbranch_scc0 .LBB92_2089
; %bb.2082:
	global_load_b32 v1, v[4:5], off
	s_mov_b32 s18, 0
	s_mov_b32 s20, -1
	s_branch .LBB92_2091
.LBB92_2083:
	s_mov_b32 s15, -1
	s_mov_b32 s20, 0
                                        ; implicit-def: $vgpr1
	s_branch .LBB92_2157
.LBB92_2084:
	s_mov_b32 s21, -1
	s_mov_b32 s20, 0
	s_mov_b32 s18, 0
                                        ; implicit-def: $vgpr1
	s_branch .LBB92_2120
.LBB92_2085:
	s_mov_b32 s21, -1
	s_mov_b32 s20, 0
	s_mov_b32 s18, 0
                                        ; implicit-def: $vgpr1
	s_branch .LBB92_2101
.LBB92_2086:
	s_mov_b32 s21, -1
	s_mov_b32 s20, 0
	s_mov_b32 s18, 0
                                        ; implicit-def: $vgpr1
	s_branch .LBB92_2096
.LBB92_2087:
	s_or_b32 s14, s14, exec_lo
	s_trap 2
	s_cbranch_execz .LBB92_2022
	s_branch .LBB92_2023
.LBB92_2088:
	s_mov_b32 s21, -1
	s_mov_b32 s20, 0
	s_mov_b32 s18, 0
	s_branch .LBB92_2090
.LBB92_2089:
	s_mov_b32 s18, -1
	s_mov_b32 s20, 0
.LBB92_2090:
                                        ; implicit-def: $vgpr1
.LBB92_2091:
	s_and_b32 vcc_lo, exec_lo, s21
	s_cbranch_vccz .LBB92_2095
; %bb.2092:
	s_cmp_eq_u32 s15, 44
	s_cbranch_scc0 .LBB92_2094
; %bb.2093:
	s_wait_loadcnt 0x0
	global_load_u8 v1, v[4:5], off
	s_mov_b32 s18, 0
	s_mov_b32 s20, -1
	s_wait_loadcnt 0x0
	v_lshlrev_b32_e32 v3, 23, v1
	v_cmp_ne_u32_e32 vcc_lo, 0xff, v1
	s_delay_alu instid0(VALU_DEP_2) | instskip(SKIP_1) | instid1(VALU_DEP_2)
	v_cndmask_b32_e32 v3, 0x7f800001, v3, vcc_lo
	v_cmp_ne_u32_e32 vcc_lo, 0, v1
	v_cndmask_b32_e32 v1, 0x400000, v3, vcc_lo
	s_delay_alu instid0(VALU_DEP_1) | instskip(SKIP_1) | instid1(VALU_DEP_2)
	v_add_nc_u32_e32 v3, 0x7fff, v1
	v_cmp_o_f32_e32 vcc_lo, v1, v1
	v_lshrrev_b32_e32 v3, 16, v3
	s_delay_alu instid0(VALU_DEP_1)
	v_cndmask_b32_e32 v1, 0x7fc0, v3, vcc_lo
	s_branch .LBB92_2095
.LBB92_2094:
	s_mov_b32 s18, -1
                                        ; implicit-def: $vgpr1
.LBB92_2095:
	s_mov_b32 s21, 0
.LBB92_2096:
	s_delay_alu instid0(SALU_CYCLE_1)
	s_and_b32 vcc_lo, exec_lo, s21
	s_cbranch_vccz .LBB92_2100
; %bb.2097:
	s_cmp_eq_u32 s15, 29
	s_cbranch_scc0 .LBB92_2099
; %bb.2098:
	global_load_b64 v[10:11], v[4:5], off
	s_mov_b32 s18, 0
	s_mov_b32 s20, -1
	s_mov_b32 s21, 0
	s_wait_loadcnt 0x0
	v_clz_i32_u32_e32 v1, v11
	s_delay_alu instid0(VALU_DEP_1) | instskip(NEXT) | instid1(VALU_DEP_1)
	v_min_u32_e32 v1, 32, v1
	v_lshlrev_b64_e32 v[10:11], v1, v[10:11]
	v_sub_nc_u32_e32 v1, 32, v1
	s_delay_alu instid0(VALU_DEP_2) | instskip(NEXT) | instid1(VALU_DEP_1)
	v_min_u32_e32 v3, 1, v10
	v_or_b32_e32 v3, v11, v3
	s_delay_alu instid0(VALU_DEP_1) | instskip(NEXT) | instid1(VALU_DEP_1)
	v_cvt_f32_u32_e32 v3, v3
	v_ldexp_f32 v1, v3, v1
	s_delay_alu instid0(VALU_DEP_1) | instskip(NEXT) | instid1(VALU_DEP_1)
	v_bfe_u32 v3, v1, 16, 1
	v_add3_u32 v1, v1, v3, 0x7fff
	s_delay_alu instid0(VALU_DEP_1)
	v_lshrrev_b32_e32 v1, 16, v1
	s_branch .LBB92_2101
.LBB92_2099:
	s_mov_b32 s18, -1
                                        ; implicit-def: $vgpr1
.LBB92_2100:
	s_mov_b32 s21, 0
.LBB92_2101:
	s_delay_alu instid0(SALU_CYCLE_1)
	s_and_b32 vcc_lo, exec_lo, s21
	s_cbranch_vccz .LBB92_2119
; %bb.2102:
	s_cmp_lt_i32 s15, 27
	s_cbranch_scc1 .LBB92_2105
; %bb.2103:
	s_cmp_gt_i32 s15, 27
	s_cbranch_scc0 .LBB92_2106
; %bb.2104:
	s_wait_loadcnt 0x0
	global_load_b32 v1, v[4:5], off
	s_mov_b32 s20, 0
	s_wait_loadcnt 0x0
	v_cvt_f32_u32_e32 v1, v1
	s_delay_alu instid0(VALU_DEP_1) | instskip(NEXT) | instid1(VALU_DEP_1)
	v_bfe_u32 v3, v1, 16, 1
	v_add3_u32 v1, v1, v3, 0x7fff
	s_delay_alu instid0(VALU_DEP_1)
	v_lshrrev_b32_e32 v1, 16, v1
	s_branch .LBB92_2107
.LBB92_2105:
	s_mov_b32 s20, -1
                                        ; implicit-def: $vgpr1
	s_branch .LBB92_2110
.LBB92_2106:
	s_mov_b32 s20, -1
                                        ; implicit-def: $vgpr1
.LBB92_2107:
	s_delay_alu instid0(SALU_CYCLE_1)
	s_and_not1_b32 vcc_lo, exec_lo, s20
	s_cbranch_vccnz .LBB92_2109
; %bb.2108:
	s_wait_loadcnt 0x0
	global_load_u16 v1, v[4:5], off
	s_wait_loadcnt 0x0
	v_cvt_f32_u32_e32 v1, v1
	s_delay_alu instid0(VALU_DEP_1) | instskip(NEXT) | instid1(VALU_DEP_1)
	v_bfe_u32 v3, v1, 16, 1
	v_add3_u32 v1, v1, v3, 0x7fff
	s_delay_alu instid0(VALU_DEP_1)
	v_lshrrev_b32_e32 v1, 16, v1
.LBB92_2109:
	s_mov_b32 s20, 0
.LBB92_2110:
	s_delay_alu instid0(SALU_CYCLE_1)
	s_and_not1_b32 vcc_lo, exec_lo, s20
	s_cbranch_vccnz .LBB92_2118
; %bb.2111:
	s_wait_loadcnt 0x0
	global_load_u8 v1, v[4:5], off
	s_mov_b32 s20, 0
	s_mov_b32 s21, exec_lo
	s_wait_loadcnt 0x0
	v_cmpx_lt_i16_e32 0x7f, v1
	s_xor_b32 s21, exec_lo, s21
	s_cbranch_execz .LBB92_2132
; %bb.2112:
	s_mov_b32 s20, -1
	s_mov_b32 s22, exec_lo
	v_cmpx_eq_u16_e32 0x80, v1
; %bb.2113:
	s_xor_b32 s20, exec_lo, -1
; %bb.2114:
	s_or_b32 exec_lo, exec_lo, s22
	s_delay_alu instid0(SALU_CYCLE_1)
	s_and_b32 s20, s20, exec_lo
	s_or_saveexec_b32 s21, s21
	v_mov_b32_e32 v3, 0x7f800001
	s_xor_b32 exec_lo, exec_lo, s21
	s_cbranch_execnz .LBB92_2133
.LBB92_2115:
	s_or_b32 exec_lo, exec_lo, s21
	s_and_saveexec_b32 s21, s20
	s_cbranch_execz .LBB92_2117
.LBB92_2116:
	v_and_b32_e32 v3, 0xffff, v1
	s_delay_alu instid0(VALU_DEP_1) | instskip(SKIP_1) | instid1(VALU_DEP_2)
	v_and_b32_e32 v9, 7, v3
	v_bfe_u32 v12, v3, 3, 4
	v_clz_i32_u32_e32 v10, v9
	s_delay_alu instid0(VALU_DEP_2) | instskip(NEXT) | instid1(VALU_DEP_2)
	v_cmp_eq_u32_e32 vcc_lo, 0, v12
	v_min_u32_e32 v10, 32, v10
	s_delay_alu instid0(VALU_DEP_1) | instskip(NEXT) | instid1(VALU_DEP_1)
	v_subrev_nc_u32_e32 v11, 28, v10
	v_dual_lshlrev_b32 v3, v11, v3 :: v_dual_sub_nc_u32 v10, 29, v10
	s_delay_alu instid0(VALU_DEP_1) | instskip(NEXT) | instid1(VALU_DEP_1)
	v_dual_lshlrev_b32 v1, 24, v1 :: v_dual_bitop2_b32 v3, 7, v3 bitop3:0x40
	v_dual_cndmask_b32 v10, v12, v10 :: v_dual_cndmask_b32 v3, v9, v3
	s_delay_alu instid0(VALU_DEP_2) | instskip(NEXT) | instid1(VALU_DEP_2)
	v_and_b32_e32 v1, 0x80000000, v1
	v_lshl_add_u32 v9, v10, 23, 0x3b800000
	s_delay_alu instid0(VALU_DEP_3) | instskip(NEXT) | instid1(VALU_DEP_1)
	v_lshlrev_b32_e32 v3, 20, v3
	v_or3_b32 v3, v1, v9, v3
.LBB92_2117:
	s_or_b32 exec_lo, exec_lo, s21
	s_delay_alu instid0(VALU_DEP_1) | instskip(SKIP_1) | instid1(VALU_DEP_2)
	v_bfe_u32 v1, v3, 16, 1
	v_cmp_o_f32_e32 vcc_lo, v3, v3
	v_add3_u32 v1, v3, v1, 0x7fff
	s_delay_alu instid0(VALU_DEP_1) | instskip(NEXT) | instid1(VALU_DEP_1)
	v_lshrrev_b32_e32 v1, 16, v1
	v_cndmask_b32_e32 v1, 0x7fc0, v1, vcc_lo
.LBB92_2118:
	s_mov_b32 s20, -1
.LBB92_2119:
	s_mov_b32 s21, 0
.LBB92_2120:
	s_delay_alu instid0(SALU_CYCLE_1)
	s_and_b32 vcc_lo, exec_lo, s21
	s_cbranch_vccz .LBB92_2153
; %bb.2121:
	s_cmp_gt_i32 s15, 22
	s_cbranch_scc0 .LBB92_2131
; %bb.2122:
	s_cmp_lt_i32 s15, 24
	s_cbranch_scc1 .LBB92_2134
; %bb.2123:
	s_cmp_gt_i32 s15, 24
	s_cbranch_scc0 .LBB92_2135
; %bb.2124:
	s_wait_loadcnt 0x0
	global_load_u8 v1, v[4:5], off
	s_mov_b32 s20, exec_lo
	s_wait_loadcnt 0x0
	v_cmpx_lt_i16_e32 0x7f, v1
	s_xor_b32 s20, exec_lo, s20
	s_cbranch_execz .LBB92_2147
; %bb.2125:
	s_mov_b32 s19, -1
	s_mov_b32 s21, exec_lo
	v_cmpx_eq_u16_e32 0x80, v1
; %bb.2126:
	s_xor_b32 s19, exec_lo, -1
; %bb.2127:
	s_or_b32 exec_lo, exec_lo, s21
	s_delay_alu instid0(SALU_CYCLE_1)
	s_and_b32 s19, s19, exec_lo
	s_or_saveexec_b32 s20, s20
	v_mov_b32_e32 v3, 0x7f800001
	s_xor_b32 exec_lo, exec_lo, s20
	s_cbranch_execnz .LBB92_2148
.LBB92_2128:
	s_or_b32 exec_lo, exec_lo, s20
	s_and_saveexec_b32 s20, s19
	s_cbranch_execz .LBB92_2130
.LBB92_2129:
	v_and_b32_e32 v3, 0xffff, v1
	s_delay_alu instid0(VALU_DEP_1) | instskip(SKIP_1) | instid1(VALU_DEP_2)
	v_and_b32_e32 v9, 3, v3
	v_bfe_u32 v12, v3, 2, 5
	v_clz_i32_u32_e32 v10, v9
	s_delay_alu instid0(VALU_DEP_2) | instskip(NEXT) | instid1(VALU_DEP_2)
	v_cmp_eq_u32_e32 vcc_lo, 0, v12
	v_min_u32_e32 v10, 32, v10
	s_delay_alu instid0(VALU_DEP_1) | instskip(NEXT) | instid1(VALU_DEP_1)
	v_subrev_nc_u32_e32 v11, 29, v10
	v_dual_lshlrev_b32 v3, v11, v3 :: v_dual_sub_nc_u32 v10, 30, v10
	s_delay_alu instid0(VALU_DEP_1) | instskip(NEXT) | instid1(VALU_DEP_1)
	v_dual_lshlrev_b32 v1, 24, v1 :: v_dual_bitop2_b32 v3, 3, v3 bitop3:0x40
	v_dual_cndmask_b32 v10, v12, v10 :: v_dual_cndmask_b32 v3, v9, v3
	s_delay_alu instid0(VALU_DEP_2) | instskip(NEXT) | instid1(VALU_DEP_2)
	v_and_b32_e32 v1, 0x80000000, v1
	v_lshl_add_u32 v9, v10, 23, 0x37800000
	s_delay_alu instid0(VALU_DEP_3) | instskip(NEXT) | instid1(VALU_DEP_1)
	v_lshlrev_b32_e32 v3, 21, v3
	v_or3_b32 v3, v1, v9, v3
.LBB92_2130:
	s_or_b32 exec_lo, exec_lo, s20
	s_delay_alu instid0(VALU_DEP_1) | instskip(SKIP_2) | instid1(VALU_DEP_2)
	v_bfe_u32 v1, v3, 16, 1
	v_cmp_o_f32_e32 vcc_lo, v3, v3
	s_mov_b32 s19, 0
	v_add3_u32 v1, v3, v1, 0x7fff
	s_delay_alu instid0(VALU_DEP_1) | instskip(NEXT) | instid1(VALU_DEP_1)
	v_lshrrev_b32_e32 v1, 16, v1
	v_cndmask_b32_e32 v1, 0x7fc0, v1, vcc_lo
	s_branch .LBB92_2136
.LBB92_2131:
	s_mov_b32 s19, -1
                                        ; implicit-def: $vgpr1
	s_branch .LBB92_2142
.LBB92_2132:
	s_or_saveexec_b32 s21, s21
	v_mov_b32_e32 v3, 0x7f800001
	s_xor_b32 exec_lo, exec_lo, s21
	s_cbranch_execz .LBB92_2115
.LBB92_2133:
	v_cmp_ne_u16_e32 vcc_lo, 0, v1
	v_mov_b32_e32 v3, 0
	s_and_not1_b32 s20, s20, exec_lo
	s_and_b32 s22, vcc_lo, exec_lo
	s_delay_alu instid0(SALU_CYCLE_1)
	s_or_b32 s20, s20, s22
	s_or_b32 exec_lo, exec_lo, s21
	s_and_saveexec_b32 s21, s20
	s_cbranch_execnz .LBB92_2116
	s_branch .LBB92_2117
.LBB92_2134:
	s_mov_b32 s19, -1
                                        ; implicit-def: $vgpr1
	s_branch .LBB92_2139
.LBB92_2135:
	s_mov_b32 s19, -1
                                        ; implicit-def: $vgpr1
.LBB92_2136:
	s_delay_alu instid0(SALU_CYCLE_1)
	s_and_b32 vcc_lo, exec_lo, s19
	s_cbranch_vccz .LBB92_2138
; %bb.2137:
	s_wait_loadcnt 0x0
	global_load_u8 v1, v[4:5], off
	s_wait_loadcnt 0x0
	v_lshlrev_b32_e32 v1, 24, v1
	s_delay_alu instid0(VALU_DEP_1) | instskip(NEXT) | instid1(VALU_DEP_1)
	v_and_b32_e32 v3, 0x7f000000, v1
	v_clz_i32_u32_e32 v9, v3
	v_add_nc_u32_e32 v11, 0x1000000, v3
	v_cmp_ne_u32_e32 vcc_lo, 0, v3
	s_delay_alu instid0(VALU_DEP_3) | instskip(NEXT) | instid1(VALU_DEP_1)
	v_min_u32_e32 v9, 32, v9
	v_sub_nc_u32_e64 v9, v9, 4 clamp
	s_delay_alu instid0(VALU_DEP_1) | instskip(NEXT) | instid1(VALU_DEP_1)
	v_dual_lshlrev_b32 v10, v9, v3 :: v_dual_lshlrev_b32 v9, 23, v9
	v_lshrrev_b32_e32 v10, 4, v10
	s_delay_alu instid0(VALU_DEP_1) | instskip(NEXT) | instid1(VALU_DEP_1)
	v_dual_sub_nc_u32 v9, v10, v9 :: v_dual_ashrrev_i32 v10, 8, v11
	v_add_nc_u32_e32 v9, 0x3c000000, v9
	s_delay_alu instid0(VALU_DEP_1) | instskip(NEXT) | instid1(VALU_DEP_1)
	v_and_or_b32 v9, 0x7f800000, v10, v9
	v_cndmask_b32_e32 v3, 0, v9, vcc_lo
	s_delay_alu instid0(VALU_DEP_1) | instskip(SKIP_1) | instid1(VALU_DEP_2)
	v_and_or_b32 v1, 0x80000000, v1, v3
	v_bfe_u32 v3, v3, 16, 1
	v_cmp_o_f32_e32 vcc_lo, v1, v1
	s_delay_alu instid0(VALU_DEP_2) | instskip(NEXT) | instid1(VALU_DEP_1)
	v_add3_u32 v3, v1, v3, 0x7fff
	v_lshrrev_b32_e32 v3, 16, v3
	s_delay_alu instid0(VALU_DEP_1)
	v_cndmask_b32_e32 v1, 0x7fc0, v3, vcc_lo
.LBB92_2138:
	s_mov_b32 s19, 0
.LBB92_2139:
	s_delay_alu instid0(SALU_CYCLE_1)
	s_and_not1_b32 vcc_lo, exec_lo, s19
	s_cbranch_vccnz .LBB92_2141
; %bb.2140:
	s_wait_loadcnt 0x0
	global_load_u8 v1, v[4:5], off
	s_wait_loadcnt 0x0
	v_lshlrev_b32_e32 v3, 25, v1
	v_lshlrev_b16 v1, 8, v1
	s_delay_alu instid0(VALU_DEP_1) | instskip(SKIP_1) | instid1(VALU_DEP_2)
	v_and_or_b32 v10, 0x7f00, v1, 0.5
	v_bfe_i32 v1, v1, 0, 16
	v_dual_add_f32 v10, -0.5, v10 :: v_dual_lshrrev_b32 v9, 4, v3
	v_cmp_gt_u32_e32 vcc_lo, 0x8000000, v3
	s_delay_alu instid0(VALU_DEP_2) | instskip(NEXT) | instid1(VALU_DEP_1)
	v_or_b32_e32 v9, 0x70000000, v9
	v_mul_f32_e32 v9, 0x7800000, v9
	s_delay_alu instid0(VALU_DEP_1) | instskip(NEXT) | instid1(VALU_DEP_1)
	v_cndmask_b32_e32 v3, v9, v10, vcc_lo
	v_and_or_b32 v1, 0x80000000, v1, v3
	v_bfe_u32 v3, v3, 16, 1
	s_delay_alu instid0(VALU_DEP_2) | instskip(NEXT) | instid1(VALU_DEP_2)
	v_cmp_o_f32_e32 vcc_lo, v1, v1
	v_add3_u32 v3, v1, v3, 0x7fff
	s_delay_alu instid0(VALU_DEP_1) | instskip(NEXT) | instid1(VALU_DEP_1)
	v_lshrrev_b32_e32 v3, 16, v3
	v_cndmask_b32_e32 v1, 0x7fc0, v3, vcc_lo
.LBB92_2141:
	s_mov_b32 s19, 0
	s_mov_b32 s20, -1
.LBB92_2142:
	s_and_not1_b32 vcc_lo, exec_lo, s19
	s_mov_b32 s19, 0
	s_cbranch_vccnz .LBB92_2153
; %bb.2143:
	s_cmp_gt_i32 s15, 14
	s_cbranch_scc0 .LBB92_2146
; %bb.2144:
	s_cmp_eq_u32 s15, 15
	s_cbranch_scc0 .LBB92_2149
; %bb.2145:
	s_wait_loadcnt 0x0
	global_load_u16 v1, v[4:5], off
	s_mov_b32 s18, 0
	s_mov_b32 s20, -1
	s_branch .LBB92_2151
.LBB92_2146:
	s_mov_b32 s19, -1
	s_branch .LBB92_2150
.LBB92_2147:
	s_or_saveexec_b32 s20, s20
	v_mov_b32_e32 v3, 0x7f800001
	s_xor_b32 exec_lo, exec_lo, s20
	s_cbranch_execz .LBB92_2128
.LBB92_2148:
	v_cmp_ne_u16_e32 vcc_lo, 0, v1
	v_mov_b32_e32 v3, 0
	s_and_not1_b32 s19, s19, exec_lo
	s_and_b32 s21, vcc_lo, exec_lo
	s_delay_alu instid0(SALU_CYCLE_1)
	s_or_b32 s19, s19, s21
	s_or_b32 exec_lo, exec_lo, s20
	s_and_saveexec_b32 s20, s19
	s_cbranch_execnz .LBB92_2129
	s_branch .LBB92_2130
.LBB92_2149:
	s_mov_b32 s18, -1
.LBB92_2150:
                                        ; implicit-def: $vgpr1
.LBB92_2151:
	s_and_b32 vcc_lo, exec_lo, s19
	s_mov_b32 s19, 0
	s_cbranch_vccz .LBB92_2153
; %bb.2152:
	s_cmp_lg_u32 s15, 11
	s_mov_b32 s19, -1
	s_cselect_b32 s18, -1, 0
.LBB92_2153:
	s_delay_alu instid0(SALU_CYCLE_1)
	s_and_b32 vcc_lo, exec_lo, s18
	s_cbranch_vccnz .LBB92_2218
; %bb.2154:
	s_and_not1_b32 vcc_lo, exec_lo, s19
	s_cbranch_vccnz .LBB92_2156
.LBB92_2155:
	s_wait_loadcnt 0x0
	global_load_u8 v1, v[4:5], off
	s_mov_b32 s20, -1
	s_wait_loadcnt 0x0
	v_cmp_ne_u16_e32 vcc_lo, 0, v1
	v_cndmask_b32_e64 v1, 0, 1.0, vcc_lo
	s_delay_alu instid0(VALU_DEP_1)
	v_lshrrev_b32_e32 v1, 16, v1
.LBB92_2156:
	s_mov_b32 s15, 0
.LBB92_2157:
	s_delay_alu instid0(SALU_CYCLE_1)
	s_and_b32 vcc_lo, exec_lo, s15
	s_cbranch_vccz .LBB92_2206
; %bb.2158:
	s_and_b32 s15, 0xffff, s0
	s_delay_alu instid0(SALU_CYCLE_1)
	s_cmp_lt_i32 s15, 5
	s_cbranch_scc1 .LBB92_2163
; %bb.2159:
	s_cmp_lt_i32 s15, 8
	s_cbranch_scc1 .LBB92_2164
; %bb.2160:
	;; [unrolled: 3-line block ×3, first 2 shown]
	s_cmp_gt_i32 s15, 9
	s_cbranch_scc0 .LBB92_2166
; %bb.2162:
	global_load_b64 v[10:11], v[4:5], off
	s_mov_b32 s18, 0
	s_wait_loadcnt 0x0
	v_cvt_f32_f64_e32 v1, v[10:11]
	s_delay_alu instid0(VALU_DEP_1) | instskip(SKIP_1) | instid1(VALU_DEP_2)
	v_bfe_u32 v3, v1, 16, 1
	v_cmp_o_f32_e32 vcc_lo, v1, v1
	v_add3_u32 v3, v1, v3, 0x7fff
	s_delay_alu instid0(VALU_DEP_1) | instskip(NEXT) | instid1(VALU_DEP_1)
	v_lshrrev_b32_e32 v3, 16, v3
	v_cndmask_b32_e32 v1, 0x7fc0, v3, vcc_lo
	s_branch .LBB92_2167
.LBB92_2163:
	s_mov_b32 s18, -1
                                        ; implicit-def: $vgpr1
	s_branch .LBB92_2185
.LBB92_2164:
	s_mov_b32 s18, -1
                                        ; implicit-def: $vgpr1
	s_branch .LBB92_2173
.LBB92_2165:
	s_mov_b32 s18, -1
                                        ; implicit-def: $vgpr1
	s_branch .LBB92_2170
.LBB92_2166:
	s_mov_b32 s18, -1
                                        ; implicit-def: $vgpr1
.LBB92_2167:
	s_delay_alu instid0(SALU_CYCLE_1)
	s_and_not1_b32 vcc_lo, exec_lo, s18
	s_cbranch_vccnz .LBB92_2169
; %bb.2168:
	s_wait_loadcnt 0x0
	global_load_b32 v1, v[4:5], off
	s_wait_loadcnt 0x0
	v_bfe_u32 v3, v1, 16, 1
	v_cmp_o_f32_e32 vcc_lo, v1, v1
	s_delay_alu instid0(VALU_DEP_2) | instskip(NEXT) | instid1(VALU_DEP_1)
	v_add3_u32 v3, v1, v3, 0x7fff
	v_lshrrev_b32_e32 v3, 16, v3
	s_delay_alu instid0(VALU_DEP_1)
	v_cndmask_b32_e32 v1, 0x7fc0, v3, vcc_lo
.LBB92_2169:
	s_mov_b32 s18, 0
.LBB92_2170:
	s_delay_alu instid0(SALU_CYCLE_1)
	s_and_not1_b32 vcc_lo, exec_lo, s18
	s_cbranch_vccnz .LBB92_2172
; %bb.2171:
	s_wait_loadcnt 0x0
	global_load_b32 v1, v[4:5], off
	s_wait_loadcnt 0x0
	v_cvt_f32_f16_e32 v3, v1
	v_cmp_o_f16_e32 vcc_lo, v1, v1
	s_delay_alu instid0(VALU_DEP_2) | instskip(NEXT) | instid1(VALU_DEP_1)
	v_bfe_u32 v9, v3, 16, 1
	v_add3_u32 v3, v3, v9, 0x7fff
	s_delay_alu instid0(VALU_DEP_1) | instskip(NEXT) | instid1(VALU_DEP_1)
	v_lshrrev_b32_e32 v3, 16, v3
	v_cndmask_b32_e32 v1, 0x7fc0, v3, vcc_lo
.LBB92_2172:
	s_mov_b32 s18, 0
.LBB92_2173:
	s_delay_alu instid0(SALU_CYCLE_1)
	s_and_not1_b32 vcc_lo, exec_lo, s18
	s_cbranch_vccnz .LBB92_2184
; %bb.2174:
	s_cmp_lt_i32 s15, 6
	s_cbranch_scc1 .LBB92_2177
; %bb.2175:
	s_cmp_gt_i32 s15, 6
	s_cbranch_scc0 .LBB92_2178
; %bb.2176:
	global_load_b64 v[10:11], v[4:5], off
	s_mov_b32 s18, 0
	s_wait_loadcnt 0x0
	v_cvt_f32_f64_e32 v1, v[10:11]
	s_delay_alu instid0(VALU_DEP_1) | instskip(SKIP_1) | instid1(VALU_DEP_2)
	v_bfe_u32 v3, v1, 16, 1
	v_cmp_o_f32_e32 vcc_lo, v1, v1
	v_add3_u32 v3, v1, v3, 0x7fff
	s_delay_alu instid0(VALU_DEP_1) | instskip(NEXT) | instid1(VALU_DEP_1)
	v_lshrrev_b32_e32 v3, 16, v3
	v_cndmask_b32_e32 v1, 0x7fc0, v3, vcc_lo
	s_branch .LBB92_2179
.LBB92_2177:
	s_mov_b32 s18, -1
                                        ; implicit-def: $vgpr1
	s_branch .LBB92_2182
.LBB92_2178:
	s_mov_b32 s18, -1
                                        ; implicit-def: $vgpr1
.LBB92_2179:
	s_delay_alu instid0(SALU_CYCLE_1)
	s_and_not1_b32 vcc_lo, exec_lo, s18
	s_cbranch_vccnz .LBB92_2181
; %bb.2180:
	s_wait_loadcnt 0x0
	global_load_b32 v1, v[4:5], off
	s_wait_loadcnt 0x0
	v_bfe_u32 v3, v1, 16, 1
	v_cmp_o_f32_e32 vcc_lo, v1, v1
	s_delay_alu instid0(VALU_DEP_2) | instskip(NEXT) | instid1(VALU_DEP_1)
	v_add3_u32 v3, v1, v3, 0x7fff
	v_lshrrev_b32_e32 v3, 16, v3
	s_delay_alu instid0(VALU_DEP_1)
	v_cndmask_b32_e32 v1, 0x7fc0, v3, vcc_lo
.LBB92_2181:
	s_mov_b32 s18, 0
.LBB92_2182:
	s_delay_alu instid0(SALU_CYCLE_1)
	s_and_not1_b32 vcc_lo, exec_lo, s18
	s_cbranch_vccnz .LBB92_2184
; %bb.2183:
	s_wait_loadcnt 0x0
	global_load_u16 v1, v[4:5], off
	s_wait_loadcnt 0x0
	v_cvt_f32_f16_e32 v3, v1
	v_cmp_o_f16_e32 vcc_lo, v1, v1
	s_delay_alu instid0(VALU_DEP_2) | instskip(NEXT) | instid1(VALU_DEP_1)
	v_bfe_u32 v9, v3, 16, 1
	v_add3_u32 v3, v3, v9, 0x7fff
	s_delay_alu instid0(VALU_DEP_1) | instskip(NEXT) | instid1(VALU_DEP_1)
	v_lshrrev_b32_e32 v3, 16, v3
	v_cndmask_b32_e32 v1, 0x7fc0, v3, vcc_lo
.LBB92_2184:
	s_mov_b32 s18, 0
.LBB92_2185:
	s_delay_alu instid0(SALU_CYCLE_1)
	s_and_not1_b32 vcc_lo, exec_lo, s18
	s_cbranch_vccnz .LBB92_2205
; %bb.2186:
	s_cmp_lt_i32 s15, 2
	s_cbranch_scc1 .LBB92_2190
; %bb.2187:
	s_cmp_lt_i32 s15, 3
	s_cbranch_scc1 .LBB92_2191
; %bb.2188:
	s_cmp_gt_i32 s15, 3
	s_cbranch_scc0 .LBB92_2192
; %bb.2189:
	global_load_b64 v[10:11], v[4:5], off
	s_mov_b32 s18, 0
	s_wait_loadcnt 0x0
	v_xor_b32_e32 v1, v10, v11
	v_cls_i32_e32 v3, v11
	s_delay_alu instid0(VALU_DEP_2) | instskip(NEXT) | instid1(VALU_DEP_1)
	v_ashrrev_i32_e32 v1, 31, v1
	v_add_nc_u32_e32 v1, 32, v1
	s_delay_alu instid0(VALU_DEP_1) | instskip(NEXT) | instid1(VALU_DEP_1)
	v_add_min_u32_e64 v1, v3, -1, v1
	v_lshlrev_b64_e32 v[10:11], v1, v[10:11]
	v_sub_nc_u32_e32 v1, 32, v1
	s_delay_alu instid0(VALU_DEP_2) | instskip(NEXT) | instid1(VALU_DEP_1)
	v_min_u32_e32 v3, 1, v10
	v_or_b32_e32 v3, v11, v3
	s_delay_alu instid0(VALU_DEP_1) | instskip(NEXT) | instid1(VALU_DEP_1)
	v_cvt_f32_i32_e32 v3, v3
	v_ldexp_f32 v1, v3, v1
	s_delay_alu instid0(VALU_DEP_1) | instskip(NEXT) | instid1(VALU_DEP_1)
	v_bfe_u32 v3, v1, 16, 1
	v_add3_u32 v1, v1, v3, 0x7fff
	s_delay_alu instid0(VALU_DEP_1)
	v_lshrrev_b32_e32 v1, 16, v1
	s_branch .LBB92_2193
.LBB92_2190:
	s_mov_b32 s18, -1
                                        ; implicit-def: $vgpr1
	s_branch .LBB92_2199
.LBB92_2191:
	s_mov_b32 s18, -1
                                        ; implicit-def: $vgpr1
	s_branch .LBB92_2196
.LBB92_2192:
	s_mov_b32 s18, -1
                                        ; implicit-def: $vgpr1
.LBB92_2193:
	s_delay_alu instid0(SALU_CYCLE_1)
	s_and_not1_b32 vcc_lo, exec_lo, s18
	s_cbranch_vccnz .LBB92_2195
; %bb.2194:
	s_wait_loadcnt 0x0
	global_load_b32 v1, v[4:5], off
	s_wait_loadcnt 0x0
	v_cvt_f32_i32_e32 v1, v1
	s_delay_alu instid0(VALU_DEP_1) | instskip(NEXT) | instid1(VALU_DEP_1)
	v_bfe_u32 v3, v1, 16, 1
	v_add3_u32 v1, v1, v3, 0x7fff
	s_delay_alu instid0(VALU_DEP_1)
	v_lshrrev_b32_e32 v1, 16, v1
.LBB92_2195:
	s_mov_b32 s18, 0
.LBB92_2196:
	s_delay_alu instid0(SALU_CYCLE_1)
	s_and_not1_b32 vcc_lo, exec_lo, s18
	s_cbranch_vccnz .LBB92_2198
; %bb.2197:
	s_wait_loadcnt 0x0
	global_load_i16 v1, v[4:5], off
	s_wait_loadcnt 0x0
	v_cvt_f32_i32_e32 v1, v1
	s_delay_alu instid0(VALU_DEP_1) | instskip(NEXT) | instid1(VALU_DEP_1)
	v_bfe_u32 v3, v1, 16, 1
	v_add3_u32 v1, v1, v3, 0x7fff
	s_delay_alu instid0(VALU_DEP_1)
	v_lshrrev_b32_e32 v1, 16, v1
.LBB92_2198:
	s_mov_b32 s18, 0
.LBB92_2199:
	s_delay_alu instid0(SALU_CYCLE_1)
	s_and_not1_b32 vcc_lo, exec_lo, s18
	s_cbranch_vccnz .LBB92_2205
; %bb.2200:
	s_cmp_gt_i32 s15, 0
	s_mov_b32 s15, 0
	s_cbranch_scc0 .LBB92_2202
; %bb.2201:
	s_wait_loadcnt 0x0
	global_load_i8 v1, v[4:5], off
	s_wait_loadcnt 0x0
	v_cvt_f32_i32_e32 v1, v1
	s_delay_alu instid0(VALU_DEP_1) | instskip(NEXT) | instid1(VALU_DEP_1)
	v_bfe_u32 v3, v1, 16, 1
	v_add3_u32 v1, v1, v3, 0x7fff
	s_delay_alu instid0(VALU_DEP_1)
	v_lshrrev_b32_e32 v1, 16, v1
	s_branch .LBB92_2203
.LBB92_2202:
	s_mov_b32 s15, -1
                                        ; implicit-def: $vgpr1
.LBB92_2203:
	s_delay_alu instid0(SALU_CYCLE_1)
	s_and_not1_b32 vcc_lo, exec_lo, s15
	s_cbranch_vccnz .LBB92_2205
; %bb.2204:
	s_wait_loadcnt 0x0
	global_load_u8 v1, v[4:5], off
	s_wait_loadcnt 0x0
	v_cvt_f32_ubyte0_e32 v1, v1
	s_delay_alu instid0(VALU_DEP_1) | instskip(NEXT) | instid1(VALU_DEP_1)
	v_bfe_u32 v3, v1, 16, 1
	v_add3_u32 v1, v1, v3, 0x7fff
	s_delay_alu instid0(VALU_DEP_1)
	v_lshrrev_b32_e32 v1, 16, v1
.LBB92_2205:
	s_mov_b32 s20, -1
.LBB92_2206:
	s_delay_alu instid0(SALU_CYCLE_1)
	s_and_not1_b32 vcc_lo, exec_lo, s20
	s_cbranch_vccnz .LBB92_3039
; %bb.2207:
	v_add_nc_u32_e32 v2, s10, v2
	s_cmp_lt_i32 s1, 11
	s_delay_alu instid0(VALU_DEP_1) | instskip(SKIP_1) | instid1(VALU_DEP_1)
	v_ashrrev_i32_e32 v3, 31, v2
	s_wait_xcnt 0x0
	v_add_nc_u64_e32 v[4:5], s[12:13], v[2:3]
	s_cbranch_scc1 .LBB92_2214
; %bb.2208:
	s_and_b32 s15, 0xffff, s1
	s_mov_b32 s19, 0
	s_cmp_gt_i32 s15, 25
	s_cbranch_scc0 .LBB92_2215
; %bb.2209:
	s_cmp_gt_i32 s15, 28
	s_cbranch_scc0 .LBB92_2216
; %bb.2210:
	s_cmp_gt_i32 s15, 43
	s_cbranch_scc0 .LBB92_2217
; %bb.2211:
	s_cmp_gt_i32 s15, 45
	s_cbranch_scc0 .LBB92_2219
; %bb.2212:
	s_cmp_eq_u32 s15, 46
	s_mov_b32 s21, 0
	s_cbranch_scc0 .LBB92_2222
; %bb.2213:
	global_load_b32 v3, v[4:5], off
	s_mov_b32 s18, 0
	s_mov_b32 s20, -1
	s_branch .LBB92_2224
.LBB92_2214:
	s_mov_b32 s15, -1
	s_mov_b32 s20, 0
                                        ; implicit-def: $vgpr3
	s_branch .LBB92_2290
.LBB92_2215:
	s_mov_b32 s21, -1
	s_mov_b32 s20, 0
	s_mov_b32 s18, 0
                                        ; implicit-def: $vgpr3
	s_branch .LBB92_2253
.LBB92_2216:
	s_mov_b32 s21, -1
	s_mov_b32 s20, 0
	s_mov_b32 s18, 0
                                        ; implicit-def: $vgpr3
	s_branch .LBB92_2234
.LBB92_2217:
	s_mov_b32 s21, -1
	s_mov_b32 s20, 0
	s_mov_b32 s18, 0
                                        ; implicit-def: $vgpr3
	s_branch .LBB92_2229
.LBB92_2218:
	s_or_b32 s14, s14, exec_lo
	s_trap 2
	s_cbranch_execz .LBB92_2155
	s_branch .LBB92_2156
.LBB92_2219:
	s_mov_b32 s21, -1
	s_mov_b32 s20, 0
	s_mov_b32 s18, 0
	s_branch .LBB92_2223
.LBB92_2220:
	s_and_not1_saveexec_b32 s34, s34
	s_cbranch_execz .LBB92_1093
.LBB92_2221:
	v_add_f32_e64 v4, 0x42800000, |v5|
	s_and_not1_b32 s33, s33, exec_lo
	s_delay_alu instid0(VALU_DEP_1) | instskip(NEXT) | instid1(VALU_DEP_1)
	v_and_b32_e32 v4, 0xff, v4
	v_cmp_ne_u32_e32 vcc_lo, 0, v4
	s_and_b32 s35, vcc_lo, exec_lo
	s_delay_alu instid0(SALU_CYCLE_1)
	s_or_b32 s33, s33, s35
	s_or_b32 exec_lo, exec_lo, s34
	v_mov_b32_e32 v7, 0
	s_and_saveexec_b32 s34, s33
	s_cbranch_execnz .LBB92_1094
	s_branch .LBB92_1095
.LBB92_2222:
	s_mov_b32 s18, -1
	s_mov_b32 s20, 0
.LBB92_2223:
                                        ; implicit-def: $vgpr3
.LBB92_2224:
	s_and_b32 vcc_lo, exec_lo, s21
	s_cbranch_vccz .LBB92_2228
; %bb.2225:
	s_cmp_eq_u32 s15, 44
	s_cbranch_scc0 .LBB92_2227
; %bb.2226:
	s_wait_loadcnt 0x0
	global_load_u8 v3, v[4:5], off
	s_mov_b32 s18, 0
	s_mov_b32 s20, -1
	s_wait_loadcnt 0x0
	v_lshlrev_b32_e32 v9, 23, v3
	v_cmp_ne_u32_e32 vcc_lo, 0xff, v3
	s_delay_alu instid0(VALU_DEP_2) | instskip(SKIP_1) | instid1(VALU_DEP_2)
	v_cndmask_b32_e32 v9, 0x7f800001, v9, vcc_lo
	v_cmp_ne_u32_e32 vcc_lo, 0, v3
	v_cndmask_b32_e32 v3, 0x400000, v9, vcc_lo
	s_delay_alu instid0(VALU_DEP_1) | instskip(SKIP_1) | instid1(VALU_DEP_2)
	v_add_nc_u32_e32 v9, 0x7fff, v3
	v_cmp_o_f32_e32 vcc_lo, v3, v3
	v_lshrrev_b32_e32 v9, 16, v9
	s_delay_alu instid0(VALU_DEP_1)
	v_cndmask_b32_e32 v3, 0x7fc0, v9, vcc_lo
	s_branch .LBB92_2228
.LBB92_2227:
	s_mov_b32 s18, -1
                                        ; implicit-def: $vgpr3
.LBB92_2228:
	s_mov_b32 s21, 0
.LBB92_2229:
	s_delay_alu instid0(SALU_CYCLE_1)
	s_and_b32 vcc_lo, exec_lo, s21
	s_cbranch_vccz .LBB92_2233
; %bb.2230:
	s_cmp_eq_u32 s15, 29
	s_cbranch_scc0 .LBB92_2232
; %bb.2231:
	global_load_b64 v[10:11], v[4:5], off
	s_mov_b32 s18, 0
	s_mov_b32 s20, -1
	s_mov_b32 s21, 0
	s_wait_loadcnt 0x0
	v_clz_i32_u32_e32 v3, v11
	s_delay_alu instid0(VALU_DEP_1) | instskip(NEXT) | instid1(VALU_DEP_1)
	v_min_u32_e32 v3, 32, v3
	v_lshlrev_b64_e32 v[10:11], v3, v[10:11]
	v_sub_nc_u32_e32 v3, 32, v3
	s_delay_alu instid0(VALU_DEP_2) | instskip(NEXT) | instid1(VALU_DEP_1)
	v_min_u32_e32 v9, 1, v10
	v_or_b32_e32 v9, v11, v9
	s_delay_alu instid0(VALU_DEP_1) | instskip(NEXT) | instid1(VALU_DEP_1)
	v_cvt_f32_u32_e32 v9, v9
	v_ldexp_f32 v3, v9, v3
	s_delay_alu instid0(VALU_DEP_1) | instskip(NEXT) | instid1(VALU_DEP_1)
	v_bfe_u32 v9, v3, 16, 1
	v_add3_u32 v3, v3, v9, 0x7fff
	s_delay_alu instid0(VALU_DEP_1)
	v_lshrrev_b32_e32 v3, 16, v3
	s_branch .LBB92_2234
.LBB92_2232:
	s_mov_b32 s18, -1
                                        ; implicit-def: $vgpr3
.LBB92_2233:
	s_mov_b32 s21, 0
.LBB92_2234:
	s_delay_alu instid0(SALU_CYCLE_1)
	s_and_b32 vcc_lo, exec_lo, s21
	s_cbranch_vccz .LBB92_2252
; %bb.2235:
	s_cmp_lt_i32 s15, 27
	s_cbranch_scc1 .LBB92_2238
; %bb.2236:
	s_cmp_gt_i32 s15, 27
	s_cbranch_scc0 .LBB92_2239
; %bb.2237:
	s_wait_loadcnt 0x0
	global_load_b32 v3, v[4:5], off
	s_mov_b32 s20, 0
	s_wait_loadcnt 0x0
	v_cvt_f32_u32_e32 v3, v3
	s_delay_alu instid0(VALU_DEP_1) | instskip(NEXT) | instid1(VALU_DEP_1)
	v_bfe_u32 v9, v3, 16, 1
	v_add3_u32 v3, v3, v9, 0x7fff
	s_delay_alu instid0(VALU_DEP_1)
	v_lshrrev_b32_e32 v3, 16, v3
	s_branch .LBB92_2240
.LBB92_2238:
	s_mov_b32 s20, -1
                                        ; implicit-def: $vgpr3
	s_branch .LBB92_2243
.LBB92_2239:
	s_mov_b32 s20, -1
                                        ; implicit-def: $vgpr3
.LBB92_2240:
	s_delay_alu instid0(SALU_CYCLE_1)
	s_and_not1_b32 vcc_lo, exec_lo, s20
	s_cbranch_vccnz .LBB92_2242
; %bb.2241:
	s_wait_loadcnt 0x0
	global_load_u16 v3, v[4:5], off
	s_wait_loadcnt 0x0
	v_cvt_f32_u32_e32 v3, v3
	s_delay_alu instid0(VALU_DEP_1) | instskip(NEXT) | instid1(VALU_DEP_1)
	v_bfe_u32 v9, v3, 16, 1
	v_add3_u32 v3, v3, v9, 0x7fff
	s_delay_alu instid0(VALU_DEP_1)
	v_lshrrev_b32_e32 v3, 16, v3
.LBB92_2242:
	s_mov_b32 s20, 0
.LBB92_2243:
	s_delay_alu instid0(SALU_CYCLE_1)
	s_and_not1_b32 vcc_lo, exec_lo, s20
	s_cbranch_vccnz .LBB92_2251
; %bb.2244:
	s_wait_loadcnt 0x0
	global_load_u8 v3, v[4:5], off
	s_mov_b32 s20, 0
	s_mov_b32 s21, exec_lo
	s_wait_loadcnt 0x0
	v_cmpx_lt_i16_e32 0x7f, v3
	s_xor_b32 s21, exec_lo, s21
	s_cbranch_execz .LBB92_2265
; %bb.2245:
	s_mov_b32 s20, -1
	s_mov_b32 s22, exec_lo
	v_cmpx_eq_u16_e32 0x80, v3
; %bb.2246:
	s_xor_b32 s20, exec_lo, -1
; %bb.2247:
	s_or_b32 exec_lo, exec_lo, s22
	s_delay_alu instid0(SALU_CYCLE_1)
	s_and_b32 s20, s20, exec_lo
	s_or_saveexec_b32 s21, s21
	v_mov_b32_e32 v9, 0x7f800001
	s_xor_b32 exec_lo, exec_lo, s21
	s_cbranch_execnz .LBB92_2266
.LBB92_2248:
	s_or_b32 exec_lo, exec_lo, s21
	s_and_saveexec_b32 s21, s20
	s_cbranch_execz .LBB92_2250
.LBB92_2249:
	v_and_b32_e32 v9, 0xffff, v3
	s_delay_alu instid0(VALU_DEP_1) | instskip(SKIP_1) | instid1(VALU_DEP_2)
	v_and_b32_e32 v10, 7, v9
	v_bfe_u32 v13, v9, 3, 4
	v_clz_i32_u32_e32 v11, v10
	s_delay_alu instid0(VALU_DEP_2) | instskip(NEXT) | instid1(VALU_DEP_2)
	v_cmp_eq_u32_e32 vcc_lo, 0, v13
	v_min_u32_e32 v11, 32, v11
	s_delay_alu instid0(VALU_DEP_1) | instskip(NEXT) | instid1(VALU_DEP_1)
	v_subrev_nc_u32_e32 v12, 28, v11
	v_dual_lshlrev_b32 v9, v12, v9 :: v_dual_sub_nc_u32 v11, 29, v11
	s_delay_alu instid0(VALU_DEP_1) | instskip(NEXT) | instid1(VALU_DEP_1)
	v_dual_lshlrev_b32 v3, 24, v3 :: v_dual_bitop2_b32 v9, 7, v9 bitop3:0x40
	v_dual_cndmask_b32 v9, v10, v9, vcc_lo :: v_dual_cndmask_b32 v11, v13, v11, vcc_lo
	s_delay_alu instid0(VALU_DEP_2) | instskip(NEXT) | instid1(VALU_DEP_2)
	v_and_b32_e32 v3, 0x80000000, v3
	v_lshlrev_b32_e32 v9, 20, v9
	s_delay_alu instid0(VALU_DEP_3) | instskip(NEXT) | instid1(VALU_DEP_1)
	v_lshl_add_u32 v10, v11, 23, 0x3b800000
	v_or3_b32 v9, v3, v10, v9
.LBB92_2250:
	s_or_b32 exec_lo, exec_lo, s21
	s_delay_alu instid0(VALU_DEP_1) | instskip(SKIP_1) | instid1(VALU_DEP_2)
	v_bfe_u32 v3, v9, 16, 1
	v_cmp_o_f32_e32 vcc_lo, v9, v9
	v_add3_u32 v3, v9, v3, 0x7fff
	s_delay_alu instid0(VALU_DEP_1) | instskip(NEXT) | instid1(VALU_DEP_1)
	v_lshrrev_b32_e32 v3, 16, v3
	v_cndmask_b32_e32 v3, 0x7fc0, v3, vcc_lo
.LBB92_2251:
	s_mov_b32 s20, -1
.LBB92_2252:
	s_mov_b32 s21, 0
.LBB92_2253:
	s_delay_alu instid0(SALU_CYCLE_1)
	s_and_b32 vcc_lo, exec_lo, s21
	s_cbranch_vccz .LBB92_2286
; %bb.2254:
	s_cmp_gt_i32 s15, 22
	s_cbranch_scc0 .LBB92_2264
; %bb.2255:
	s_cmp_lt_i32 s15, 24
	s_cbranch_scc1 .LBB92_2267
; %bb.2256:
	s_cmp_gt_i32 s15, 24
	s_cbranch_scc0 .LBB92_2268
; %bb.2257:
	s_wait_loadcnt 0x0
	global_load_u8 v3, v[4:5], off
	s_mov_b32 s20, exec_lo
	s_wait_loadcnt 0x0
	v_cmpx_lt_i16_e32 0x7f, v3
	s_xor_b32 s20, exec_lo, s20
	s_cbranch_execz .LBB92_2280
; %bb.2258:
	s_mov_b32 s19, -1
	s_mov_b32 s21, exec_lo
	v_cmpx_eq_u16_e32 0x80, v3
; %bb.2259:
	s_xor_b32 s19, exec_lo, -1
; %bb.2260:
	s_or_b32 exec_lo, exec_lo, s21
	s_delay_alu instid0(SALU_CYCLE_1)
	s_and_b32 s19, s19, exec_lo
	s_or_saveexec_b32 s20, s20
	v_mov_b32_e32 v9, 0x7f800001
	s_xor_b32 exec_lo, exec_lo, s20
	s_cbranch_execnz .LBB92_2281
.LBB92_2261:
	s_or_b32 exec_lo, exec_lo, s20
	s_and_saveexec_b32 s20, s19
	s_cbranch_execz .LBB92_2263
.LBB92_2262:
	v_and_b32_e32 v9, 0xffff, v3
	s_delay_alu instid0(VALU_DEP_1) | instskip(SKIP_1) | instid1(VALU_DEP_2)
	v_and_b32_e32 v10, 3, v9
	v_bfe_u32 v13, v9, 2, 5
	v_clz_i32_u32_e32 v11, v10
	s_delay_alu instid0(VALU_DEP_2) | instskip(NEXT) | instid1(VALU_DEP_2)
	v_cmp_eq_u32_e32 vcc_lo, 0, v13
	v_min_u32_e32 v11, 32, v11
	s_delay_alu instid0(VALU_DEP_1) | instskip(NEXT) | instid1(VALU_DEP_1)
	v_subrev_nc_u32_e32 v12, 29, v11
	v_dual_lshlrev_b32 v9, v12, v9 :: v_dual_sub_nc_u32 v11, 30, v11
	s_delay_alu instid0(VALU_DEP_1) | instskip(NEXT) | instid1(VALU_DEP_1)
	v_dual_lshlrev_b32 v3, 24, v3 :: v_dual_bitop2_b32 v9, 3, v9 bitop3:0x40
	v_dual_cndmask_b32 v9, v10, v9, vcc_lo :: v_dual_cndmask_b32 v11, v13, v11, vcc_lo
	s_delay_alu instid0(VALU_DEP_2) | instskip(NEXT) | instid1(VALU_DEP_2)
	v_and_b32_e32 v3, 0x80000000, v3
	v_lshlrev_b32_e32 v9, 21, v9
	s_delay_alu instid0(VALU_DEP_3) | instskip(NEXT) | instid1(VALU_DEP_1)
	v_lshl_add_u32 v10, v11, 23, 0x37800000
	v_or3_b32 v9, v3, v10, v9
.LBB92_2263:
	s_or_b32 exec_lo, exec_lo, s20
	s_delay_alu instid0(VALU_DEP_1) | instskip(SKIP_2) | instid1(VALU_DEP_2)
	v_bfe_u32 v3, v9, 16, 1
	v_cmp_o_f32_e32 vcc_lo, v9, v9
	s_mov_b32 s19, 0
	v_add3_u32 v3, v9, v3, 0x7fff
	s_delay_alu instid0(VALU_DEP_1) | instskip(NEXT) | instid1(VALU_DEP_1)
	v_lshrrev_b32_e32 v3, 16, v3
	v_cndmask_b32_e32 v3, 0x7fc0, v3, vcc_lo
	s_branch .LBB92_2269
.LBB92_2264:
	s_mov_b32 s19, -1
                                        ; implicit-def: $vgpr3
	s_branch .LBB92_2275
.LBB92_2265:
	s_or_saveexec_b32 s21, s21
	v_mov_b32_e32 v9, 0x7f800001
	s_xor_b32 exec_lo, exec_lo, s21
	s_cbranch_execz .LBB92_2248
.LBB92_2266:
	v_cmp_ne_u16_e32 vcc_lo, 0, v3
	v_mov_b32_e32 v9, 0
	s_and_not1_b32 s20, s20, exec_lo
	s_and_b32 s22, vcc_lo, exec_lo
	s_delay_alu instid0(SALU_CYCLE_1)
	s_or_b32 s20, s20, s22
	s_or_b32 exec_lo, exec_lo, s21
	s_and_saveexec_b32 s21, s20
	s_cbranch_execnz .LBB92_2249
	s_branch .LBB92_2250
.LBB92_2267:
	s_mov_b32 s19, -1
                                        ; implicit-def: $vgpr3
	s_branch .LBB92_2272
.LBB92_2268:
	s_mov_b32 s19, -1
                                        ; implicit-def: $vgpr3
.LBB92_2269:
	s_delay_alu instid0(SALU_CYCLE_1)
	s_and_b32 vcc_lo, exec_lo, s19
	s_cbranch_vccz .LBB92_2271
; %bb.2270:
	s_wait_loadcnt 0x0
	global_load_u8 v3, v[4:5], off
	s_wait_loadcnt 0x0
	v_lshlrev_b32_e32 v3, 24, v3
	s_delay_alu instid0(VALU_DEP_1) | instskip(NEXT) | instid1(VALU_DEP_1)
	v_and_b32_e32 v9, 0x7f000000, v3
	v_clz_i32_u32_e32 v10, v9
	v_cmp_ne_u32_e32 vcc_lo, 0, v9
	v_add_nc_u32_e32 v12, 0x1000000, v9
	s_delay_alu instid0(VALU_DEP_3) | instskip(NEXT) | instid1(VALU_DEP_1)
	v_min_u32_e32 v10, 32, v10
	v_sub_nc_u32_e64 v10, v10, 4 clamp
	s_delay_alu instid0(VALU_DEP_1) | instskip(NEXT) | instid1(VALU_DEP_1)
	v_dual_lshlrev_b32 v11, v10, v9 :: v_dual_lshlrev_b32 v10, 23, v10
	v_lshrrev_b32_e32 v11, 4, v11
	s_delay_alu instid0(VALU_DEP_1) | instskip(NEXT) | instid1(VALU_DEP_1)
	v_dual_sub_nc_u32 v10, v11, v10 :: v_dual_ashrrev_i32 v11, 8, v12
	v_add_nc_u32_e32 v10, 0x3c000000, v10
	s_delay_alu instid0(VALU_DEP_1) | instskip(NEXT) | instid1(VALU_DEP_1)
	v_and_or_b32 v10, 0x7f800000, v11, v10
	v_cndmask_b32_e32 v9, 0, v10, vcc_lo
	s_delay_alu instid0(VALU_DEP_1) | instskip(SKIP_1) | instid1(VALU_DEP_2)
	v_and_or_b32 v3, 0x80000000, v3, v9
	v_bfe_u32 v9, v9, 16, 1
	v_cmp_o_f32_e32 vcc_lo, v3, v3
	s_delay_alu instid0(VALU_DEP_2) | instskip(NEXT) | instid1(VALU_DEP_1)
	v_add3_u32 v9, v3, v9, 0x7fff
	v_lshrrev_b32_e32 v9, 16, v9
	s_delay_alu instid0(VALU_DEP_1)
	v_cndmask_b32_e32 v3, 0x7fc0, v9, vcc_lo
.LBB92_2271:
	s_mov_b32 s19, 0
.LBB92_2272:
	s_delay_alu instid0(SALU_CYCLE_1)
	s_and_not1_b32 vcc_lo, exec_lo, s19
	s_cbranch_vccnz .LBB92_2274
; %bb.2273:
	s_wait_loadcnt 0x0
	global_load_u8 v3, v[4:5], off
	s_wait_loadcnt 0x0
	v_lshlrev_b32_e32 v9, 25, v3
	v_lshlrev_b16 v3, 8, v3
	s_delay_alu instid0(VALU_DEP_1) | instskip(NEXT) | instid1(VALU_DEP_3)
	v_and_or_b32 v11, 0x7f00, v3, 0.5
	v_lshrrev_b32_e32 v10, 4, v9
	v_bfe_i32 v3, v3, 0, 16
	s_delay_alu instid0(VALU_DEP_3) | instskip(NEXT) | instid1(VALU_DEP_3)
	v_add_f32_e32 v11, -0.5, v11
	v_or_b32_e32 v10, 0x70000000, v10
	s_delay_alu instid0(VALU_DEP_1) | instskip(SKIP_1) | instid1(VALU_DEP_2)
	v_mul_f32_e32 v10, 0x7800000, v10
	v_cmp_gt_u32_e32 vcc_lo, 0x8000000, v9
	v_cndmask_b32_e32 v9, v10, v11, vcc_lo
	s_delay_alu instid0(VALU_DEP_1) | instskip(SKIP_1) | instid1(VALU_DEP_2)
	v_and_or_b32 v3, 0x80000000, v3, v9
	v_bfe_u32 v9, v9, 16, 1
	v_cmp_o_f32_e32 vcc_lo, v3, v3
	s_delay_alu instid0(VALU_DEP_2) | instskip(NEXT) | instid1(VALU_DEP_1)
	v_add3_u32 v9, v3, v9, 0x7fff
	v_lshrrev_b32_e32 v9, 16, v9
	s_delay_alu instid0(VALU_DEP_1)
	v_cndmask_b32_e32 v3, 0x7fc0, v9, vcc_lo
.LBB92_2274:
	s_mov_b32 s19, 0
	s_mov_b32 s20, -1
.LBB92_2275:
	s_and_not1_b32 vcc_lo, exec_lo, s19
	s_mov_b32 s19, 0
	s_cbranch_vccnz .LBB92_2286
; %bb.2276:
	s_cmp_gt_i32 s15, 14
	s_cbranch_scc0 .LBB92_2279
; %bb.2277:
	s_cmp_eq_u32 s15, 15
	s_cbranch_scc0 .LBB92_2282
; %bb.2278:
	s_wait_loadcnt 0x0
	global_load_u16 v3, v[4:5], off
	s_mov_b32 s18, 0
	s_mov_b32 s20, -1
	s_branch .LBB92_2284
.LBB92_2279:
	s_mov_b32 s19, -1
	s_branch .LBB92_2283
.LBB92_2280:
	s_or_saveexec_b32 s20, s20
	v_mov_b32_e32 v9, 0x7f800001
	s_xor_b32 exec_lo, exec_lo, s20
	s_cbranch_execz .LBB92_2261
.LBB92_2281:
	v_cmp_ne_u16_e32 vcc_lo, 0, v3
	v_mov_b32_e32 v9, 0
	s_and_not1_b32 s19, s19, exec_lo
	s_and_b32 s21, vcc_lo, exec_lo
	s_delay_alu instid0(SALU_CYCLE_1)
	s_or_b32 s19, s19, s21
	s_or_b32 exec_lo, exec_lo, s20
	s_and_saveexec_b32 s20, s19
	s_cbranch_execnz .LBB92_2262
	s_branch .LBB92_2263
.LBB92_2282:
	s_mov_b32 s18, -1
.LBB92_2283:
                                        ; implicit-def: $vgpr3
.LBB92_2284:
	s_and_b32 vcc_lo, exec_lo, s19
	s_mov_b32 s19, 0
	s_cbranch_vccz .LBB92_2286
; %bb.2285:
	s_cmp_lg_u32 s15, 11
	s_mov_b32 s19, -1
	s_cselect_b32 s18, -1, 0
.LBB92_2286:
	s_delay_alu instid0(SALU_CYCLE_1)
	s_and_b32 vcc_lo, exec_lo, s18
	s_cbranch_vccnz .LBB92_2353
; %bb.2287:
	s_and_not1_b32 vcc_lo, exec_lo, s19
	s_cbranch_vccnz .LBB92_2289
.LBB92_2288:
	s_wait_loadcnt 0x0
	global_load_u8 v3, v[4:5], off
	s_mov_b32 s20, -1
	s_wait_loadcnt 0x0
	v_cmp_ne_u16_e32 vcc_lo, 0, v3
	v_cndmask_b32_e64 v3, 0, 1.0, vcc_lo
	s_delay_alu instid0(VALU_DEP_1)
	v_lshrrev_b32_e32 v3, 16, v3
.LBB92_2289:
	s_mov_b32 s15, 0
.LBB92_2290:
	s_delay_alu instid0(SALU_CYCLE_1)
	s_and_b32 vcc_lo, exec_lo, s15
	s_cbranch_vccz .LBB92_2339
; %bb.2291:
	s_and_b32 s15, 0xffff, s1
	s_delay_alu instid0(SALU_CYCLE_1)
	s_cmp_lt_i32 s15, 5
	s_cbranch_scc1 .LBB92_2296
; %bb.2292:
	s_cmp_lt_i32 s15, 8
	s_cbranch_scc1 .LBB92_2297
; %bb.2293:
	s_cmp_lt_i32 s15, 9
	s_cbranch_scc1 .LBB92_2298
; %bb.2294:
	s_cmp_gt_i32 s15, 9
	s_cbranch_scc0 .LBB92_2299
; %bb.2295:
	global_load_b64 v[10:11], v[4:5], off
	s_mov_b32 s18, 0
	s_wait_loadcnt 0x0
	v_cvt_f32_f64_e32 v3, v[10:11]
	s_delay_alu instid0(VALU_DEP_1) | instskip(SKIP_1) | instid1(VALU_DEP_2)
	v_bfe_u32 v9, v3, 16, 1
	v_cmp_o_f32_e32 vcc_lo, v3, v3
	v_add3_u32 v9, v3, v9, 0x7fff
	s_delay_alu instid0(VALU_DEP_1) | instskip(NEXT) | instid1(VALU_DEP_1)
	v_lshrrev_b32_e32 v9, 16, v9
	v_cndmask_b32_e32 v3, 0x7fc0, v9, vcc_lo
	s_branch .LBB92_2300
.LBB92_2296:
	s_mov_b32 s18, -1
                                        ; implicit-def: $vgpr3
	s_branch .LBB92_2318
.LBB92_2297:
	s_mov_b32 s18, -1
                                        ; implicit-def: $vgpr3
	s_branch .LBB92_2306
.LBB92_2298:
	s_mov_b32 s18, -1
                                        ; implicit-def: $vgpr3
	s_branch .LBB92_2303
.LBB92_2299:
	s_mov_b32 s18, -1
                                        ; implicit-def: $vgpr3
.LBB92_2300:
	s_delay_alu instid0(SALU_CYCLE_1)
	s_and_not1_b32 vcc_lo, exec_lo, s18
	s_cbranch_vccnz .LBB92_2302
; %bb.2301:
	s_wait_loadcnt 0x0
	global_load_b32 v3, v[4:5], off
	s_wait_loadcnt 0x0
	v_bfe_u32 v9, v3, 16, 1
	v_cmp_o_f32_e32 vcc_lo, v3, v3
	s_delay_alu instid0(VALU_DEP_2) | instskip(NEXT) | instid1(VALU_DEP_1)
	v_add3_u32 v9, v3, v9, 0x7fff
	v_lshrrev_b32_e32 v9, 16, v9
	s_delay_alu instid0(VALU_DEP_1)
	v_cndmask_b32_e32 v3, 0x7fc0, v9, vcc_lo
.LBB92_2302:
	s_mov_b32 s18, 0
.LBB92_2303:
	s_delay_alu instid0(SALU_CYCLE_1)
	s_and_not1_b32 vcc_lo, exec_lo, s18
	s_cbranch_vccnz .LBB92_2305
; %bb.2304:
	s_wait_loadcnt 0x0
	global_load_b32 v3, v[4:5], off
	s_wait_loadcnt 0x0
	v_cvt_f32_f16_e32 v9, v3
	v_cmp_o_f16_e32 vcc_lo, v3, v3
	s_delay_alu instid0(VALU_DEP_2) | instskip(NEXT) | instid1(VALU_DEP_1)
	v_bfe_u32 v10, v9, 16, 1
	v_add3_u32 v9, v9, v10, 0x7fff
	s_delay_alu instid0(VALU_DEP_1) | instskip(NEXT) | instid1(VALU_DEP_1)
	v_lshrrev_b32_e32 v9, 16, v9
	v_cndmask_b32_e32 v3, 0x7fc0, v9, vcc_lo
.LBB92_2305:
	s_mov_b32 s18, 0
.LBB92_2306:
	s_delay_alu instid0(SALU_CYCLE_1)
	s_and_not1_b32 vcc_lo, exec_lo, s18
	s_cbranch_vccnz .LBB92_2317
; %bb.2307:
	s_cmp_lt_i32 s15, 6
	s_cbranch_scc1 .LBB92_2310
; %bb.2308:
	s_cmp_gt_i32 s15, 6
	s_cbranch_scc0 .LBB92_2311
; %bb.2309:
	global_load_b64 v[10:11], v[4:5], off
	s_mov_b32 s18, 0
	s_wait_loadcnt 0x0
	v_cvt_f32_f64_e32 v3, v[10:11]
	s_delay_alu instid0(VALU_DEP_1) | instskip(SKIP_1) | instid1(VALU_DEP_2)
	v_bfe_u32 v9, v3, 16, 1
	v_cmp_o_f32_e32 vcc_lo, v3, v3
	v_add3_u32 v9, v3, v9, 0x7fff
	s_delay_alu instid0(VALU_DEP_1) | instskip(NEXT) | instid1(VALU_DEP_1)
	v_lshrrev_b32_e32 v9, 16, v9
	v_cndmask_b32_e32 v3, 0x7fc0, v9, vcc_lo
	s_branch .LBB92_2312
.LBB92_2310:
	s_mov_b32 s18, -1
                                        ; implicit-def: $vgpr3
	s_branch .LBB92_2315
.LBB92_2311:
	s_mov_b32 s18, -1
                                        ; implicit-def: $vgpr3
.LBB92_2312:
	s_delay_alu instid0(SALU_CYCLE_1)
	s_and_not1_b32 vcc_lo, exec_lo, s18
	s_cbranch_vccnz .LBB92_2314
; %bb.2313:
	s_wait_loadcnt 0x0
	global_load_b32 v3, v[4:5], off
	s_wait_loadcnt 0x0
	v_bfe_u32 v9, v3, 16, 1
	v_cmp_o_f32_e32 vcc_lo, v3, v3
	s_delay_alu instid0(VALU_DEP_2) | instskip(NEXT) | instid1(VALU_DEP_1)
	v_add3_u32 v9, v3, v9, 0x7fff
	v_lshrrev_b32_e32 v9, 16, v9
	s_delay_alu instid0(VALU_DEP_1)
	v_cndmask_b32_e32 v3, 0x7fc0, v9, vcc_lo
.LBB92_2314:
	s_mov_b32 s18, 0
.LBB92_2315:
	s_delay_alu instid0(SALU_CYCLE_1)
	s_and_not1_b32 vcc_lo, exec_lo, s18
	s_cbranch_vccnz .LBB92_2317
; %bb.2316:
	s_wait_loadcnt 0x0
	global_load_u16 v3, v[4:5], off
	s_wait_loadcnt 0x0
	v_cvt_f32_f16_e32 v9, v3
	v_cmp_o_f16_e32 vcc_lo, v3, v3
	s_delay_alu instid0(VALU_DEP_2) | instskip(NEXT) | instid1(VALU_DEP_1)
	v_bfe_u32 v10, v9, 16, 1
	v_add3_u32 v9, v9, v10, 0x7fff
	s_delay_alu instid0(VALU_DEP_1) | instskip(NEXT) | instid1(VALU_DEP_1)
	v_lshrrev_b32_e32 v9, 16, v9
	v_cndmask_b32_e32 v3, 0x7fc0, v9, vcc_lo
.LBB92_2317:
	s_mov_b32 s18, 0
.LBB92_2318:
	s_delay_alu instid0(SALU_CYCLE_1)
	s_and_not1_b32 vcc_lo, exec_lo, s18
	s_cbranch_vccnz .LBB92_2338
; %bb.2319:
	s_cmp_lt_i32 s15, 2
	s_cbranch_scc1 .LBB92_2323
; %bb.2320:
	s_cmp_lt_i32 s15, 3
	s_cbranch_scc1 .LBB92_2324
; %bb.2321:
	s_cmp_gt_i32 s15, 3
	s_cbranch_scc0 .LBB92_2325
; %bb.2322:
	global_load_b64 v[10:11], v[4:5], off
	s_mov_b32 s18, 0
	s_wait_loadcnt 0x0
	v_xor_b32_e32 v3, v10, v11
	v_cls_i32_e32 v9, v11
	s_delay_alu instid0(VALU_DEP_2) | instskip(NEXT) | instid1(VALU_DEP_1)
	v_ashrrev_i32_e32 v3, 31, v3
	v_add_nc_u32_e32 v3, 32, v3
	s_delay_alu instid0(VALU_DEP_1) | instskip(NEXT) | instid1(VALU_DEP_1)
	v_add_min_u32_e64 v3, v9, -1, v3
	v_lshlrev_b64_e32 v[10:11], v3, v[10:11]
	v_sub_nc_u32_e32 v3, 32, v3
	s_delay_alu instid0(VALU_DEP_2) | instskip(NEXT) | instid1(VALU_DEP_1)
	v_min_u32_e32 v9, 1, v10
	v_or_b32_e32 v9, v11, v9
	s_delay_alu instid0(VALU_DEP_1) | instskip(NEXT) | instid1(VALU_DEP_1)
	v_cvt_f32_i32_e32 v9, v9
	v_ldexp_f32 v3, v9, v3
	s_delay_alu instid0(VALU_DEP_1) | instskip(NEXT) | instid1(VALU_DEP_1)
	v_bfe_u32 v9, v3, 16, 1
	v_add3_u32 v3, v3, v9, 0x7fff
	s_delay_alu instid0(VALU_DEP_1)
	v_lshrrev_b32_e32 v3, 16, v3
	s_branch .LBB92_2326
.LBB92_2323:
	s_mov_b32 s18, -1
                                        ; implicit-def: $vgpr3
	s_branch .LBB92_2332
.LBB92_2324:
	s_mov_b32 s18, -1
                                        ; implicit-def: $vgpr3
	s_branch .LBB92_2329
.LBB92_2325:
	s_mov_b32 s18, -1
                                        ; implicit-def: $vgpr3
.LBB92_2326:
	s_delay_alu instid0(SALU_CYCLE_1)
	s_and_not1_b32 vcc_lo, exec_lo, s18
	s_cbranch_vccnz .LBB92_2328
; %bb.2327:
	s_wait_loadcnt 0x0
	global_load_b32 v3, v[4:5], off
	s_wait_loadcnt 0x0
	v_cvt_f32_i32_e32 v3, v3
	s_delay_alu instid0(VALU_DEP_1) | instskip(NEXT) | instid1(VALU_DEP_1)
	v_bfe_u32 v9, v3, 16, 1
	v_add3_u32 v3, v3, v9, 0x7fff
	s_delay_alu instid0(VALU_DEP_1)
	v_lshrrev_b32_e32 v3, 16, v3
.LBB92_2328:
	s_mov_b32 s18, 0
.LBB92_2329:
	s_delay_alu instid0(SALU_CYCLE_1)
	s_and_not1_b32 vcc_lo, exec_lo, s18
	s_cbranch_vccnz .LBB92_2331
; %bb.2330:
	s_wait_loadcnt 0x0
	global_load_i16 v3, v[4:5], off
	s_wait_loadcnt 0x0
	v_cvt_f32_i32_e32 v3, v3
	s_delay_alu instid0(VALU_DEP_1) | instskip(NEXT) | instid1(VALU_DEP_1)
	v_bfe_u32 v9, v3, 16, 1
	v_add3_u32 v3, v3, v9, 0x7fff
	s_delay_alu instid0(VALU_DEP_1)
	v_lshrrev_b32_e32 v3, 16, v3
.LBB92_2331:
	s_mov_b32 s18, 0
.LBB92_2332:
	s_delay_alu instid0(SALU_CYCLE_1)
	s_and_not1_b32 vcc_lo, exec_lo, s18
	s_cbranch_vccnz .LBB92_2338
; %bb.2333:
	s_cmp_gt_i32 s15, 0
	s_mov_b32 s15, 0
	s_cbranch_scc0 .LBB92_2335
; %bb.2334:
	s_wait_loadcnt 0x0
	global_load_i8 v3, v[4:5], off
	s_wait_loadcnt 0x0
	v_cvt_f32_i32_e32 v3, v3
	s_delay_alu instid0(VALU_DEP_1) | instskip(NEXT) | instid1(VALU_DEP_1)
	v_bfe_u32 v9, v3, 16, 1
	v_add3_u32 v3, v3, v9, 0x7fff
	s_delay_alu instid0(VALU_DEP_1)
	v_lshrrev_b32_e32 v3, 16, v3
	s_branch .LBB92_2336
.LBB92_2335:
	s_mov_b32 s15, -1
                                        ; implicit-def: $vgpr3
.LBB92_2336:
	s_delay_alu instid0(SALU_CYCLE_1)
	s_and_not1_b32 vcc_lo, exec_lo, s15
	s_cbranch_vccnz .LBB92_2338
; %bb.2337:
	s_wait_loadcnt 0x0
	global_load_u8 v3, v[4:5], off
	s_wait_loadcnt 0x0
	v_cvt_f32_ubyte0_e32 v3, v3
	s_wait_xcnt 0x0
	s_delay_alu instid0(VALU_DEP_1) | instskip(NEXT) | instid1(VALU_DEP_1)
	v_bfe_u32 v4, v3, 16, 1
	v_add3_u32 v3, v3, v4, 0x7fff
	s_delay_alu instid0(VALU_DEP_1)
	v_lshrrev_b32_e32 v3, 16, v3
.LBB92_2338:
	s_mov_b32 s20, -1
.LBB92_2339:
	s_delay_alu instid0(SALU_CYCLE_1)
	s_and_not1_b32 vcc_lo, exec_lo, s20
	s_cbranch_vccnz .LBB92_3039
; %bb.2340:
	s_wait_loadcnt 0x0
	v_dual_lshlrev_b32 v3, 16, v3 :: v_dual_lshlrev_b32 v4, 16, v1
	s_mov_b32 s15, exec_lo
	s_delay_alu instid0(VALU_DEP_1) | instskip(NEXT) | instid1(VALU_DEP_1)
	v_mul_f32_e32 v3, s11, v3
	v_cmpx_nlt_f32_e32 s2, v3
	s_cbranch_execz .LBB92_2342
; %bb.2341:
	v_mul_f32_e32 v1, 0x3fb8aa3b, v3
	v_cmp_ngt_f32_e32 vcc_lo, 0xc2ce8ed0, v3
	s_delay_alu instid0(VALU_DEP_2) | instskip(SKIP_1) | instid1(VALU_DEP_2)
	v_rndne_f32_e32 v5, v1
	v_fma_f32 v9, 0x3fb8aa3b, v3, -v1
	v_sub_f32_e32 v1, v1, v5
	s_delay_alu instid0(VALU_DEP_2) | instskip(SKIP_1) | instid1(VALU_DEP_2)
	v_fmamk_f32 v9, v3, 0x32a5705f, v9
	v_cvt_i32_f32_e32 v5, v5
	v_add_f32_e32 v1, v1, v9
	s_delay_alu instid0(VALU_DEP_1) | instskip(SKIP_1) | instid1(TRANS32_DEP_1)
	v_exp_f32_e32 v1, v1
	v_nop
	v_ldexp_f32 v1, v1, v5
	s_delay_alu instid0(VALU_DEP_1) | instskip(SKIP_1) | instid1(VALU_DEP_2)
	v_cndmask_b32_e32 v1, 0, v1, vcc_lo
	v_cmp_nlt_f32_e32 vcc_lo, 0x42b17218, v3
	v_cndmask_b32_e32 v1, 0x7f800000, v1, vcc_lo
	s_delay_alu instid0(VALU_DEP_1) | instskip(NEXT) | instid1(VALU_DEP_1)
	v_dual_mul_f32 v3, v1, v4 :: v_dual_add_f32 v1, 1.0, v1
	v_div_scale_f32 v4, null, v1, v1, v3
	s_delay_alu instid0(VALU_DEP_1) | instskip(SKIP_1) | instid1(TRANS32_DEP_1)
	v_rcp_f32_e32 v5, v4
	v_nop
	v_fma_f32 v9, -v4, v5, 1.0
	s_delay_alu instid0(VALU_DEP_1) | instskip(SKIP_1) | instid1(VALU_DEP_1)
	v_fmac_f32_e32 v5, v9, v5
	v_div_scale_f32 v9, vcc_lo, v3, v1, v3
	v_mul_f32_e32 v10, v9, v5
	s_delay_alu instid0(VALU_DEP_1) | instskip(NEXT) | instid1(VALU_DEP_1)
	v_fma_f32 v11, -v4, v10, v9
	v_fmac_f32_e32 v10, v11, v5
	s_delay_alu instid0(VALU_DEP_1) | instskip(NEXT) | instid1(VALU_DEP_1)
	v_fma_f32 v4, -v4, v10, v9
	v_div_fmas_f32 v4, v4, v5, v10
	s_delay_alu instid0(VALU_DEP_1)
	v_div_fixup_f32 v4, v4, v1, v3
.LBB92_2342:
	s_or_b32 exec_lo, exec_lo, s15
	v_add_nc_u32_e32 v0, s9, v0
	s_cmp_lt_i32 s0, 11
	s_delay_alu instid0(VALU_DEP_1) | instskip(NEXT) | instid1(VALU_DEP_1)
	v_ashrrev_i32_e32 v1, 31, v0
	v_add_nc_u64_e32 v[0:1], s[6:7], v[0:1]
	s_cbranch_scc1 .LBB92_2349
; %bb.2343:
	s_and_b32 s6, 0xffff, s0
	s_mov_b32 s9, 0
	s_cmp_gt_i32 s6, 25
	s_cbranch_scc0 .LBB92_2350
; %bb.2344:
	s_cmp_gt_i32 s6, 28
	s_cbranch_scc0 .LBB92_2351
; %bb.2345:
	;; [unrolled: 3-line block ×4, first 2 shown]
	s_cmp_eq_u32 s6, 46
	s_mov_b32 s18, 0
	s_cbranch_scc0 .LBB92_2355
; %bb.2348:
	global_load_b32 v3, v[0:1], off
	s_mov_b32 s7, 0
	s_mov_b32 s15, -1
	s_branch .LBB92_2357
.LBB92_2349:
	s_mov_b32 s6, -1
	s_mov_b32 s15, 0
                                        ; implicit-def: $vgpr3
	s_branch .LBB92_2423
.LBB92_2350:
	s_mov_b32 s18, -1
	s_mov_b32 s15, 0
	s_mov_b32 s7, 0
                                        ; implicit-def: $vgpr3
	s_branch .LBB92_2386
.LBB92_2351:
	s_mov_b32 s18, -1
	s_mov_b32 s15, 0
	s_mov_b32 s7, 0
                                        ; implicit-def: $vgpr3
	s_branch .LBB92_2367
.LBB92_2352:
	s_mov_b32 s18, -1
	s_mov_b32 s15, 0
	s_mov_b32 s7, 0
                                        ; implicit-def: $vgpr3
	s_branch .LBB92_2362
.LBB92_2353:
	s_or_b32 s14, s14, exec_lo
	s_trap 2
	s_cbranch_execz .LBB92_2288
	s_branch .LBB92_2289
.LBB92_2354:
	s_mov_b32 s18, -1
	s_mov_b32 s15, 0
	s_mov_b32 s7, 0
	s_branch .LBB92_2356
.LBB92_2355:
	s_mov_b32 s7, -1
	s_mov_b32 s15, 0
.LBB92_2356:
                                        ; implicit-def: $vgpr3
.LBB92_2357:
	s_and_b32 vcc_lo, exec_lo, s18
	s_cbranch_vccz .LBB92_2361
; %bb.2358:
	s_cmp_eq_u32 s6, 44
	s_cbranch_scc0 .LBB92_2360
; %bb.2359:
	s_wait_loadcnt 0x0
	global_load_u8 v3, v[0:1], off
	s_mov_b32 s7, 0
	s_mov_b32 s15, -1
	s_wait_loadcnt 0x0
	v_lshlrev_b32_e32 v5, 23, v3
	v_cmp_ne_u32_e32 vcc_lo, 0xff, v3
	s_delay_alu instid0(VALU_DEP_2) | instskip(SKIP_1) | instid1(VALU_DEP_2)
	v_cndmask_b32_e32 v5, 0x7f800001, v5, vcc_lo
	v_cmp_ne_u32_e32 vcc_lo, 0, v3
	v_cndmask_b32_e32 v3, 0x400000, v5, vcc_lo
	s_delay_alu instid0(VALU_DEP_1) | instskip(SKIP_1) | instid1(VALU_DEP_2)
	v_add_nc_u32_e32 v5, 0x7fff, v3
	v_cmp_o_f32_e32 vcc_lo, v3, v3
	v_lshrrev_b32_e32 v5, 16, v5
	s_delay_alu instid0(VALU_DEP_1)
	v_cndmask_b32_e32 v3, 0x7fc0, v5, vcc_lo
	s_branch .LBB92_2361
.LBB92_2360:
	s_mov_b32 s7, -1
                                        ; implicit-def: $vgpr3
.LBB92_2361:
	s_mov_b32 s18, 0
.LBB92_2362:
	s_delay_alu instid0(SALU_CYCLE_1)
	s_and_b32 vcc_lo, exec_lo, s18
	s_cbranch_vccz .LBB92_2366
; %bb.2363:
	s_cmp_eq_u32 s6, 29
	s_cbranch_scc0 .LBB92_2365
; %bb.2364:
	global_load_b64 v[10:11], v[0:1], off
	s_mov_b32 s7, 0
	s_mov_b32 s15, -1
	s_mov_b32 s18, 0
	s_wait_loadcnt 0x0
	v_clz_i32_u32_e32 v3, v11
	s_delay_alu instid0(VALU_DEP_1) | instskip(NEXT) | instid1(VALU_DEP_1)
	v_min_u32_e32 v3, 32, v3
	v_lshlrev_b64_e32 v[10:11], v3, v[10:11]
	v_sub_nc_u32_e32 v3, 32, v3
	s_delay_alu instid0(VALU_DEP_2) | instskip(NEXT) | instid1(VALU_DEP_1)
	v_min_u32_e32 v5, 1, v10
	v_or_b32_e32 v5, v11, v5
	s_delay_alu instid0(VALU_DEP_1) | instskip(NEXT) | instid1(VALU_DEP_1)
	v_cvt_f32_u32_e32 v5, v5
	v_ldexp_f32 v3, v5, v3
	s_delay_alu instid0(VALU_DEP_1) | instskip(NEXT) | instid1(VALU_DEP_1)
	v_bfe_u32 v5, v3, 16, 1
	v_add3_u32 v3, v3, v5, 0x7fff
	s_delay_alu instid0(VALU_DEP_1)
	v_lshrrev_b32_e32 v3, 16, v3
	s_branch .LBB92_2367
.LBB92_2365:
	s_mov_b32 s7, -1
                                        ; implicit-def: $vgpr3
.LBB92_2366:
	s_mov_b32 s18, 0
.LBB92_2367:
	s_delay_alu instid0(SALU_CYCLE_1)
	s_and_b32 vcc_lo, exec_lo, s18
	s_cbranch_vccz .LBB92_2385
; %bb.2368:
	s_cmp_lt_i32 s6, 27
	s_cbranch_scc1 .LBB92_2371
; %bb.2369:
	s_cmp_gt_i32 s6, 27
	s_cbranch_scc0 .LBB92_2372
; %bb.2370:
	s_wait_loadcnt 0x0
	global_load_b32 v3, v[0:1], off
	s_mov_b32 s15, 0
	s_wait_loadcnt 0x0
	v_cvt_f32_u32_e32 v3, v3
	s_delay_alu instid0(VALU_DEP_1) | instskip(NEXT) | instid1(VALU_DEP_1)
	v_bfe_u32 v5, v3, 16, 1
	v_add3_u32 v3, v3, v5, 0x7fff
	s_delay_alu instid0(VALU_DEP_1)
	v_lshrrev_b32_e32 v3, 16, v3
	s_branch .LBB92_2373
.LBB92_2371:
	s_mov_b32 s15, -1
                                        ; implicit-def: $vgpr3
	s_branch .LBB92_2376
.LBB92_2372:
	s_mov_b32 s15, -1
                                        ; implicit-def: $vgpr3
.LBB92_2373:
	s_delay_alu instid0(SALU_CYCLE_1)
	s_and_not1_b32 vcc_lo, exec_lo, s15
	s_cbranch_vccnz .LBB92_2375
; %bb.2374:
	s_wait_loadcnt 0x0
	global_load_u16 v3, v[0:1], off
	s_wait_loadcnt 0x0
	v_cvt_f32_u32_e32 v3, v3
	s_delay_alu instid0(VALU_DEP_1) | instskip(NEXT) | instid1(VALU_DEP_1)
	v_bfe_u32 v5, v3, 16, 1
	v_add3_u32 v3, v3, v5, 0x7fff
	s_delay_alu instid0(VALU_DEP_1)
	v_lshrrev_b32_e32 v3, 16, v3
.LBB92_2375:
	s_mov_b32 s15, 0
.LBB92_2376:
	s_delay_alu instid0(SALU_CYCLE_1)
	s_and_not1_b32 vcc_lo, exec_lo, s15
	s_cbranch_vccnz .LBB92_2384
; %bb.2377:
	s_wait_loadcnt 0x0
	global_load_u8 v3, v[0:1], off
	s_mov_b32 s15, 0
	s_mov_b32 s18, exec_lo
	s_wait_loadcnt 0x0
	v_cmpx_lt_i16_e32 0x7f, v3
	s_xor_b32 s18, exec_lo, s18
	s_cbranch_execz .LBB92_2398
; %bb.2378:
	s_mov_b32 s15, -1
	s_mov_b32 s19, exec_lo
	v_cmpx_eq_u16_e32 0x80, v3
; %bb.2379:
	s_xor_b32 s15, exec_lo, -1
; %bb.2380:
	s_or_b32 exec_lo, exec_lo, s19
	s_delay_alu instid0(SALU_CYCLE_1)
	s_and_b32 s15, s15, exec_lo
	s_or_saveexec_b32 s18, s18
	v_mov_b32_e32 v5, 0x7f800001
	s_xor_b32 exec_lo, exec_lo, s18
	s_cbranch_execnz .LBB92_2399
.LBB92_2381:
	s_or_b32 exec_lo, exec_lo, s18
	s_and_saveexec_b32 s18, s15
	s_cbranch_execz .LBB92_2383
.LBB92_2382:
	v_and_b32_e32 v5, 0xffff, v3
	s_delay_alu instid0(VALU_DEP_1) | instskip(SKIP_1) | instid1(VALU_DEP_2)
	v_and_b32_e32 v9, 7, v5
	v_bfe_u32 v12, v5, 3, 4
	v_clz_i32_u32_e32 v10, v9
	s_delay_alu instid0(VALU_DEP_2) | instskip(NEXT) | instid1(VALU_DEP_2)
	v_cmp_eq_u32_e32 vcc_lo, 0, v12
	v_min_u32_e32 v10, 32, v10
	s_delay_alu instid0(VALU_DEP_1) | instskip(NEXT) | instid1(VALU_DEP_1)
	v_subrev_nc_u32_e32 v11, 28, v10
	v_dual_lshlrev_b32 v5, v11, v5 :: v_dual_sub_nc_u32 v10, 29, v10
	s_delay_alu instid0(VALU_DEP_1) | instskip(NEXT) | instid1(VALU_DEP_1)
	v_dual_lshlrev_b32 v3, 24, v3 :: v_dual_bitop2_b32 v5, 7, v5 bitop3:0x40
	v_dual_cndmask_b32 v10, v12, v10 :: v_dual_cndmask_b32 v5, v9, v5
	s_delay_alu instid0(VALU_DEP_2) | instskip(NEXT) | instid1(VALU_DEP_2)
	v_and_b32_e32 v3, 0x80000000, v3
	v_lshl_add_u32 v9, v10, 23, 0x3b800000
	s_delay_alu instid0(VALU_DEP_3) | instskip(NEXT) | instid1(VALU_DEP_1)
	v_lshlrev_b32_e32 v5, 20, v5
	v_or3_b32 v5, v3, v9, v5
.LBB92_2383:
	s_or_b32 exec_lo, exec_lo, s18
	s_delay_alu instid0(VALU_DEP_1) | instskip(SKIP_1) | instid1(VALU_DEP_2)
	v_bfe_u32 v3, v5, 16, 1
	v_cmp_o_f32_e32 vcc_lo, v5, v5
	v_add3_u32 v3, v5, v3, 0x7fff
	s_delay_alu instid0(VALU_DEP_1) | instskip(NEXT) | instid1(VALU_DEP_1)
	v_lshrrev_b32_e32 v3, 16, v3
	v_cndmask_b32_e32 v3, 0x7fc0, v3, vcc_lo
.LBB92_2384:
	s_mov_b32 s15, -1
.LBB92_2385:
	s_mov_b32 s18, 0
.LBB92_2386:
	s_delay_alu instid0(SALU_CYCLE_1)
	s_and_b32 vcc_lo, exec_lo, s18
	s_cbranch_vccz .LBB92_2419
; %bb.2387:
	s_cmp_gt_i32 s6, 22
	s_cbranch_scc0 .LBB92_2397
; %bb.2388:
	s_cmp_lt_i32 s6, 24
	s_cbranch_scc1 .LBB92_2400
; %bb.2389:
	s_cmp_gt_i32 s6, 24
	s_cbranch_scc0 .LBB92_2401
; %bb.2390:
	s_wait_loadcnt 0x0
	global_load_u8 v3, v[0:1], off
	s_mov_b32 s15, exec_lo
	s_wait_loadcnt 0x0
	v_cmpx_lt_i16_e32 0x7f, v3
	s_xor_b32 s15, exec_lo, s15
	s_cbranch_execz .LBB92_2413
; %bb.2391:
	s_mov_b32 s9, -1
	s_mov_b32 s18, exec_lo
	v_cmpx_eq_u16_e32 0x80, v3
; %bb.2392:
	s_xor_b32 s9, exec_lo, -1
; %bb.2393:
	s_or_b32 exec_lo, exec_lo, s18
	s_delay_alu instid0(SALU_CYCLE_1)
	s_and_b32 s9, s9, exec_lo
	s_or_saveexec_b32 s15, s15
	v_mov_b32_e32 v5, 0x7f800001
	s_xor_b32 exec_lo, exec_lo, s15
	s_cbranch_execnz .LBB92_2414
.LBB92_2394:
	s_or_b32 exec_lo, exec_lo, s15
	s_and_saveexec_b32 s15, s9
	s_cbranch_execz .LBB92_2396
.LBB92_2395:
	v_and_b32_e32 v5, 0xffff, v3
	s_delay_alu instid0(VALU_DEP_1) | instskip(SKIP_1) | instid1(VALU_DEP_2)
	v_and_b32_e32 v9, 3, v5
	v_bfe_u32 v12, v5, 2, 5
	v_clz_i32_u32_e32 v10, v9
	s_delay_alu instid0(VALU_DEP_2) | instskip(NEXT) | instid1(VALU_DEP_2)
	v_cmp_eq_u32_e32 vcc_lo, 0, v12
	v_min_u32_e32 v10, 32, v10
	s_delay_alu instid0(VALU_DEP_1) | instskip(NEXT) | instid1(VALU_DEP_1)
	v_subrev_nc_u32_e32 v11, 29, v10
	v_dual_lshlrev_b32 v5, v11, v5 :: v_dual_sub_nc_u32 v10, 30, v10
	s_delay_alu instid0(VALU_DEP_1) | instskip(NEXT) | instid1(VALU_DEP_1)
	v_dual_lshlrev_b32 v3, 24, v3 :: v_dual_bitop2_b32 v5, 3, v5 bitop3:0x40
	v_dual_cndmask_b32 v10, v12, v10 :: v_dual_cndmask_b32 v5, v9, v5
	s_delay_alu instid0(VALU_DEP_2) | instskip(NEXT) | instid1(VALU_DEP_2)
	v_and_b32_e32 v3, 0x80000000, v3
	v_lshl_add_u32 v9, v10, 23, 0x37800000
	s_delay_alu instid0(VALU_DEP_3) | instskip(NEXT) | instid1(VALU_DEP_1)
	v_lshlrev_b32_e32 v5, 21, v5
	v_or3_b32 v5, v3, v9, v5
.LBB92_2396:
	s_or_b32 exec_lo, exec_lo, s15
	s_delay_alu instid0(VALU_DEP_1) | instskip(SKIP_2) | instid1(VALU_DEP_2)
	v_bfe_u32 v3, v5, 16, 1
	v_cmp_o_f32_e32 vcc_lo, v5, v5
	s_mov_b32 s9, 0
	v_add3_u32 v3, v5, v3, 0x7fff
	s_delay_alu instid0(VALU_DEP_1) | instskip(NEXT) | instid1(VALU_DEP_1)
	v_lshrrev_b32_e32 v3, 16, v3
	v_cndmask_b32_e32 v3, 0x7fc0, v3, vcc_lo
	s_branch .LBB92_2402
.LBB92_2397:
	s_mov_b32 s9, -1
                                        ; implicit-def: $vgpr3
	s_branch .LBB92_2408
.LBB92_2398:
	s_or_saveexec_b32 s18, s18
	v_mov_b32_e32 v5, 0x7f800001
	s_xor_b32 exec_lo, exec_lo, s18
	s_cbranch_execz .LBB92_2381
.LBB92_2399:
	v_cmp_ne_u16_e32 vcc_lo, 0, v3
	v_mov_b32_e32 v5, 0
	s_and_not1_b32 s15, s15, exec_lo
	s_and_b32 s19, vcc_lo, exec_lo
	s_delay_alu instid0(SALU_CYCLE_1)
	s_or_b32 s15, s15, s19
	s_or_b32 exec_lo, exec_lo, s18
	s_and_saveexec_b32 s18, s15
	s_cbranch_execnz .LBB92_2382
	s_branch .LBB92_2383
.LBB92_2400:
	s_mov_b32 s9, -1
                                        ; implicit-def: $vgpr3
	s_branch .LBB92_2405
.LBB92_2401:
	s_mov_b32 s9, -1
                                        ; implicit-def: $vgpr3
.LBB92_2402:
	s_delay_alu instid0(SALU_CYCLE_1)
	s_and_b32 vcc_lo, exec_lo, s9
	s_cbranch_vccz .LBB92_2404
; %bb.2403:
	s_wait_loadcnt 0x0
	global_load_u8 v3, v[0:1], off
	s_wait_loadcnt 0x0
	v_lshlrev_b32_e32 v3, 24, v3
	s_delay_alu instid0(VALU_DEP_1) | instskip(NEXT) | instid1(VALU_DEP_1)
	v_and_b32_e32 v5, 0x7f000000, v3
	v_clz_i32_u32_e32 v9, v5
	v_add_nc_u32_e32 v11, 0x1000000, v5
	v_cmp_ne_u32_e32 vcc_lo, 0, v5
	s_delay_alu instid0(VALU_DEP_3) | instskip(NEXT) | instid1(VALU_DEP_1)
	v_min_u32_e32 v9, 32, v9
	v_sub_nc_u32_e64 v9, v9, 4 clamp
	s_delay_alu instid0(VALU_DEP_1) | instskip(NEXT) | instid1(VALU_DEP_1)
	v_lshlrev_b32_e32 v10, v9, v5
	v_dual_lshlrev_b32 v9, 23, v9 :: v_dual_lshrrev_b32 v10, 4, v10
	s_delay_alu instid0(VALU_DEP_1) | instskip(NEXT) | instid1(VALU_DEP_1)
	v_dual_sub_nc_u32 v9, v10, v9 :: v_dual_ashrrev_i32 v10, 8, v11
	v_add_nc_u32_e32 v9, 0x3c000000, v9
	s_delay_alu instid0(VALU_DEP_1) | instskip(NEXT) | instid1(VALU_DEP_1)
	v_and_or_b32 v9, 0x7f800000, v10, v9
	v_cndmask_b32_e32 v5, 0, v9, vcc_lo
	s_delay_alu instid0(VALU_DEP_1) | instskip(SKIP_1) | instid1(VALU_DEP_2)
	v_and_or_b32 v3, 0x80000000, v3, v5
	v_bfe_u32 v5, v5, 16, 1
	v_cmp_o_f32_e32 vcc_lo, v3, v3
	s_delay_alu instid0(VALU_DEP_2) | instskip(NEXT) | instid1(VALU_DEP_1)
	v_add3_u32 v5, v3, v5, 0x7fff
	v_lshrrev_b32_e32 v5, 16, v5
	s_delay_alu instid0(VALU_DEP_1)
	v_cndmask_b32_e32 v3, 0x7fc0, v5, vcc_lo
.LBB92_2404:
	s_mov_b32 s9, 0
.LBB92_2405:
	s_delay_alu instid0(SALU_CYCLE_1)
	s_and_not1_b32 vcc_lo, exec_lo, s9
	s_cbranch_vccnz .LBB92_2407
; %bb.2406:
	s_wait_loadcnt 0x0
	global_load_u8 v3, v[0:1], off
	s_wait_loadcnt 0x0
	v_lshlrev_b32_e32 v5, 25, v3
	v_lshlrev_b16 v3, 8, v3
	s_delay_alu instid0(VALU_DEP_1) | instskip(SKIP_1) | instid1(VALU_DEP_2)
	v_and_or_b32 v10, 0x7f00, v3, 0.5
	v_bfe_i32 v3, v3, 0, 16
	v_dual_add_f32 v10, -0.5, v10 :: v_dual_lshrrev_b32 v9, 4, v5
	v_cmp_gt_u32_e32 vcc_lo, 0x8000000, v5
	s_delay_alu instid0(VALU_DEP_2) | instskip(NEXT) | instid1(VALU_DEP_1)
	v_or_b32_e32 v9, 0x70000000, v9
	v_mul_f32_e32 v9, 0x7800000, v9
	s_delay_alu instid0(VALU_DEP_1) | instskip(NEXT) | instid1(VALU_DEP_1)
	v_cndmask_b32_e32 v5, v9, v10, vcc_lo
	v_and_or_b32 v3, 0x80000000, v3, v5
	v_bfe_u32 v5, v5, 16, 1
	s_delay_alu instid0(VALU_DEP_2) | instskip(NEXT) | instid1(VALU_DEP_2)
	v_cmp_o_f32_e32 vcc_lo, v3, v3
	v_add3_u32 v5, v3, v5, 0x7fff
	s_delay_alu instid0(VALU_DEP_1) | instskip(NEXT) | instid1(VALU_DEP_1)
	v_lshrrev_b32_e32 v5, 16, v5
	v_cndmask_b32_e32 v3, 0x7fc0, v5, vcc_lo
.LBB92_2407:
	s_mov_b32 s9, 0
	s_mov_b32 s15, -1
.LBB92_2408:
	s_and_not1_b32 vcc_lo, exec_lo, s9
	s_mov_b32 s9, 0
	s_cbranch_vccnz .LBB92_2419
; %bb.2409:
	s_cmp_gt_i32 s6, 14
	s_cbranch_scc0 .LBB92_2412
; %bb.2410:
	s_cmp_eq_u32 s6, 15
	s_cbranch_scc0 .LBB92_2415
; %bb.2411:
	s_wait_loadcnt 0x0
	global_load_u16 v3, v[0:1], off
	s_mov_b32 s7, 0
	s_mov_b32 s15, -1
	s_branch .LBB92_2417
.LBB92_2412:
	s_mov_b32 s9, -1
	s_branch .LBB92_2416
.LBB92_2413:
	s_or_saveexec_b32 s15, s15
	v_mov_b32_e32 v5, 0x7f800001
	s_xor_b32 exec_lo, exec_lo, s15
	s_cbranch_execz .LBB92_2394
.LBB92_2414:
	v_cmp_ne_u16_e32 vcc_lo, 0, v3
	v_mov_b32_e32 v5, 0
	s_and_not1_b32 s9, s9, exec_lo
	s_and_b32 s18, vcc_lo, exec_lo
	s_delay_alu instid0(SALU_CYCLE_1)
	s_or_b32 s9, s9, s18
	s_or_b32 exec_lo, exec_lo, s15
	s_and_saveexec_b32 s15, s9
	s_cbranch_execnz .LBB92_2395
	s_branch .LBB92_2396
.LBB92_2415:
	s_mov_b32 s7, -1
.LBB92_2416:
                                        ; implicit-def: $vgpr3
.LBB92_2417:
	s_and_b32 vcc_lo, exec_lo, s9
	s_mov_b32 s9, 0
	s_cbranch_vccz .LBB92_2419
; %bb.2418:
	s_cmp_lg_u32 s6, 11
	s_mov_b32 s9, -1
	s_cselect_b32 s7, -1, 0
.LBB92_2419:
	s_delay_alu instid0(SALU_CYCLE_1)
	s_and_b32 vcc_lo, exec_lo, s7
	s_cbranch_vccnz .LBB92_2484
; %bb.2420:
	s_and_not1_b32 vcc_lo, exec_lo, s9
	s_cbranch_vccnz .LBB92_2422
.LBB92_2421:
	s_wait_loadcnt 0x0
	global_load_u8 v3, v[0:1], off
	s_mov_b32 s15, -1
	s_wait_loadcnt 0x0
	v_cmp_ne_u16_e32 vcc_lo, 0, v3
	v_cndmask_b32_e64 v3, 0, 1.0, vcc_lo
	s_delay_alu instid0(VALU_DEP_1)
	v_lshrrev_b32_e32 v3, 16, v3
.LBB92_2422:
	s_mov_b32 s6, 0
.LBB92_2423:
	s_delay_alu instid0(SALU_CYCLE_1)
	s_and_b32 vcc_lo, exec_lo, s6
	s_cbranch_vccz .LBB92_2472
; %bb.2424:
	s_and_b32 s0, 0xffff, s0
	s_delay_alu instid0(SALU_CYCLE_1)
	s_cmp_lt_i32 s0, 5
	s_cbranch_scc1 .LBB92_2429
; %bb.2425:
	s_cmp_lt_i32 s0, 8
	s_cbranch_scc1 .LBB92_2430
; %bb.2426:
	;; [unrolled: 3-line block ×3, first 2 shown]
	s_cmp_gt_i32 s0, 9
	s_cbranch_scc0 .LBB92_2432
; %bb.2428:
	global_load_b64 v[10:11], v[0:1], off
	s_mov_b32 s6, 0
	s_wait_loadcnt 0x0
	v_cvt_f32_f64_e32 v3, v[10:11]
	s_delay_alu instid0(VALU_DEP_1) | instskip(SKIP_1) | instid1(VALU_DEP_2)
	v_bfe_u32 v5, v3, 16, 1
	v_cmp_o_f32_e32 vcc_lo, v3, v3
	v_add3_u32 v5, v3, v5, 0x7fff
	s_delay_alu instid0(VALU_DEP_1) | instskip(NEXT) | instid1(VALU_DEP_1)
	v_lshrrev_b32_e32 v5, 16, v5
	v_cndmask_b32_e32 v3, 0x7fc0, v5, vcc_lo
	s_branch .LBB92_2433
.LBB92_2429:
	s_mov_b32 s6, -1
                                        ; implicit-def: $vgpr3
	s_branch .LBB92_2451
.LBB92_2430:
	s_mov_b32 s6, -1
                                        ; implicit-def: $vgpr3
	s_branch .LBB92_2439
.LBB92_2431:
	s_mov_b32 s6, -1
                                        ; implicit-def: $vgpr3
	s_branch .LBB92_2436
.LBB92_2432:
	s_mov_b32 s6, -1
                                        ; implicit-def: $vgpr3
.LBB92_2433:
	s_delay_alu instid0(SALU_CYCLE_1)
	s_and_not1_b32 vcc_lo, exec_lo, s6
	s_cbranch_vccnz .LBB92_2435
; %bb.2434:
	s_wait_loadcnt 0x0
	global_load_b32 v3, v[0:1], off
	s_wait_loadcnt 0x0
	v_bfe_u32 v5, v3, 16, 1
	v_cmp_o_f32_e32 vcc_lo, v3, v3
	s_delay_alu instid0(VALU_DEP_2) | instskip(NEXT) | instid1(VALU_DEP_1)
	v_add3_u32 v5, v3, v5, 0x7fff
	v_lshrrev_b32_e32 v5, 16, v5
	s_delay_alu instid0(VALU_DEP_1)
	v_cndmask_b32_e32 v3, 0x7fc0, v5, vcc_lo
.LBB92_2435:
	s_mov_b32 s6, 0
.LBB92_2436:
	s_delay_alu instid0(SALU_CYCLE_1)
	s_and_not1_b32 vcc_lo, exec_lo, s6
	s_cbranch_vccnz .LBB92_2438
; %bb.2437:
	s_wait_loadcnt 0x0
	global_load_b32 v3, v[0:1], off
	s_wait_loadcnt 0x0
	v_cvt_f32_f16_e32 v5, v3
	v_cmp_o_f16_e32 vcc_lo, v3, v3
	s_delay_alu instid0(VALU_DEP_2) | instskip(NEXT) | instid1(VALU_DEP_1)
	v_bfe_u32 v9, v5, 16, 1
	v_add3_u32 v5, v5, v9, 0x7fff
	s_delay_alu instid0(VALU_DEP_1) | instskip(NEXT) | instid1(VALU_DEP_1)
	v_lshrrev_b32_e32 v5, 16, v5
	v_cndmask_b32_e32 v3, 0x7fc0, v5, vcc_lo
.LBB92_2438:
	s_mov_b32 s6, 0
.LBB92_2439:
	s_delay_alu instid0(SALU_CYCLE_1)
	s_and_not1_b32 vcc_lo, exec_lo, s6
	s_cbranch_vccnz .LBB92_2450
; %bb.2440:
	s_cmp_lt_i32 s0, 6
	s_cbranch_scc1 .LBB92_2443
; %bb.2441:
	s_cmp_gt_i32 s0, 6
	s_cbranch_scc0 .LBB92_2444
; %bb.2442:
	global_load_b64 v[10:11], v[0:1], off
	s_mov_b32 s6, 0
	s_wait_loadcnt 0x0
	v_cvt_f32_f64_e32 v3, v[10:11]
	s_delay_alu instid0(VALU_DEP_1) | instskip(SKIP_1) | instid1(VALU_DEP_2)
	v_bfe_u32 v5, v3, 16, 1
	v_cmp_o_f32_e32 vcc_lo, v3, v3
	v_add3_u32 v5, v3, v5, 0x7fff
	s_delay_alu instid0(VALU_DEP_1) | instskip(NEXT) | instid1(VALU_DEP_1)
	v_lshrrev_b32_e32 v5, 16, v5
	v_cndmask_b32_e32 v3, 0x7fc0, v5, vcc_lo
	s_branch .LBB92_2445
.LBB92_2443:
	s_mov_b32 s6, -1
                                        ; implicit-def: $vgpr3
	s_branch .LBB92_2448
.LBB92_2444:
	s_mov_b32 s6, -1
                                        ; implicit-def: $vgpr3
.LBB92_2445:
	s_delay_alu instid0(SALU_CYCLE_1)
	s_and_not1_b32 vcc_lo, exec_lo, s6
	s_cbranch_vccnz .LBB92_2447
; %bb.2446:
	s_wait_loadcnt 0x0
	global_load_b32 v3, v[0:1], off
	s_wait_loadcnt 0x0
	v_bfe_u32 v5, v3, 16, 1
	v_cmp_o_f32_e32 vcc_lo, v3, v3
	s_delay_alu instid0(VALU_DEP_2) | instskip(NEXT) | instid1(VALU_DEP_1)
	v_add3_u32 v5, v3, v5, 0x7fff
	v_lshrrev_b32_e32 v5, 16, v5
	s_delay_alu instid0(VALU_DEP_1)
	v_cndmask_b32_e32 v3, 0x7fc0, v5, vcc_lo
.LBB92_2447:
	s_mov_b32 s6, 0
.LBB92_2448:
	s_delay_alu instid0(SALU_CYCLE_1)
	s_and_not1_b32 vcc_lo, exec_lo, s6
	s_cbranch_vccnz .LBB92_2450
; %bb.2449:
	s_wait_loadcnt 0x0
	global_load_u16 v3, v[0:1], off
	s_wait_loadcnt 0x0
	v_cvt_f32_f16_e32 v5, v3
	v_cmp_o_f16_e32 vcc_lo, v3, v3
	s_delay_alu instid0(VALU_DEP_2) | instskip(NEXT) | instid1(VALU_DEP_1)
	v_bfe_u32 v9, v5, 16, 1
	v_add3_u32 v5, v5, v9, 0x7fff
	s_delay_alu instid0(VALU_DEP_1) | instskip(NEXT) | instid1(VALU_DEP_1)
	v_lshrrev_b32_e32 v5, 16, v5
	v_cndmask_b32_e32 v3, 0x7fc0, v5, vcc_lo
.LBB92_2450:
	s_mov_b32 s6, 0
.LBB92_2451:
	s_delay_alu instid0(SALU_CYCLE_1)
	s_and_not1_b32 vcc_lo, exec_lo, s6
	s_cbranch_vccnz .LBB92_2471
; %bb.2452:
	s_cmp_lt_i32 s0, 2
	s_cbranch_scc1 .LBB92_2456
; %bb.2453:
	s_cmp_lt_i32 s0, 3
	s_cbranch_scc1 .LBB92_2457
; %bb.2454:
	s_cmp_gt_i32 s0, 3
	s_cbranch_scc0 .LBB92_2458
; %bb.2455:
	global_load_b64 v[10:11], v[0:1], off
	s_mov_b32 s6, 0
	s_wait_loadcnt 0x0
	v_xor_b32_e32 v3, v10, v11
	v_cls_i32_e32 v5, v11
	s_delay_alu instid0(VALU_DEP_2) | instskip(NEXT) | instid1(VALU_DEP_1)
	v_ashrrev_i32_e32 v3, 31, v3
	v_add_nc_u32_e32 v3, 32, v3
	s_delay_alu instid0(VALU_DEP_1) | instskip(NEXT) | instid1(VALU_DEP_1)
	v_add_min_u32_e64 v3, v5, -1, v3
	v_lshlrev_b64_e32 v[10:11], v3, v[10:11]
	v_sub_nc_u32_e32 v3, 32, v3
	s_delay_alu instid0(VALU_DEP_2) | instskip(NEXT) | instid1(VALU_DEP_1)
	v_min_u32_e32 v5, 1, v10
	v_or_b32_e32 v5, v11, v5
	s_delay_alu instid0(VALU_DEP_1) | instskip(NEXT) | instid1(VALU_DEP_1)
	v_cvt_f32_i32_e32 v5, v5
	v_ldexp_f32 v3, v5, v3
	s_delay_alu instid0(VALU_DEP_1) | instskip(NEXT) | instid1(VALU_DEP_1)
	v_bfe_u32 v5, v3, 16, 1
	v_add3_u32 v3, v3, v5, 0x7fff
	s_delay_alu instid0(VALU_DEP_1)
	v_lshrrev_b32_e32 v3, 16, v3
	s_branch .LBB92_2459
.LBB92_2456:
	s_mov_b32 s6, -1
                                        ; implicit-def: $vgpr3
	s_branch .LBB92_2465
.LBB92_2457:
	s_mov_b32 s6, -1
                                        ; implicit-def: $vgpr3
	s_branch .LBB92_2462
.LBB92_2458:
	s_mov_b32 s6, -1
                                        ; implicit-def: $vgpr3
.LBB92_2459:
	s_delay_alu instid0(SALU_CYCLE_1)
	s_and_not1_b32 vcc_lo, exec_lo, s6
	s_cbranch_vccnz .LBB92_2461
; %bb.2460:
	s_wait_loadcnt 0x0
	global_load_b32 v3, v[0:1], off
	s_wait_loadcnt 0x0
	v_cvt_f32_i32_e32 v3, v3
	s_delay_alu instid0(VALU_DEP_1) | instskip(NEXT) | instid1(VALU_DEP_1)
	v_bfe_u32 v5, v3, 16, 1
	v_add3_u32 v3, v3, v5, 0x7fff
	s_delay_alu instid0(VALU_DEP_1)
	v_lshrrev_b32_e32 v3, 16, v3
.LBB92_2461:
	s_mov_b32 s6, 0
.LBB92_2462:
	s_delay_alu instid0(SALU_CYCLE_1)
	s_and_not1_b32 vcc_lo, exec_lo, s6
	s_cbranch_vccnz .LBB92_2464
; %bb.2463:
	s_wait_loadcnt 0x0
	global_load_i16 v3, v[0:1], off
	s_wait_loadcnt 0x0
	v_cvt_f32_i32_e32 v3, v3
	s_delay_alu instid0(VALU_DEP_1) | instskip(NEXT) | instid1(VALU_DEP_1)
	v_bfe_u32 v5, v3, 16, 1
	v_add3_u32 v3, v3, v5, 0x7fff
	s_delay_alu instid0(VALU_DEP_1)
	v_lshrrev_b32_e32 v3, 16, v3
.LBB92_2464:
	s_mov_b32 s6, 0
.LBB92_2465:
	s_delay_alu instid0(SALU_CYCLE_1)
	s_and_not1_b32 vcc_lo, exec_lo, s6
	s_cbranch_vccnz .LBB92_2471
; %bb.2466:
	s_cmp_gt_i32 s0, 0
	s_mov_b32 s0, 0
	s_cbranch_scc0 .LBB92_2468
; %bb.2467:
	s_wait_loadcnt 0x0
	global_load_i8 v3, v[0:1], off
	s_wait_loadcnt 0x0
	v_cvt_f32_i32_e32 v3, v3
	s_delay_alu instid0(VALU_DEP_1) | instskip(NEXT) | instid1(VALU_DEP_1)
	v_bfe_u32 v5, v3, 16, 1
	v_add3_u32 v3, v3, v5, 0x7fff
	s_delay_alu instid0(VALU_DEP_1)
	v_lshrrev_b32_e32 v3, 16, v3
	s_branch .LBB92_2469
.LBB92_2468:
	s_mov_b32 s0, -1
                                        ; implicit-def: $vgpr3
.LBB92_2469:
	s_delay_alu instid0(SALU_CYCLE_1)
	s_and_not1_b32 vcc_lo, exec_lo, s0
	s_cbranch_vccnz .LBB92_2471
; %bb.2470:
	global_load_u8 v0, v[0:1], off
	s_wait_loadcnt 0x0
	v_cvt_f32_ubyte0_e32 v0, v0
	s_delay_alu instid0(VALU_DEP_1) | instskip(NEXT) | instid1(VALU_DEP_1)
	v_bfe_u32 v1, v0, 16, 1
	v_add3_u32 v0, v0, v1, 0x7fff
	s_delay_alu instid0(VALU_DEP_1)
	v_lshrrev_b32_e32 v3, 16, v0
.LBB92_2471:
	s_mov_b32 s15, -1
.LBB92_2472:
	s_delay_alu instid0(SALU_CYCLE_1)
	s_and_not1_b32 vcc_lo, exec_lo, s15
	s_cbranch_vccnz .LBB92_3039
; %bb.2473:
	s_wait_xcnt 0x0
	v_add_nc_u32_e32 v0, s10, v2
	s_cmp_lt_i32 s1, 11
	s_delay_alu instid0(VALU_DEP_1) | instskip(NEXT) | instid1(VALU_DEP_1)
	v_ashrrev_i32_e32 v1, 31, v0
	v_add_nc_u64_e32 v[0:1], s[12:13], v[0:1]
	s_cbranch_scc1 .LBB92_2480
; %bb.2474:
	s_and_b32 s0, 0xffff, s1
	s_mov_b32 s7, 0
	s_cmp_gt_i32 s0, 25
	s_cbranch_scc0 .LBB92_2481
; %bb.2475:
	s_cmp_gt_i32 s0, 28
	s_cbranch_scc0 .LBB92_2482
; %bb.2476:
	;; [unrolled: 3-line block ×4, first 2 shown]
	s_cmp_eq_u32 s0, 46
	s_mov_b32 s10, 0
	s_cbranch_scc0 .LBB92_2486
; %bb.2479:
	global_load_b32 v2, v[0:1], off
	s_mov_b32 s6, 0
	s_mov_b32 s9, -1
	s_branch .LBB92_2488
.LBB92_2480:
	s_mov_b32 s0, -1
	s_mov_b32 s9, 0
                                        ; implicit-def: $vgpr2
	s_branch .LBB92_2554
.LBB92_2481:
	s_mov_b32 s10, -1
	s_mov_b32 s9, 0
	s_mov_b32 s6, 0
                                        ; implicit-def: $vgpr2
	s_branch .LBB92_2517
.LBB92_2482:
	s_mov_b32 s10, -1
	s_mov_b32 s9, 0
	s_mov_b32 s6, 0
                                        ; implicit-def: $vgpr2
	s_branch .LBB92_2498
.LBB92_2483:
	s_mov_b32 s10, -1
	s_mov_b32 s9, 0
	s_mov_b32 s6, 0
                                        ; implicit-def: $vgpr2
	s_branch .LBB92_2493
.LBB92_2484:
	s_or_b32 s14, s14, exec_lo
	s_trap 2
	s_cbranch_execz .LBB92_2421
	s_branch .LBB92_2422
.LBB92_2485:
	s_mov_b32 s10, -1
	s_mov_b32 s9, 0
	s_mov_b32 s6, 0
	s_branch .LBB92_2487
.LBB92_2486:
	s_mov_b32 s6, -1
	s_mov_b32 s9, 0
.LBB92_2487:
                                        ; implicit-def: $vgpr2
.LBB92_2488:
	s_and_b32 vcc_lo, exec_lo, s10
	s_cbranch_vccz .LBB92_2492
; %bb.2489:
	s_cmp_eq_u32 s0, 44
	s_cbranch_scc0 .LBB92_2491
; %bb.2490:
	s_wait_loadcnt 0x0
	global_load_u8 v2, v[0:1], off
	s_mov_b32 s6, 0
	s_mov_b32 s9, -1
	s_wait_loadcnt 0x0
	v_lshlrev_b32_e32 v5, 23, v2
	v_cmp_ne_u32_e32 vcc_lo, 0xff, v2
	s_delay_alu instid0(VALU_DEP_2) | instskip(SKIP_1) | instid1(VALU_DEP_2)
	v_cndmask_b32_e32 v5, 0x7f800001, v5, vcc_lo
	v_cmp_ne_u32_e32 vcc_lo, 0, v2
	v_cndmask_b32_e32 v2, 0x400000, v5, vcc_lo
	s_delay_alu instid0(VALU_DEP_1) | instskip(NEXT) | instid1(VALU_DEP_1)
	v_add_nc_u32_e32 v5, 0x7fff, v2
	v_lshrrev_b32_e32 v5, 16, v5
	v_cmp_o_f32_e32 vcc_lo, v2, v2
	s_delay_alu instid0(VALU_DEP_2)
	v_cndmask_b32_e32 v2, 0x7fc0, v5, vcc_lo
	s_branch .LBB92_2492
.LBB92_2491:
	s_mov_b32 s6, -1
                                        ; implicit-def: $vgpr2
.LBB92_2492:
	s_mov_b32 s10, 0
.LBB92_2493:
	s_delay_alu instid0(SALU_CYCLE_1)
	s_and_b32 vcc_lo, exec_lo, s10
	s_cbranch_vccz .LBB92_2497
; %bb.2494:
	s_cmp_eq_u32 s0, 29
	s_cbranch_scc0 .LBB92_2496
; %bb.2495:
	global_load_b64 v[10:11], v[0:1], off
	s_mov_b32 s6, 0
	s_mov_b32 s9, -1
	s_mov_b32 s10, 0
	s_wait_loadcnt 0x0
	v_clz_i32_u32_e32 v2, v11
	s_delay_alu instid0(VALU_DEP_1) | instskip(NEXT) | instid1(VALU_DEP_1)
	v_min_u32_e32 v2, 32, v2
	v_lshlrev_b64_e32 v[10:11], v2, v[10:11]
	v_sub_nc_u32_e32 v2, 32, v2
	s_delay_alu instid0(VALU_DEP_2) | instskip(NEXT) | instid1(VALU_DEP_1)
	v_min_u32_e32 v5, 1, v10
	v_or_b32_e32 v5, v11, v5
	s_delay_alu instid0(VALU_DEP_1) | instskip(NEXT) | instid1(VALU_DEP_1)
	v_cvt_f32_u32_e32 v5, v5
	v_ldexp_f32 v2, v5, v2
	s_delay_alu instid0(VALU_DEP_1) | instskip(NEXT) | instid1(VALU_DEP_1)
	v_bfe_u32 v5, v2, 16, 1
	v_add3_u32 v2, v2, v5, 0x7fff
	s_delay_alu instid0(VALU_DEP_1)
	v_lshrrev_b32_e32 v2, 16, v2
	s_branch .LBB92_2498
.LBB92_2496:
	s_mov_b32 s6, -1
                                        ; implicit-def: $vgpr2
.LBB92_2497:
	s_mov_b32 s10, 0
.LBB92_2498:
	s_delay_alu instid0(SALU_CYCLE_1)
	s_and_b32 vcc_lo, exec_lo, s10
	s_cbranch_vccz .LBB92_2516
; %bb.2499:
	s_cmp_lt_i32 s0, 27
	s_cbranch_scc1 .LBB92_2502
; %bb.2500:
	s_cmp_gt_i32 s0, 27
	s_cbranch_scc0 .LBB92_2503
; %bb.2501:
	s_wait_loadcnt 0x0
	global_load_b32 v2, v[0:1], off
	s_mov_b32 s9, 0
	s_wait_loadcnt 0x0
	v_cvt_f32_u32_e32 v2, v2
	s_delay_alu instid0(VALU_DEP_1) | instskip(NEXT) | instid1(VALU_DEP_1)
	v_bfe_u32 v5, v2, 16, 1
	v_add3_u32 v2, v2, v5, 0x7fff
	s_delay_alu instid0(VALU_DEP_1)
	v_lshrrev_b32_e32 v2, 16, v2
	s_branch .LBB92_2504
.LBB92_2502:
	s_mov_b32 s9, -1
                                        ; implicit-def: $vgpr2
	s_branch .LBB92_2507
.LBB92_2503:
	s_mov_b32 s9, -1
                                        ; implicit-def: $vgpr2
.LBB92_2504:
	s_delay_alu instid0(SALU_CYCLE_1)
	s_and_not1_b32 vcc_lo, exec_lo, s9
	s_cbranch_vccnz .LBB92_2506
; %bb.2505:
	s_wait_loadcnt 0x0
	global_load_u16 v2, v[0:1], off
	s_wait_loadcnt 0x0
	v_cvt_f32_u32_e32 v2, v2
	s_delay_alu instid0(VALU_DEP_1) | instskip(NEXT) | instid1(VALU_DEP_1)
	v_bfe_u32 v5, v2, 16, 1
	v_add3_u32 v2, v2, v5, 0x7fff
	s_delay_alu instid0(VALU_DEP_1)
	v_lshrrev_b32_e32 v2, 16, v2
.LBB92_2506:
	s_mov_b32 s9, 0
.LBB92_2507:
	s_delay_alu instid0(SALU_CYCLE_1)
	s_and_not1_b32 vcc_lo, exec_lo, s9
	s_cbranch_vccnz .LBB92_2515
; %bb.2508:
	s_wait_loadcnt 0x0
	global_load_u8 v2, v[0:1], off
	s_mov_b32 s9, 0
	s_mov_b32 s10, exec_lo
	s_wait_loadcnt 0x0
	v_cmpx_lt_i16_e32 0x7f, v2
	s_xor_b32 s10, exec_lo, s10
	s_cbranch_execz .LBB92_2529
; %bb.2509:
	s_mov_b32 s9, -1
	s_mov_b32 s12, exec_lo
	v_cmpx_eq_u16_e32 0x80, v2
; %bb.2510:
	s_xor_b32 s9, exec_lo, -1
; %bb.2511:
	s_or_b32 exec_lo, exec_lo, s12
	s_delay_alu instid0(SALU_CYCLE_1)
	s_and_b32 s9, s9, exec_lo
	s_or_saveexec_b32 s10, s10
	v_mov_b32_e32 v5, 0x7f800001
	s_xor_b32 exec_lo, exec_lo, s10
	s_cbranch_execnz .LBB92_2530
.LBB92_2512:
	s_or_b32 exec_lo, exec_lo, s10
	s_and_saveexec_b32 s10, s9
	s_cbranch_execz .LBB92_2514
.LBB92_2513:
	v_and_b32_e32 v5, 0xffff, v2
	s_delay_alu instid0(VALU_DEP_1) | instskip(SKIP_1) | instid1(VALU_DEP_2)
	v_and_b32_e32 v9, 7, v5
	v_bfe_u32 v12, v5, 3, 4
	v_clz_i32_u32_e32 v10, v9
	s_delay_alu instid0(VALU_DEP_2) | instskip(NEXT) | instid1(VALU_DEP_2)
	v_cmp_eq_u32_e32 vcc_lo, 0, v12
	v_min_u32_e32 v10, 32, v10
	s_delay_alu instid0(VALU_DEP_1) | instskip(NEXT) | instid1(VALU_DEP_1)
	v_subrev_nc_u32_e32 v11, 28, v10
	v_dual_lshlrev_b32 v5, v11, v5 :: v_dual_sub_nc_u32 v10, 29, v10
	s_delay_alu instid0(VALU_DEP_1) | instskip(NEXT) | instid1(VALU_DEP_1)
	v_dual_lshlrev_b32 v2, 24, v2 :: v_dual_bitop2_b32 v5, 7, v5 bitop3:0x40
	v_dual_cndmask_b32 v5, v9, v5 :: v_dual_cndmask_b32 v10, v12, v10
	s_delay_alu instid0(VALU_DEP_2) | instskip(NEXT) | instid1(VALU_DEP_2)
	v_and_b32_e32 v2, 0x80000000, v2
	v_lshlrev_b32_e32 v5, 20, v5
	s_delay_alu instid0(VALU_DEP_3) | instskip(NEXT) | instid1(VALU_DEP_1)
	v_lshl_add_u32 v9, v10, 23, 0x3b800000
	v_or3_b32 v5, v2, v9, v5
.LBB92_2514:
	s_or_b32 exec_lo, exec_lo, s10
	s_delay_alu instid0(VALU_DEP_1) | instskip(SKIP_1) | instid1(VALU_DEP_2)
	v_bfe_u32 v2, v5, 16, 1
	v_cmp_o_f32_e32 vcc_lo, v5, v5
	v_add3_u32 v2, v5, v2, 0x7fff
	s_delay_alu instid0(VALU_DEP_1) | instskip(NEXT) | instid1(VALU_DEP_1)
	v_lshrrev_b32_e32 v2, 16, v2
	v_cndmask_b32_e32 v2, 0x7fc0, v2, vcc_lo
.LBB92_2515:
	s_mov_b32 s9, -1
.LBB92_2516:
	s_mov_b32 s10, 0
.LBB92_2517:
	s_delay_alu instid0(SALU_CYCLE_1)
	s_and_b32 vcc_lo, exec_lo, s10
	s_cbranch_vccz .LBB92_2550
; %bb.2518:
	s_cmp_gt_i32 s0, 22
	s_cbranch_scc0 .LBB92_2528
; %bb.2519:
	s_cmp_lt_i32 s0, 24
	s_cbranch_scc1 .LBB92_2531
; %bb.2520:
	s_cmp_gt_i32 s0, 24
	s_cbranch_scc0 .LBB92_2532
; %bb.2521:
	s_wait_loadcnt 0x0
	global_load_u8 v2, v[0:1], off
	s_mov_b32 s9, exec_lo
	s_wait_loadcnt 0x0
	v_cmpx_lt_i16_e32 0x7f, v2
	s_xor_b32 s9, exec_lo, s9
	s_cbranch_execz .LBB92_2544
; %bb.2522:
	s_mov_b32 s7, -1
	s_mov_b32 s10, exec_lo
	v_cmpx_eq_u16_e32 0x80, v2
; %bb.2523:
	s_xor_b32 s7, exec_lo, -1
; %bb.2524:
	s_or_b32 exec_lo, exec_lo, s10
	s_delay_alu instid0(SALU_CYCLE_1)
	s_and_b32 s7, s7, exec_lo
	s_or_saveexec_b32 s9, s9
	v_mov_b32_e32 v5, 0x7f800001
	s_xor_b32 exec_lo, exec_lo, s9
	s_cbranch_execnz .LBB92_2545
.LBB92_2525:
	s_or_b32 exec_lo, exec_lo, s9
	s_and_saveexec_b32 s9, s7
	s_cbranch_execz .LBB92_2527
.LBB92_2526:
	v_and_b32_e32 v5, 0xffff, v2
	s_delay_alu instid0(VALU_DEP_1) | instskip(SKIP_1) | instid1(VALU_DEP_2)
	v_and_b32_e32 v9, 3, v5
	v_bfe_u32 v12, v5, 2, 5
	v_clz_i32_u32_e32 v10, v9
	s_delay_alu instid0(VALU_DEP_2) | instskip(NEXT) | instid1(VALU_DEP_2)
	v_cmp_eq_u32_e32 vcc_lo, 0, v12
	v_min_u32_e32 v10, 32, v10
	s_delay_alu instid0(VALU_DEP_1) | instskip(NEXT) | instid1(VALU_DEP_1)
	v_subrev_nc_u32_e32 v11, 29, v10
	v_dual_lshlrev_b32 v5, v11, v5 :: v_dual_sub_nc_u32 v10, 30, v10
	s_delay_alu instid0(VALU_DEP_1) | instskip(NEXT) | instid1(VALU_DEP_1)
	v_dual_lshlrev_b32 v2, 24, v2 :: v_dual_bitop2_b32 v5, 3, v5 bitop3:0x40
	v_dual_cndmask_b32 v5, v9, v5 :: v_dual_cndmask_b32 v10, v12, v10
	s_delay_alu instid0(VALU_DEP_2) | instskip(NEXT) | instid1(VALU_DEP_2)
	v_and_b32_e32 v2, 0x80000000, v2
	v_lshlrev_b32_e32 v5, 21, v5
	s_delay_alu instid0(VALU_DEP_3) | instskip(NEXT) | instid1(VALU_DEP_1)
	v_lshl_add_u32 v9, v10, 23, 0x37800000
	v_or3_b32 v5, v2, v9, v5
.LBB92_2527:
	s_or_b32 exec_lo, exec_lo, s9
	s_delay_alu instid0(VALU_DEP_1) | instskip(SKIP_2) | instid1(VALU_DEP_2)
	v_bfe_u32 v2, v5, 16, 1
	v_cmp_o_f32_e32 vcc_lo, v5, v5
	s_mov_b32 s7, 0
	v_add3_u32 v2, v5, v2, 0x7fff
	s_delay_alu instid0(VALU_DEP_1) | instskip(NEXT) | instid1(VALU_DEP_1)
	v_lshrrev_b32_e32 v2, 16, v2
	v_cndmask_b32_e32 v2, 0x7fc0, v2, vcc_lo
	s_branch .LBB92_2533
.LBB92_2528:
	s_mov_b32 s7, -1
                                        ; implicit-def: $vgpr2
	s_branch .LBB92_2539
.LBB92_2529:
	s_or_saveexec_b32 s10, s10
	v_mov_b32_e32 v5, 0x7f800001
	s_xor_b32 exec_lo, exec_lo, s10
	s_cbranch_execz .LBB92_2512
.LBB92_2530:
	v_cmp_ne_u16_e32 vcc_lo, 0, v2
	v_mov_b32_e32 v5, 0
	s_and_not1_b32 s9, s9, exec_lo
	s_and_b32 s12, vcc_lo, exec_lo
	s_delay_alu instid0(SALU_CYCLE_1)
	s_or_b32 s9, s9, s12
	s_or_b32 exec_lo, exec_lo, s10
	s_and_saveexec_b32 s10, s9
	s_cbranch_execnz .LBB92_2513
	s_branch .LBB92_2514
.LBB92_2531:
	s_mov_b32 s7, -1
                                        ; implicit-def: $vgpr2
	s_branch .LBB92_2536
.LBB92_2532:
	s_mov_b32 s7, -1
                                        ; implicit-def: $vgpr2
.LBB92_2533:
	s_delay_alu instid0(SALU_CYCLE_1)
	s_and_b32 vcc_lo, exec_lo, s7
	s_cbranch_vccz .LBB92_2535
; %bb.2534:
	s_wait_loadcnt 0x0
	global_load_u8 v2, v[0:1], off
	s_wait_loadcnt 0x0
	v_lshlrev_b32_e32 v2, 24, v2
	s_delay_alu instid0(VALU_DEP_1) | instskip(NEXT) | instid1(VALU_DEP_1)
	v_and_b32_e32 v5, 0x7f000000, v2
	v_clz_i32_u32_e32 v9, v5
	v_add_nc_u32_e32 v11, 0x1000000, v5
	v_cmp_ne_u32_e32 vcc_lo, 0, v5
	s_delay_alu instid0(VALU_DEP_3) | instskip(NEXT) | instid1(VALU_DEP_1)
	v_min_u32_e32 v9, 32, v9
	v_sub_nc_u32_e64 v9, v9, 4 clamp
	s_delay_alu instid0(VALU_DEP_1) | instskip(NEXT) | instid1(VALU_DEP_1)
	v_lshlrev_b32_e32 v10, v9, v5
	v_dual_lshlrev_b32 v9, 23, v9 :: v_dual_lshrrev_b32 v10, 4, v10
	s_delay_alu instid0(VALU_DEP_1) | instskip(NEXT) | instid1(VALU_DEP_1)
	v_dual_sub_nc_u32 v9, v10, v9 :: v_dual_ashrrev_i32 v10, 8, v11
	v_add_nc_u32_e32 v9, 0x3c000000, v9
	s_delay_alu instid0(VALU_DEP_1) | instskip(NEXT) | instid1(VALU_DEP_1)
	v_and_or_b32 v9, 0x7f800000, v10, v9
	v_cndmask_b32_e32 v5, 0, v9, vcc_lo
	s_delay_alu instid0(VALU_DEP_1) | instskip(SKIP_1) | instid1(VALU_DEP_2)
	v_and_or_b32 v2, 0x80000000, v2, v5
	v_bfe_u32 v5, v5, 16, 1
	v_cmp_o_f32_e32 vcc_lo, v2, v2
	s_delay_alu instid0(VALU_DEP_2) | instskip(NEXT) | instid1(VALU_DEP_1)
	v_add3_u32 v5, v2, v5, 0x7fff
	v_lshrrev_b32_e32 v5, 16, v5
	s_delay_alu instid0(VALU_DEP_1)
	v_cndmask_b32_e32 v2, 0x7fc0, v5, vcc_lo
.LBB92_2535:
	s_mov_b32 s7, 0
.LBB92_2536:
	s_delay_alu instid0(SALU_CYCLE_1)
	s_and_not1_b32 vcc_lo, exec_lo, s7
	s_cbranch_vccnz .LBB92_2538
; %bb.2537:
	s_wait_loadcnt 0x0
	global_load_u8 v2, v[0:1], off
	s_wait_loadcnt 0x0
	v_lshlrev_b32_e32 v5, 25, v2
	v_lshlrev_b16 v2, 8, v2
	s_delay_alu instid0(VALU_DEP_2) | instskip(NEXT) | instid1(VALU_DEP_2)
	v_cmp_gt_u32_e32 vcc_lo, 0x8000000, v5
	v_and_or_b32 v10, 0x7f00, v2, 0.5
	v_lshrrev_b32_e32 v9, 4, v5
	v_bfe_i32 v2, v2, 0, 16
	s_delay_alu instid0(VALU_DEP_3) | instskip(NEXT) | instid1(VALU_DEP_3)
	v_add_f32_e32 v10, -0.5, v10
	v_or_b32_e32 v9, 0x70000000, v9
	s_delay_alu instid0(VALU_DEP_1) | instskip(NEXT) | instid1(VALU_DEP_1)
	v_mul_f32_e32 v9, 0x7800000, v9
	v_cndmask_b32_e32 v5, v9, v10, vcc_lo
	s_delay_alu instid0(VALU_DEP_1) | instskip(SKIP_1) | instid1(VALU_DEP_2)
	v_and_or_b32 v2, 0x80000000, v2, v5
	v_bfe_u32 v5, v5, 16, 1
	v_cmp_o_f32_e32 vcc_lo, v2, v2
	s_delay_alu instid0(VALU_DEP_2) | instskip(NEXT) | instid1(VALU_DEP_1)
	v_add3_u32 v5, v2, v5, 0x7fff
	v_lshrrev_b32_e32 v5, 16, v5
	s_delay_alu instid0(VALU_DEP_1)
	v_cndmask_b32_e32 v2, 0x7fc0, v5, vcc_lo
.LBB92_2538:
	s_mov_b32 s7, 0
	s_mov_b32 s9, -1
.LBB92_2539:
	s_and_not1_b32 vcc_lo, exec_lo, s7
	s_mov_b32 s7, 0
	s_cbranch_vccnz .LBB92_2550
; %bb.2540:
	s_cmp_gt_i32 s0, 14
	s_cbranch_scc0 .LBB92_2543
; %bb.2541:
	s_cmp_eq_u32 s0, 15
	s_cbranch_scc0 .LBB92_2546
; %bb.2542:
	s_wait_loadcnt 0x0
	global_load_u16 v2, v[0:1], off
	s_mov_b32 s6, 0
	s_mov_b32 s9, -1
	s_branch .LBB92_2548
.LBB92_2543:
	s_mov_b32 s7, -1
	s_branch .LBB92_2547
.LBB92_2544:
	s_or_saveexec_b32 s9, s9
	v_mov_b32_e32 v5, 0x7f800001
	s_xor_b32 exec_lo, exec_lo, s9
	s_cbranch_execz .LBB92_2525
.LBB92_2545:
	v_cmp_ne_u16_e32 vcc_lo, 0, v2
	v_mov_b32_e32 v5, 0
	s_and_not1_b32 s7, s7, exec_lo
	s_and_b32 s10, vcc_lo, exec_lo
	s_delay_alu instid0(SALU_CYCLE_1)
	s_or_b32 s7, s7, s10
	s_or_b32 exec_lo, exec_lo, s9
	s_and_saveexec_b32 s9, s7
	s_cbranch_execnz .LBB92_2526
	s_branch .LBB92_2527
.LBB92_2546:
	s_mov_b32 s6, -1
.LBB92_2547:
                                        ; implicit-def: $vgpr2
.LBB92_2548:
	s_and_b32 vcc_lo, exec_lo, s7
	s_mov_b32 s7, 0
	s_cbranch_vccz .LBB92_2550
; %bb.2549:
	s_cmp_lg_u32 s0, 11
	s_mov_b32 s7, -1
	s_cselect_b32 s6, -1, 0
.LBB92_2550:
	s_delay_alu instid0(SALU_CYCLE_1)
	s_and_b32 vcc_lo, exec_lo, s6
	s_cbranch_vccnz .LBB92_3085
; %bb.2551:
	s_and_not1_b32 vcc_lo, exec_lo, s7
	s_cbranch_vccnz .LBB92_2553
.LBB92_2552:
	s_wait_loadcnt 0x0
	global_load_u8 v2, v[0:1], off
	s_mov_b32 s9, -1
	s_wait_loadcnt 0x0
	v_cmp_ne_u16_e32 vcc_lo, 0, v2
	v_cndmask_b32_e64 v2, 0, 1.0, vcc_lo
	s_delay_alu instid0(VALU_DEP_1)
	v_lshrrev_b32_e32 v2, 16, v2
.LBB92_2553:
	s_mov_b32 s0, 0
.LBB92_2554:
	s_delay_alu instid0(SALU_CYCLE_1)
	s_and_b32 vcc_lo, exec_lo, s0
	s_cbranch_vccz .LBB92_2603
; %bb.2555:
	s_and_b32 s0, 0xffff, s1
	s_delay_alu instid0(SALU_CYCLE_1)
	s_cmp_lt_i32 s0, 5
	s_cbranch_scc1 .LBB92_2560
; %bb.2556:
	s_cmp_lt_i32 s0, 8
	s_cbranch_scc1 .LBB92_2561
; %bb.2557:
	;; [unrolled: 3-line block ×3, first 2 shown]
	s_cmp_gt_i32 s0, 9
	s_cbranch_scc0 .LBB92_2563
; %bb.2559:
	global_load_b64 v[10:11], v[0:1], off
	s_mov_b32 s1, 0
	s_wait_loadcnt 0x0
	v_cvt_f32_f64_e32 v2, v[10:11]
	s_delay_alu instid0(VALU_DEP_1) | instskip(SKIP_1) | instid1(VALU_DEP_2)
	v_bfe_u32 v5, v2, 16, 1
	v_cmp_o_f32_e32 vcc_lo, v2, v2
	v_add3_u32 v5, v2, v5, 0x7fff
	s_delay_alu instid0(VALU_DEP_1) | instskip(NEXT) | instid1(VALU_DEP_1)
	v_lshrrev_b32_e32 v5, 16, v5
	v_cndmask_b32_e32 v2, 0x7fc0, v5, vcc_lo
	s_branch .LBB92_2564
.LBB92_2560:
	s_mov_b32 s1, -1
                                        ; implicit-def: $vgpr2
	s_branch .LBB92_2582
.LBB92_2561:
	s_mov_b32 s1, -1
                                        ; implicit-def: $vgpr2
	s_branch .LBB92_2570
.LBB92_2562:
	s_mov_b32 s1, -1
                                        ; implicit-def: $vgpr2
	s_branch .LBB92_2567
.LBB92_2563:
	s_mov_b32 s1, -1
                                        ; implicit-def: $vgpr2
.LBB92_2564:
	s_delay_alu instid0(SALU_CYCLE_1)
	s_and_not1_b32 vcc_lo, exec_lo, s1
	s_cbranch_vccnz .LBB92_2566
; %bb.2565:
	s_wait_loadcnt 0x0
	global_load_b32 v2, v[0:1], off
	s_wait_loadcnt 0x0
	v_bfe_u32 v5, v2, 16, 1
	v_cmp_o_f32_e32 vcc_lo, v2, v2
	s_delay_alu instid0(VALU_DEP_2) | instskip(NEXT) | instid1(VALU_DEP_1)
	v_add3_u32 v5, v2, v5, 0x7fff
	v_lshrrev_b32_e32 v5, 16, v5
	s_delay_alu instid0(VALU_DEP_1)
	v_cndmask_b32_e32 v2, 0x7fc0, v5, vcc_lo
.LBB92_2566:
	s_mov_b32 s1, 0
.LBB92_2567:
	s_delay_alu instid0(SALU_CYCLE_1)
	s_and_not1_b32 vcc_lo, exec_lo, s1
	s_cbranch_vccnz .LBB92_2569
; %bb.2568:
	s_wait_loadcnt 0x0
	global_load_b32 v2, v[0:1], off
	s_wait_loadcnt 0x0
	v_cvt_f32_f16_e32 v5, v2
	v_cmp_o_f16_e32 vcc_lo, v2, v2
	s_delay_alu instid0(VALU_DEP_2) | instskip(NEXT) | instid1(VALU_DEP_1)
	v_bfe_u32 v9, v5, 16, 1
	v_add3_u32 v5, v5, v9, 0x7fff
	s_delay_alu instid0(VALU_DEP_1) | instskip(NEXT) | instid1(VALU_DEP_1)
	v_lshrrev_b32_e32 v5, 16, v5
	v_cndmask_b32_e32 v2, 0x7fc0, v5, vcc_lo
.LBB92_2569:
	s_mov_b32 s1, 0
.LBB92_2570:
	s_delay_alu instid0(SALU_CYCLE_1)
	s_and_not1_b32 vcc_lo, exec_lo, s1
	s_cbranch_vccnz .LBB92_2581
; %bb.2571:
	s_cmp_lt_i32 s0, 6
	s_cbranch_scc1 .LBB92_2574
; %bb.2572:
	s_cmp_gt_i32 s0, 6
	s_cbranch_scc0 .LBB92_2575
; %bb.2573:
	global_load_b64 v[10:11], v[0:1], off
	s_mov_b32 s1, 0
	s_wait_loadcnt 0x0
	v_cvt_f32_f64_e32 v2, v[10:11]
	s_delay_alu instid0(VALU_DEP_1) | instskip(SKIP_1) | instid1(VALU_DEP_2)
	v_bfe_u32 v5, v2, 16, 1
	v_cmp_o_f32_e32 vcc_lo, v2, v2
	v_add3_u32 v5, v2, v5, 0x7fff
	s_delay_alu instid0(VALU_DEP_1) | instskip(NEXT) | instid1(VALU_DEP_1)
	v_lshrrev_b32_e32 v5, 16, v5
	v_cndmask_b32_e32 v2, 0x7fc0, v5, vcc_lo
	s_branch .LBB92_2576
.LBB92_2574:
	s_mov_b32 s1, -1
                                        ; implicit-def: $vgpr2
	s_branch .LBB92_2579
.LBB92_2575:
	s_mov_b32 s1, -1
                                        ; implicit-def: $vgpr2
.LBB92_2576:
	s_delay_alu instid0(SALU_CYCLE_1)
	s_and_not1_b32 vcc_lo, exec_lo, s1
	s_cbranch_vccnz .LBB92_2578
; %bb.2577:
	s_wait_loadcnt 0x0
	global_load_b32 v2, v[0:1], off
	s_wait_loadcnt 0x0
	v_bfe_u32 v5, v2, 16, 1
	v_cmp_o_f32_e32 vcc_lo, v2, v2
	s_delay_alu instid0(VALU_DEP_2) | instskip(NEXT) | instid1(VALU_DEP_1)
	v_add3_u32 v5, v2, v5, 0x7fff
	v_lshrrev_b32_e32 v5, 16, v5
	s_delay_alu instid0(VALU_DEP_1)
	v_cndmask_b32_e32 v2, 0x7fc0, v5, vcc_lo
.LBB92_2578:
	s_mov_b32 s1, 0
.LBB92_2579:
	s_delay_alu instid0(SALU_CYCLE_1)
	s_and_not1_b32 vcc_lo, exec_lo, s1
	s_cbranch_vccnz .LBB92_2581
; %bb.2580:
	s_wait_loadcnt 0x0
	global_load_u16 v2, v[0:1], off
	s_wait_loadcnt 0x0
	v_cvt_f32_f16_e32 v5, v2
	v_cmp_o_f16_e32 vcc_lo, v2, v2
	s_delay_alu instid0(VALU_DEP_2) | instskip(NEXT) | instid1(VALU_DEP_1)
	v_bfe_u32 v9, v5, 16, 1
	v_add3_u32 v5, v5, v9, 0x7fff
	s_delay_alu instid0(VALU_DEP_1) | instskip(NEXT) | instid1(VALU_DEP_1)
	v_lshrrev_b32_e32 v5, 16, v5
	v_cndmask_b32_e32 v2, 0x7fc0, v5, vcc_lo
.LBB92_2581:
	s_mov_b32 s1, 0
.LBB92_2582:
	s_delay_alu instid0(SALU_CYCLE_1)
	s_and_not1_b32 vcc_lo, exec_lo, s1
	s_cbranch_vccnz .LBB92_2602
; %bb.2583:
	s_cmp_lt_i32 s0, 2
	s_cbranch_scc1 .LBB92_2587
; %bb.2584:
	s_cmp_lt_i32 s0, 3
	s_cbranch_scc1 .LBB92_2588
; %bb.2585:
	s_cmp_gt_i32 s0, 3
	s_cbranch_scc0 .LBB92_2589
; %bb.2586:
	global_load_b64 v[10:11], v[0:1], off
	s_mov_b32 s1, 0
	s_wait_loadcnt 0x0
	v_xor_b32_e32 v2, v10, v11
	v_cls_i32_e32 v5, v11
	s_delay_alu instid0(VALU_DEP_2) | instskip(NEXT) | instid1(VALU_DEP_1)
	v_ashrrev_i32_e32 v2, 31, v2
	v_add_nc_u32_e32 v2, 32, v2
	s_delay_alu instid0(VALU_DEP_1) | instskip(NEXT) | instid1(VALU_DEP_1)
	v_add_min_u32_e64 v2, v5, -1, v2
	v_lshlrev_b64_e32 v[10:11], v2, v[10:11]
	v_sub_nc_u32_e32 v2, 32, v2
	s_delay_alu instid0(VALU_DEP_2) | instskip(NEXT) | instid1(VALU_DEP_1)
	v_min_u32_e32 v5, 1, v10
	v_or_b32_e32 v5, v11, v5
	s_delay_alu instid0(VALU_DEP_1) | instskip(NEXT) | instid1(VALU_DEP_1)
	v_cvt_f32_i32_e32 v5, v5
	v_ldexp_f32 v2, v5, v2
	s_delay_alu instid0(VALU_DEP_1) | instskip(NEXT) | instid1(VALU_DEP_1)
	v_bfe_u32 v5, v2, 16, 1
	v_add3_u32 v2, v2, v5, 0x7fff
	s_delay_alu instid0(VALU_DEP_1)
	v_lshrrev_b32_e32 v2, 16, v2
	s_branch .LBB92_2590
.LBB92_2587:
	s_mov_b32 s1, -1
                                        ; implicit-def: $vgpr2
	s_branch .LBB92_2596
.LBB92_2588:
	s_mov_b32 s1, -1
                                        ; implicit-def: $vgpr2
	s_branch .LBB92_2593
.LBB92_2589:
	s_mov_b32 s1, -1
                                        ; implicit-def: $vgpr2
.LBB92_2590:
	s_delay_alu instid0(SALU_CYCLE_1)
	s_and_not1_b32 vcc_lo, exec_lo, s1
	s_cbranch_vccnz .LBB92_2592
; %bb.2591:
	s_wait_loadcnt 0x0
	global_load_b32 v2, v[0:1], off
	s_wait_loadcnt 0x0
	v_cvt_f32_i32_e32 v2, v2
	s_delay_alu instid0(VALU_DEP_1) | instskip(NEXT) | instid1(VALU_DEP_1)
	v_bfe_u32 v5, v2, 16, 1
	v_add3_u32 v2, v2, v5, 0x7fff
	s_delay_alu instid0(VALU_DEP_1)
	v_lshrrev_b32_e32 v2, 16, v2
.LBB92_2592:
	s_mov_b32 s1, 0
.LBB92_2593:
	s_delay_alu instid0(SALU_CYCLE_1)
	s_and_not1_b32 vcc_lo, exec_lo, s1
	s_cbranch_vccnz .LBB92_2595
; %bb.2594:
	s_wait_loadcnt 0x0
	global_load_i16 v2, v[0:1], off
	s_wait_loadcnt 0x0
	v_cvt_f32_i32_e32 v2, v2
	s_delay_alu instid0(VALU_DEP_1) | instskip(NEXT) | instid1(VALU_DEP_1)
	v_bfe_u32 v5, v2, 16, 1
	v_add3_u32 v2, v2, v5, 0x7fff
	s_delay_alu instid0(VALU_DEP_1)
	v_lshrrev_b32_e32 v2, 16, v2
.LBB92_2595:
	s_mov_b32 s1, 0
.LBB92_2596:
	s_delay_alu instid0(SALU_CYCLE_1)
	s_and_not1_b32 vcc_lo, exec_lo, s1
	s_cbranch_vccnz .LBB92_2602
; %bb.2597:
	s_cmp_gt_i32 s0, 0
	s_mov_b32 s0, 0
	s_cbranch_scc0 .LBB92_2599
; %bb.2598:
	s_wait_loadcnt 0x0
	global_load_i8 v2, v[0:1], off
	s_wait_loadcnt 0x0
	v_cvt_f32_i32_e32 v2, v2
	s_delay_alu instid0(VALU_DEP_1) | instskip(NEXT) | instid1(VALU_DEP_1)
	v_bfe_u32 v5, v2, 16, 1
	v_add3_u32 v2, v2, v5, 0x7fff
	s_delay_alu instid0(VALU_DEP_1)
	v_lshrrev_b32_e32 v2, 16, v2
	s_branch .LBB92_2600
.LBB92_2599:
	s_mov_b32 s0, -1
                                        ; implicit-def: $vgpr2
.LBB92_2600:
	s_delay_alu instid0(SALU_CYCLE_1)
	s_and_not1_b32 vcc_lo, exec_lo, s0
	s_cbranch_vccnz .LBB92_2602
; %bb.2601:
	global_load_u8 v0, v[0:1], off
	s_wait_loadcnt 0x0
	v_cvt_f32_ubyte0_e32 v0, v0
	s_delay_alu instid0(VALU_DEP_1) | instskip(NEXT) | instid1(VALU_DEP_1)
	v_bfe_u32 v1, v0, 16, 1
	v_add3_u32 v0, v0, v1, 0x7fff
	s_delay_alu instid0(VALU_DEP_1)
	v_lshrrev_b32_e32 v2, 16, v0
.LBB92_2602:
	s_mov_b32 s9, -1
.LBB92_2603:
	s_delay_alu instid0(SALU_CYCLE_1)
	s_and_not1_b32 vcc_lo, exec_lo, s9
	s_cbranch_vccnz .LBB92_3039
; %bb.2604:
	s_wait_loadcnt 0x0
	v_dual_lshlrev_b32 v0, 16, v2 :: v_dual_lshlrev_b32 v5, 16, v3
	s_mov_b32 s0, exec_lo
	s_delay_alu instid0(VALU_DEP_1) | instskip(NEXT) | instid1(VALU_DEP_1)
	v_mul_f32_e32 v0, s11, v0
	v_cmpx_nlt_f32_e32 s2, v0
	s_cbranch_execz .LBB92_2606
; %bb.2605:
	v_mul_f32_e32 v1, 0x3fb8aa3b, v0
	v_cmp_ngt_f32_e32 vcc_lo, 0xc2ce8ed0, v0
	s_delay_alu instid0(VALU_DEP_2) | instskip(SKIP_1) | instid1(VALU_DEP_2)
	v_rndne_f32_e32 v2, v1
	v_fma_f32 v3, 0x3fb8aa3b, v0, -v1
	v_sub_f32_e32 v1, v1, v2
	s_delay_alu instid0(VALU_DEP_2) | instskip(SKIP_1) | instid1(VALU_DEP_2)
	v_fmamk_f32 v3, v0, 0x32a5705f, v3
	v_cvt_i32_f32_e32 v2, v2
	v_add_f32_e32 v1, v1, v3
	s_delay_alu instid0(VALU_DEP_1) | instskip(SKIP_1) | instid1(TRANS32_DEP_1)
	v_exp_f32_e32 v1, v1
	v_nop
	v_ldexp_f32 v1, v1, v2
	s_delay_alu instid0(VALU_DEP_1) | instskip(SKIP_1) | instid1(VALU_DEP_2)
	v_cndmask_b32_e32 v1, 0, v1, vcc_lo
	v_cmp_nlt_f32_e32 vcc_lo, 0x42b17218, v0
	v_cndmask_b32_e32 v0, 0x7f800000, v1, vcc_lo
	s_delay_alu instid0(VALU_DEP_1) | instskip(NEXT) | instid1(VALU_DEP_1)
	v_dual_mul_f32 v1, v0, v5 :: v_dual_add_f32 v0, 1.0, v0
	v_div_scale_f32 v2, null, v0, v0, v1
	s_delay_alu instid0(VALU_DEP_1) | instskip(SKIP_1) | instid1(TRANS32_DEP_1)
	v_rcp_f32_e32 v3, v2
	v_nop
	v_fma_f32 v5, -v2, v3, 1.0
	s_delay_alu instid0(VALU_DEP_1) | instskip(SKIP_1) | instid1(VALU_DEP_1)
	v_fmac_f32_e32 v3, v5, v3
	v_div_scale_f32 v5, vcc_lo, v1, v0, v1
	v_mul_f32_e32 v9, v5, v3
	s_delay_alu instid0(VALU_DEP_1) | instskip(NEXT) | instid1(VALU_DEP_1)
	v_fma_f32 v10, -v2, v9, v5
	v_fmac_f32_e32 v9, v10, v3
	s_delay_alu instid0(VALU_DEP_1) | instskip(NEXT) | instid1(VALU_DEP_1)
	v_fma_f32 v2, -v2, v9, v5
	v_div_fmas_f32 v2, v2, v3, v9
	s_delay_alu instid0(VALU_DEP_1)
	v_div_fixup_f32 v5, v2, v0, v1
.LBB92_2606:
	s_or_b32 exec_lo, exec_lo, s0
	v_mul_lo_u32 v0, s8, v6
	v_bfe_u32 v1, v7, 16, 1
	v_cmp_o_f32_e32 vcc_lo, v7, v7
	s_and_b32 s18, s3, 0xff
	s_delay_alu instid0(SALU_CYCLE_1) | instskip(NEXT) | instid1(VALU_DEP_2)
	s_cmp_lt_i32 s18, 11
	v_add3_u32 v2, v7, v1, 0x7fff
	s_delay_alu instid0(VALU_DEP_1) | instskip(NEXT) | instid1(VALU_DEP_1)
	v_dual_ashrrev_i32 v1, 31, v0 :: v_dual_lshrrev_b32 v6, 16, v2
	v_add_nc_u64_e32 v[2:3], s[4:5], v[0:1]
	s_delay_alu instid0(VALU_DEP_2)
	v_cndmask_b32_e32 v1, 0x7fc0, v6, vcc_lo
	s_cbranch_scc1 .LBB92_2684
; %bb.2607:
	s_and_b32 s1, 0xffff, s18
	s_mov_b32 s6, -1
	s_mov_b32 s2, 0
	s_cmp_gt_i32 s1, 25
	s_mov_b32 s3, 0
	s_mov_b32 s0, 0
	s_cbranch_scc0 .LBB92_2640
; %bb.2608:
	s_cmp_gt_i32 s1, 28
	s_cbranch_scc0 .LBB92_2623
; %bb.2609:
	s_cmp_gt_i32 s1, 43
	;; [unrolled: 3-line block ×3, first 2 shown]
	s_cbranch_scc0 .LBB92_2613
; %bb.2611:
	s_mov_b32 s0, -1
	s_mov_b32 s6, 0
	s_cmp_eq_u32 s1, 46
	s_cbranch_scc0 .LBB92_2613
; %bb.2612:
	v_and_b32_e32 v6, 0xffff, v1
	s_mov_b32 s0, 0
	s_mov_b32 s3, -1
	global_store_b32 v[2:3], v6, off
.LBB92_2613:
	s_and_b32 vcc_lo, exec_lo, s6
	s_cbranch_vccz .LBB92_2618
; %bb.2614:
	s_cmp_eq_u32 s1, 44
	s_mov_b32 s0, -1
	s_cbranch_scc0 .LBB92_2618
; %bb.2615:
	s_wait_xcnt 0x0
	v_and_b32_e32 v6, 0xffff, v1
	v_mov_b32_e32 v7, 0xff
	s_mov_b32 s3, exec_lo
	s_delay_alu instid0(VALU_DEP_2) | instskip(NEXT) | instid1(VALU_DEP_1)
	v_bfe_u32 v9, v6, 7, 8
	v_cmpx_ne_u32_e32 0xff, v9
	s_cbranch_execz .LBB92_2617
; %bb.2616:
	v_dual_lshlrev_b32 v7, 16, v6 :: v_dual_bitop2_b32 v10, 64, v6 bitop3:0x40
	v_lshrrev_b32_e32 v6, 7, v6
	s_delay_alu instid0(VALU_DEP_2) | instskip(NEXT) | instid1(VALU_DEP_3)
	v_and_or_b32 v7, 0x3f0000, v7, v9
	v_cmp_ne_u32_e32 vcc_lo, 0, v10
	s_delay_alu instid0(VALU_DEP_2) | instskip(SKIP_1) | instid1(SALU_CYCLE_1)
	v_cmp_ne_u32_e64 s0, 0, v7
	s_and_b32 s0, vcc_lo, s0
	v_cndmask_b32_e64 v7, 0, 1, s0
	s_delay_alu instid0(VALU_DEP_1)
	v_add_nc_u32_e32 v7, v6, v7
.LBB92_2617:
	s_or_b32 exec_lo, exec_lo, s3
	s_mov_b32 s0, 0
	s_mov_b32 s3, -1
	global_store_b8 v[2:3], v7, off
.LBB92_2618:
	s_mov_b32 s6, 0
.LBB92_2619:
	s_delay_alu instid0(SALU_CYCLE_1)
	s_and_b32 vcc_lo, exec_lo, s6
	s_cbranch_vccz .LBB92_2622
; %bb.2620:
	s_cmp_eq_u32 s1, 29
	s_mov_b32 s0, -1
	s_cbranch_scc0 .LBB92_2622
; %bb.2621:
	s_wait_xcnt 0x0
	v_lshlrev_b32_e32 v6, 16, v1
	s_mov_b32 s0, 0
	s_mov_b32 s3, -1
	s_delay_alu instid0(VALU_DEP_1) | instskip(NEXT) | instid1(VALU_DEP_1)
	v_trunc_f32_e32 v6, v6
	v_mul_f32_e32 v7, 0x2f800000, v6
	s_delay_alu instid0(VALU_DEP_1) | instskip(NEXT) | instid1(VALU_DEP_1)
	v_floor_f32_e32 v7, v7
	v_fmamk_f32 v6, v7, 0xcf800000, v6
	v_cvt_u32_f32_e32 v7, v7
	s_delay_alu instid0(VALU_DEP_2)
	v_cvt_u32_f32_e32 v6, v6
	global_store_b64 v[2:3], v[6:7], off
.LBB92_2622:
	s_mov_b32 s6, 0
.LBB92_2623:
	s_delay_alu instid0(SALU_CYCLE_1)
	s_and_b32 vcc_lo, exec_lo, s6
	s_cbranch_vccz .LBB92_2639
; %bb.2624:
	s_cmp_lt_i32 s1, 27
	s_mov_b32 s3, -1
	s_cbranch_scc1 .LBB92_2630
; %bb.2625:
	s_cmp_gt_i32 s1, 27
	s_cbranch_scc0 .LBB92_2627
; %bb.2626:
	s_wait_xcnt 0x0
	v_lshlrev_b32_e32 v6, 16, v1
	s_mov_b32 s3, 0
	s_delay_alu instid0(VALU_DEP_1)
	v_cvt_u32_f32_e32 v6, v6
	global_store_b32 v[2:3], v6, off
.LBB92_2627:
	s_and_not1_b32 vcc_lo, exec_lo, s3
	s_cbranch_vccnz .LBB92_2629
; %bb.2628:
	s_wait_xcnt 0x0
	v_lshlrev_b32_e32 v6, 16, v1
	s_delay_alu instid0(VALU_DEP_1)
	v_cvt_u32_f32_e32 v6, v6
	global_store_b16 v[2:3], v6, off
.LBB92_2629:
	s_mov_b32 s3, 0
.LBB92_2630:
	s_delay_alu instid0(SALU_CYCLE_1)
	s_and_not1_b32 vcc_lo, exec_lo, s3
	s_cbranch_vccnz .LBB92_2638
; %bb.2631:
	v_dual_mov_b32 v10, 0x80 :: v_dual_lshlrev_b32 v9, 16, v1
	s_mov_b32 s3, exec_lo
	s_wait_xcnt 0x0
	s_delay_alu instid0(VALU_DEP_1) | instskip(NEXT) | instid1(VALU_DEP_1)
	v_and_b32_e32 v7, 0x7fffffff, v9
	v_cmpx_gt_u32_e32 0x43800000, v7
	s_cbranch_execz .LBB92_2637
; %bb.2632:
	v_and_b32_e32 v6, 0xffff, v1
	v_cmp_lt_u32_e32 vcc_lo, 0x3bffffff, v7
	s_mov_b32 s6, 0
                                        ; implicit-def: $vgpr7
	s_and_saveexec_b32 s7, vcc_lo
	s_delay_alu instid0(SALU_CYCLE_1)
	s_xor_b32 s7, exec_lo, s7
	s_cbranch_execz .LBB92_3086
; %bb.2633:
	v_bfe_u32 v7, v6, 4, 1
	s_mov_b32 s6, exec_lo
	s_delay_alu instid0(VALU_DEP_1) | instskip(NEXT) | instid1(VALU_DEP_1)
	v_add3_u32 v7, v9, v7, 0x487ffff
                                        ; implicit-def: $vgpr9
	v_lshrrev_b32_e32 v7, 20, v7
	s_and_not1_saveexec_b32 s7, s7
	s_cbranch_execnz .LBB92_3087
.LBB92_2634:
	s_or_b32 exec_lo, exec_lo, s7
	v_mov_b32_e32 v10, 0
	s_and_saveexec_b32 s7, s6
.LBB92_2635:
	v_lshrrev_b32_e32 v6, 8, v6
	s_delay_alu instid0(VALU_DEP_1)
	v_and_or_b32 v10, 0x80, v6, v7
.LBB92_2636:
	s_or_b32 exec_lo, exec_lo, s7
.LBB92_2637:
	s_delay_alu instid0(SALU_CYCLE_1)
	s_or_b32 exec_lo, exec_lo, s3
	global_store_b8 v[2:3], v10, off
.LBB92_2638:
	s_mov_b32 s3, -1
.LBB92_2639:
	s_mov_b32 s6, 0
.LBB92_2640:
	s_delay_alu instid0(SALU_CYCLE_1)
	s_and_b32 vcc_lo, exec_lo, s6
	s_cbranch_vccz .LBB92_2680
; %bb.2641:
	s_cmp_gt_i32 s1, 22
	s_mov_b32 s2, -1
	s_cbranch_scc0 .LBB92_2673
; %bb.2642:
	s_cmp_lt_i32 s1, 24
	s_cbranch_scc1 .LBB92_2662
; %bb.2643:
	s_cmp_gt_i32 s1, 24
	s_cbranch_scc0 .LBB92_2651
; %bb.2644:
	s_wait_xcnt 0x0
	v_dual_mov_b32 v10, 0x80 :: v_dual_lshlrev_b32 v9, 16, v1
	s_mov_b32 s2, exec_lo
	s_delay_alu instid0(VALU_DEP_1) | instskip(NEXT) | instid1(VALU_DEP_1)
	v_and_b32_e32 v7, 0x7fffffff, v9
	v_cmpx_gt_u32_e32 0x47800000, v7
	s_cbranch_execz .LBB92_2650
; %bb.2645:
	v_and_b32_e32 v6, 0xffff, v1
	v_cmp_lt_u32_e32 vcc_lo, 0x37ffffff, v7
	s_mov_b32 s3, 0
                                        ; implicit-def: $vgpr7
	s_and_saveexec_b32 s6, vcc_lo
	s_delay_alu instid0(SALU_CYCLE_1)
	s_xor_b32 s6, exec_lo, s6
	s_cbranch_execz .LBB92_3089
; %bb.2646:
	v_bfe_u32 v7, v6, 5, 1
	s_mov_b32 s3, exec_lo
	s_delay_alu instid0(VALU_DEP_1) | instskip(NEXT) | instid1(VALU_DEP_1)
	v_add3_u32 v7, v9, v7, 0x88fffff
                                        ; implicit-def: $vgpr9
	v_lshrrev_b32_e32 v7, 21, v7
	s_and_not1_saveexec_b32 s6, s6
	s_cbranch_execnz .LBB92_3090
.LBB92_2647:
	s_or_b32 exec_lo, exec_lo, s6
	v_mov_b32_e32 v10, 0
	s_and_saveexec_b32 s6, s3
.LBB92_2648:
	v_lshrrev_b32_e32 v6, 8, v6
	s_delay_alu instid0(VALU_DEP_1)
	v_and_or_b32 v10, 0x80, v6, v7
.LBB92_2649:
	s_or_b32 exec_lo, exec_lo, s6
.LBB92_2650:
	s_delay_alu instid0(SALU_CYCLE_1)
	s_or_b32 exec_lo, exec_lo, s2
	s_mov_b32 s2, 0
	global_store_b8 v[2:3], v10, off
.LBB92_2651:
	s_and_b32 vcc_lo, exec_lo, s2
	s_cbranch_vccz .LBB92_2661
; %bb.2652:
	v_lshlrev_b32_e32 v9, 16, v1
	s_wait_xcnt 0x0
	v_and_b32_e32 v6, 0xffff, v1
	s_mov_b32 s2, exec_lo
                                        ; implicit-def: $vgpr7
	s_delay_alu instid0(VALU_DEP_2) | instskip(NEXT) | instid1(VALU_DEP_1)
	v_and_b32_e32 v10, 0x7fffffff, v9
	v_cmpx_gt_u32_e32 0x43f00000, v10
	s_xor_b32 s2, exec_lo, s2
	s_cbranch_execz .LBB92_2658
; %bb.2653:
	s_mov_b32 s3, exec_lo
                                        ; implicit-def: $vgpr7
	v_cmpx_lt_u32_e32 0x3c7fffff, v10
	s_xor_b32 s3, exec_lo, s3
; %bb.2654:
	v_bfe_u32 v7, v6, 4, 1
	s_delay_alu instid0(VALU_DEP_1) | instskip(NEXT) | instid1(VALU_DEP_1)
	v_add3_u32 v7, v9, v7, 0x407ffff
	v_and_b32_e32 v9, 0xff00000, v7
	v_lshrrev_b32_e32 v7, 20, v7
	s_delay_alu instid0(VALU_DEP_2) | instskip(NEXT) | instid1(VALU_DEP_2)
	v_cmp_ne_u32_e32 vcc_lo, 0x7f00000, v9
                                        ; implicit-def: $vgpr9
	v_cndmask_b32_e32 v7, 0x7e, v7, vcc_lo
; %bb.2655:
	s_and_not1_saveexec_b32 s3, s3
; %bb.2656:
	v_add_f32_e64 v7, 0x46800000, |v9|
; %bb.2657:
	s_or_b32 exec_lo, exec_lo, s3
                                        ; implicit-def: $vgpr10
.LBB92_2658:
	s_and_not1_saveexec_b32 s2, s2
; %bb.2659:
	v_mov_b32_e32 v7, 0x7f
	v_cmp_lt_u32_e32 vcc_lo, 0x7f800000, v10
	s_delay_alu instid0(VALU_DEP_2)
	v_cndmask_b32_e32 v7, 0x7e, v7, vcc_lo
; %bb.2660:
	s_or_b32 exec_lo, exec_lo, s2
	v_lshrrev_b32_e32 v6, 8, v6
	s_delay_alu instid0(VALU_DEP_1)
	v_and_or_b32 v6, 0x80, v6, v7
	global_store_b8 v[2:3], v6, off
.LBB92_2661:
	s_mov_b32 s2, 0
.LBB92_2662:
	s_delay_alu instid0(SALU_CYCLE_1)
	s_and_not1_b32 vcc_lo, exec_lo, s2
	s_cbranch_vccnz .LBB92_2672
; %bb.2663:
	v_lshlrev_b32_e32 v9, 16, v1
	s_wait_xcnt 0x0
	v_and_b32_e32 v6, 0xffff, v1
	s_mov_b32 s2, exec_lo
                                        ; implicit-def: $vgpr7
	s_delay_alu instid0(VALU_DEP_2) | instskip(NEXT) | instid1(VALU_DEP_1)
	v_and_b32_e32 v10, 0x7fffffff, v9
	v_cmpx_gt_u32_e32 0x47800000, v10
	s_xor_b32 s2, exec_lo, s2
	s_cbranch_execz .LBB92_2669
; %bb.2664:
	s_mov_b32 s3, exec_lo
                                        ; implicit-def: $vgpr7
	v_cmpx_lt_u32_e32 0x387fffff, v10
	s_xor_b32 s3, exec_lo, s3
; %bb.2665:
	v_bfe_u32 v7, v6, 5, 1
	s_delay_alu instid0(VALU_DEP_1) | instskip(NEXT) | instid1(VALU_DEP_1)
	v_add3_u32 v7, v9, v7, 0x80fffff
                                        ; implicit-def: $vgpr9
	v_lshrrev_b32_e32 v7, 21, v7
; %bb.2666:
	s_and_not1_saveexec_b32 s3, s3
; %bb.2667:
	v_add_f32_e64 v7, 0x43000000, |v9|
; %bb.2668:
	s_or_b32 exec_lo, exec_lo, s3
                                        ; implicit-def: $vgpr10
.LBB92_2669:
	s_and_not1_saveexec_b32 s2, s2
; %bb.2670:
	v_mov_b32_e32 v7, 0x7f
	v_cmp_lt_u32_e32 vcc_lo, 0x7f800000, v10
	s_delay_alu instid0(VALU_DEP_2)
	v_cndmask_b32_e32 v7, 0x7c, v7, vcc_lo
; %bb.2671:
	s_or_b32 exec_lo, exec_lo, s2
	v_lshrrev_b32_e32 v6, 8, v6
	s_delay_alu instid0(VALU_DEP_1)
	v_and_or_b32 v6, 0x80, v6, v7
	global_store_b8 v[2:3], v6, off
.LBB92_2672:
	s_mov_b32 s2, 0
	s_mov_b32 s3, -1
.LBB92_2673:
	s_and_not1_b32 vcc_lo, exec_lo, s2
	s_mov_b32 s2, 0
	s_cbranch_vccnz .LBB92_2680
; %bb.2674:
	s_cmp_gt_i32 s1, 14
	s_mov_b32 s2, -1
	s_cbranch_scc0 .LBB92_2678
; %bb.2675:
	s_cmp_eq_u32 s1, 15
	s_mov_b32 s0, -1
	s_cbranch_scc0 .LBB92_2677
; %bb.2676:
	s_mov_b32 s0, 0
	s_mov_b32 s3, -1
	global_store_b16 v[2:3], v1, off
.LBB92_2677:
	s_mov_b32 s2, 0
.LBB92_2678:
	s_delay_alu instid0(SALU_CYCLE_1)
	s_and_b32 vcc_lo, exec_lo, s2
	s_mov_b32 s2, 0
	s_cbranch_vccz .LBB92_2680
; %bb.2679:
	s_cmp_lg_u32 s1, 11
	s_mov_b32 s2, -1
	s_cselect_b32 s0, -1, 0
.LBB92_2680:
	s_delay_alu instid0(SALU_CYCLE_1)
	s_and_b32 vcc_lo, exec_lo, s0
	s_cbranch_vccnz .LBB92_3088
; %bb.2681:
	s_and_not1_b32 vcc_lo, exec_lo, s2
	s_cbranch_vccnz .LBB92_2683
.LBB92_2682:
	s_wait_xcnt 0x0
	v_and_b32_e32 v6, 0x7fff, v1
	s_mov_b32 s3, -1
	s_delay_alu instid0(VALU_DEP_1)
	v_cmp_ne_u16_e32 vcc_lo, 0, v6
	v_cndmask_b32_e64 v6, 0, 1, vcc_lo
	global_store_b8 v[2:3], v6, off
.LBB92_2683:
	s_mov_b32 s0, 0
	s_branch .LBB92_2685
.LBB92_2684:
	s_mov_b32 s0, -1
	s_mov_b32 s3, 0
.LBB92_2685:
	s_and_b32 vcc_lo, exec_lo, s0
	s_cbranch_vccz .LBB92_2724
; %bb.2686:
	s_and_b32 s0, 0xffff, s18
	s_mov_b32 s1, -1
	s_cmp_lt_i32 s0, 5
	s_cbranch_scc1 .LBB92_2707
; %bb.2687:
	s_cmp_lt_i32 s0, 8
	s_cbranch_scc1 .LBB92_2697
; %bb.2688:
	;; [unrolled: 3-line block ×3, first 2 shown]
	s_cmp_gt_i32 s0, 9
	s_cbranch_scc0 .LBB92_2691
; %bb.2690:
	s_wait_xcnt 0x0
	v_dual_lshlrev_b32 v6, 16, v1 :: v_dual_mov_b32 v12, 0
	s_mov_b32 s1, 0
	s_delay_alu instid0(VALU_DEP_1) | instskip(NEXT) | instid1(VALU_DEP_2)
	v_cvt_f64_f32_e32 v[10:11], v6
	v_mov_b32_e32 v13, v12
	global_store_b128 v[2:3], v[10:13], off
.LBB92_2691:
	s_and_not1_b32 vcc_lo, exec_lo, s1
	s_cbranch_vccnz .LBB92_2693
; %bb.2692:
	s_wait_xcnt 0x0
	v_dual_mov_b32 v7, 0 :: v_dual_lshlrev_b32 v6, 16, v1
	global_store_b64 v[2:3], v[6:7], off
.LBB92_2693:
	s_mov_b32 s1, 0
.LBB92_2694:
	s_delay_alu instid0(SALU_CYCLE_1)
	s_and_not1_b32 vcc_lo, exec_lo, s1
	s_cbranch_vccnz .LBB92_2696
; %bb.2695:
	s_wait_xcnt 0x0
	v_lshlrev_b32_e32 v6, 16, v1
	s_delay_alu instid0(VALU_DEP_1) | instskip(NEXT) | instid1(VALU_DEP_1)
	v_cvt_f16_f32_e32 v6, v6
	v_and_b32_e32 v6, 0xffff, v6
	global_store_b32 v[2:3], v6, off
.LBB92_2696:
	s_mov_b32 s1, 0
.LBB92_2697:
	s_delay_alu instid0(SALU_CYCLE_1)
	s_and_not1_b32 vcc_lo, exec_lo, s1
	s_cbranch_vccnz .LBB92_2706
; %bb.2698:
	s_cmp_lt_i32 s0, 6
	s_mov_b32 s1, -1
	s_cbranch_scc1 .LBB92_2704
; %bb.2699:
	s_cmp_gt_i32 s0, 6
	s_cbranch_scc0 .LBB92_2701
; %bb.2700:
	s_wait_xcnt 0x0
	v_lshlrev_b32_e32 v6, 16, v1
	s_mov_b32 s1, 0
	s_delay_alu instid0(VALU_DEP_1)
	v_cvt_f64_f32_e32 v[6:7], v6
	global_store_b64 v[2:3], v[6:7], off
.LBB92_2701:
	s_and_not1_b32 vcc_lo, exec_lo, s1
	s_cbranch_vccnz .LBB92_2703
; %bb.2702:
	s_wait_xcnt 0x0
	v_lshlrev_b32_e32 v6, 16, v1
	global_store_b32 v[2:3], v6, off
.LBB92_2703:
	s_mov_b32 s1, 0
.LBB92_2704:
	s_delay_alu instid0(SALU_CYCLE_1)
	s_and_not1_b32 vcc_lo, exec_lo, s1
	s_cbranch_vccnz .LBB92_2706
; %bb.2705:
	s_wait_xcnt 0x0
	v_lshlrev_b32_e32 v6, 16, v1
	s_delay_alu instid0(VALU_DEP_1)
	v_cvt_f16_f32_e32 v6, v6
	global_store_b16 v[2:3], v6, off
.LBB92_2706:
	s_mov_b32 s1, 0
.LBB92_2707:
	s_delay_alu instid0(SALU_CYCLE_1)
	s_and_not1_b32 vcc_lo, exec_lo, s1
	s_cbranch_vccnz .LBB92_2723
; %bb.2708:
	s_cmp_lt_i32 s0, 2
	s_mov_b32 s1, -1
	s_cbranch_scc1 .LBB92_2718
; %bb.2709:
	s_cmp_lt_i32 s0, 3
	s_cbranch_scc1 .LBB92_2715
; %bb.2710:
	s_cmp_gt_i32 s0, 3
	s_cbranch_scc0 .LBB92_2712
; %bb.2711:
	s_wait_xcnt 0x0
	v_lshlrev_b32_e32 v6, 16, v1
	s_mov_b32 s1, 0
	s_delay_alu instid0(VALU_DEP_1) | instskip(NEXT) | instid1(VALU_DEP_1)
	v_trunc_f32_e32 v6, v6
	v_mul_f32_e64 v7, 0x2f800000, |v6|
	s_delay_alu instid0(VALU_DEP_1) | instskip(NEXT) | instid1(VALU_DEP_1)
	v_floor_f32_e32 v7, v7
	v_fma_f32 v9, 0xcf800000, v7, |v6|
	v_ashrrev_i32_e32 v6, 31, v6
	v_cvt_u32_f32_e32 v10, v7
	s_delay_alu instid0(VALU_DEP_3) | instskip(NEXT) | instid1(VALU_DEP_3)
	v_cvt_u32_f32_e32 v9, v9
	v_mov_b32_e32 v7, v6
	s_delay_alu instid0(VALU_DEP_3) | instskip(NEXT) | instid1(VALU_DEP_3)
	v_xor_b32_e32 v11, v10, v6
	v_xor_b32_e32 v10, v9, v6
	s_delay_alu instid0(VALU_DEP_1)
	v_sub_nc_u64_e32 v[6:7], v[10:11], v[6:7]
	global_store_b64 v[2:3], v[6:7], off
.LBB92_2712:
	s_and_not1_b32 vcc_lo, exec_lo, s1
	s_cbranch_vccnz .LBB92_2714
; %bb.2713:
	s_wait_xcnt 0x0
	v_lshlrev_b32_e32 v6, 16, v1
	s_delay_alu instid0(VALU_DEP_1)
	v_cvt_i32_f32_e32 v6, v6
	global_store_b32 v[2:3], v6, off
.LBB92_2714:
	s_mov_b32 s1, 0
.LBB92_2715:
	s_delay_alu instid0(SALU_CYCLE_1)
	s_and_not1_b32 vcc_lo, exec_lo, s1
	s_cbranch_vccnz .LBB92_2717
; %bb.2716:
	s_wait_xcnt 0x0
	v_lshlrev_b32_e32 v6, 16, v1
	s_delay_alu instid0(VALU_DEP_1)
	v_cvt_i32_f32_e32 v6, v6
	global_store_b16 v[2:3], v6, off
.LBB92_2717:
	s_mov_b32 s1, 0
.LBB92_2718:
	s_delay_alu instid0(SALU_CYCLE_1)
	s_and_not1_b32 vcc_lo, exec_lo, s1
	s_cbranch_vccnz .LBB92_2723
; %bb.2719:
	s_wait_xcnt 0x0
	v_lshlrev_b32_e32 v1, 16, v1
	s_cmp_gt_i32 s0, 0
	s_mov_b32 s0, -1
	s_cbranch_scc0 .LBB92_2721
; %bb.2720:
	s_delay_alu instid0(VALU_DEP_1)
	v_cvt_i32_f32_e32 v6, v1
	s_mov_b32 s0, 0
	global_store_b8 v[2:3], v6, off
.LBB92_2721:
	s_and_not1_b32 vcc_lo, exec_lo, s0
	s_cbranch_vccnz .LBB92_2723
; %bb.2722:
	v_trunc_f32_e32 v1, v1
	s_wait_xcnt 0x0
	s_delay_alu instid0(VALU_DEP_1) | instskip(NEXT) | instid1(VALU_DEP_1)
	v_mul_f32_e64 v6, 0x2f800000, |v1|
	v_floor_f32_e32 v6, v6
	s_delay_alu instid0(VALU_DEP_1) | instskip(SKIP_1) | instid1(VALU_DEP_2)
	v_fma_f32 v6, 0xcf800000, v6, |v1|
	v_ashrrev_i32_e32 v1, 31, v1
	v_cvt_u32_f32_e32 v6, v6
	s_delay_alu instid0(VALU_DEP_1) | instskip(NEXT) | instid1(VALU_DEP_1)
	v_xor_b32_e32 v6, v6, v1
	v_sub_nc_u32_e32 v1, v6, v1
	global_store_b8 v[2:3], v1, off
.LBB92_2723:
	s_mov_b32 s3, -1
.LBB92_2724:
	s_delay_alu instid0(SALU_CYCLE_1)
	s_and_not1_b32 vcc_lo, exec_lo, s3
	s_cbranch_vccnz .LBB92_3039
; %bb.2725:
	s_wait_xcnt 0x0
	v_bfe_u32 v1, v8, 16, 1
	s_lshl_b32 s1, s8, 7
	v_cmp_o_f32_e32 vcc_lo, v8, v8
	s_cmp_lt_i32 s18, 11
	s_delay_alu instid0(VALU_DEP_2) | instskip(NEXT) | instid1(VALU_DEP_1)
	v_add3_u32 v2, v8, v1, 0x7fff
	v_dual_add_nc_u32 v0, s1, v0 :: v_dual_lshrrev_b32 v6, 16, v2
	s_delay_alu instid0(VALU_DEP_1) | instskip(NEXT) | instid1(VALU_DEP_1)
	v_ashrrev_i32_e32 v1, 31, v0
	v_add_nc_u64_e32 v[2:3], s[4:5], v[0:1]
	s_delay_alu instid0(VALU_DEP_3)
	v_cndmask_b32_e32 v1, 0x7fc0, v6, vcc_lo
	s_cbranch_scc1 .LBB92_2803
; %bb.2726:
	s_and_b32 s2, 0xffff, s18
	s_mov_b32 s7, -1
	s_mov_b32 s3, 0
	s_cmp_gt_i32 s2, 25
	s_mov_b32 s6, 0
	s_mov_b32 s0, 0
	s_cbranch_scc0 .LBB92_2759
; %bb.2727:
	s_cmp_gt_i32 s2, 28
	s_cbranch_scc0 .LBB92_2742
; %bb.2728:
	s_cmp_gt_i32 s2, 43
	;; [unrolled: 3-line block ×3, first 2 shown]
	s_cbranch_scc0 .LBB92_2732
; %bb.2730:
	s_mov_b32 s0, -1
	s_mov_b32 s7, 0
	s_cmp_eq_u32 s2, 46
	s_cbranch_scc0 .LBB92_2732
; %bb.2731:
	v_and_b32_e32 v6, 0xffff, v1
	s_mov_b32 s0, 0
	s_mov_b32 s6, -1
	global_store_b32 v[2:3], v6, off
.LBB92_2732:
	s_and_b32 vcc_lo, exec_lo, s7
	s_cbranch_vccz .LBB92_2737
; %bb.2733:
	s_cmp_eq_u32 s2, 44
	s_mov_b32 s0, -1
	s_cbranch_scc0 .LBB92_2737
; %bb.2734:
	s_wait_xcnt 0x0
	v_and_b32_e32 v6, 0xffff, v1
	v_mov_b32_e32 v7, 0xff
	s_mov_b32 s6, exec_lo
	s_delay_alu instid0(VALU_DEP_2) | instskip(NEXT) | instid1(VALU_DEP_1)
	v_bfe_u32 v8, v6, 7, 8
	v_cmpx_ne_u32_e32 0xff, v8
	s_cbranch_execz .LBB92_2736
; %bb.2735:
	v_dual_lshlrev_b32 v7, 16, v6 :: v_dual_bitop2_b32 v9, 64, v6 bitop3:0x40
	v_lshrrev_b32_e32 v6, 7, v6
	s_delay_alu instid0(VALU_DEP_2) | instskip(NEXT) | instid1(VALU_DEP_3)
	v_and_or_b32 v7, 0x3f0000, v7, v8
	v_cmp_ne_u32_e32 vcc_lo, 0, v9
	s_delay_alu instid0(VALU_DEP_2) | instskip(SKIP_1) | instid1(SALU_CYCLE_1)
	v_cmp_ne_u32_e64 s0, 0, v7
	s_and_b32 s0, vcc_lo, s0
	v_cndmask_b32_e64 v7, 0, 1, s0
	s_delay_alu instid0(VALU_DEP_1)
	v_add_nc_u32_e32 v7, v6, v7
.LBB92_2736:
	s_or_b32 exec_lo, exec_lo, s6
	s_mov_b32 s0, 0
	s_mov_b32 s6, -1
	global_store_b8 v[2:3], v7, off
.LBB92_2737:
	s_mov_b32 s7, 0
.LBB92_2738:
	s_delay_alu instid0(SALU_CYCLE_1)
	s_and_b32 vcc_lo, exec_lo, s7
	s_cbranch_vccz .LBB92_2741
; %bb.2739:
	s_cmp_eq_u32 s2, 29
	s_mov_b32 s0, -1
	s_cbranch_scc0 .LBB92_2741
; %bb.2740:
	s_wait_xcnt 0x0
	v_lshlrev_b32_e32 v6, 16, v1
	s_mov_b32 s0, 0
	s_mov_b32 s6, -1
	s_delay_alu instid0(VALU_DEP_1) | instskip(NEXT) | instid1(VALU_DEP_1)
	v_trunc_f32_e32 v6, v6
	v_mul_f32_e32 v7, 0x2f800000, v6
	s_delay_alu instid0(VALU_DEP_1) | instskip(NEXT) | instid1(VALU_DEP_1)
	v_floor_f32_e32 v7, v7
	v_fmamk_f32 v6, v7, 0xcf800000, v6
	v_cvt_u32_f32_e32 v7, v7
	s_delay_alu instid0(VALU_DEP_2)
	v_cvt_u32_f32_e32 v6, v6
	global_store_b64 v[2:3], v[6:7], off
.LBB92_2741:
	s_mov_b32 s7, 0
.LBB92_2742:
	s_delay_alu instid0(SALU_CYCLE_1)
	s_and_b32 vcc_lo, exec_lo, s7
	s_cbranch_vccz .LBB92_2758
; %bb.2743:
	s_cmp_lt_i32 s2, 27
	s_mov_b32 s6, -1
	s_cbranch_scc1 .LBB92_2749
; %bb.2744:
	s_cmp_gt_i32 s2, 27
	s_cbranch_scc0 .LBB92_2746
; %bb.2745:
	s_wait_xcnt 0x0
	v_lshlrev_b32_e32 v6, 16, v1
	s_mov_b32 s6, 0
	s_delay_alu instid0(VALU_DEP_1)
	v_cvt_u32_f32_e32 v6, v6
	global_store_b32 v[2:3], v6, off
.LBB92_2746:
	s_and_not1_b32 vcc_lo, exec_lo, s6
	s_cbranch_vccnz .LBB92_2748
; %bb.2747:
	s_wait_xcnt 0x0
	v_lshlrev_b32_e32 v6, 16, v1
	s_delay_alu instid0(VALU_DEP_1)
	v_cvt_u32_f32_e32 v6, v6
	global_store_b16 v[2:3], v6, off
.LBB92_2748:
	s_mov_b32 s6, 0
.LBB92_2749:
	s_delay_alu instid0(SALU_CYCLE_1)
	s_and_not1_b32 vcc_lo, exec_lo, s6
	s_cbranch_vccnz .LBB92_2757
; %bb.2750:
	v_dual_mov_b32 v9, 0x80 :: v_dual_lshlrev_b32 v8, 16, v1
	s_mov_b32 s6, exec_lo
	s_wait_xcnt 0x0
	s_delay_alu instid0(VALU_DEP_1) | instskip(NEXT) | instid1(VALU_DEP_1)
	v_and_b32_e32 v7, 0x7fffffff, v8
	v_cmpx_gt_u32_e32 0x43800000, v7
	s_cbranch_execz .LBB92_2756
; %bb.2751:
	v_and_b32_e32 v6, 0xffff, v1
	v_cmp_lt_u32_e32 vcc_lo, 0x3bffffff, v7
	s_mov_b32 s7, 0
                                        ; implicit-def: $vgpr7
	s_and_saveexec_b32 s8, vcc_lo
	s_delay_alu instid0(SALU_CYCLE_1)
	s_xor_b32 s8, exec_lo, s8
	s_cbranch_execz .LBB92_3091
; %bb.2752:
	v_bfe_u32 v7, v6, 4, 1
	s_mov_b32 s7, exec_lo
	s_delay_alu instid0(VALU_DEP_1) | instskip(NEXT) | instid1(VALU_DEP_1)
	v_add3_u32 v7, v8, v7, 0x487ffff
                                        ; implicit-def: $vgpr8
	v_lshrrev_b32_e32 v7, 20, v7
	s_and_not1_saveexec_b32 s8, s8
	s_cbranch_execnz .LBB92_3092
.LBB92_2753:
	s_or_b32 exec_lo, exec_lo, s8
	v_mov_b32_e32 v9, 0
	s_and_saveexec_b32 s8, s7
.LBB92_2754:
	v_lshrrev_b32_e32 v6, 8, v6
	s_delay_alu instid0(VALU_DEP_1)
	v_and_or_b32 v9, 0x80, v6, v7
.LBB92_2755:
	s_or_b32 exec_lo, exec_lo, s8
.LBB92_2756:
	s_delay_alu instid0(SALU_CYCLE_1)
	s_or_b32 exec_lo, exec_lo, s6
	global_store_b8 v[2:3], v9, off
.LBB92_2757:
	s_mov_b32 s6, -1
.LBB92_2758:
	s_mov_b32 s7, 0
.LBB92_2759:
	s_delay_alu instid0(SALU_CYCLE_1)
	s_and_b32 vcc_lo, exec_lo, s7
	s_cbranch_vccz .LBB92_2799
; %bb.2760:
	s_cmp_gt_i32 s2, 22
	s_mov_b32 s3, -1
	s_cbranch_scc0 .LBB92_2792
; %bb.2761:
	s_cmp_lt_i32 s2, 24
	s_cbranch_scc1 .LBB92_2781
; %bb.2762:
	s_cmp_gt_i32 s2, 24
	s_cbranch_scc0 .LBB92_2770
; %bb.2763:
	s_wait_xcnt 0x0
	v_dual_mov_b32 v9, 0x80 :: v_dual_lshlrev_b32 v8, 16, v1
	s_mov_b32 s3, exec_lo
	s_delay_alu instid0(VALU_DEP_1) | instskip(NEXT) | instid1(VALU_DEP_1)
	v_and_b32_e32 v7, 0x7fffffff, v8
	v_cmpx_gt_u32_e32 0x47800000, v7
	s_cbranch_execz .LBB92_2769
; %bb.2764:
	v_and_b32_e32 v6, 0xffff, v1
	v_cmp_lt_u32_e32 vcc_lo, 0x37ffffff, v7
	s_mov_b32 s6, 0
                                        ; implicit-def: $vgpr7
	s_and_saveexec_b32 s7, vcc_lo
	s_delay_alu instid0(SALU_CYCLE_1)
	s_xor_b32 s7, exec_lo, s7
	s_cbranch_execz .LBB92_3094
; %bb.2765:
	v_bfe_u32 v7, v6, 5, 1
	s_mov_b32 s6, exec_lo
	s_delay_alu instid0(VALU_DEP_1) | instskip(NEXT) | instid1(VALU_DEP_1)
	v_add3_u32 v7, v8, v7, 0x88fffff
                                        ; implicit-def: $vgpr8
	v_lshrrev_b32_e32 v7, 21, v7
	s_and_not1_saveexec_b32 s7, s7
	s_cbranch_execnz .LBB92_3095
.LBB92_2766:
	s_or_b32 exec_lo, exec_lo, s7
	v_mov_b32_e32 v9, 0
	s_and_saveexec_b32 s7, s6
.LBB92_2767:
	v_lshrrev_b32_e32 v6, 8, v6
	s_delay_alu instid0(VALU_DEP_1)
	v_and_or_b32 v9, 0x80, v6, v7
.LBB92_2768:
	s_or_b32 exec_lo, exec_lo, s7
.LBB92_2769:
	s_delay_alu instid0(SALU_CYCLE_1)
	s_or_b32 exec_lo, exec_lo, s3
	s_mov_b32 s3, 0
	global_store_b8 v[2:3], v9, off
.LBB92_2770:
	s_and_b32 vcc_lo, exec_lo, s3
	s_cbranch_vccz .LBB92_2780
; %bb.2771:
	v_lshlrev_b32_e32 v8, 16, v1
	s_wait_xcnt 0x0
	v_and_b32_e32 v6, 0xffff, v1
	s_mov_b32 s3, exec_lo
                                        ; implicit-def: $vgpr7
	s_delay_alu instid0(VALU_DEP_2) | instskip(NEXT) | instid1(VALU_DEP_1)
	v_and_b32_e32 v9, 0x7fffffff, v8
	v_cmpx_gt_u32_e32 0x43f00000, v9
	s_xor_b32 s3, exec_lo, s3
	s_cbranch_execz .LBB92_2777
; %bb.2772:
	s_mov_b32 s6, exec_lo
                                        ; implicit-def: $vgpr7
	v_cmpx_lt_u32_e32 0x3c7fffff, v9
	s_xor_b32 s6, exec_lo, s6
; %bb.2773:
	v_bfe_u32 v7, v6, 4, 1
	s_delay_alu instid0(VALU_DEP_1) | instskip(NEXT) | instid1(VALU_DEP_1)
	v_add3_u32 v7, v8, v7, 0x407ffff
	v_and_b32_e32 v8, 0xff00000, v7
	v_lshrrev_b32_e32 v7, 20, v7
	s_delay_alu instid0(VALU_DEP_2) | instskip(NEXT) | instid1(VALU_DEP_2)
	v_cmp_ne_u32_e32 vcc_lo, 0x7f00000, v8
                                        ; implicit-def: $vgpr8
	v_cndmask_b32_e32 v7, 0x7e, v7, vcc_lo
; %bb.2774:
	s_and_not1_saveexec_b32 s6, s6
; %bb.2775:
	v_add_f32_e64 v7, 0x46800000, |v8|
; %bb.2776:
	s_or_b32 exec_lo, exec_lo, s6
                                        ; implicit-def: $vgpr9
.LBB92_2777:
	s_and_not1_saveexec_b32 s3, s3
; %bb.2778:
	v_mov_b32_e32 v7, 0x7f
	v_cmp_lt_u32_e32 vcc_lo, 0x7f800000, v9
	s_delay_alu instid0(VALU_DEP_2)
	v_cndmask_b32_e32 v7, 0x7e, v7, vcc_lo
; %bb.2779:
	s_or_b32 exec_lo, exec_lo, s3
	v_lshrrev_b32_e32 v6, 8, v6
	s_delay_alu instid0(VALU_DEP_1)
	v_and_or_b32 v6, 0x80, v6, v7
	global_store_b8 v[2:3], v6, off
.LBB92_2780:
	s_mov_b32 s3, 0
.LBB92_2781:
	s_delay_alu instid0(SALU_CYCLE_1)
	s_and_not1_b32 vcc_lo, exec_lo, s3
	s_cbranch_vccnz .LBB92_2791
; %bb.2782:
	v_lshlrev_b32_e32 v8, 16, v1
	s_wait_xcnt 0x0
	v_and_b32_e32 v6, 0xffff, v1
	s_mov_b32 s3, exec_lo
                                        ; implicit-def: $vgpr7
	s_delay_alu instid0(VALU_DEP_2) | instskip(NEXT) | instid1(VALU_DEP_1)
	v_and_b32_e32 v9, 0x7fffffff, v8
	v_cmpx_gt_u32_e32 0x47800000, v9
	s_xor_b32 s3, exec_lo, s3
	s_cbranch_execz .LBB92_2788
; %bb.2783:
	s_mov_b32 s6, exec_lo
                                        ; implicit-def: $vgpr7
	v_cmpx_lt_u32_e32 0x387fffff, v9
	s_xor_b32 s6, exec_lo, s6
; %bb.2784:
	v_bfe_u32 v7, v6, 5, 1
	s_delay_alu instid0(VALU_DEP_1) | instskip(NEXT) | instid1(VALU_DEP_1)
	v_add3_u32 v7, v8, v7, 0x80fffff
                                        ; implicit-def: $vgpr8
	v_lshrrev_b32_e32 v7, 21, v7
; %bb.2785:
	s_and_not1_saveexec_b32 s6, s6
; %bb.2786:
	v_add_f32_e64 v7, 0x43000000, |v8|
; %bb.2787:
	s_or_b32 exec_lo, exec_lo, s6
                                        ; implicit-def: $vgpr9
.LBB92_2788:
	s_and_not1_saveexec_b32 s3, s3
; %bb.2789:
	v_mov_b32_e32 v7, 0x7f
	v_cmp_lt_u32_e32 vcc_lo, 0x7f800000, v9
	s_delay_alu instid0(VALU_DEP_2)
	v_cndmask_b32_e32 v7, 0x7c, v7, vcc_lo
; %bb.2790:
	s_or_b32 exec_lo, exec_lo, s3
	v_lshrrev_b32_e32 v6, 8, v6
	s_delay_alu instid0(VALU_DEP_1)
	v_and_or_b32 v6, 0x80, v6, v7
	global_store_b8 v[2:3], v6, off
.LBB92_2791:
	s_mov_b32 s3, 0
	s_mov_b32 s6, -1
.LBB92_2792:
	s_and_not1_b32 vcc_lo, exec_lo, s3
	s_mov_b32 s3, 0
	s_cbranch_vccnz .LBB92_2799
; %bb.2793:
	s_cmp_gt_i32 s2, 14
	s_mov_b32 s3, -1
	s_cbranch_scc0 .LBB92_2797
; %bb.2794:
	s_cmp_eq_u32 s2, 15
	s_mov_b32 s0, -1
	s_cbranch_scc0 .LBB92_2796
; %bb.2795:
	s_mov_b32 s0, 0
	s_mov_b32 s6, -1
	global_store_b16 v[2:3], v1, off
.LBB92_2796:
	s_mov_b32 s3, 0
.LBB92_2797:
	s_delay_alu instid0(SALU_CYCLE_1)
	s_and_b32 vcc_lo, exec_lo, s3
	s_mov_b32 s3, 0
	s_cbranch_vccz .LBB92_2799
; %bb.2798:
	s_cmp_lg_u32 s2, 11
	s_mov_b32 s3, -1
	s_cselect_b32 s0, -1, 0
.LBB92_2799:
	s_delay_alu instid0(SALU_CYCLE_1)
	s_and_b32 vcc_lo, exec_lo, s0
	s_cbranch_vccnz .LBB92_3093
; %bb.2800:
	s_and_not1_b32 vcc_lo, exec_lo, s3
	s_cbranch_vccnz .LBB92_2802
.LBB92_2801:
	s_wait_xcnt 0x0
	v_and_b32_e32 v6, 0x7fff, v1
	s_mov_b32 s6, -1
	s_delay_alu instid0(VALU_DEP_1)
	v_cmp_ne_u16_e32 vcc_lo, 0, v6
	v_cndmask_b32_e64 v6, 0, 1, vcc_lo
	global_store_b8 v[2:3], v6, off
.LBB92_2802:
	s_mov_b32 s0, 0
	s_branch .LBB92_2804
.LBB92_2803:
	s_mov_b32 s0, -1
	s_mov_b32 s6, 0
.LBB92_2804:
	s_and_b32 vcc_lo, exec_lo, s0
	s_cbranch_vccz .LBB92_2843
; %bb.2805:
	s_and_b32 s0, 0xffff, s18
	s_mov_b32 s2, -1
	s_cmp_lt_i32 s0, 5
	s_cbranch_scc1 .LBB92_2826
; %bb.2806:
	s_cmp_lt_i32 s0, 8
	s_cbranch_scc1 .LBB92_2816
; %bb.2807:
	;; [unrolled: 3-line block ×3, first 2 shown]
	s_cmp_gt_i32 s0, 9
	s_cbranch_scc0 .LBB92_2810
; %bb.2809:
	s_wait_xcnt 0x0
	v_dual_lshlrev_b32 v6, 16, v1 :: v_dual_mov_b32 v8, 0
	s_mov_b32 s2, 0
	s_delay_alu instid0(VALU_DEP_1) | instskip(NEXT) | instid1(VALU_DEP_2)
	v_cvt_f64_f32_e32 v[6:7], v6
	v_mov_b32_e32 v9, v8
	global_store_b128 v[2:3], v[6:9], off
.LBB92_2810:
	s_and_not1_b32 vcc_lo, exec_lo, s2
	s_cbranch_vccnz .LBB92_2812
; %bb.2811:
	s_wait_xcnt 0x0
	v_dual_mov_b32 v7, 0 :: v_dual_lshlrev_b32 v6, 16, v1
	global_store_b64 v[2:3], v[6:7], off
.LBB92_2812:
	s_mov_b32 s2, 0
.LBB92_2813:
	s_delay_alu instid0(SALU_CYCLE_1)
	s_and_not1_b32 vcc_lo, exec_lo, s2
	s_cbranch_vccnz .LBB92_2815
; %bb.2814:
	s_wait_xcnt 0x0
	v_lshlrev_b32_e32 v6, 16, v1
	s_delay_alu instid0(VALU_DEP_1) | instskip(NEXT) | instid1(VALU_DEP_1)
	v_cvt_f16_f32_e32 v6, v6
	v_and_b32_e32 v6, 0xffff, v6
	global_store_b32 v[2:3], v6, off
.LBB92_2815:
	s_mov_b32 s2, 0
.LBB92_2816:
	s_delay_alu instid0(SALU_CYCLE_1)
	s_and_not1_b32 vcc_lo, exec_lo, s2
	s_cbranch_vccnz .LBB92_2825
; %bb.2817:
	s_cmp_lt_i32 s0, 6
	s_mov_b32 s2, -1
	s_cbranch_scc1 .LBB92_2823
; %bb.2818:
	s_cmp_gt_i32 s0, 6
	s_cbranch_scc0 .LBB92_2820
; %bb.2819:
	s_wait_xcnt 0x0
	v_lshlrev_b32_e32 v6, 16, v1
	s_mov_b32 s2, 0
	s_delay_alu instid0(VALU_DEP_1)
	v_cvt_f64_f32_e32 v[6:7], v6
	global_store_b64 v[2:3], v[6:7], off
.LBB92_2820:
	s_and_not1_b32 vcc_lo, exec_lo, s2
	s_cbranch_vccnz .LBB92_2822
; %bb.2821:
	s_wait_xcnt 0x0
	v_lshlrev_b32_e32 v6, 16, v1
	global_store_b32 v[2:3], v6, off
.LBB92_2822:
	s_mov_b32 s2, 0
.LBB92_2823:
	s_delay_alu instid0(SALU_CYCLE_1)
	s_and_not1_b32 vcc_lo, exec_lo, s2
	s_cbranch_vccnz .LBB92_2825
; %bb.2824:
	s_wait_xcnt 0x0
	v_lshlrev_b32_e32 v6, 16, v1
	s_delay_alu instid0(VALU_DEP_1)
	v_cvt_f16_f32_e32 v6, v6
	global_store_b16 v[2:3], v6, off
.LBB92_2825:
	s_mov_b32 s2, 0
.LBB92_2826:
	s_delay_alu instid0(SALU_CYCLE_1)
	s_and_not1_b32 vcc_lo, exec_lo, s2
	s_cbranch_vccnz .LBB92_2842
; %bb.2827:
	s_cmp_lt_i32 s0, 2
	s_mov_b32 s2, -1
	s_cbranch_scc1 .LBB92_2837
; %bb.2828:
	s_cmp_lt_i32 s0, 3
	s_cbranch_scc1 .LBB92_2834
; %bb.2829:
	s_cmp_gt_i32 s0, 3
	s_cbranch_scc0 .LBB92_2831
; %bb.2830:
	s_wait_xcnt 0x0
	v_lshlrev_b32_e32 v6, 16, v1
	s_mov_b32 s2, 0
	s_delay_alu instid0(VALU_DEP_1) | instskip(NEXT) | instid1(VALU_DEP_1)
	v_trunc_f32_e32 v6, v6
	v_mul_f32_e64 v7, 0x2f800000, |v6|
	s_delay_alu instid0(VALU_DEP_1) | instskip(NEXT) | instid1(VALU_DEP_1)
	v_floor_f32_e32 v7, v7
	v_fma_f32 v8, 0xcf800000, v7, |v6|
	v_ashrrev_i32_e32 v6, 31, v6
	v_cvt_u32_f32_e32 v9, v7
	s_delay_alu instid0(VALU_DEP_3) | instskip(NEXT) | instid1(VALU_DEP_2)
	v_cvt_u32_f32_e32 v8, v8
	v_dual_mov_b32 v7, v6 :: v_dual_bitop2_b32 v9, v9, v6 bitop3:0x14
	s_delay_alu instid0(VALU_DEP_2) | instskip(NEXT) | instid1(VALU_DEP_1)
	v_xor_b32_e32 v8, v8, v6
	v_sub_nc_u64_e32 v[6:7], v[8:9], v[6:7]
	global_store_b64 v[2:3], v[6:7], off
.LBB92_2831:
	s_and_not1_b32 vcc_lo, exec_lo, s2
	s_cbranch_vccnz .LBB92_2833
; %bb.2832:
	s_wait_xcnt 0x0
	v_lshlrev_b32_e32 v6, 16, v1
	s_delay_alu instid0(VALU_DEP_1)
	v_cvt_i32_f32_e32 v6, v6
	global_store_b32 v[2:3], v6, off
.LBB92_2833:
	s_mov_b32 s2, 0
.LBB92_2834:
	s_delay_alu instid0(SALU_CYCLE_1)
	s_and_not1_b32 vcc_lo, exec_lo, s2
	s_cbranch_vccnz .LBB92_2836
; %bb.2835:
	s_wait_xcnt 0x0
	v_lshlrev_b32_e32 v6, 16, v1
	s_delay_alu instid0(VALU_DEP_1)
	v_cvt_i32_f32_e32 v6, v6
	global_store_b16 v[2:3], v6, off
.LBB92_2836:
	s_mov_b32 s2, 0
.LBB92_2837:
	s_delay_alu instid0(SALU_CYCLE_1)
	s_and_not1_b32 vcc_lo, exec_lo, s2
	s_cbranch_vccnz .LBB92_2842
; %bb.2838:
	s_wait_xcnt 0x0
	v_lshlrev_b32_e32 v1, 16, v1
	s_cmp_gt_i32 s0, 0
	s_mov_b32 s0, -1
	s_cbranch_scc0 .LBB92_2840
; %bb.2839:
	s_delay_alu instid0(VALU_DEP_1)
	v_cvt_i32_f32_e32 v6, v1
	s_mov_b32 s0, 0
	global_store_b8 v[2:3], v6, off
.LBB92_2840:
	s_and_not1_b32 vcc_lo, exec_lo, s0
	s_cbranch_vccnz .LBB92_2842
; %bb.2841:
	v_trunc_f32_e32 v1, v1
	s_wait_xcnt 0x0
	s_delay_alu instid0(VALU_DEP_1) | instskip(NEXT) | instid1(VALU_DEP_1)
	v_mul_f32_e64 v6, 0x2f800000, |v1|
	v_floor_f32_e32 v6, v6
	s_delay_alu instid0(VALU_DEP_1) | instskip(SKIP_1) | instid1(VALU_DEP_2)
	v_fma_f32 v6, 0xcf800000, v6, |v1|
	v_ashrrev_i32_e32 v1, 31, v1
	v_cvt_u32_f32_e32 v6, v6
	s_delay_alu instid0(VALU_DEP_1) | instskip(NEXT) | instid1(VALU_DEP_1)
	v_xor_b32_e32 v6, v6, v1
	v_sub_nc_u32_e32 v1, v6, v1
	global_store_b8 v[2:3], v1, off
.LBB92_2842:
	s_mov_b32 s6, -1
.LBB92_2843:
	s_delay_alu instid0(SALU_CYCLE_1)
	s_and_not1_b32 vcc_lo, exec_lo, s6
	s_cbranch_vccnz .LBB92_3039
; %bb.2844:
	s_wait_xcnt 0x0
	v_bfe_u32 v1, v4, 16, 1
	v_cmp_o_f32_e32 vcc_lo, v4, v4
	s_cmp_lt_i32 s18, 11
	s_delay_alu instid0(VALU_DEP_2) | instskip(NEXT) | instid1(VALU_DEP_1)
	v_add3_u32 v2, v4, v1, 0x7fff
	v_dual_add_nc_u32 v0, s1, v0 :: v_dual_lshrrev_b32 v6, 16, v2
	s_delay_alu instid0(VALU_DEP_1) | instskip(NEXT) | instid1(VALU_DEP_1)
	v_ashrrev_i32_e32 v1, 31, v0
	v_add_nc_u64_e32 v[2:3], s[4:5], v[0:1]
	s_delay_alu instid0(VALU_DEP_3)
	v_cndmask_b32_e32 v1, 0x7fc0, v6, vcc_lo
	s_cbranch_scc1 .LBB92_2922
; %bb.2845:
	s_and_b32 s2, 0xffff, s18
	s_mov_b32 s7, -1
	s_mov_b32 s3, 0
	s_cmp_gt_i32 s2, 25
	s_mov_b32 s6, 0
	s_mov_b32 s0, 0
	s_cbranch_scc0 .LBB92_2878
; %bb.2846:
	s_cmp_gt_i32 s2, 28
	s_cbranch_scc0 .LBB92_2861
; %bb.2847:
	s_cmp_gt_i32 s2, 43
	;; [unrolled: 3-line block ×3, first 2 shown]
	s_cbranch_scc0 .LBB92_2851
; %bb.2849:
	s_mov_b32 s0, -1
	s_mov_b32 s7, 0
	s_cmp_eq_u32 s2, 46
	s_cbranch_scc0 .LBB92_2851
; %bb.2850:
	v_and_b32_e32 v4, 0xffff, v1
	s_mov_b32 s0, 0
	s_mov_b32 s6, -1
	global_store_b32 v[2:3], v4, off
.LBB92_2851:
	s_and_b32 vcc_lo, exec_lo, s7
	s_cbranch_vccz .LBB92_2856
; %bb.2852:
	s_cmp_eq_u32 s2, 44
	s_mov_b32 s0, -1
	s_cbranch_scc0 .LBB92_2856
; %bb.2853:
	s_wait_xcnt 0x0
	v_and_b32_e32 v4, 0xffff, v1
	v_mov_b32_e32 v6, 0xff
	s_mov_b32 s6, exec_lo
	s_delay_alu instid0(VALU_DEP_2) | instskip(NEXT) | instid1(VALU_DEP_1)
	v_bfe_u32 v7, v4, 7, 8
	v_cmpx_ne_u32_e32 0xff, v7
	s_cbranch_execz .LBB92_2855
; %bb.2854:
	v_dual_lshlrev_b32 v6, 16, v4 :: v_dual_bitop2_b32 v8, 64, v4 bitop3:0x40
	v_lshrrev_b32_e32 v4, 7, v4
	s_delay_alu instid0(VALU_DEP_2) | instskip(NEXT) | instid1(VALU_DEP_3)
	v_and_or_b32 v6, 0x3f0000, v6, v7
	v_cmp_ne_u32_e32 vcc_lo, 0, v8
	s_delay_alu instid0(VALU_DEP_2) | instskip(SKIP_1) | instid1(SALU_CYCLE_1)
	v_cmp_ne_u32_e64 s0, 0, v6
	s_and_b32 s0, vcc_lo, s0
	v_cndmask_b32_e64 v6, 0, 1, s0
	s_delay_alu instid0(VALU_DEP_1)
	v_add_nc_u32_e32 v6, v4, v6
.LBB92_2855:
	s_or_b32 exec_lo, exec_lo, s6
	s_mov_b32 s0, 0
	s_mov_b32 s6, -1
	global_store_b8 v[2:3], v6, off
.LBB92_2856:
	s_mov_b32 s7, 0
.LBB92_2857:
	s_delay_alu instid0(SALU_CYCLE_1)
	s_and_b32 vcc_lo, exec_lo, s7
	s_cbranch_vccz .LBB92_2860
; %bb.2858:
	s_cmp_eq_u32 s2, 29
	s_mov_b32 s0, -1
	s_cbranch_scc0 .LBB92_2860
; %bb.2859:
	s_wait_xcnt 0x0
	v_lshlrev_b32_e32 v4, 16, v1
	s_mov_b32 s0, 0
	s_mov_b32 s6, -1
	s_delay_alu instid0(VALU_DEP_1) | instskip(NEXT) | instid1(VALU_DEP_1)
	v_trunc_f32_e32 v4, v4
	v_mul_f32_e32 v6, 0x2f800000, v4
	s_delay_alu instid0(VALU_DEP_1) | instskip(NEXT) | instid1(VALU_DEP_1)
	v_floor_f32_e32 v6, v6
	v_fmamk_f32 v4, v6, 0xcf800000, v4
	v_cvt_u32_f32_e32 v7, v6
	s_delay_alu instid0(VALU_DEP_2)
	v_cvt_u32_f32_e32 v6, v4
	global_store_b64 v[2:3], v[6:7], off
.LBB92_2860:
	s_mov_b32 s7, 0
.LBB92_2861:
	s_delay_alu instid0(SALU_CYCLE_1)
	s_and_b32 vcc_lo, exec_lo, s7
	s_cbranch_vccz .LBB92_2877
; %bb.2862:
	s_cmp_lt_i32 s2, 27
	s_mov_b32 s6, -1
	s_cbranch_scc1 .LBB92_2868
; %bb.2863:
	s_cmp_gt_i32 s2, 27
	s_cbranch_scc0 .LBB92_2865
; %bb.2864:
	s_wait_xcnt 0x0
	v_lshlrev_b32_e32 v4, 16, v1
	s_mov_b32 s6, 0
	s_delay_alu instid0(VALU_DEP_1)
	v_cvt_u32_f32_e32 v4, v4
	global_store_b32 v[2:3], v4, off
.LBB92_2865:
	s_and_not1_b32 vcc_lo, exec_lo, s6
	s_cbranch_vccnz .LBB92_2867
; %bb.2866:
	s_wait_xcnt 0x0
	v_lshlrev_b32_e32 v4, 16, v1
	s_delay_alu instid0(VALU_DEP_1)
	v_cvt_u32_f32_e32 v4, v4
	global_store_b16 v[2:3], v4, off
.LBB92_2867:
	s_mov_b32 s6, 0
.LBB92_2868:
	s_delay_alu instid0(SALU_CYCLE_1)
	s_and_not1_b32 vcc_lo, exec_lo, s6
	s_cbranch_vccnz .LBB92_2876
; %bb.2869:
	s_wait_xcnt 0x0
	v_dual_mov_b32 v8, 0x80 :: v_dual_lshlrev_b32 v7, 16, v1
	s_mov_b32 s6, exec_lo
	s_delay_alu instid0(VALU_DEP_1) | instskip(NEXT) | instid1(VALU_DEP_1)
	v_and_b32_e32 v6, 0x7fffffff, v7
	v_cmpx_gt_u32_e32 0x43800000, v6
	s_cbranch_execz .LBB92_2875
; %bb.2870:
	v_and_b32_e32 v4, 0xffff, v1
	v_cmp_lt_u32_e32 vcc_lo, 0x3bffffff, v6
	s_mov_b32 s7, 0
                                        ; implicit-def: $vgpr6
	s_and_saveexec_b32 s8, vcc_lo
	s_delay_alu instid0(SALU_CYCLE_1)
	s_xor_b32 s8, exec_lo, s8
	s_cbranch_execz .LBB92_3096
; %bb.2871:
	v_bfe_u32 v6, v4, 4, 1
	s_mov_b32 s7, exec_lo
	s_delay_alu instid0(VALU_DEP_1) | instskip(NEXT) | instid1(VALU_DEP_1)
	v_add3_u32 v6, v7, v6, 0x487ffff
                                        ; implicit-def: $vgpr7
	v_lshrrev_b32_e32 v6, 20, v6
	s_and_not1_saveexec_b32 s8, s8
	s_cbranch_execnz .LBB92_3097
.LBB92_2872:
	s_or_b32 exec_lo, exec_lo, s8
	v_mov_b32_e32 v8, 0
	s_and_saveexec_b32 s8, s7
.LBB92_2873:
	v_lshrrev_b32_e32 v4, 8, v4
	s_delay_alu instid0(VALU_DEP_1)
	v_and_or_b32 v8, 0x80, v4, v6
.LBB92_2874:
	s_or_b32 exec_lo, exec_lo, s8
.LBB92_2875:
	s_delay_alu instid0(SALU_CYCLE_1)
	s_or_b32 exec_lo, exec_lo, s6
	global_store_b8 v[2:3], v8, off
.LBB92_2876:
	s_mov_b32 s6, -1
.LBB92_2877:
	s_mov_b32 s7, 0
.LBB92_2878:
	s_delay_alu instid0(SALU_CYCLE_1)
	s_and_b32 vcc_lo, exec_lo, s7
	s_cbranch_vccz .LBB92_2918
; %bb.2879:
	s_cmp_gt_i32 s2, 22
	s_mov_b32 s3, -1
	s_cbranch_scc0 .LBB92_2911
; %bb.2880:
	s_cmp_lt_i32 s2, 24
	s_cbranch_scc1 .LBB92_2900
; %bb.2881:
	s_cmp_gt_i32 s2, 24
	s_cbranch_scc0 .LBB92_2889
; %bb.2882:
	s_wait_xcnt 0x0
	v_dual_mov_b32 v8, 0x80 :: v_dual_lshlrev_b32 v7, 16, v1
	s_mov_b32 s3, exec_lo
	s_delay_alu instid0(VALU_DEP_1) | instskip(NEXT) | instid1(VALU_DEP_1)
	v_and_b32_e32 v6, 0x7fffffff, v7
	v_cmpx_gt_u32_e32 0x47800000, v6
	s_cbranch_execz .LBB92_2888
; %bb.2883:
	v_and_b32_e32 v4, 0xffff, v1
	v_cmp_lt_u32_e32 vcc_lo, 0x37ffffff, v6
	s_mov_b32 s6, 0
                                        ; implicit-def: $vgpr6
	s_and_saveexec_b32 s7, vcc_lo
	s_delay_alu instid0(SALU_CYCLE_1)
	s_xor_b32 s7, exec_lo, s7
	s_cbranch_execz .LBB92_3099
; %bb.2884:
	v_bfe_u32 v6, v4, 5, 1
	s_mov_b32 s6, exec_lo
	s_delay_alu instid0(VALU_DEP_1) | instskip(NEXT) | instid1(VALU_DEP_1)
	v_add3_u32 v6, v7, v6, 0x88fffff
                                        ; implicit-def: $vgpr7
	v_lshrrev_b32_e32 v6, 21, v6
	s_and_not1_saveexec_b32 s7, s7
	s_cbranch_execnz .LBB92_3100
.LBB92_2885:
	s_or_b32 exec_lo, exec_lo, s7
	v_mov_b32_e32 v8, 0
	s_and_saveexec_b32 s7, s6
.LBB92_2886:
	v_lshrrev_b32_e32 v4, 8, v4
	s_delay_alu instid0(VALU_DEP_1)
	v_and_or_b32 v8, 0x80, v4, v6
.LBB92_2887:
	s_or_b32 exec_lo, exec_lo, s7
.LBB92_2888:
	s_delay_alu instid0(SALU_CYCLE_1)
	s_or_b32 exec_lo, exec_lo, s3
	s_mov_b32 s3, 0
	global_store_b8 v[2:3], v8, off
.LBB92_2889:
	s_and_b32 vcc_lo, exec_lo, s3
	s_cbranch_vccz .LBB92_2899
; %bb.2890:
	s_wait_xcnt 0x0
	v_lshlrev_b32_e32 v7, 16, v1
	v_and_b32_e32 v4, 0xffff, v1
	s_mov_b32 s3, exec_lo
                                        ; implicit-def: $vgpr6
	s_delay_alu instid0(VALU_DEP_2) | instskip(NEXT) | instid1(VALU_DEP_1)
	v_and_b32_e32 v8, 0x7fffffff, v7
	v_cmpx_gt_u32_e32 0x43f00000, v8
	s_xor_b32 s3, exec_lo, s3
	s_cbranch_execz .LBB92_2896
; %bb.2891:
	s_mov_b32 s6, exec_lo
                                        ; implicit-def: $vgpr6
	v_cmpx_lt_u32_e32 0x3c7fffff, v8
	s_xor_b32 s6, exec_lo, s6
; %bb.2892:
	v_bfe_u32 v6, v4, 4, 1
	s_delay_alu instid0(VALU_DEP_1) | instskip(NEXT) | instid1(VALU_DEP_1)
	v_add3_u32 v6, v7, v6, 0x407ffff
	v_and_b32_e32 v7, 0xff00000, v6
	v_lshrrev_b32_e32 v6, 20, v6
	s_delay_alu instid0(VALU_DEP_2) | instskip(NEXT) | instid1(VALU_DEP_2)
	v_cmp_ne_u32_e32 vcc_lo, 0x7f00000, v7
                                        ; implicit-def: $vgpr7
	v_cndmask_b32_e32 v6, 0x7e, v6, vcc_lo
; %bb.2893:
	s_and_not1_saveexec_b32 s6, s6
; %bb.2894:
	v_add_f32_e64 v6, 0x46800000, |v7|
; %bb.2895:
	s_or_b32 exec_lo, exec_lo, s6
                                        ; implicit-def: $vgpr8
.LBB92_2896:
	s_and_not1_saveexec_b32 s3, s3
; %bb.2897:
	v_mov_b32_e32 v6, 0x7f
	v_cmp_lt_u32_e32 vcc_lo, 0x7f800000, v8
	s_delay_alu instid0(VALU_DEP_2)
	v_cndmask_b32_e32 v6, 0x7e, v6, vcc_lo
; %bb.2898:
	s_or_b32 exec_lo, exec_lo, s3
	v_lshrrev_b32_e32 v4, 8, v4
	s_delay_alu instid0(VALU_DEP_1)
	v_and_or_b32 v4, 0x80, v4, v6
	global_store_b8 v[2:3], v4, off
.LBB92_2899:
	s_mov_b32 s3, 0
.LBB92_2900:
	s_delay_alu instid0(SALU_CYCLE_1)
	s_and_not1_b32 vcc_lo, exec_lo, s3
	s_cbranch_vccnz .LBB92_2910
; %bb.2901:
	s_wait_xcnt 0x0
	v_lshlrev_b32_e32 v7, 16, v1
	v_and_b32_e32 v4, 0xffff, v1
	s_mov_b32 s3, exec_lo
                                        ; implicit-def: $vgpr6
	s_delay_alu instid0(VALU_DEP_2) | instskip(NEXT) | instid1(VALU_DEP_1)
	v_and_b32_e32 v8, 0x7fffffff, v7
	v_cmpx_gt_u32_e32 0x47800000, v8
	s_xor_b32 s3, exec_lo, s3
	s_cbranch_execz .LBB92_2907
; %bb.2902:
	s_mov_b32 s6, exec_lo
                                        ; implicit-def: $vgpr6
	v_cmpx_lt_u32_e32 0x387fffff, v8
	s_xor_b32 s6, exec_lo, s6
; %bb.2903:
	v_bfe_u32 v6, v4, 5, 1
	s_delay_alu instid0(VALU_DEP_1) | instskip(NEXT) | instid1(VALU_DEP_1)
	v_add3_u32 v6, v7, v6, 0x80fffff
                                        ; implicit-def: $vgpr7
	v_lshrrev_b32_e32 v6, 21, v6
; %bb.2904:
	s_and_not1_saveexec_b32 s6, s6
; %bb.2905:
	v_add_f32_e64 v6, 0x43000000, |v7|
; %bb.2906:
	s_or_b32 exec_lo, exec_lo, s6
                                        ; implicit-def: $vgpr8
.LBB92_2907:
	s_and_not1_saveexec_b32 s3, s3
; %bb.2908:
	v_mov_b32_e32 v6, 0x7f
	v_cmp_lt_u32_e32 vcc_lo, 0x7f800000, v8
	s_delay_alu instid0(VALU_DEP_2)
	v_cndmask_b32_e32 v6, 0x7c, v6, vcc_lo
; %bb.2909:
	s_or_b32 exec_lo, exec_lo, s3
	v_lshrrev_b32_e32 v4, 8, v4
	s_delay_alu instid0(VALU_DEP_1)
	v_and_or_b32 v4, 0x80, v4, v6
	global_store_b8 v[2:3], v4, off
.LBB92_2910:
	s_mov_b32 s3, 0
	s_mov_b32 s6, -1
.LBB92_2911:
	s_and_not1_b32 vcc_lo, exec_lo, s3
	s_mov_b32 s3, 0
	s_cbranch_vccnz .LBB92_2918
; %bb.2912:
	s_cmp_gt_i32 s2, 14
	s_mov_b32 s3, -1
	s_cbranch_scc0 .LBB92_2916
; %bb.2913:
	s_cmp_eq_u32 s2, 15
	s_mov_b32 s0, -1
	s_cbranch_scc0 .LBB92_2915
; %bb.2914:
	s_mov_b32 s0, 0
	s_mov_b32 s6, -1
	global_store_b16 v[2:3], v1, off
.LBB92_2915:
	s_mov_b32 s3, 0
.LBB92_2916:
	s_delay_alu instid0(SALU_CYCLE_1)
	s_and_b32 vcc_lo, exec_lo, s3
	s_mov_b32 s3, 0
	s_cbranch_vccz .LBB92_2918
; %bb.2917:
	s_cmp_lg_u32 s2, 11
	s_mov_b32 s3, -1
	s_cselect_b32 s0, -1, 0
.LBB92_2918:
	s_delay_alu instid0(SALU_CYCLE_1)
	s_and_b32 vcc_lo, exec_lo, s0
	s_cbranch_vccnz .LBB92_3098
; %bb.2919:
	s_and_not1_b32 vcc_lo, exec_lo, s3
	s_cbranch_vccnz .LBB92_2921
.LBB92_2920:
	s_wait_xcnt 0x0
	v_and_b32_e32 v4, 0x7fff, v1
	s_mov_b32 s6, -1
	s_delay_alu instid0(VALU_DEP_1)
	v_cmp_ne_u16_e32 vcc_lo, 0, v4
	v_cndmask_b32_e64 v4, 0, 1, vcc_lo
	global_store_b8 v[2:3], v4, off
.LBB92_2921:
	s_mov_b32 s0, 0
	s_branch .LBB92_2923
.LBB92_2922:
	s_mov_b32 s0, -1
	s_mov_b32 s6, 0
.LBB92_2923:
	s_and_b32 vcc_lo, exec_lo, s0
	s_cbranch_vccz .LBB92_2962
; %bb.2924:
	s_and_b32 s0, 0xffff, s18
	s_mov_b32 s2, -1
	s_cmp_lt_i32 s0, 5
	s_cbranch_scc1 .LBB92_2945
; %bb.2925:
	s_cmp_lt_i32 s0, 8
	s_cbranch_scc1 .LBB92_2935
; %bb.2926:
	;; [unrolled: 3-line block ×3, first 2 shown]
	s_cmp_gt_i32 s0, 9
	s_cbranch_scc0 .LBB92_2929
; %bb.2928:
	s_wait_xcnt 0x0
	v_dual_lshlrev_b32 v4, 16, v1 :: v_dual_mov_b32 v8, 0
	s_mov_b32 s2, 0
	s_delay_alu instid0(VALU_DEP_1) | instskip(NEXT) | instid1(VALU_DEP_2)
	v_cvt_f64_f32_e32 v[6:7], v4
	v_mov_b32_e32 v9, v8
	global_store_b128 v[2:3], v[6:9], off
.LBB92_2929:
	s_and_not1_b32 vcc_lo, exec_lo, s2
	s_cbranch_vccnz .LBB92_2931
; %bb.2930:
	s_wait_xcnt 0x0
	v_dual_mov_b32 v7, 0 :: v_dual_lshlrev_b32 v6, 16, v1
	global_store_b64 v[2:3], v[6:7], off
.LBB92_2931:
	s_mov_b32 s2, 0
.LBB92_2932:
	s_delay_alu instid0(SALU_CYCLE_1)
	s_and_not1_b32 vcc_lo, exec_lo, s2
	s_cbranch_vccnz .LBB92_2934
; %bb.2933:
	s_wait_xcnt 0x0
	v_lshlrev_b32_e32 v4, 16, v1
	s_delay_alu instid0(VALU_DEP_1) | instskip(NEXT) | instid1(VALU_DEP_1)
	v_cvt_f16_f32_e32 v4, v4
	v_and_b32_e32 v4, 0xffff, v4
	global_store_b32 v[2:3], v4, off
.LBB92_2934:
	s_mov_b32 s2, 0
.LBB92_2935:
	s_delay_alu instid0(SALU_CYCLE_1)
	s_and_not1_b32 vcc_lo, exec_lo, s2
	s_cbranch_vccnz .LBB92_2944
; %bb.2936:
	s_cmp_lt_i32 s0, 6
	s_mov_b32 s2, -1
	s_cbranch_scc1 .LBB92_2942
; %bb.2937:
	s_cmp_gt_i32 s0, 6
	s_cbranch_scc0 .LBB92_2939
; %bb.2938:
	s_wait_xcnt 0x0
	v_lshlrev_b32_e32 v4, 16, v1
	s_mov_b32 s2, 0
	s_delay_alu instid0(VALU_DEP_1)
	v_cvt_f64_f32_e32 v[6:7], v4
	global_store_b64 v[2:3], v[6:7], off
.LBB92_2939:
	s_and_not1_b32 vcc_lo, exec_lo, s2
	s_cbranch_vccnz .LBB92_2941
; %bb.2940:
	s_wait_xcnt 0x0
	v_lshlrev_b32_e32 v4, 16, v1
	global_store_b32 v[2:3], v4, off
.LBB92_2941:
	s_mov_b32 s2, 0
.LBB92_2942:
	s_delay_alu instid0(SALU_CYCLE_1)
	s_and_not1_b32 vcc_lo, exec_lo, s2
	s_cbranch_vccnz .LBB92_2944
; %bb.2943:
	s_wait_xcnt 0x0
	v_lshlrev_b32_e32 v4, 16, v1
	s_delay_alu instid0(VALU_DEP_1)
	v_cvt_f16_f32_e32 v4, v4
	global_store_b16 v[2:3], v4, off
.LBB92_2944:
	s_mov_b32 s2, 0
.LBB92_2945:
	s_delay_alu instid0(SALU_CYCLE_1)
	s_and_not1_b32 vcc_lo, exec_lo, s2
	s_cbranch_vccnz .LBB92_2961
; %bb.2946:
	s_cmp_lt_i32 s0, 2
	s_mov_b32 s2, -1
	s_cbranch_scc1 .LBB92_2956
; %bb.2947:
	s_cmp_lt_i32 s0, 3
	s_cbranch_scc1 .LBB92_2953
; %bb.2948:
	s_cmp_gt_i32 s0, 3
	s_cbranch_scc0 .LBB92_2950
; %bb.2949:
	s_wait_xcnt 0x0
	v_lshlrev_b32_e32 v4, 16, v1
	s_mov_b32 s2, 0
	s_delay_alu instid0(VALU_DEP_1) | instskip(NEXT) | instid1(VALU_DEP_1)
	v_trunc_f32_e32 v4, v4
	v_mul_f32_e64 v6, 0x2f800000, |v4|
	s_delay_alu instid0(VALU_DEP_1) | instskip(SKIP_1) | instid1(VALU_DEP_2)
	v_floor_f32_e32 v7, v6
	v_ashrrev_i32_e32 v6, 31, v4
	v_fma_f32 v8, 0xcf800000, v7, |v4|
	v_cvt_u32_f32_e32 v4, v7
	s_delay_alu instid0(VALU_DEP_3) | instskip(NEXT) | instid1(VALU_DEP_3)
	v_mov_b32_e32 v7, v6
	v_cvt_u32_f32_e32 v8, v8
	s_delay_alu instid0(VALU_DEP_3) | instskip(NEXT) | instid1(VALU_DEP_2)
	v_xor_b32_e32 v9, v4, v6
	v_xor_b32_e32 v8, v8, v6
	s_delay_alu instid0(VALU_DEP_1)
	v_sub_nc_u64_e32 v[6:7], v[8:9], v[6:7]
	global_store_b64 v[2:3], v[6:7], off
.LBB92_2950:
	s_and_not1_b32 vcc_lo, exec_lo, s2
	s_cbranch_vccnz .LBB92_2952
; %bb.2951:
	s_wait_xcnt 0x0
	v_lshlrev_b32_e32 v4, 16, v1
	s_delay_alu instid0(VALU_DEP_1)
	v_cvt_i32_f32_e32 v4, v4
	global_store_b32 v[2:3], v4, off
.LBB92_2952:
	s_mov_b32 s2, 0
.LBB92_2953:
	s_delay_alu instid0(SALU_CYCLE_1)
	s_and_not1_b32 vcc_lo, exec_lo, s2
	s_cbranch_vccnz .LBB92_2955
; %bb.2954:
	s_wait_xcnt 0x0
	v_lshlrev_b32_e32 v4, 16, v1
	s_delay_alu instid0(VALU_DEP_1)
	v_cvt_i32_f32_e32 v4, v4
	global_store_b16 v[2:3], v4, off
.LBB92_2955:
	s_mov_b32 s2, 0
.LBB92_2956:
	s_delay_alu instid0(SALU_CYCLE_1)
	s_and_not1_b32 vcc_lo, exec_lo, s2
	s_cbranch_vccnz .LBB92_2961
; %bb.2957:
	s_wait_xcnt 0x0
	v_lshlrev_b32_e32 v1, 16, v1
	s_cmp_gt_i32 s0, 0
	s_mov_b32 s0, -1
	s_cbranch_scc0 .LBB92_2959
; %bb.2958:
	s_delay_alu instid0(VALU_DEP_1)
	v_cvt_i32_f32_e32 v4, v1
	s_mov_b32 s0, 0
	global_store_b8 v[2:3], v4, off
.LBB92_2959:
	s_and_not1_b32 vcc_lo, exec_lo, s0
	s_cbranch_vccnz .LBB92_2961
; %bb.2960:
	v_trunc_f32_e32 v1, v1
	s_wait_xcnt 0x0
	s_delay_alu instid0(VALU_DEP_1) | instskip(NEXT) | instid1(VALU_DEP_1)
	v_mul_f32_e64 v4, 0x2f800000, |v1|
	v_floor_f32_e32 v4, v4
	s_delay_alu instid0(VALU_DEP_1) | instskip(SKIP_1) | instid1(VALU_DEP_2)
	v_fma_f32 v4, 0xcf800000, v4, |v1|
	v_ashrrev_i32_e32 v1, 31, v1
	v_cvt_u32_f32_e32 v4, v4
	s_delay_alu instid0(VALU_DEP_1) | instskip(NEXT) | instid1(VALU_DEP_1)
	v_xor_b32_e32 v4, v4, v1
	v_sub_nc_u32_e32 v1, v4, v1
	global_store_b8 v[2:3], v1, off
.LBB92_2961:
	s_mov_b32 s6, -1
.LBB92_2962:
	s_delay_alu instid0(SALU_CYCLE_1)
	s_and_not1_b32 vcc_lo, exec_lo, s6
	s_cbranch_vccnz .LBB92_3039
; %bb.2963:
	s_wait_xcnt 0x0
	v_bfe_u32 v1, v5, 16, 1
	v_cmp_o_f32_e32 vcc_lo, v5, v5
	s_cmp_lt_i32 s18, 11
	s_delay_alu instid0(VALU_DEP_2) | instskip(NEXT) | instid1(VALU_DEP_1)
	v_add3_u32 v2, v5, v1, 0x7fff
	v_dual_add_nc_u32 v0, s1, v0 :: v_dual_lshrrev_b32 v2, 16, v2
	s_delay_alu instid0(VALU_DEP_1) | instskip(NEXT) | instid1(VALU_DEP_1)
	v_dual_cndmask_b32 v4, 0x7fc0, v2 :: v_dual_ashrrev_i32 v1, 31, v0
	v_add_nc_u64_e32 v[0:1], s[4:5], v[0:1]
	s_cbranch_scc1 .LBB92_3084
; %bb.2964:
	s_and_b32 s1, 0xffff, s18
	s_mov_b32 s3, -1
	s_mov_b32 s2, 0
	s_cmp_gt_i32 s1, 25
	s_mov_b32 s0, 0
	s_cbranch_scc0 .LBB92_2997
; %bb.2965:
	s_cmp_gt_i32 s1, 28
	s_cbranch_scc0 .LBB92_2981
; %bb.2966:
	s_cmp_gt_i32 s1, 43
	;; [unrolled: 3-line block ×3, first 2 shown]
	s_cbranch_scc0 .LBB92_2971
; %bb.2968:
	s_cmp_eq_u32 s1, 46
	s_mov_b32 s0, -1
	s_cbranch_scc0 .LBB92_2970
; %bb.2969:
	v_and_b32_e32 v2, 0xffff, v4
	s_mov_b32 s0, 0
	global_store_b32 v[0:1], v2, off
.LBB92_2970:
	s_mov_b32 s3, 0
.LBB92_2971:
	s_delay_alu instid0(SALU_CYCLE_1)
	s_and_b32 vcc_lo, exec_lo, s3
	s_cbranch_vccz .LBB92_2976
; %bb.2972:
	s_cmp_eq_u32 s1, 44
	s_mov_b32 s0, -1
	s_cbranch_scc0 .LBB92_2976
; %bb.2973:
	s_wait_xcnt 0x0
	v_and_b32_e32 v2, 0xffff, v4
	v_mov_b32_e32 v3, 0xff
	s_mov_b32 s3, exec_lo
	s_delay_alu instid0(VALU_DEP_2) | instskip(NEXT) | instid1(VALU_DEP_1)
	v_bfe_u32 v5, v2, 7, 8
	v_cmpx_ne_u32_e32 0xff, v5
	s_cbranch_execz .LBB92_2975
; %bb.2974:
	v_dual_lshlrev_b32 v3, 16, v2 :: v_dual_bitop2_b32 v6, 64, v2 bitop3:0x40
	v_lshrrev_b32_e32 v2, 7, v2
	s_delay_alu instid0(VALU_DEP_2) | instskip(NEXT) | instid1(VALU_DEP_3)
	v_and_or_b32 v3, 0x3f0000, v3, v5
	v_cmp_ne_u32_e32 vcc_lo, 0, v6
	s_delay_alu instid0(VALU_DEP_2) | instskip(SKIP_1) | instid1(SALU_CYCLE_1)
	v_cmp_ne_u32_e64 s0, 0, v3
	s_and_b32 s0, vcc_lo, s0
	v_cndmask_b32_e64 v3, 0, 1, s0
	s_delay_alu instid0(VALU_DEP_1)
	v_add_nc_u32_e32 v3, v2, v3
.LBB92_2975:
	s_or_b32 exec_lo, exec_lo, s3
	s_mov_b32 s0, 0
	global_store_b8 v[0:1], v3, off
.LBB92_2976:
	s_mov_b32 s3, 0
.LBB92_2977:
	s_delay_alu instid0(SALU_CYCLE_1)
	s_and_b32 vcc_lo, exec_lo, s3
	s_cbranch_vccz .LBB92_2980
; %bb.2978:
	s_cmp_eq_u32 s1, 29
	s_mov_b32 s0, -1
	s_cbranch_scc0 .LBB92_2980
; %bb.2979:
	s_wait_xcnt 0x0
	v_lshlrev_b32_e32 v2, 16, v4
	s_mov_b32 s0, 0
	s_delay_alu instid0(VALU_DEP_1) | instskip(NEXT) | instid1(VALU_DEP_1)
	v_trunc_f32_e32 v2, v2
	v_mul_f32_e32 v3, 0x2f800000, v2
	s_delay_alu instid0(VALU_DEP_1) | instskip(NEXT) | instid1(VALU_DEP_1)
	v_floor_f32_e32 v3, v3
	v_fmamk_f32 v2, v3, 0xcf800000, v2
	v_cvt_u32_f32_e32 v3, v3
	s_delay_alu instid0(VALU_DEP_2)
	v_cvt_u32_f32_e32 v2, v2
	global_store_b64 v[0:1], v[2:3], off
.LBB92_2980:
	s_mov_b32 s3, 0
.LBB92_2981:
	s_delay_alu instid0(SALU_CYCLE_1)
	s_and_b32 vcc_lo, exec_lo, s3
	s_cbranch_vccz .LBB92_2996
; %bb.2982:
	s_cmp_lt_i32 s1, 27
	s_mov_b32 s3, -1
	s_cbranch_scc1 .LBB92_2988
; %bb.2983:
	s_cmp_gt_i32 s1, 27
	s_cbranch_scc0 .LBB92_2985
; %bb.2984:
	s_wait_xcnt 0x0
	v_lshlrev_b32_e32 v2, 16, v4
	s_mov_b32 s3, 0
	s_delay_alu instid0(VALU_DEP_1)
	v_cvt_u32_f32_e32 v2, v2
	global_store_b32 v[0:1], v2, off
.LBB92_2985:
	s_and_not1_b32 vcc_lo, exec_lo, s3
	s_cbranch_vccnz .LBB92_2987
; %bb.2986:
	s_wait_xcnt 0x0
	v_lshlrev_b32_e32 v2, 16, v4
	s_delay_alu instid0(VALU_DEP_1)
	v_cvt_u32_f32_e32 v2, v2
	global_store_b16 v[0:1], v2, off
.LBB92_2987:
	s_mov_b32 s3, 0
.LBB92_2988:
	s_delay_alu instid0(SALU_CYCLE_1)
	s_and_not1_b32 vcc_lo, exec_lo, s3
	s_cbranch_vccnz .LBB92_2996
; %bb.2989:
	v_dual_mov_b32 v6, 0x80 :: v_dual_lshlrev_b32 v5, 16, v4
	s_mov_b32 s3, exec_lo
	s_wait_xcnt 0x0
	s_delay_alu instid0(VALU_DEP_1) | instskip(NEXT) | instid1(VALU_DEP_1)
	v_and_b32_e32 v3, 0x7fffffff, v5
	v_cmpx_gt_u32_e32 0x43800000, v3
	s_cbranch_execz .LBB92_2995
; %bb.2990:
	v_and_b32_e32 v2, 0xffff, v4
	v_cmp_lt_u32_e32 vcc_lo, 0x3bffffff, v3
	s_mov_b32 s4, 0
                                        ; implicit-def: $vgpr3
	s_and_saveexec_b32 s5, vcc_lo
	s_delay_alu instid0(SALU_CYCLE_1)
	s_xor_b32 s5, exec_lo, s5
	s_cbranch_execz .LBB92_3101
; %bb.2991:
	v_bfe_u32 v3, v2, 4, 1
	s_mov_b32 s4, exec_lo
	s_delay_alu instid0(VALU_DEP_1) | instskip(NEXT) | instid1(VALU_DEP_1)
	v_add3_u32 v3, v5, v3, 0x487ffff
                                        ; implicit-def: $vgpr5
	v_lshrrev_b32_e32 v3, 20, v3
	s_and_not1_saveexec_b32 s5, s5
	s_cbranch_execnz .LBB92_3102
.LBB92_2992:
	s_or_b32 exec_lo, exec_lo, s5
	v_mov_b32_e32 v6, 0
	s_and_saveexec_b32 s5, s4
.LBB92_2993:
	v_lshrrev_b32_e32 v2, 8, v2
	s_delay_alu instid0(VALU_DEP_1)
	v_and_or_b32 v6, 0x80, v2, v3
.LBB92_2994:
	s_or_b32 exec_lo, exec_lo, s5
.LBB92_2995:
	s_delay_alu instid0(SALU_CYCLE_1)
	s_or_b32 exec_lo, exec_lo, s3
	global_store_b8 v[0:1], v6, off
.LBB92_2996:
	s_mov_b32 s3, 0
.LBB92_2997:
	s_delay_alu instid0(SALU_CYCLE_1)
	s_and_b32 vcc_lo, exec_lo, s3
	s_cbranch_vccz .LBB92_3037
; %bb.2998:
	s_cmp_gt_i32 s1, 22
	s_mov_b32 s2, -1
	s_cbranch_scc0 .LBB92_3030
; %bb.2999:
	s_cmp_lt_i32 s1, 24
	s_cbranch_scc1 .LBB92_3019
; %bb.3000:
	s_cmp_gt_i32 s1, 24
	s_cbranch_scc0 .LBB92_3008
; %bb.3001:
	s_wait_xcnt 0x0
	v_dual_mov_b32 v6, 0x80 :: v_dual_lshlrev_b32 v5, 16, v4
	s_mov_b32 s2, exec_lo
	s_delay_alu instid0(VALU_DEP_1) | instskip(NEXT) | instid1(VALU_DEP_1)
	v_and_b32_e32 v3, 0x7fffffff, v5
	v_cmpx_gt_u32_e32 0x47800000, v3
	s_cbranch_execz .LBB92_3007
; %bb.3002:
	v_and_b32_e32 v2, 0xffff, v4
	v_cmp_lt_u32_e32 vcc_lo, 0x37ffffff, v3
	s_mov_b32 s3, 0
                                        ; implicit-def: $vgpr3
	s_and_saveexec_b32 s4, vcc_lo
	s_delay_alu instid0(SALU_CYCLE_1)
	s_xor_b32 s4, exec_lo, s4
	s_cbranch_execz .LBB92_3104
; %bb.3003:
	v_bfe_u32 v3, v2, 5, 1
	s_mov_b32 s3, exec_lo
	s_delay_alu instid0(VALU_DEP_1) | instskip(NEXT) | instid1(VALU_DEP_1)
	v_add3_u32 v3, v5, v3, 0x88fffff
                                        ; implicit-def: $vgpr5
	v_lshrrev_b32_e32 v3, 21, v3
	s_and_not1_saveexec_b32 s4, s4
	s_cbranch_execnz .LBB92_3105
.LBB92_3004:
	s_or_b32 exec_lo, exec_lo, s4
	v_mov_b32_e32 v6, 0
	s_and_saveexec_b32 s4, s3
.LBB92_3005:
	v_lshrrev_b32_e32 v2, 8, v2
	s_delay_alu instid0(VALU_DEP_1)
	v_and_or_b32 v6, 0x80, v2, v3
.LBB92_3006:
	s_or_b32 exec_lo, exec_lo, s4
.LBB92_3007:
	s_delay_alu instid0(SALU_CYCLE_1)
	s_or_b32 exec_lo, exec_lo, s2
	s_mov_b32 s2, 0
	global_store_b8 v[0:1], v6, off
.LBB92_3008:
	s_and_b32 vcc_lo, exec_lo, s2
	s_cbranch_vccz .LBB92_3018
; %bb.3009:
	v_lshlrev_b32_e32 v5, 16, v4
	s_wait_xcnt 0x0
	v_and_b32_e32 v2, 0xffff, v4
	s_mov_b32 s2, exec_lo
                                        ; implicit-def: $vgpr3
	s_delay_alu instid0(VALU_DEP_2) | instskip(NEXT) | instid1(VALU_DEP_1)
	v_and_b32_e32 v6, 0x7fffffff, v5
	v_cmpx_gt_u32_e32 0x43f00000, v6
	s_xor_b32 s2, exec_lo, s2
	s_cbranch_execz .LBB92_3015
; %bb.3010:
	s_mov_b32 s3, exec_lo
                                        ; implicit-def: $vgpr3
	v_cmpx_lt_u32_e32 0x3c7fffff, v6
	s_xor_b32 s3, exec_lo, s3
; %bb.3011:
	v_bfe_u32 v3, v2, 4, 1
	s_delay_alu instid0(VALU_DEP_1) | instskip(NEXT) | instid1(VALU_DEP_1)
	v_add3_u32 v3, v5, v3, 0x407ffff
	v_and_b32_e32 v5, 0xff00000, v3
	v_lshrrev_b32_e32 v3, 20, v3
	s_delay_alu instid0(VALU_DEP_2) | instskip(NEXT) | instid1(VALU_DEP_2)
	v_cmp_ne_u32_e32 vcc_lo, 0x7f00000, v5
                                        ; implicit-def: $vgpr5
	v_cndmask_b32_e32 v3, 0x7e, v3, vcc_lo
; %bb.3012:
	s_and_not1_saveexec_b32 s3, s3
; %bb.3013:
	v_add_f32_e64 v3, 0x46800000, |v5|
; %bb.3014:
	s_or_b32 exec_lo, exec_lo, s3
                                        ; implicit-def: $vgpr6
.LBB92_3015:
	s_and_not1_saveexec_b32 s2, s2
; %bb.3016:
	v_mov_b32_e32 v3, 0x7f
	v_cmp_lt_u32_e32 vcc_lo, 0x7f800000, v6
	s_delay_alu instid0(VALU_DEP_2)
	v_cndmask_b32_e32 v3, 0x7e, v3, vcc_lo
; %bb.3017:
	s_or_b32 exec_lo, exec_lo, s2
	v_lshrrev_b32_e32 v2, 8, v2
	s_delay_alu instid0(VALU_DEP_1)
	v_and_or_b32 v2, 0x80, v2, v3
	global_store_b8 v[0:1], v2, off
.LBB92_3018:
	s_mov_b32 s2, 0
.LBB92_3019:
	s_delay_alu instid0(SALU_CYCLE_1)
	s_and_not1_b32 vcc_lo, exec_lo, s2
	s_cbranch_vccnz .LBB92_3029
; %bb.3020:
	v_lshlrev_b32_e32 v5, 16, v4
	s_wait_xcnt 0x0
	v_and_b32_e32 v2, 0xffff, v4
	s_mov_b32 s2, exec_lo
                                        ; implicit-def: $vgpr3
	s_delay_alu instid0(VALU_DEP_2) | instskip(NEXT) | instid1(VALU_DEP_1)
	v_and_b32_e32 v6, 0x7fffffff, v5
	v_cmpx_gt_u32_e32 0x47800000, v6
	s_xor_b32 s2, exec_lo, s2
	s_cbranch_execz .LBB92_3026
; %bb.3021:
	s_mov_b32 s3, exec_lo
                                        ; implicit-def: $vgpr3
	v_cmpx_lt_u32_e32 0x387fffff, v6
	s_xor_b32 s3, exec_lo, s3
; %bb.3022:
	v_bfe_u32 v3, v2, 5, 1
	s_delay_alu instid0(VALU_DEP_1) | instskip(NEXT) | instid1(VALU_DEP_1)
	v_add3_u32 v3, v5, v3, 0x80fffff
                                        ; implicit-def: $vgpr5
	v_lshrrev_b32_e32 v3, 21, v3
; %bb.3023:
	s_and_not1_saveexec_b32 s3, s3
; %bb.3024:
	v_add_f32_e64 v3, 0x43000000, |v5|
; %bb.3025:
	s_or_b32 exec_lo, exec_lo, s3
                                        ; implicit-def: $vgpr6
.LBB92_3026:
	s_and_not1_saveexec_b32 s2, s2
; %bb.3027:
	v_mov_b32_e32 v3, 0x7f
	v_cmp_lt_u32_e32 vcc_lo, 0x7f800000, v6
	s_delay_alu instid0(VALU_DEP_2)
	v_cndmask_b32_e32 v3, 0x7c, v3, vcc_lo
; %bb.3028:
	s_or_b32 exec_lo, exec_lo, s2
	v_lshrrev_b32_e32 v2, 8, v2
	s_delay_alu instid0(VALU_DEP_1)
	v_and_or_b32 v2, 0x80, v2, v3
	global_store_b8 v[0:1], v2, off
.LBB92_3029:
	s_mov_b32 s2, 0
.LBB92_3030:
	s_delay_alu instid0(SALU_CYCLE_1)
	s_and_not1_b32 vcc_lo, exec_lo, s2
	s_mov_b32 s2, 0
	s_cbranch_vccnz .LBB92_3037
; %bb.3031:
	s_cmp_gt_i32 s1, 14
	s_mov_b32 s2, -1
	s_cbranch_scc0 .LBB92_3035
; %bb.3032:
	s_cmp_eq_u32 s1, 15
	s_mov_b32 s0, -1
	s_cbranch_scc0 .LBB92_3034
; %bb.3033:
	s_mov_b32 s0, 0
	global_store_b16 v[0:1], v4, off
.LBB92_3034:
	s_mov_b32 s2, 0
.LBB92_3035:
	s_delay_alu instid0(SALU_CYCLE_1)
	s_and_b32 vcc_lo, exec_lo, s2
	s_mov_b32 s2, 0
	s_cbranch_vccz .LBB92_3037
; %bb.3036:
	s_cmp_lg_u32 s1, 11
	s_mov_b32 s2, -1
	s_cselect_b32 s0, -1, 0
.LBB92_3037:
	s_delay_alu instid0(SALU_CYCLE_1)
	s_and_b32 vcc_lo, exec_lo, s0
	s_cbranch_vccnz .LBB92_3103
.LBB92_3038:
	s_mov_b32 s0, 0
	s_branch .LBB92_3040
.LBB92_3039:
	s_mov_b32 s0, 0
	s_mov_b32 s2, 0
                                        ; implicit-def: $sgpr18
                                        ; implicit-def: $vgpr0_vgpr1
                                        ; implicit-def: $vgpr4
.LBB92_3040:
	s_and_not1_b32 s1, s17, exec_lo
	s_and_b32 s3, s14, exec_lo
	s_and_b32 s0, s0, exec_lo
	s_and_b32 s14, s2, exec_lo
	s_or_b32 s17, s1, s3
.LBB92_3041:
	s_wait_xcnt 0x0
	s_or_b32 exec_lo, exec_lo, s16
	s_and_saveexec_b32 s1, s17
	s_cbranch_execz .LBB92_3044
; %bb.3042:
	; divergent unreachable
	s_or_b32 exec_lo, exec_lo, s1
	s_and_saveexec_b32 s1, s14
	s_delay_alu instid0(SALU_CYCLE_1)
	s_xor_b32 s1, exec_lo, s1
	s_cbranch_execnz .LBB92_3045
.LBB92_3043:
	s_or_b32 exec_lo, exec_lo, s1
	s_and_saveexec_b32 s1, s0
	s_cbranch_execnz .LBB92_3046
	s_branch .LBB92_3083
.LBB92_3044:
	s_or_b32 exec_lo, exec_lo, s1
	s_and_saveexec_b32 s1, s14
	s_delay_alu instid0(SALU_CYCLE_1)
	s_xor_b32 s1, exec_lo, s1
	s_cbranch_execz .LBB92_3043
.LBB92_3045:
	s_wait_loadcnt 0x0
	v_and_b32_e32 v2, 0x7fff, v4
	s_delay_alu instid0(VALU_DEP_1)
	v_cmp_ne_u16_e32 vcc_lo, 0, v2
	v_cndmask_b32_e64 v2, 0, 1, vcc_lo
	global_store_b8 v[0:1], v2, off
	s_wait_xcnt 0x0
	s_or_b32 exec_lo, exec_lo, s1
	s_and_saveexec_b32 s1, s0
	s_cbranch_execz .LBB92_3083
.LBB92_3046:
	s_sext_i32_i16 s1, s18
	s_mov_b32 s0, -1
	s_cmp_lt_i32 s1, 5
	s_cbranch_scc1 .LBB92_3067
; %bb.3047:
	s_cmp_lt_i32 s1, 8
	s_cbranch_scc1 .LBB92_3057
; %bb.3048:
	;; [unrolled: 3-line block ×3, first 2 shown]
	s_wait_loadcnt 0x0
	v_lshlrev_b32_e32 v2, 16, v4
	s_cmp_gt_i32 s1, 9
	s_cbranch_scc0 .LBB92_3051
; %bb.3050:
	s_delay_alu instid0(VALU_DEP_1) | instskip(SKIP_2) | instid1(VALU_DEP_1)
	v_cvt_f64_f32_e32 v[6:7], v2
	v_mov_b32_e32 v8, 0
	s_mov_b32 s0, 0
	v_mov_b32_e32 v9, v8
	global_store_b128 v[0:1], v[6:9], off
.LBB92_3051:
	s_and_not1_b32 vcc_lo, exec_lo, s0
	s_cbranch_vccnz .LBB92_3053
; %bb.3052:
	v_mov_b32_e32 v3, 0
	global_store_b64 v[0:1], v[2:3], off
.LBB92_3053:
	s_mov_b32 s0, 0
.LBB92_3054:
	s_delay_alu instid0(SALU_CYCLE_1)
	s_and_not1_b32 vcc_lo, exec_lo, s0
	s_cbranch_vccnz .LBB92_3056
; %bb.3055:
	s_wait_loadcnt 0x0
	v_lshlrev_b32_e32 v2, 16, v4
	s_delay_alu instid0(VALU_DEP_1) | instskip(NEXT) | instid1(VALU_DEP_1)
	v_cvt_f16_f32_e32 v2, v2
	v_and_b32_e32 v2, 0xffff, v2
	global_store_b32 v[0:1], v2, off
.LBB92_3056:
	s_mov_b32 s0, 0
.LBB92_3057:
	s_delay_alu instid0(SALU_CYCLE_1)
	s_and_not1_b32 vcc_lo, exec_lo, s0
	s_cbranch_vccnz .LBB92_3066
; %bb.3058:
	s_sext_i32_i16 s1, s18
	s_mov_b32 s0, -1
	s_cmp_lt_i32 s1, 6
	s_cbranch_scc1 .LBB92_3064
; %bb.3059:
	s_wait_loadcnt 0x0
	v_lshlrev_b32_e32 v2, 16, v4
	s_cmp_gt_i32 s1, 6
	s_cbranch_scc0 .LBB92_3061
; %bb.3060:
	s_delay_alu instid0(VALU_DEP_1)
	v_cvt_f64_f32_e32 v[6:7], v2
	s_mov_b32 s0, 0
	global_store_b64 v[0:1], v[6:7], off
.LBB92_3061:
	s_and_not1_b32 vcc_lo, exec_lo, s0
	s_cbranch_vccnz .LBB92_3063
; %bb.3062:
	global_store_b32 v[0:1], v2, off
.LBB92_3063:
	s_mov_b32 s0, 0
.LBB92_3064:
	s_delay_alu instid0(SALU_CYCLE_1)
	s_and_not1_b32 vcc_lo, exec_lo, s0
	s_cbranch_vccnz .LBB92_3066
; %bb.3065:
	s_wait_loadcnt 0x0
	v_lshlrev_b32_e32 v2, 16, v4
	s_delay_alu instid0(VALU_DEP_1)
	v_cvt_f16_f32_e32 v2, v2
	global_store_b16 v[0:1], v2, off
.LBB92_3066:
	s_mov_b32 s0, 0
.LBB92_3067:
	s_delay_alu instid0(SALU_CYCLE_1)
	s_and_not1_b32 vcc_lo, exec_lo, s0
	s_cbranch_vccnz .LBB92_3083
; %bb.3068:
	s_sext_i32_i16 s1, s18
	s_mov_b32 s0, -1
	s_cmp_lt_i32 s1, 2
	s_cbranch_scc1 .LBB92_3078
; %bb.3069:
	s_cmp_lt_i32 s1, 3
	s_cbranch_scc1 .LBB92_3075
; %bb.3070:
	s_wait_loadcnt 0x0
	v_lshlrev_b32_e32 v2, 16, v4
	s_cmp_gt_i32 s1, 3
	s_cbranch_scc0 .LBB92_3072
; %bb.3071:
	s_delay_alu instid0(VALU_DEP_1) | instskip(SKIP_1) | instid1(VALU_DEP_1)
	v_trunc_f32_e32 v3, v2
	s_mov_b32 s0, 0
	v_mul_f32_e64 v5, 0x2f800000, |v3|
	v_ashrrev_i32_e32 v6, 31, v3
	s_delay_alu instid0(VALU_DEP_2) | instskip(NEXT) | instid1(VALU_DEP_1)
	v_floor_f32_e32 v5, v5
	v_fma_f32 v7, 0xcf800000, v5, |v3|
	v_cvt_u32_f32_e32 v3, v5
	s_delay_alu instid0(VALU_DEP_2) | instskip(NEXT) | instid1(VALU_DEP_2)
	v_cvt_u32_f32_e32 v5, v7
	v_dual_mov_b32 v7, v6 :: v_dual_bitop2_b32 v9, v3, v6 bitop3:0x14
	s_delay_alu instid0(VALU_DEP_2) | instskip(NEXT) | instid1(VALU_DEP_1)
	v_xor_b32_e32 v8, v5, v6
	v_sub_nc_u64_e32 v[6:7], v[8:9], v[6:7]
	global_store_b64 v[0:1], v[6:7], off
.LBB92_3072:
	s_and_not1_b32 vcc_lo, exec_lo, s0
	s_cbranch_vccnz .LBB92_3074
; %bb.3073:
	v_cvt_i32_f32_e32 v2, v2
	global_store_b32 v[0:1], v2, off
.LBB92_3074:
	s_mov_b32 s0, 0
.LBB92_3075:
	s_delay_alu instid0(SALU_CYCLE_1)
	s_and_not1_b32 vcc_lo, exec_lo, s0
	s_cbranch_vccnz .LBB92_3077
; %bb.3076:
	s_wait_loadcnt 0x0
	v_lshlrev_b32_e32 v2, 16, v4
	s_delay_alu instid0(VALU_DEP_1)
	v_cvt_i32_f32_e32 v2, v2
	global_store_b16 v[0:1], v2, off
.LBB92_3077:
	s_mov_b32 s0, 0
.LBB92_3078:
	s_delay_alu instid0(SALU_CYCLE_1)
	s_and_not1_b32 vcc_lo, exec_lo, s0
	s_cbranch_vccnz .LBB92_3083
; %bb.3079:
	s_wait_loadcnt 0x0
	v_lshlrev_b32_e32 v2, 16, v4
	s_sext_i32_i16 s0, s18
	s_delay_alu instid0(SALU_CYCLE_1)
	s_cmp_gt_i32 s0, 0
	s_mov_b32 s0, -1
	s_cbranch_scc0 .LBB92_3081
; %bb.3080:
	v_cvt_i32_f32_e32 v3, v2
	s_mov_b32 s0, 0
	global_store_b8 v[0:1], v3, off
.LBB92_3081:
	s_and_not1_b32 vcc_lo, exec_lo, s0
	s_cbranch_vccnz .LBB92_3083
; %bb.3082:
	v_trunc_f32_e32 v2, v2
	s_wait_xcnt 0x0
	s_delay_alu instid0(VALU_DEP_1) | instskip(NEXT) | instid1(VALU_DEP_1)
	v_mul_f32_e64 v3, 0x2f800000, |v2|
	v_floor_f32_e32 v3, v3
	s_delay_alu instid0(VALU_DEP_1) | instskip(SKIP_1) | instid1(VALU_DEP_2)
	v_fma_f32 v3, 0xcf800000, v3, |v2|
	v_ashrrev_i32_e32 v2, 31, v2
	v_cvt_u32_f32_e32 v3, v3
	s_delay_alu instid0(VALU_DEP_1) | instskip(NEXT) | instid1(VALU_DEP_1)
	v_xor_b32_e32 v3, v3, v2
	v_sub_nc_u32_e32 v2, v3, v2
	global_store_b8 v[0:1], v2, off
	s_endpgm
.LBB92_3083:
	s_endpgm
.LBB92_3084:
	s_mov_b32 s2, 0
	s_mov_b32 s0, -1
	s_branch .LBB92_3040
.LBB92_3085:
	s_or_b32 s14, s14, exec_lo
	s_trap 2
	s_cbranch_execz .LBB92_2552
	s_branch .LBB92_2553
.LBB92_3086:
	s_and_not1_saveexec_b32 s7, s7
	s_cbranch_execz .LBB92_2634
.LBB92_3087:
	v_add_f32_e64 v7, 0x46000000, |v9|
	s_and_not1_b32 s6, s6, exec_lo
	s_delay_alu instid0(VALU_DEP_1) | instskip(NEXT) | instid1(VALU_DEP_1)
	v_and_b32_e32 v7, 0xff, v7
	v_cmp_ne_u32_e32 vcc_lo, 0, v7
	s_and_b32 s9, vcc_lo, exec_lo
	s_delay_alu instid0(SALU_CYCLE_1)
	s_or_b32 s6, s6, s9
	s_or_b32 exec_lo, exec_lo, s7
	v_mov_b32_e32 v10, 0
	s_and_saveexec_b32 s7, s6
	s_cbranch_execnz .LBB92_2635
	s_branch .LBB92_2636
.LBB92_3088:
	s_or_b32 s14, s14, exec_lo
	s_trap 2
	s_cbranch_execz .LBB92_2682
	s_branch .LBB92_2683
.LBB92_3089:
	s_and_not1_saveexec_b32 s6, s6
	s_cbranch_execz .LBB92_2647
.LBB92_3090:
	v_add_f32_e64 v7, 0x42800000, |v9|
	s_and_not1_b32 s3, s3, exec_lo
	s_delay_alu instid0(VALU_DEP_1) | instskip(NEXT) | instid1(VALU_DEP_1)
	v_and_b32_e32 v7, 0xff, v7
	v_cmp_ne_u32_e32 vcc_lo, 0, v7
	s_and_b32 s7, vcc_lo, exec_lo
	s_delay_alu instid0(SALU_CYCLE_1)
	s_or_b32 s3, s3, s7
	s_or_b32 exec_lo, exec_lo, s6
	v_mov_b32_e32 v10, 0
	s_and_saveexec_b32 s6, s3
	s_cbranch_execnz .LBB92_2648
	s_branch .LBB92_2649
.LBB92_3091:
	s_and_not1_saveexec_b32 s8, s8
	s_cbranch_execz .LBB92_2753
.LBB92_3092:
	v_add_f32_e64 v7, 0x46000000, |v8|
	s_and_not1_b32 s7, s7, exec_lo
	s_delay_alu instid0(VALU_DEP_1) | instskip(NEXT) | instid1(VALU_DEP_1)
	v_and_b32_e32 v7, 0xff, v7
	v_cmp_ne_u32_e32 vcc_lo, 0, v7
	s_and_b32 s9, vcc_lo, exec_lo
	s_delay_alu instid0(SALU_CYCLE_1)
	s_or_b32 s7, s7, s9
	s_or_b32 exec_lo, exec_lo, s8
	v_mov_b32_e32 v9, 0
	s_and_saveexec_b32 s8, s7
	s_cbranch_execnz .LBB92_2754
	s_branch .LBB92_2755
.LBB92_3093:
	s_or_b32 s14, s14, exec_lo
	s_trap 2
	s_cbranch_execz .LBB92_2801
	s_branch .LBB92_2802
.LBB92_3094:
	s_and_not1_saveexec_b32 s7, s7
	s_cbranch_execz .LBB92_2766
.LBB92_3095:
	v_add_f32_e64 v7, 0x42800000, |v8|
	s_and_not1_b32 s6, s6, exec_lo
	s_delay_alu instid0(VALU_DEP_1) | instskip(NEXT) | instid1(VALU_DEP_1)
	v_and_b32_e32 v7, 0xff, v7
	v_cmp_ne_u32_e32 vcc_lo, 0, v7
	s_and_b32 s8, vcc_lo, exec_lo
	s_delay_alu instid0(SALU_CYCLE_1)
	s_or_b32 s6, s6, s8
	s_or_b32 exec_lo, exec_lo, s7
	v_mov_b32_e32 v9, 0
	s_and_saveexec_b32 s7, s6
	s_cbranch_execnz .LBB92_2767
	s_branch .LBB92_2768
.LBB92_3096:
	s_and_not1_saveexec_b32 s8, s8
	s_cbranch_execz .LBB92_2872
.LBB92_3097:
	v_add_f32_e64 v6, 0x46000000, |v7|
	s_and_not1_b32 s7, s7, exec_lo
	s_delay_alu instid0(VALU_DEP_1) | instskip(NEXT) | instid1(VALU_DEP_1)
	v_and_b32_e32 v6, 0xff, v6
	v_cmp_ne_u32_e32 vcc_lo, 0, v6
	s_and_b32 s9, vcc_lo, exec_lo
	s_delay_alu instid0(SALU_CYCLE_1)
	s_or_b32 s7, s7, s9
	s_or_b32 exec_lo, exec_lo, s8
	v_mov_b32_e32 v8, 0
	s_and_saveexec_b32 s8, s7
	s_cbranch_execnz .LBB92_2873
	s_branch .LBB92_2874
.LBB92_3098:
	s_or_b32 s14, s14, exec_lo
	s_trap 2
	s_cbranch_execz .LBB92_2920
	s_branch .LBB92_2921
.LBB92_3099:
	s_and_not1_saveexec_b32 s7, s7
	s_cbranch_execz .LBB92_2885
.LBB92_3100:
	v_add_f32_e64 v6, 0x42800000, |v7|
	s_and_not1_b32 s6, s6, exec_lo
	s_delay_alu instid0(VALU_DEP_1) | instskip(NEXT) | instid1(VALU_DEP_1)
	v_and_b32_e32 v6, 0xff, v6
	v_cmp_ne_u32_e32 vcc_lo, 0, v6
	s_and_b32 s8, vcc_lo, exec_lo
	s_delay_alu instid0(SALU_CYCLE_1)
	s_or_b32 s6, s6, s8
	s_or_b32 exec_lo, exec_lo, s7
	v_mov_b32_e32 v8, 0
	s_and_saveexec_b32 s7, s6
	s_cbranch_execnz .LBB92_2886
	s_branch .LBB92_2887
.LBB92_3101:
	s_and_not1_saveexec_b32 s5, s5
	s_cbranch_execz .LBB92_2992
.LBB92_3102:
	v_add_f32_e64 v3, 0x46000000, |v5|
	s_and_not1_b32 s4, s4, exec_lo
	s_delay_alu instid0(VALU_DEP_1) | instskip(NEXT) | instid1(VALU_DEP_1)
	v_and_b32_e32 v3, 0xff, v3
	v_cmp_ne_u32_e32 vcc_lo, 0, v3
	s_and_b32 s6, vcc_lo, exec_lo
	s_delay_alu instid0(SALU_CYCLE_1)
	s_or_b32 s4, s4, s6
	s_or_b32 exec_lo, exec_lo, s5
	v_mov_b32_e32 v6, 0
	s_and_saveexec_b32 s5, s4
	s_cbranch_execnz .LBB92_2993
	s_branch .LBB92_2994
.LBB92_3103:
	s_mov_b32 s2, 0
	s_or_b32 s14, s14, exec_lo
	s_trap 2
	s_branch .LBB92_3038
.LBB92_3104:
	s_and_not1_saveexec_b32 s4, s4
	s_cbranch_execz .LBB92_3004
.LBB92_3105:
	v_add_f32_e64 v3, 0x42800000, |v5|
	s_and_not1_b32 s3, s3, exec_lo
	s_delay_alu instid0(VALU_DEP_1) | instskip(NEXT) | instid1(VALU_DEP_1)
	v_and_b32_e32 v3, 0xff, v3
	v_cmp_ne_u32_e32 vcc_lo, 0, v3
	s_and_b32 s5, vcc_lo, exec_lo
	s_delay_alu instid0(SALU_CYCLE_1)
	s_or_b32 s3, s3, s5
	s_or_b32 exec_lo, exec_lo, s4
	v_mov_b32_e32 v6, 0
	s_and_saveexec_b32 s4, s3
	s_cbranch_execnz .LBB92_3005
	s_branch .LBB92_3006
	.section	.rodata,"a",@progbits
	.p2align	6, 0x0
	.amdhsa_kernel _ZN2at6native32elementwise_kernel_manual_unrollILi128ELi4EZNS0_15gpu_kernel_implIZZZNS0_12_GLOBAL__N_124softplus_backward_kernelERNS_18TensorIteratorBaseERKN3c106ScalarES9_ENKUlvE_clEvENKUlvE2_clEvEUlNS6_8BFloat16ESC_E_EEvS5_RKT_EUlibE_EEviT1_
		.amdhsa_group_segment_fixed_size 0
		.amdhsa_private_segment_fixed_size 0
		.amdhsa_kernarg_size 56
		.amdhsa_user_sgpr_count 2
		.amdhsa_user_sgpr_dispatch_ptr 0
		.amdhsa_user_sgpr_queue_ptr 0
		.amdhsa_user_sgpr_kernarg_segment_ptr 1
		.amdhsa_user_sgpr_dispatch_id 0
		.amdhsa_user_sgpr_kernarg_preload_length 0
		.amdhsa_user_sgpr_kernarg_preload_offset 0
		.amdhsa_user_sgpr_private_segment_size 0
		.amdhsa_wavefront_size32 1
		.amdhsa_uses_dynamic_stack 0
		.amdhsa_enable_private_segment 0
		.amdhsa_system_sgpr_workgroup_id_x 1
		.amdhsa_system_sgpr_workgroup_id_y 0
		.amdhsa_system_sgpr_workgroup_id_z 0
		.amdhsa_system_sgpr_workgroup_info 0
		.amdhsa_system_vgpr_workitem_id 0
		.amdhsa_next_free_vgpr 14
		.amdhsa_next_free_sgpr 37
		.amdhsa_named_barrier_count 0
		.amdhsa_reserve_vcc 1
		.amdhsa_float_round_mode_32 0
		.amdhsa_float_round_mode_16_64 0
		.amdhsa_float_denorm_mode_32 3
		.amdhsa_float_denorm_mode_16_64 3
		.amdhsa_fp16_overflow 0
		.amdhsa_memory_ordered 1
		.amdhsa_forward_progress 1
		.amdhsa_inst_pref_size 255
		.amdhsa_round_robin_scheduling 0
		.amdhsa_exception_fp_ieee_invalid_op 0
		.amdhsa_exception_fp_denorm_src 0
		.amdhsa_exception_fp_ieee_div_zero 0
		.amdhsa_exception_fp_ieee_overflow 0
		.amdhsa_exception_fp_ieee_underflow 0
		.amdhsa_exception_fp_ieee_inexact 0
		.amdhsa_exception_int_div_zero 0
	.end_amdhsa_kernel
	.section	.text._ZN2at6native32elementwise_kernel_manual_unrollILi128ELi4EZNS0_15gpu_kernel_implIZZZNS0_12_GLOBAL__N_124softplus_backward_kernelERNS_18TensorIteratorBaseERKN3c106ScalarES9_ENKUlvE_clEvENKUlvE2_clEvEUlNS6_8BFloat16ESC_E_EEvS5_RKT_EUlibE_EEviT1_,"axG",@progbits,_ZN2at6native32elementwise_kernel_manual_unrollILi128ELi4EZNS0_15gpu_kernel_implIZZZNS0_12_GLOBAL__N_124softplus_backward_kernelERNS_18TensorIteratorBaseERKN3c106ScalarES9_ENKUlvE_clEvENKUlvE2_clEvEUlNS6_8BFloat16ESC_E_EEvS5_RKT_EUlibE_EEviT1_,comdat
.Lfunc_end92:
	.size	_ZN2at6native32elementwise_kernel_manual_unrollILi128ELi4EZNS0_15gpu_kernel_implIZZZNS0_12_GLOBAL__N_124softplus_backward_kernelERNS_18TensorIteratorBaseERKN3c106ScalarES9_ENKUlvE_clEvENKUlvE2_clEvEUlNS6_8BFloat16ESC_E_EEvS5_RKT_EUlibE_EEviT1_, .Lfunc_end92-_ZN2at6native32elementwise_kernel_manual_unrollILi128ELi4EZNS0_15gpu_kernel_implIZZZNS0_12_GLOBAL__N_124softplus_backward_kernelERNS_18TensorIteratorBaseERKN3c106ScalarES9_ENKUlvE_clEvENKUlvE2_clEvEUlNS6_8BFloat16ESC_E_EEvS5_RKT_EUlibE_EEviT1_
                                        ; -- End function
	.set _ZN2at6native32elementwise_kernel_manual_unrollILi128ELi4EZNS0_15gpu_kernel_implIZZZNS0_12_GLOBAL__N_124softplus_backward_kernelERNS_18TensorIteratorBaseERKN3c106ScalarES9_ENKUlvE_clEvENKUlvE2_clEvEUlNS6_8BFloat16ESC_E_EEvS5_RKT_EUlibE_EEviT1_.num_vgpr, 14
	.set _ZN2at6native32elementwise_kernel_manual_unrollILi128ELi4EZNS0_15gpu_kernel_implIZZZNS0_12_GLOBAL__N_124softplus_backward_kernelERNS_18TensorIteratorBaseERKN3c106ScalarES9_ENKUlvE_clEvENKUlvE2_clEvEUlNS6_8BFloat16ESC_E_EEvS5_RKT_EUlibE_EEviT1_.num_agpr, 0
	.set _ZN2at6native32elementwise_kernel_manual_unrollILi128ELi4EZNS0_15gpu_kernel_implIZZZNS0_12_GLOBAL__N_124softplus_backward_kernelERNS_18TensorIteratorBaseERKN3c106ScalarES9_ENKUlvE_clEvENKUlvE2_clEvEUlNS6_8BFloat16ESC_E_EEvS5_RKT_EUlibE_EEviT1_.numbered_sgpr, 37
	.set _ZN2at6native32elementwise_kernel_manual_unrollILi128ELi4EZNS0_15gpu_kernel_implIZZZNS0_12_GLOBAL__N_124softplus_backward_kernelERNS_18TensorIteratorBaseERKN3c106ScalarES9_ENKUlvE_clEvENKUlvE2_clEvEUlNS6_8BFloat16ESC_E_EEvS5_RKT_EUlibE_EEviT1_.num_named_barrier, 0
	.set _ZN2at6native32elementwise_kernel_manual_unrollILi128ELi4EZNS0_15gpu_kernel_implIZZZNS0_12_GLOBAL__N_124softplus_backward_kernelERNS_18TensorIteratorBaseERKN3c106ScalarES9_ENKUlvE_clEvENKUlvE2_clEvEUlNS6_8BFloat16ESC_E_EEvS5_RKT_EUlibE_EEviT1_.private_seg_size, 0
	.set _ZN2at6native32elementwise_kernel_manual_unrollILi128ELi4EZNS0_15gpu_kernel_implIZZZNS0_12_GLOBAL__N_124softplus_backward_kernelERNS_18TensorIteratorBaseERKN3c106ScalarES9_ENKUlvE_clEvENKUlvE2_clEvEUlNS6_8BFloat16ESC_E_EEvS5_RKT_EUlibE_EEviT1_.uses_vcc, 1
	.set _ZN2at6native32elementwise_kernel_manual_unrollILi128ELi4EZNS0_15gpu_kernel_implIZZZNS0_12_GLOBAL__N_124softplus_backward_kernelERNS_18TensorIteratorBaseERKN3c106ScalarES9_ENKUlvE_clEvENKUlvE2_clEvEUlNS6_8BFloat16ESC_E_EEvS5_RKT_EUlibE_EEviT1_.uses_flat_scratch, 0
	.set _ZN2at6native32elementwise_kernel_manual_unrollILi128ELi4EZNS0_15gpu_kernel_implIZZZNS0_12_GLOBAL__N_124softplus_backward_kernelERNS_18TensorIteratorBaseERKN3c106ScalarES9_ENKUlvE_clEvENKUlvE2_clEvEUlNS6_8BFloat16ESC_E_EEvS5_RKT_EUlibE_EEviT1_.has_dyn_sized_stack, 0
	.set _ZN2at6native32elementwise_kernel_manual_unrollILi128ELi4EZNS0_15gpu_kernel_implIZZZNS0_12_GLOBAL__N_124softplus_backward_kernelERNS_18TensorIteratorBaseERKN3c106ScalarES9_ENKUlvE_clEvENKUlvE2_clEvEUlNS6_8BFloat16ESC_E_EEvS5_RKT_EUlibE_EEviT1_.has_recursion, 0
	.set _ZN2at6native32elementwise_kernel_manual_unrollILi128ELi4EZNS0_15gpu_kernel_implIZZZNS0_12_GLOBAL__N_124softplus_backward_kernelERNS_18TensorIteratorBaseERKN3c106ScalarES9_ENKUlvE_clEvENKUlvE2_clEvEUlNS6_8BFloat16ESC_E_EEvS5_RKT_EUlibE_EEviT1_.has_indirect_call, 0
	.section	.AMDGPU.csdata,"",@progbits
; Kernel info:
; codeLenInByte = 71212
; TotalNumSgprs: 39
; NumVgprs: 14
; ScratchSize: 0
; MemoryBound: 0
; FloatMode: 240
; IeeeMode: 1
; LDSByteSize: 0 bytes/workgroup (compile time only)
; SGPRBlocks: 0
; VGPRBlocks: 0
; NumSGPRsForWavesPerEU: 39
; NumVGPRsForWavesPerEU: 14
; NamedBarCnt: 0
; Occupancy: 16
; WaveLimiterHint : 0
; COMPUTE_PGM_RSRC2:SCRATCH_EN: 0
; COMPUTE_PGM_RSRC2:USER_SGPR: 2
; COMPUTE_PGM_RSRC2:TRAP_HANDLER: 0
; COMPUTE_PGM_RSRC2:TGID_X_EN: 1
; COMPUTE_PGM_RSRC2:TGID_Y_EN: 0
; COMPUTE_PGM_RSRC2:TGID_Z_EN: 0
; COMPUTE_PGM_RSRC2:TIDIG_COMP_CNT: 0
	.section	.text._ZN2at6native32elementwise_kernel_manual_unrollILi128ELi4EZNS0_15gpu_kernel_implIZZZNS0_12_GLOBAL__N_124softplus_backward_kernelERNS_18TensorIteratorBaseERKN3c106ScalarES9_ENKUlvE_clEvENKUlvE2_clEvEUlNS6_8BFloat16ESC_E_EEvS5_RKT_EUlibE0_EEviT1_,"axG",@progbits,_ZN2at6native32elementwise_kernel_manual_unrollILi128ELi4EZNS0_15gpu_kernel_implIZZZNS0_12_GLOBAL__N_124softplus_backward_kernelERNS_18TensorIteratorBaseERKN3c106ScalarES9_ENKUlvE_clEvENKUlvE2_clEvEUlNS6_8BFloat16ESC_E_EEvS5_RKT_EUlibE0_EEviT1_,comdat
	.globl	_ZN2at6native32elementwise_kernel_manual_unrollILi128ELi4EZNS0_15gpu_kernel_implIZZZNS0_12_GLOBAL__N_124softplus_backward_kernelERNS_18TensorIteratorBaseERKN3c106ScalarES9_ENKUlvE_clEvENKUlvE2_clEvEUlNS6_8BFloat16ESC_E_EEvS5_RKT_EUlibE0_EEviT1_ ; -- Begin function _ZN2at6native32elementwise_kernel_manual_unrollILi128ELi4EZNS0_15gpu_kernel_implIZZZNS0_12_GLOBAL__N_124softplus_backward_kernelERNS_18TensorIteratorBaseERKN3c106ScalarES9_ENKUlvE_clEvENKUlvE2_clEvEUlNS6_8BFloat16ESC_E_EEvS5_RKT_EUlibE0_EEviT1_
	.p2align	8
	.type	_ZN2at6native32elementwise_kernel_manual_unrollILi128ELi4EZNS0_15gpu_kernel_implIZZZNS0_12_GLOBAL__N_124softplus_backward_kernelERNS_18TensorIteratorBaseERKN3c106ScalarES9_ENKUlvE_clEvENKUlvE2_clEvEUlNS6_8BFloat16ESC_E_EEvS5_RKT_EUlibE0_EEviT1_,@function
_ZN2at6native32elementwise_kernel_manual_unrollILi128ELi4EZNS0_15gpu_kernel_implIZZZNS0_12_GLOBAL__N_124softplus_backward_kernelERNS_18TensorIteratorBaseERKN3c106ScalarES9_ENKUlvE_clEvENKUlvE2_clEvEUlNS6_8BFloat16ESC_E_EEvS5_RKT_EUlibE0_EEviT1_: ; @_ZN2at6native32elementwise_kernel_manual_unrollILi128ELi4EZNS0_15gpu_kernel_implIZZZNS0_12_GLOBAL__N_124softplus_backward_kernelERNS_18TensorIteratorBaseERKN3c106ScalarES9_ENKUlvE_clEvENKUlvE2_clEvEUlNS6_8BFloat16ESC_E_EEvS5_RKT_EUlibE0_EEviT1_
; %bb.0:
	s_clause 0x1
	s_load_b32 s28, s[0:1], 0x8
	s_load_b32 s38, s[0:1], 0x0
	s_bfe_u32 s2, ttmp6, 0x4000c
	s_and_b32 s3, ttmp6, 15
	s_add_co_i32 s2, s2, 1
	s_getreg_b32 s4, hwreg(HW_REG_IB_STS2, 6, 4)
	s_mul_i32 s2, ttmp9, s2
	s_mov_b32 s30, 0
	s_add_co_i32 s3, s3, s2
	s_cmp_eq_u32 s4, 0
	s_mov_b32 s27, -1
	s_cselect_b32 s2, ttmp9, s3
	s_mov_b32 s10, 0
	v_lshl_or_b32 v0, s2, 9, v0
	s_add_nc_u64 s[2:3], s[0:1], 8
	s_wait_xcnt 0x0
	s_mov_b32 s0, exec_lo
	s_delay_alu instid0(VALU_DEP_1) | instskip(SKIP_2) | instid1(SALU_CYCLE_1)
	v_or_b32_e32 v5, 0x180, v0
	s_wait_kmcnt 0x0
	s_add_co_i32 s29, s28, -1
	s_cmp_gt_u32 s29, 1
	s_cselect_b32 s31, -1, 0
	v_cmpx_le_i32_e64 s38, v5
	s_xor_b32 s33, exec_lo, s0
	s_cbranch_execz .LBB93_1601
; %bb.1:
	s_clause 0x5
	s_load_b128 s[12:15], s[2:3], 0x4
	s_load_b64 s[0:1], s[2:3], 0x14
	s_load_b32 s34, s[2:3], 0x1a8
	s_load_b128 s[16:19], s[2:3], 0xc4
	s_load_b64 s[22:23], s[2:3], 0xd4
	s_load_b256 s[4:11], s[2:3], 0x188
	s_cmp_lg_u32 s28, 0
	s_mov_b32 s21, 0
	s_cselect_b32 s39, -1, 0
	s_min_u32 s37, s29, 15
	s_cmp_gt_u32 s28, 1
	s_mov_b32 s25, s21
	s_mov_b32 s42, s21
	;; [unrolled: 1-line block ×3, first 2 shown]
	s_cselect_b32 s36, -1, 0
	s_mov_b32 s40, s21
	s_mov_b32 s43, exec_lo
	s_wait_kmcnt 0x0
	s_mov_b32 s20, s13
	s_mov_b32 s24, s0
	s_lshr_b32 s35, s34, 8
	s_lshr_b32 s13, s34, 16
	v_cmpx_gt_i32_e64 s38, v0
	s_cbranch_execz .LBB93_395
; %bb.2:
	s_and_not1_b32 vcc_lo, exec_lo, s31
	s_cbranch_vccnz .LBB93_8
; %bb.3:
	s_and_not1_b32 vcc_lo, exec_lo, s39
	s_cbranch_vccnz .LBB93_9
; %bb.4:
	v_dual_mov_b32 v2, 0 :: v_dual_mov_b32 v1, v0
	v_dual_mov_b32 v6, 0 :: v_dual_mov_b32 v4, 0
	s_add_co_i32 s0, s37, 1
	s_mov_b64 s[26:27], 0xffffffffffffffe8
	s_and_b32 s0, s0, 30
	s_add_nc_u64 s[26:27], s[2:3], s[26:27]
.LBB93_5:                               ; =>This Inner Loop Header: Depth=1
	s_clause 0x1
	s_load_b128 s[44:47], s[26:27], 0x1c
	s_load_b64 s[40:41], s[26:27], 0x2c
	s_add_co_i32 s0, s0, -2
	s_delay_alu instid0(SALU_CYCLE_1) | instskip(SKIP_2) | instid1(VALU_DEP_1)
	s_cmp_lg_u32 s0, 0
	s_wait_kmcnt 0x0
	v_mul_hi_u32 v3, s45, v1
	v_add_nc_u32_e32 v3, v1, v3
	s_delay_alu instid0(VALU_DEP_1) | instskip(NEXT) | instid1(VALU_DEP_1)
	v_lshrrev_b32_e32 v3, s46, v3
	v_mul_hi_u32 v5, s40, v3
	v_mul_lo_u32 v7, v3, s44
	s_clause 0x1
	s_load_b128 s[48:51], s[26:27], 0xdc
	s_load_b64 s[44:45], s[26:27], 0xec
	s_wait_xcnt 0x0
	s_add_nc_u64 s[26:27], s[26:27], 24
	s_delay_alu instid0(VALU_DEP_1) | instskip(NEXT) | instid1(VALU_DEP_1)
	v_dual_add_nc_u32 v5, v3, v5 :: v_dual_sub_nc_u32 v7, v1, v7
	v_lshrrev_b32_e32 v1, s41, v5
	s_wait_kmcnt 0x0
	s_delay_alu instid0(VALU_DEP_2) | instskip(NEXT) | instid1(VALU_DEP_2)
	v_mad_u32 v2, v7, s48, v2
	v_mul_lo_u32 v5, v1, s47
	v_mad_u32 v4, v7, s50, v4
	v_mad_u32 v6, v7, s49, v6
	s_delay_alu instid0(VALU_DEP_3) | instskip(NEXT) | instid1(VALU_DEP_1)
	v_sub_nc_u32_e32 v3, v3, v5
	v_mad_u32 v2, v3, s51, v2
	s_delay_alu instid0(VALU_DEP_4) | instskip(NEXT) | instid1(VALU_DEP_4)
	v_mad_u32 v4, v3, s45, v4
	v_mad_u32 v6, v3, s44, v6
	s_cbranch_scc1 .LBB93_5
; %bb.6:
	s_bitcmp1_b32 s37, 0
	s_cselect_b32 s0, -1, 0
	s_delay_alu instid0(SALU_CYCLE_1)
	s_and_b32 vcc_lo, exec_lo, s0
	s_cbranch_vccnz .LBB93_10
; %bb.7:
	s_clause 0x1
	s_load_b96 s[40:42], s[26:27], 0x1c
	s_load_b96 s[44:46], s[26:27], 0xdc
	s_wait_kmcnt 0x0
	v_mul_hi_u32 v3, s41, v1
	s_delay_alu instid0(VALU_DEP_1) | instskip(NEXT) | instid1(VALU_DEP_1)
	v_add_nc_u32_e32 v3, v1, v3
	v_lshrrev_b32_e32 v3, s42, v3
	s_delay_alu instid0(VALU_DEP_1) | instskip(NEXT) | instid1(VALU_DEP_1)
	v_mul_lo_u32 v3, v3, s40
	v_sub_nc_u32_e32 v1, v1, v3
	s_delay_alu instid0(VALU_DEP_1)
	v_mad_u32 v2, v1, s44, v2
	v_mad_u32 v6, v1, s45, v6
	;; [unrolled: 1-line block ×3, first 2 shown]
	s_cbranch_execz .LBB93_11
	s_branch .LBB93_13
.LBB93_8:
                                        ; implicit-def: $vgpr4
                                        ; implicit-def: $vgpr6
                                        ; implicit-def: $vgpr2
	s_branch .LBB93_11
.LBB93_9:
	v_dual_mov_b32 v4, 0 :: v_dual_mov_b32 v6, 0
	v_mov_b32_e32 v2, 0
.LBB93_10:
	s_cbranch_execnz .LBB93_13
.LBB93_11:
	v_mov_b32_e32 v1, 0
	s_and_not1_b32 vcc_lo, exec_lo, s36
	s_delay_alu instid0(VALU_DEP_1) | instskip(NEXT) | instid1(VALU_DEP_1)
	v_mul_u64_e32 v[2:3], s[20:21], v[0:1]
	v_add_nc_u32_e32 v2, v0, v3
	s_delay_alu instid0(VALU_DEP_1) | instskip(NEXT) | instid1(VALU_DEP_1)
	v_lshrrev_b32_e32 v8, s14, v2
	v_mul_lo_u32 v2, v8, s12
	s_delay_alu instid0(VALU_DEP_1) | instskip(NEXT) | instid1(VALU_DEP_1)
	v_sub_nc_u32_e32 v3, v0, v2
	v_mul_lo_u32 v2, v3, s16
	v_mul_lo_u32 v4, v3, s18
	;; [unrolled: 1-line block ×3, first 2 shown]
	s_cbranch_vccnz .LBB93_13
; %bb.12:
	v_mov_b32_e32 v9, v1
	s_delay_alu instid0(VALU_DEP_1) | instskip(NEXT) | instid1(VALU_DEP_1)
	v_mul_u64_e32 v[10:11], s[24:25], v[8:9]
	v_add_nc_u32_e32 v1, v8, v11
	s_delay_alu instid0(VALU_DEP_1) | instskip(NEXT) | instid1(VALU_DEP_1)
	v_lshrrev_b32_e32 v1, s1, v1
	v_mul_lo_u32 v1, v1, s15
	s_delay_alu instid0(VALU_DEP_1) | instskip(NEXT) | instid1(VALU_DEP_1)
	v_sub_nc_u32_e32 v1, v8, v1
	v_mad_u32 v2, v1, s19, v2
	v_mad_u32 v6, v1, s22, v6
	;; [unrolled: 1-line block ×3, first 2 shown]
.LBB93_13:
	v_mov_b32_e32 v7, 0
	s_and_b32 s0, s35, 0xff
	s_delay_alu instid0(SALU_CYCLE_1) | instskip(NEXT) | instid1(VALU_DEP_1)
	s_cmp_lt_i32 s0, 11
	v_add_nc_u64_e32 v[6:7], s[6:7], v[6:7]
	s_cbranch_scc1 .LBB93_20
; %bb.14:
	s_and_b32 s27, 0xffff, s0
	s_delay_alu instid0(SALU_CYCLE_1)
	s_cmp_gt_i32 s27, 25
	s_cbranch_scc0 .LBB93_29
; %bb.15:
	s_cmp_gt_i32 s27, 28
	s_cbranch_scc0 .LBB93_41
; %bb.16:
	;; [unrolled: 3-line block ×4, first 2 shown]
	s_cmp_eq_u32 s27, 46
	s_mov_b32 s41, 0
	s_cbranch_scc0 .LBB93_50
; %bb.19:
	global_load_b32 v1, v[6:7], off
	s_mov_b32 s40, -1
	s_mov_b32 s26, 0
	s_branch .LBB93_52
.LBB93_20:
	s_mov_b32 s26, 0
	s_mov_b32 s40, 0
                                        ; implicit-def: $vgpr1
	s_cbranch_execnz .LBB93_118
.LBB93_21:
	s_and_not1_b32 vcc_lo, exec_lo, s40
	s_cbranch_vccnz .LBB93_165
.LBB93_22:
	v_mov_b32_e32 v5, 0
	s_and_b32 s0, s13, 0xff
	s_delay_alu instid0(SALU_CYCLE_1) | instskip(NEXT) | instid1(VALU_DEP_1)
	s_cmp_lt_i32 s0, 11
	v_add_nc_u64_e32 v[4:5], s[8:9], v[4:5]
	s_cbranch_scc1 .LBB93_30
; %bb.23:
	s_and_b32 s40, 0xffff, s0
	s_delay_alu instid0(SALU_CYCLE_1)
	s_cmp_gt_i32 s40, 25
	s_cbranch_scc0 .LBB93_42
; %bb.24:
	s_cmp_gt_i32 s40, 28
	s_cbranch_scc0 .LBB93_45
; %bb.25:
	;; [unrolled: 3-line block ×4, first 2 shown]
	s_cmp_eq_u32 s40, 46
	s_mov_b32 s42, 0
	s_cbranch_scc0 .LBB93_166
; %bb.28:
	global_load_b32 v3, v[4:5], off
	s_mov_b32 s41, -1
	s_mov_b32 s27, 0
	s_branch .LBB93_168
.LBB93_29:
	s_mov_b32 s26, 0
	s_mov_b32 s40, 0
                                        ; implicit-def: $vgpr1
	s_cbranch_execnz .LBB93_83
	s_branch .LBB93_117
.LBB93_30:
	s_mov_b32 s27, 0
	s_mov_b32 s41, 0
                                        ; implicit-def: $vgpr3
	s_cbranch_execnz .LBB93_344
.LBB93_31:
	s_and_not1_b32 vcc_lo, exec_lo, s41
	s_cbranch_vccnz .LBB93_392
.LBB93_32:
	s_wait_loadcnt 0x0
	s_delay_alu instid0(VALU_DEP_1) | instskip(SKIP_1) | instid1(VALU_DEP_1)
	v_dual_lshlrev_b32 v3, 16, v3 :: v_dual_lshlrev_b32 v1, 16, v1
	s_mov_b32 s0, exec_lo
	v_mul_f32_e32 v3, s10, v3
	s_delay_alu instid0(VALU_DEP_1)
	v_cmpx_nlt_f32_e32 s11, v3
	s_cbranch_execz .LBB93_34
; %bb.33:
	v_mul_f32_e32 v4, 0x3fb8aa3b, v3
	v_cmp_ngt_f32_e32 vcc_lo, 0xc2ce8ed0, v3
	s_delay_alu instid0(VALU_DEP_2) | instskip(SKIP_1) | instid1(VALU_DEP_2)
	v_rndne_f32_e32 v5, v4
	v_fma_f32 v6, 0x3fb8aa3b, v3, -v4
	v_sub_f32_e32 v4, v4, v5
	s_delay_alu instid0(VALU_DEP_2) | instskip(SKIP_1) | instid1(VALU_DEP_2)
	v_fmamk_f32 v6, v3, 0x32a5705f, v6
	v_cvt_i32_f32_e32 v5, v5
	v_add_f32_e32 v4, v4, v6
	s_delay_alu instid0(VALU_DEP_1) | instskip(SKIP_1) | instid1(TRANS32_DEP_1)
	v_exp_f32_e32 v4, v4
	v_nop
	v_ldexp_f32 v4, v4, v5
	s_delay_alu instid0(VALU_DEP_1) | instskip(SKIP_1) | instid1(VALU_DEP_2)
	v_cndmask_b32_e32 v4, 0, v4, vcc_lo
	v_cmp_nlt_f32_e32 vcc_lo, 0x42b17218, v3
	v_cndmask_b32_e32 v3, 0x7f800000, v4, vcc_lo
	s_delay_alu instid0(VALU_DEP_1) | instskip(NEXT) | instid1(VALU_DEP_1)
	v_dual_mul_f32 v1, v3, v1 :: v_dual_add_f32 v3, 1.0, v3
	v_div_scale_f32 v4, null, v3, v3, v1
	s_delay_alu instid0(VALU_DEP_1) | instskip(SKIP_1) | instid1(TRANS32_DEP_1)
	v_rcp_f32_e32 v5, v4
	v_nop
	v_fma_f32 v6, -v4, v5, 1.0
	s_delay_alu instid0(VALU_DEP_1) | instskip(SKIP_1) | instid1(VALU_DEP_1)
	v_fmac_f32_e32 v5, v6, v5
	v_div_scale_f32 v6, vcc_lo, v1, v3, v1
	v_mul_f32_e32 v7, v6, v5
	s_delay_alu instid0(VALU_DEP_1) | instskip(NEXT) | instid1(VALU_DEP_1)
	v_fma_f32 v8, -v4, v7, v6
	v_fmac_f32_e32 v7, v8, v5
	s_delay_alu instid0(VALU_DEP_1) | instskip(NEXT) | instid1(VALU_DEP_1)
	v_fma_f32 v4, -v4, v7, v6
	v_div_fmas_f32 v4, v4, v5, v7
	s_delay_alu instid0(VALU_DEP_1)
	v_div_fixup_f32 v1, v4, v3, v1
.LBB93_34:
	s_or_b32 exec_lo, exec_lo, s0
	s_delay_alu instid0(VALU_DEP_1) | instskip(SKIP_2) | instid1(SALU_CYCLE_1)
	v_bfe_u32 v3, v1, 16, 1
	v_cmp_o_f32_e32 vcc_lo, v1, v1
	s_and_b32 s40, s34, 0xff
	s_cmp_lt_i32 s40, 11
	s_delay_alu instid0(VALU_DEP_2) | instskip(NEXT) | instid1(VALU_DEP_1)
	v_add3_u32 v4, v1, v3, 0x7fff
	v_dual_mov_b32 v3, 0 :: v_dual_lshrrev_b32 v4, 16, v4
	s_delay_alu instid0(VALU_DEP_1) | instskip(NEXT) | instid1(VALU_DEP_2)
	v_add_nc_u64_e32 v[2:3], s[4:5], v[2:3]
	v_cndmask_b32_e32 v1, 0x7fc0, v4, vcc_lo
	s_cbranch_scc1 .LBB93_43
; %bb.35:
	s_and_b32 s41, 0xffff, s40
	s_delay_alu instid0(SALU_CYCLE_1)
	s_cmp_gt_i32 s41, 25
	s_cbranch_scc0 .LBB93_46
; %bb.36:
	s_cmp_gt_i32 s41, 28
	s_cbranch_scc0 .LBB93_49
; %bb.37:
	;; [unrolled: 3-line block ×4, first 2 shown]
	s_mov_b32 s44, 0
	s_mov_b32 s0, -1
	s_cmp_eq_u32 s41, 46
	s_mov_b32 s42, 0
	s_cbranch_scc0 .LBB93_172
; %bb.40:
	v_and_b32_e32 v4, 0xffff, v1
	s_mov_b32 s42, -1
	s_mov_b32 s0, 0
	global_store_b32 v[2:3], v4, off
	s_branch .LBB93_172
.LBB93_41:
	s_mov_b32 s41, -1
	s_mov_b32 s26, 0
	s_mov_b32 s40, 0
                                        ; implicit-def: $vgpr1
	s_branch .LBB93_64
.LBB93_42:
	s_mov_b32 s42, -1
	s_mov_b32 s27, 0
	s_mov_b32 s41, 0
                                        ; implicit-def: $vgpr3
	s_branch .LBB93_308
.LBB93_43:
	s_mov_b32 s41, -1
	s_mov_b32 s0, 0
	s_mov_b32 s42, 0
	s_branch .LBB93_241
.LBB93_44:
	s_mov_b32 s41, -1
	s_mov_b32 s26, 0
	s_mov_b32 s40, 0
                                        ; implicit-def: $vgpr1
	s_branch .LBB93_59
.LBB93_45:
	s_mov_b32 s42, -1
	s_mov_b32 s27, 0
	s_mov_b32 s41, 0
                                        ; implicit-def: $vgpr3
	s_branch .LBB93_289
.LBB93_46:
	s_mov_b32 s44, -1
	s_mov_b32 s0, 0
	s_mov_b32 s42, 0
	s_branch .LBB93_199
.LBB93_47:
	s_mov_b32 s41, -1
	s_mov_b32 s26, 0
	s_branch .LBB93_51
.LBB93_48:
	s_mov_b32 s42, -1
	s_mov_b32 s27, 0
	s_mov_b32 s41, 0
                                        ; implicit-def: $vgpr3
	s_branch .LBB93_284
.LBB93_49:
	s_mov_b32 s44, -1
	s_mov_b32 s0, 0
	s_mov_b32 s42, 0
	s_branch .LBB93_182
.LBB93_50:
	s_mov_b32 s26, -1
.LBB93_51:
	s_mov_b32 s40, 0
                                        ; implicit-def: $vgpr1
.LBB93_52:
	s_and_b32 vcc_lo, exec_lo, s41
	s_cbranch_vccz .LBB93_58
; %bb.53:
	s_cmp_eq_u32 s27, 44
	s_cbranch_scc0 .LBB93_57
; %bb.54:
	s_wait_loadcnt 0x0
	global_load_u8 v1, v[6:7], off
	s_mov_b32 s26, 0
	s_mov_b32 s40, -1
	s_wait_loadcnt 0x0
	v_lshlrev_b32_e32 v3, 23, v1
	v_cmp_ne_u32_e32 vcc_lo, 0xff, v1
	s_delay_alu instid0(VALU_DEP_2) | instskip(SKIP_1) | instid1(VALU_DEP_2)
	v_cndmask_b32_e32 v3, 0x7f800001, v3, vcc_lo
	v_cmp_ne_u32_e32 vcc_lo, 0, v1
	v_cndmask_b32_e32 v1, 0x400000, v3, vcc_lo
	s_delay_alu instid0(VALU_DEP_1) | instskip(SKIP_1) | instid1(VALU_DEP_2)
	v_add_nc_u32_e32 v3, 0x7fff, v1
	v_cmp_o_f32_e32 vcc_lo, v1, v1
	v_lshrrev_b32_e32 v3, 16, v3
	s_delay_alu instid0(VALU_DEP_1)
	v_cndmask_b32_e32 v1, 0x7fc0, v3, vcc_lo
	s_branch .LBB93_58
.LBB93_55:
	s_mov_b32 s42, -1
	s_mov_b32 s27, 0
	s_branch .LBB93_167
.LBB93_56:
	s_mov_b32 s44, -1
	s_mov_b32 s0, 0
	s_mov_b32 s42, 0
	s_branch .LBB93_178
.LBB93_57:
	s_mov_b32 s26, -1
                                        ; implicit-def: $vgpr1
.LBB93_58:
	s_mov_b32 s41, 0
.LBB93_59:
	s_delay_alu instid0(SALU_CYCLE_1)
	s_and_b32 vcc_lo, exec_lo, s41
	s_cbranch_vccz .LBB93_63
; %bb.60:
	s_cmp_eq_u32 s27, 29
	s_cbranch_scc0 .LBB93_62
; %bb.61:
	global_load_b64 v[8:9], v[6:7], off
	s_mov_b32 s40, -1
	s_mov_b32 s26, 0
	s_mov_b32 s41, 0
	s_wait_loadcnt 0x0
	v_clz_i32_u32_e32 v1, v9
	s_delay_alu instid0(VALU_DEP_1) | instskip(NEXT) | instid1(VALU_DEP_1)
	v_min_u32_e32 v1, 32, v1
	v_lshlrev_b64_e32 v[8:9], v1, v[8:9]
	v_sub_nc_u32_e32 v1, 32, v1
	s_delay_alu instid0(VALU_DEP_2) | instskip(NEXT) | instid1(VALU_DEP_1)
	v_min_u32_e32 v3, 1, v8
	v_or_b32_e32 v3, v9, v3
	s_delay_alu instid0(VALU_DEP_1) | instskip(NEXT) | instid1(VALU_DEP_1)
	v_cvt_f32_u32_e32 v3, v3
	v_ldexp_f32 v1, v3, v1
	s_delay_alu instid0(VALU_DEP_1) | instskip(NEXT) | instid1(VALU_DEP_1)
	v_bfe_u32 v3, v1, 16, 1
	v_add3_u32 v1, v1, v3, 0x7fff
	s_delay_alu instid0(VALU_DEP_1)
	v_lshrrev_b32_e32 v1, 16, v1
	s_branch .LBB93_64
.LBB93_62:
	s_mov_b32 s26, -1
                                        ; implicit-def: $vgpr1
.LBB93_63:
	s_mov_b32 s41, 0
.LBB93_64:
	s_delay_alu instid0(SALU_CYCLE_1)
	s_and_b32 vcc_lo, exec_lo, s41
	s_cbranch_vccz .LBB93_82
; %bb.65:
	s_cmp_lt_i32 s27, 27
	s_cbranch_scc1 .LBB93_68
; %bb.66:
	s_cmp_gt_i32 s27, 27
	s_cbranch_scc0 .LBB93_69
; %bb.67:
	s_wait_loadcnt 0x0
	global_load_b32 v1, v[6:7], off
	s_mov_b32 s40, 0
	s_wait_loadcnt 0x0
	v_cvt_f32_u32_e32 v1, v1
	s_delay_alu instid0(VALU_DEP_1) | instskip(NEXT) | instid1(VALU_DEP_1)
	v_bfe_u32 v3, v1, 16, 1
	v_add3_u32 v1, v1, v3, 0x7fff
	s_delay_alu instid0(VALU_DEP_1)
	v_lshrrev_b32_e32 v1, 16, v1
	s_branch .LBB93_70
.LBB93_68:
	s_mov_b32 s40, -1
                                        ; implicit-def: $vgpr1
	s_branch .LBB93_73
.LBB93_69:
	s_mov_b32 s40, -1
                                        ; implicit-def: $vgpr1
.LBB93_70:
	s_delay_alu instid0(SALU_CYCLE_1)
	s_and_not1_b32 vcc_lo, exec_lo, s40
	s_cbranch_vccnz .LBB93_72
; %bb.71:
	s_wait_loadcnt 0x0
	global_load_u16 v1, v[6:7], off
	s_wait_loadcnt 0x0
	v_cvt_f32_u32_e32 v1, v1
	s_delay_alu instid0(VALU_DEP_1) | instskip(NEXT) | instid1(VALU_DEP_1)
	v_bfe_u32 v3, v1, 16, 1
	v_add3_u32 v1, v1, v3, 0x7fff
	s_delay_alu instid0(VALU_DEP_1)
	v_lshrrev_b32_e32 v1, 16, v1
.LBB93_72:
	s_mov_b32 s40, 0
.LBB93_73:
	s_delay_alu instid0(SALU_CYCLE_1)
	s_and_not1_b32 vcc_lo, exec_lo, s40
	s_cbranch_vccnz .LBB93_81
; %bb.74:
	s_wait_loadcnt 0x0
	global_load_u8 v1, v[6:7], off
	s_mov_b32 s40, 0
	s_mov_b32 s41, exec_lo
	s_wait_loadcnt 0x0
	v_cmpx_lt_i16_e32 0x7f, v1
	s_xor_b32 s41, exec_lo, s41
	s_cbranch_execz .LBB93_94
; %bb.75:
	s_mov_b32 s40, -1
	s_mov_b32 s42, exec_lo
	v_cmpx_eq_u16_e32 0x80, v1
; %bb.76:
	s_xor_b32 s40, exec_lo, -1
; %bb.77:
	s_or_b32 exec_lo, exec_lo, s42
	s_delay_alu instid0(SALU_CYCLE_1)
	s_and_b32 s40, s40, exec_lo
	s_or_saveexec_b32 s41, s41
	v_mov_b32_e32 v3, 0x7f800001
	s_xor_b32 exec_lo, exec_lo, s41
	s_cbranch_execnz .LBB93_95
.LBB93_78:
	s_or_b32 exec_lo, exec_lo, s41
	s_and_saveexec_b32 s41, s40
	s_cbranch_execz .LBB93_80
.LBB93_79:
	v_and_b32_e32 v3, 0xffff, v1
	s_delay_alu instid0(VALU_DEP_1) | instskip(SKIP_1) | instid1(VALU_DEP_2)
	v_and_b32_e32 v5, 7, v3
	v_bfe_u32 v10, v3, 3, 4
	v_clz_i32_u32_e32 v8, v5
	s_delay_alu instid0(VALU_DEP_2) | instskip(NEXT) | instid1(VALU_DEP_2)
	v_cmp_eq_u32_e32 vcc_lo, 0, v10
	v_min_u32_e32 v8, 32, v8
	s_delay_alu instid0(VALU_DEP_1) | instskip(NEXT) | instid1(VALU_DEP_1)
	v_subrev_nc_u32_e32 v9, 28, v8
	v_dual_lshlrev_b32 v3, v9, v3 :: v_dual_sub_nc_u32 v8, 29, v8
	s_delay_alu instid0(VALU_DEP_1) | instskip(NEXT) | instid1(VALU_DEP_1)
	v_dual_lshlrev_b32 v1, 24, v1 :: v_dual_bitop2_b32 v3, 7, v3 bitop3:0x40
	v_dual_cndmask_b32 v8, v10, v8 :: v_dual_cndmask_b32 v3, v5, v3
	s_delay_alu instid0(VALU_DEP_2) | instskip(NEXT) | instid1(VALU_DEP_2)
	v_and_b32_e32 v1, 0x80000000, v1
	v_lshl_add_u32 v5, v8, 23, 0x3b800000
	s_delay_alu instid0(VALU_DEP_3) | instskip(NEXT) | instid1(VALU_DEP_1)
	v_lshlrev_b32_e32 v3, 20, v3
	v_or3_b32 v3, v1, v5, v3
.LBB93_80:
	s_or_b32 exec_lo, exec_lo, s41
	s_delay_alu instid0(VALU_DEP_1) | instskip(SKIP_1) | instid1(VALU_DEP_2)
	v_bfe_u32 v1, v3, 16, 1
	v_cmp_o_f32_e32 vcc_lo, v3, v3
	v_add3_u32 v1, v3, v1, 0x7fff
	s_delay_alu instid0(VALU_DEP_1) | instskip(NEXT) | instid1(VALU_DEP_1)
	v_lshrrev_b32_e32 v1, 16, v1
	v_cndmask_b32_e32 v1, 0x7fc0, v1, vcc_lo
.LBB93_81:
	s_mov_b32 s40, -1
.LBB93_82:
	s_branch .LBB93_117
.LBB93_83:
	s_cmp_gt_i32 s27, 22
	s_cbranch_scc0 .LBB93_93
; %bb.84:
	s_cmp_lt_i32 s27, 24
	s_cbranch_scc1 .LBB93_96
; %bb.85:
	s_cmp_gt_i32 s27, 24
	s_cbranch_scc0 .LBB93_97
; %bb.86:
	s_wait_loadcnt 0x0
	global_load_u8 v1, v[6:7], off
	s_mov_b32 s40, 0
	s_mov_b32 s41, exec_lo
	s_wait_loadcnt 0x0
	v_cmpx_lt_i16_e32 0x7f, v1
	s_xor_b32 s41, exec_lo, s41
	s_cbranch_execz .LBB93_109
; %bb.87:
	s_mov_b32 s40, -1
	s_mov_b32 s42, exec_lo
	v_cmpx_eq_u16_e32 0x80, v1
; %bb.88:
	s_xor_b32 s40, exec_lo, -1
; %bb.89:
	s_or_b32 exec_lo, exec_lo, s42
	s_delay_alu instid0(SALU_CYCLE_1)
	s_and_b32 s40, s40, exec_lo
	s_or_saveexec_b32 s41, s41
	v_mov_b32_e32 v3, 0x7f800001
	s_xor_b32 exec_lo, exec_lo, s41
	s_cbranch_execnz .LBB93_110
.LBB93_90:
	s_or_b32 exec_lo, exec_lo, s41
	s_and_saveexec_b32 s41, s40
	s_cbranch_execz .LBB93_92
.LBB93_91:
	v_and_b32_e32 v3, 0xffff, v1
	s_delay_alu instid0(VALU_DEP_1) | instskip(SKIP_1) | instid1(VALU_DEP_2)
	v_and_b32_e32 v5, 3, v3
	v_bfe_u32 v10, v3, 2, 5
	v_clz_i32_u32_e32 v8, v5
	s_delay_alu instid0(VALU_DEP_2) | instskip(NEXT) | instid1(VALU_DEP_2)
	v_cmp_eq_u32_e32 vcc_lo, 0, v10
	v_min_u32_e32 v8, 32, v8
	s_delay_alu instid0(VALU_DEP_1) | instskip(NEXT) | instid1(VALU_DEP_1)
	v_subrev_nc_u32_e32 v9, 29, v8
	v_dual_lshlrev_b32 v3, v9, v3 :: v_dual_sub_nc_u32 v8, 30, v8
	s_delay_alu instid0(VALU_DEP_1) | instskip(NEXT) | instid1(VALU_DEP_1)
	v_dual_lshlrev_b32 v1, 24, v1 :: v_dual_bitop2_b32 v3, 3, v3 bitop3:0x40
	v_dual_cndmask_b32 v8, v10, v8 :: v_dual_cndmask_b32 v3, v5, v3
	s_delay_alu instid0(VALU_DEP_2) | instskip(NEXT) | instid1(VALU_DEP_2)
	v_and_b32_e32 v1, 0x80000000, v1
	v_lshl_add_u32 v5, v8, 23, 0x37800000
	s_delay_alu instid0(VALU_DEP_3) | instskip(NEXT) | instid1(VALU_DEP_1)
	v_lshlrev_b32_e32 v3, 21, v3
	v_or3_b32 v3, v1, v5, v3
.LBB93_92:
	s_or_b32 exec_lo, exec_lo, s41
	s_delay_alu instid0(VALU_DEP_1) | instskip(SKIP_2) | instid1(VALU_DEP_2)
	v_bfe_u32 v1, v3, 16, 1
	v_cmp_o_f32_e32 vcc_lo, v3, v3
	s_mov_b32 s40, 0
	v_add3_u32 v1, v3, v1, 0x7fff
	s_delay_alu instid0(VALU_DEP_1) | instskip(NEXT) | instid1(VALU_DEP_1)
	v_lshrrev_b32_e32 v1, 16, v1
	v_cndmask_b32_e32 v1, 0x7fc0, v1, vcc_lo
	s_branch .LBB93_98
.LBB93_93:
	s_mov_b32 s41, -1
                                        ; implicit-def: $vgpr1
	s_branch .LBB93_104
.LBB93_94:
	s_or_saveexec_b32 s41, s41
	v_mov_b32_e32 v3, 0x7f800001
	s_xor_b32 exec_lo, exec_lo, s41
	s_cbranch_execz .LBB93_78
.LBB93_95:
	v_cmp_ne_u16_e32 vcc_lo, 0, v1
	v_mov_b32_e32 v3, 0
	s_and_not1_b32 s40, s40, exec_lo
	s_and_b32 s42, vcc_lo, exec_lo
	s_delay_alu instid0(SALU_CYCLE_1)
	s_or_b32 s40, s40, s42
	s_or_b32 exec_lo, exec_lo, s41
	s_and_saveexec_b32 s41, s40
	s_cbranch_execnz .LBB93_79
	s_branch .LBB93_80
.LBB93_96:
	s_mov_b32 s40, -1
                                        ; implicit-def: $vgpr1
	s_branch .LBB93_101
.LBB93_97:
	s_mov_b32 s40, -1
                                        ; implicit-def: $vgpr1
.LBB93_98:
	s_delay_alu instid0(SALU_CYCLE_1)
	s_and_b32 vcc_lo, exec_lo, s40
	s_cbranch_vccz .LBB93_100
; %bb.99:
	s_wait_loadcnt 0x0
	global_load_u8 v1, v[6:7], off
	s_wait_loadcnt 0x0
	v_lshlrev_b32_e32 v1, 24, v1
	s_delay_alu instid0(VALU_DEP_1) | instskip(NEXT) | instid1(VALU_DEP_1)
	v_and_b32_e32 v3, 0x7f000000, v1
	v_clz_i32_u32_e32 v5, v3
	v_add_nc_u32_e32 v9, 0x1000000, v3
	v_cmp_ne_u32_e32 vcc_lo, 0, v3
	s_delay_alu instid0(VALU_DEP_3) | instskip(NEXT) | instid1(VALU_DEP_1)
	v_min_u32_e32 v5, 32, v5
	v_sub_nc_u32_e64 v5, v5, 4 clamp
	s_delay_alu instid0(VALU_DEP_1) | instskip(NEXT) | instid1(VALU_DEP_1)
	v_dual_lshlrev_b32 v8, v5, v3 :: v_dual_lshlrev_b32 v5, 23, v5
	v_lshrrev_b32_e32 v8, 4, v8
	s_delay_alu instid0(VALU_DEP_1) | instskip(SKIP_1) | instid1(VALU_DEP_2)
	v_sub_nc_u32_e32 v5, v8, v5
	v_ashrrev_i32_e32 v8, 8, v9
	v_add_nc_u32_e32 v5, 0x3c000000, v5
	s_delay_alu instid0(VALU_DEP_1) | instskip(NEXT) | instid1(VALU_DEP_1)
	v_and_or_b32 v5, 0x7f800000, v8, v5
	v_cndmask_b32_e32 v3, 0, v5, vcc_lo
	s_delay_alu instid0(VALU_DEP_1) | instskip(SKIP_1) | instid1(VALU_DEP_2)
	v_and_or_b32 v1, 0x80000000, v1, v3
	v_bfe_u32 v3, v3, 16, 1
	v_cmp_o_f32_e32 vcc_lo, v1, v1
	s_delay_alu instid0(VALU_DEP_2) | instskip(NEXT) | instid1(VALU_DEP_1)
	v_add3_u32 v3, v1, v3, 0x7fff
	v_lshrrev_b32_e32 v3, 16, v3
	s_delay_alu instid0(VALU_DEP_1)
	v_cndmask_b32_e32 v1, 0x7fc0, v3, vcc_lo
.LBB93_100:
	s_mov_b32 s40, 0
.LBB93_101:
	s_delay_alu instid0(SALU_CYCLE_1)
	s_and_not1_b32 vcc_lo, exec_lo, s40
	s_cbranch_vccnz .LBB93_103
; %bb.102:
	s_wait_loadcnt 0x0
	global_load_u8 v1, v[6:7], off
	s_wait_loadcnt 0x0
	v_lshlrev_b32_e32 v3, 25, v1
	v_lshlrev_b16 v1, 8, v1
	s_delay_alu instid0(VALU_DEP_1) | instskip(SKIP_1) | instid1(VALU_DEP_2)
	v_and_or_b32 v8, 0x7f00, v1, 0.5
	v_bfe_i32 v1, v1, 0, 16
	v_dual_add_f32 v8, -0.5, v8 :: v_dual_lshrrev_b32 v5, 4, v3
	v_cmp_gt_u32_e32 vcc_lo, 0x8000000, v3
	s_delay_alu instid0(VALU_DEP_2) | instskip(NEXT) | instid1(VALU_DEP_1)
	v_or_b32_e32 v5, 0x70000000, v5
	v_mul_f32_e32 v5, 0x7800000, v5
	s_delay_alu instid0(VALU_DEP_1) | instskip(NEXT) | instid1(VALU_DEP_1)
	v_cndmask_b32_e32 v3, v5, v8, vcc_lo
	v_and_or_b32 v1, 0x80000000, v1, v3
	v_bfe_u32 v3, v3, 16, 1
	s_delay_alu instid0(VALU_DEP_2) | instskip(NEXT) | instid1(VALU_DEP_2)
	v_cmp_o_f32_e32 vcc_lo, v1, v1
	v_add3_u32 v3, v1, v3, 0x7fff
	s_delay_alu instid0(VALU_DEP_1) | instskip(NEXT) | instid1(VALU_DEP_1)
	v_lshrrev_b32_e32 v3, 16, v3
	v_cndmask_b32_e32 v1, 0x7fc0, v3, vcc_lo
.LBB93_103:
	s_mov_b32 s41, 0
	s_mov_b32 s40, -1
.LBB93_104:
	s_and_not1_b32 vcc_lo, exec_lo, s41
	s_cbranch_vccnz .LBB93_117
; %bb.105:
	s_cmp_gt_i32 s27, 14
	s_cbranch_scc0 .LBB93_108
; %bb.106:
	s_cmp_eq_u32 s27, 15
	s_cbranch_scc0 .LBB93_111
; %bb.107:
	s_wait_loadcnt 0x0
	global_load_u16 v1, v[6:7], off
	s_mov_b32 s40, -1
	s_mov_b32 s26, 0
	s_branch .LBB93_112
.LBB93_108:
	s_mov_b32 s41, -1
                                        ; implicit-def: $vgpr1
	s_branch .LBB93_113
.LBB93_109:
	s_or_saveexec_b32 s41, s41
	v_mov_b32_e32 v3, 0x7f800001
	s_xor_b32 exec_lo, exec_lo, s41
	s_cbranch_execz .LBB93_90
.LBB93_110:
	v_cmp_ne_u16_e32 vcc_lo, 0, v1
	v_mov_b32_e32 v3, 0
	s_and_not1_b32 s40, s40, exec_lo
	s_and_b32 s42, vcc_lo, exec_lo
	s_delay_alu instid0(SALU_CYCLE_1)
	s_or_b32 s40, s40, s42
	s_or_b32 exec_lo, exec_lo, s41
	s_and_saveexec_b32 s41, s40
	s_cbranch_execnz .LBB93_91
	s_branch .LBB93_92
.LBB93_111:
	s_mov_b32 s26, -1
                                        ; implicit-def: $vgpr1
.LBB93_112:
	s_mov_b32 s41, 0
.LBB93_113:
	s_delay_alu instid0(SALU_CYCLE_1)
	s_and_b32 vcc_lo, exec_lo, s41
	s_cbranch_vccz .LBB93_117
; %bb.114:
	s_cmp_eq_u32 s27, 11
	s_cbranch_scc0 .LBB93_116
; %bb.115:
	s_wait_loadcnt 0x0
	global_load_u8 v1, v[6:7], off
	s_mov_b32 s26, 0
	s_mov_b32 s40, -1
	s_wait_loadcnt 0x0
	v_cmp_ne_u16_e32 vcc_lo, 0, v1
	v_cndmask_b32_e64 v1, 0, 1.0, vcc_lo
	s_delay_alu instid0(VALU_DEP_1)
	v_lshrrev_b32_e32 v1, 16, v1
	s_branch .LBB93_117
.LBB93_116:
	s_mov_b32 s26, -1
                                        ; implicit-def: $vgpr1
.LBB93_117:
	s_branch .LBB93_21
.LBB93_118:
	s_and_b32 s0, 0xffff, s0
	s_delay_alu instid0(SALU_CYCLE_1)
	s_cmp_lt_i32 s0, 5
	s_cbranch_scc1 .LBB93_123
; %bb.119:
	s_cmp_lt_i32 s0, 8
	s_cbranch_scc1 .LBB93_124
; %bb.120:
	;; [unrolled: 3-line block ×3, first 2 shown]
	s_cmp_gt_i32 s0, 9
	s_cbranch_scc0 .LBB93_126
; %bb.122:
	global_load_b64 v[8:9], v[6:7], off
	s_mov_b32 s27, 0
	s_wait_loadcnt 0x0
	v_cvt_f32_f64_e32 v1, v[8:9]
	s_delay_alu instid0(VALU_DEP_1) | instskip(SKIP_1) | instid1(VALU_DEP_2)
	v_bfe_u32 v3, v1, 16, 1
	v_cmp_o_f32_e32 vcc_lo, v1, v1
	v_add3_u32 v3, v1, v3, 0x7fff
	s_delay_alu instid0(VALU_DEP_1) | instskip(NEXT) | instid1(VALU_DEP_1)
	v_lshrrev_b32_e32 v3, 16, v3
	v_cndmask_b32_e32 v1, 0x7fc0, v3, vcc_lo
	s_branch .LBB93_127
.LBB93_123:
                                        ; implicit-def: $vgpr1
	s_branch .LBB93_145
.LBB93_124:
	s_mov_b32 s27, -1
                                        ; implicit-def: $vgpr1
	s_branch .LBB93_133
.LBB93_125:
	s_mov_b32 s27, -1
                                        ; implicit-def: $vgpr1
	s_branch .LBB93_130
.LBB93_126:
	s_mov_b32 s27, -1
                                        ; implicit-def: $vgpr1
.LBB93_127:
	s_delay_alu instid0(SALU_CYCLE_1)
	s_and_not1_b32 vcc_lo, exec_lo, s27
	s_cbranch_vccnz .LBB93_129
; %bb.128:
	s_wait_loadcnt 0x0
	global_load_b32 v1, v[6:7], off
	s_wait_loadcnt 0x0
	v_bfe_u32 v3, v1, 16, 1
	v_cmp_o_f32_e32 vcc_lo, v1, v1
	s_delay_alu instid0(VALU_DEP_2) | instskip(NEXT) | instid1(VALU_DEP_1)
	v_add3_u32 v3, v1, v3, 0x7fff
	v_lshrrev_b32_e32 v3, 16, v3
	s_delay_alu instid0(VALU_DEP_1)
	v_cndmask_b32_e32 v1, 0x7fc0, v3, vcc_lo
.LBB93_129:
	s_mov_b32 s27, 0
.LBB93_130:
	s_delay_alu instid0(SALU_CYCLE_1)
	s_and_not1_b32 vcc_lo, exec_lo, s27
	s_cbranch_vccnz .LBB93_132
; %bb.131:
	s_wait_loadcnt 0x0
	global_load_b32 v1, v[6:7], off
	s_wait_loadcnt 0x0
	v_cvt_f32_f16_e32 v3, v1
	v_cmp_o_f16_e32 vcc_lo, v1, v1
	s_delay_alu instid0(VALU_DEP_2) | instskip(NEXT) | instid1(VALU_DEP_1)
	v_bfe_u32 v5, v3, 16, 1
	v_add3_u32 v3, v3, v5, 0x7fff
	s_delay_alu instid0(VALU_DEP_1) | instskip(NEXT) | instid1(VALU_DEP_1)
	v_lshrrev_b32_e32 v3, 16, v3
	v_cndmask_b32_e32 v1, 0x7fc0, v3, vcc_lo
.LBB93_132:
	s_mov_b32 s27, 0
.LBB93_133:
	s_delay_alu instid0(SALU_CYCLE_1)
	s_and_not1_b32 vcc_lo, exec_lo, s27
	s_cbranch_vccnz .LBB93_144
; %bb.134:
	s_cmp_lt_i32 s0, 6
	s_cbranch_scc1 .LBB93_137
; %bb.135:
	s_cmp_gt_i32 s0, 6
	s_cbranch_scc0 .LBB93_138
; %bb.136:
	global_load_b64 v[8:9], v[6:7], off
	s_mov_b32 s27, 0
	s_wait_loadcnt 0x0
	v_cvt_f32_f64_e32 v1, v[8:9]
	s_delay_alu instid0(VALU_DEP_1) | instskip(SKIP_1) | instid1(VALU_DEP_2)
	v_bfe_u32 v3, v1, 16, 1
	v_cmp_o_f32_e32 vcc_lo, v1, v1
	v_add3_u32 v3, v1, v3, 0x7fff
	s_delay_alu instid0(VALU_DEP_1) | instskip(NEXT) | instid1(VALU_DEP_1)
	v_lshrrev_b32_e32 v3, 16, v3
	v_cndmask_b32_e32 v1, 0x7fc0, v3, vcc_lo
	s_branch .LBB93_139
.LBB93_137:
	s_mov_b32 s27, -1
                                        ; implicit-def: $vgpr1
	s_branch .LBB93_142
.LBB93_138:
	s_mov_b32 s27, -1
                                        ; implicit-def: $vgpr1
.LBB93_139:
	s_delay_alu instid0(SALU_CYCLE_1)
	s_and_not1_b32 vcc_lo, exec_lo, s27
	s_cbranch_vccnz .LBB93_141
; %bb.140:
	s_wait_loadcnt 0x0
	global_load_b32 v1, v[6:7], off
	s_wait_loadcnt 0x0
	v_bfe_u32 v3, v1, 16, 1
	v_cmp_o_f32_e32 vcc_lo, v1, v1
	s_delay_alu instid0(VALU_DEP_2) | instskip(NEXT) | instid1(VALU_DEP_1)
	v_add3_u32 v3, v1, v3, 0x7fff
	v_lshrrev_b32_e32 v3, 16, v3
	s_delay_alu instid0(VALU_DEP_1)
	v_cndmask_b32_e32 v1, 0x7fc0, v3, vcc_lo
.LBB93_141:
	s_mov_b32 s27, 0
.LBB93_142:
	s_delay_alu instid0(SALU_CYCLE_1)
	s_and_not1_b32 vcc_lo, exec_lo, s27
	s_cbranch_vccnz .LBB93_144
; %bb.143:
	s_wait_loadcnt 0x0
	global_load_u16 v1, v[6:7], off
	s_wait_loadcnt 0x0
	v_cvt_f32_f16_e32 v3, v1
	v_cmp_o_f16_e32 vcc_lo, v1, v1
	s_delay_alu instid0(VALU_DEP_2) | instskip(NEXT) | instid1(VALU_DEP_1)
	v_bfe_u32 v5, v3, 16, 1
	v_add3_u32 v3, v3, v5, 0x7fff
	s_delay_alu instid0(VALU_DEP_1) | instskip(NEXT) | instid1(VALU_DEP_1)
	v_lshrrev_b32_e32 v3, 16, v3
	v_cndmask_b32_e32 v1, 0x7fc0, v3, vcc_lo
.LBB93_144:
	s_cbranch_execnz .LBB93_164
.LBB93_145:
	s_cmp_lt_i32 s0, 2
	s_cbranch_scc1 .LBB93_149
; %bb.146:
	s_cmp_lt_i32 s0, 3
	s_cbranch_scc1 .LBB93_150
; %bb.147:
	s_cmp_gt_i32 s0, 3
	s_cbranch_scc0 .LBB93_151
; %bb.148:
	global_load_b64 v[8:9], v[6:7], off
	s_mov_b32 s27, 0
	s_wait_loadcnt 0x0
	v_xor_b32_e32 v1, v8, v9
	v_cls_i32_e32 v3, v9
	s_delay_alu instid0(VALU_DEP_2) | instskip(NEXT) | instid1(VALU_DEP_1)
	v_ashrrev_i32_e32 v1, 31, v1
	v_add_nc_u32_e32 v1, 32, v1
	s_delay_alu instid0(VALU_DEP_1) | instskip(NEXT) | instid1(VALU_DEP_1)
	v_add_min_u32_e64 v1, v3, -1, v1
	v_lshlrev_b64_e32 v[8:9], v1, v[8:9]
	v_sub_nc_u32_e32 v1, 32, v1
	s_delay_alu instid0(VALU_DEP_2) | instskip(NEXT) | instid1(VALU_DEP_1)
	v_min_u32_e32 v3, 1, v8
	v_or_b32_e32 v3, v9, v3
	s_delay_alu instid0(VALU_DEP_1) | instskip(NEXT) | instid1(VALU_DEP_1)
	v_cvt_f32_i32_e32 v3, v3
	v_ldexp_f32 v1, v3, v1
	s_delay_alu instid0(VALU_DEP_1) | instskip(NEXT) | instid1(VALU_DEP_1)
	v_bfe_u32 v3, v1, 16, 1
	v_add3_u32 v1, v1, v3, 0x7fff
	s_delay_alu instid0(VALU_DEP_1)
	v_lshrrev_b32_e32 v1, 16, v1
	s_branch .LBB93_152
.LBB93_149:
	s_mov_b32 s27, -1
                                        ; implicit-def: $vgpr1
	s_branch .LBB93_158
.LBB93_150:
	s_mov_b32 s27, -1
                                        ; implicit-def: $vgpr1
	s_branch .LBB93_155
.LBB93_151:
	s_mov_b32 s27, -1
                                        ; implicit-def: $vgpr1
.LBB93_152:
	s_delay_alu instid0(SALU_CYCLE_1)
	s_and_not1_b32 vcc_lo, exec_lo, s27
	s_cbranch_vccnz .LBB93_154
; %bb.153:
	s_wait_loadcnt 0x0
	global_load_b32 v1, v[6:7], off
	s_wait_loadcnt 0x0
	v_cvt_f32_i32_e32 v1, v1
	s_delay_alu instid0(VALU_DEP_1) | instskip(NEXT) | instid1(VALU_DEP_1)
	v_bfe_u32 v3, v1, 16, 1
	v_add3_u32 v1, v1, v3, 0x7fff
	s_delay_alu instid0(VALU_DEP_1)
	v_lshrrev_b32_e32 v1, 16, v1
.LBB93_154:
	s_mov_b32 s27, 0
.LBB93_155:
	s_delay_alu instid0(SALU_CYCLE_1)
	s_and_not1_b32 vcc_lo, exec_lo, s27
	s_cbranch_vccnz .LBB93_157
; %bb.156:
	s_wait_loadcnt 0x0
	global_load_i16 v1, v[6:7], off
	s_wait_loadcnt 0x0
	v_cvt_f32_i32_e32 v1, v1
	s_delay_alu instid0(VALU_DEP_1) | instskip(NEXT) | instid1(VALU_DEP_1)
	v_bfe_u32 v3, v1, 16, 1
	v_add3_u32 v1, v1, v3, 0x7fff
	s_delay_alu instid0(VALU_DEP_1)
	v_lshrrev_b32_e32 v1, 16, v1
.LBB93_157:
	s_mov_b32 s27, 0
.LBB93_158:
	s_delay_alu instid0(SALU_CYCLE_1)
	s_and_not1_b32 vcc_lo, exec_lo, s27
	s_cbranch_vccnz .LBB93_164
; %bb.159:
	s_cmp_gt_i32 s0, 0
	s_mov_b32 s0, 0
	s_cbranch_scc0 .LBB93_161
; %bb.160:
	s_wait_loadcnt 0x0
	global_load_i8 v1, v[6:7], off
	s_wait_loadcnt 0x0
	v_cvt_f32_i32_e32 v1, v1
	s_delay_alu instid0(VALU_DEP_1) | instskip(NEXT) | instid1(VALU_DEP_1)
	v_bfe_u32 v3, v1, 16, 1
	v_add3_u32 v1, v1, v3, 0x7fff
	s_delay_alu instid0(VALU_DEP_1)
	v_lshrrev_b32_e32 v1, 16, v1
	s_branch .LBB93_162
.LBB93_161:
	s_mov_b32 s0, -1
                                        ; implicit-def: $vgpr1
.LBB93_162:
	s_delay_alu instid0(SALU_CYCLE_1)
	s_and_not1_b32 vcc_lo, exec_lo, s0
	s_cbranch_vccnz .LBB93_164
; %bb.163:
	s_wait_loadcnt 0x0
	global_load_u8 v1, v[6:7], off
	s_wait_loadcnt 0x0
	v_cvt_f32_ubyte0_e32 v1, v1
	s_delay_alu instid0(VALU_DEP_1) | instskip(NEXT) | instid1(VALU_DEP_1)
	v_bfe_u32 v3, v1, 16, 1
	v_add3_u32 v1, v1, v3, 0x7fff
	s_delay_alu instid0(VALU_DEP_1)
	v_lshrrev_b32_e32 v1, 16, v1
.LBB93_164:
	s_branch .LBB93_22
.LBB93_165:
	s_mov_b32 s0, 0
	s_mov_b32 s27, 0
	s_branch .LBB93_393
.LBB93_166:
	s_mov_b32 s27, -1
.LBB93_167:
	s_mov_b32 s41, 0
                                        ; implicit-def: $vgpr3
.LBB93_168:
	s_and_b32 vcc_lo, exec_lo, s42
	s_cbranch_vccz .LBB93_283
; %bb.169:
	s_cmp_eq_u32 s40, 44
	s_cbranch_scc0 .LBB93_282
; %bb.170:
	s_wait_loadcnt 0x0
	global_load_u8 v3, v[4:5], off
	s_mov_b32 s27, 0
	s_mov_b32 s41, -1
	s_wait_loadcnt 0x0
	v_lshlrev_b32_e32 v6, 23, v3
	v_cmp_ne_u32_e32 vcc_lo, 0xff, v3
	s_delay_alu instid0(VALU_DEP_2) | instskip(SKIP_1) | instid1(VALU_DEP_2)
	v_cndmask_b32_e32 v6, 0x7f800001, v6, vcc_lo
	v_cmp_ne_u32_e32 vcc_lo, 0, v3
	v_cndmask_b32_e32 v3, 0x400000, v6, vcc_lo
	s_delay_alu instid0(VALU_DEP_1) | instskip(NEXT) | instid1(VALU_DEP_1)
	v_add_nc_u32_e32 v6, 0x7fff, v3
	v_lshrrev_b32_e32 v6, 16, v6
	v_cmp_o_f32_e32 vcc_lo, v3, v3
	s_delay_alu instid0(VALU_DEP_2)
	v_cndmask_b32_e32 v3, 0x7fc0, v6, vcc_lo
	s_branch .LBB93_283
.LBB93_171:
	s_mov_b32 s44, -1
	s_mov_b32 s0, 0
	s_mov_b32 s42, 0
.LBB93_172:
	s_and_b32 vcc_lo, exec_lo, s44
	s_cbranch_vccz .LBB93_177
; %bb.173:
	s_cmp_eq_u32 s41, 44
	s_mov_b32 s0, -1
	s_cbranch_scc0 .LBB93_177
; %bb.174:
	s_wait_xcnt 0x0
	v_and_b32_e32 v4, 0xffff, v1
	v_mov_b32_e32 v5, 0xff
	s_mov_b32 s42, exec_lo
	s_delay_alu instid0(VALU_DEP_2) | instskip(NEXT) | instid1(VALU_DEP_1)
	v_bfe_u32 v6, v4, 7, 8
	v_cmpx_ne_u32_e32 0xff, v6
	s_cbranch_execz .LBB93_176
; %bb.175:
	v_dual_lshlrev_b32 v5, 16, v4 :: v_dual_bitop2_b32 v7, 64, v4 bitop3:0x40
	v_lshrrev_b32_e32 v4, 7, v4
	s_delay_alu instid0(VALU_DEP_2) | instskip(NEXT) | instid1(VALU_DEP_3)
	v_and_or_b32 v5, 0x3f0000, v5, v6
	v_cmp_ne_u32_e32 vcc_lo, 0, v7
	s_delay_alu instid0(VALU_DEP_2) | instskip(SKIP_1) | instid1(SALU_CYCLE_1)
	v_cmp_ne_u32_e64 s0, 0, v5
	s_and_b32 s0, vcc_lo, s0
	v_cndmask_b32_e64 v5, 0, 1, s0
	s_delay_alu instid0(VALU_DEP_1)
	v_add_nc_u32_e32 v5, v4, v5
.LBB93_176:
	s_or_b32 exec_lo, exec_lo, s42
	s_mov_b32 s42, -1
	s_mov_b32 s0, 0
	global_store_b8 v[2:3], v5, off
.LBB93_177:
	s_mov_b32 s44, 0
.LBB93_178:
	s_delay_alu instid0(SALU_CYCLE_1)
	s_and_b32 vcc_lo, exec_lo, s44
	s_cbranch_vccz .LBB93_181
; %bb.179:
	s_cmp_eq_u32 s41, 29
	s_mov_b32 s0, -1
	s_cbranch_scc0 .LBB93_181
; %bb.180:
	s_wait_xcnt 0x0
	v_lshlrev_b32_e32 v4, 16, v1
	s_mov_b32 s42, -1
	s_mov_b32 s0, 0
	s_mov_b32 s44, 0
	s_delay_alu instid0(VALU_DEP_1) | instskip(NEXT) | instid1(VALU_DEP_1)
	v_trunc_f32_e32 v4, v4
	v_mul_f32_e32 v5, 0x2f800000, v4
	s_delay_alu instid0(VALU_DEP_1) | instskip(NEXT) | instid1(VALU_DEP_1)
	v_floor_f32_e32 v5, v5
	v_fmamk_f32 v4, v5, 0xcf800000, v4
	v_cvt_u32_f32_e32 v5, v5
	s_delay_alu instid0(VALU_DEP_2)
	v_cvt_u32_f32_e32 v4, v4
	global_store_b64 v[2:3], v[4:5], off
	s_branch .LBB93_182
.LBB93_181:
	s_mov_b32 s44, 0
.LBB93_182:
	s_delay_alu instid0(SALU_CYCLE_1)
	s_and_b32 vcc_lo, exec_lo, s44
	s_cbranch_vccz .LBB93_198
; %bb.183:
	s_cmp_lt_i32 s41, 27
	s_mov_b32 s42, -1
	s_cbranch_scc1 .LBB93_189
; %bb.184:
	s_cmp_gt_i32 s41, 27
	s_cbranch_scc0 .LBB93_186
; %bb.185:
	s_wait_xcnt 0x0
	v_lshlrev_b32_e32 v4, 16, v1
	s_mov_b32 s42, 0
	s_delay_alu instid0(VALU_DEP_1)
	v_cvt_u32_f32_e32 v4, v4
	global_store_b32 v[2:3], v4, off
.LBB93_186:
	s_and_not1_b32 vcc_lo, exec_lo, s42
	s_cbranch_vccnz .LBB93_188
; %bb.187:
	s_wait_xcnt 0x0
	v_lshlrev_b32_e32 v4, 16, v1
	s_delay_alu instid0(VALU_DEP_1)
	v_cvt_u32_f32_e32 v4, v4
	global_store_b16 v[2:3], v4, off
.LBB93_188:
	s_mov_b32 s42, 0
.LBB93_189:
	s_delay_alu instid0(SALU_CYCLE_1)
	s_and_not1_b32 vcc_lo, exec_lo, s42
	s_cbranch_vccnz .LBB93_197
; %bb.190:
	v_dual_mov_b32 v7, 0x80 :: v_dual_lshlrev_b32 v6, 16, v1
	s_mov_b32 s42, exec_lo
	s_wait_xcnt 0x0
	s_delay_alu instid0(VALU_DEP_1) | instskip(NEXT) | instid1(VALU_DEP_1)
	v_and_b32_e32 v5, 0x7fffffff, v6
	v_cmpx_gt_u32_e32 0x43800000, v5
	s_cbranch_execz .LBB93_196
; %bb.191:
	v_and_b32_e32 v4, 0xffff, v1
	v_cmp_lt_u32_e32 vcc_lo, 0x3bffffff, v5
	s_mov_b32 s44, 0
                                        ; implicit-def: $vgpr5
	s_and_saveexec_b32 s45, vcc_lo
	s_delay_alu instid0(SALU_CYCLE_1)
	s_xor_b32 s45, exec_lo, s45
	s_cbranch_execz .LBB93_435
; %bb.192:
	v_bfe_u32 v5, v4, 4, 1
	s_mov_b32 s44, exec_lo
	s_delay_alu instid0(VALU_DEP_1) | instskip(NEXT) | instid1(VALU_DEP_1)
	v_add3_u32 v5, v6, v5, 0x487ffff
                                        ; implicit-def: $vgpr6
	v_lshrrev_b32_e32 v5, 20, v5
	s_and_not1_saveexec_b32 s45, s45
	s_cbranch_execnz .LBB93_436
.LBB93_193:
	s_or_b32 exec_lo, exec_lo, s45
	v_mov_b32_e32 v7, 0
	s_and_saveexec_b32 s45, s44
.LBB93_194:
	v_lshrrev_b32_e32 v4, 8, v4
	s_delay_alu instid0(VALU_DEP_1)
	v_and_or_b32 v7, 0x80, v4, v5
.LBB93_195:
	s_or_b32 exec_lo, exec_lo, s45
.LBB93_196:
	s_delay_alu instid0(SALU_CYCLE_1)
	s_or_b32 exec_lo, exec_lo, s42
	global_store_b8 v[2:3], v7, off
.LBB93_197:
	s_mov_b32 s42, -1
.LBB93_198:
	s_mov_b32 s44, 0
.LBB93_199:
	s_delay_alu instid0(SALU_CYCLE_1)
	s_and_b32 vcc_lo, exec_lo, s44
	s_cbranch_vccz .LBB93_240
; %bb.200:
	s_cmp_gt_i32 s41, 22
	s_mov_b32 s44, -1
	s_cbranch_scc0 .LBB93_232
; %bb.201:
	s_cmp_lt_i32 s41, 24
	s_mov_b32 s42, -1
	s_cbranch_scc1 .LBB93_221
; %bb.202:
	s_cmp_gt_i32 s41, 24
	s_cbranch_scc0 .LBB93_210
; %bb.203:
	s_wait_xcnt 0x0
	v_dual_mov_b32 v7, 0x80 :: v_dual_lshlrev_b32 v6, 16, v1
	s_mov_b32 s42, exec_lo
	s_delay_alu instid0(VALU_DEP_1) | instskip(NEXT) | instid1(VALU_DEP_1)
	v_and_b32_e32 v5, 0x7fffffff, v6
	v_cmpx_gt_u32_e32 0x47800000, v5
	s_cbranch_execz .LBB93_209
; %bb.204:
	v_and_b32_e32 v4, 0xffff, v1
	v_cmp_lt_u32_e32 vcc_lo, 0x37ffffff, v5
	s_mov_b32 s44, 0
                                        ; implicit-def: $vgpr5
	s_and_saveexec_b32 s45, vcc_lo
	s_delay_alu instid0(SALU_CYCLE_1)
	s_xor_b32 s45, exec_lo, s45
	s_cbranch_execz .LBB93_554
; %bb.205:
	v_bfe_u32 v5, v4, 5, 1
	s_mov_b32 s44, exec_lo
	s_delay_alu instid0(VALU_DEP_1) | instskip(NEXT) | instid1(VALU_DEP_1)
	v_add3_u32 v5, v6, v5, 0x88fffff
                                        ; implicit-def: $vgpr6
	v_lshrrev_b32_e32 v5, 21, v5
	s_and_not1_saveexec_b32 s45, s45
	s_cbranch_execnz .LBB93_555
.LBB93_206:
	s_or_b32 exec_lo, exec_lo, s45
	v_mov_b32_e32 v7, 0
	s_and_saveexec_b32 s45, s44
.LBB93_207:
	v_lshrrev_b32_e32 v4, 8, v4
	s_delay_alu instid0(VALU_DEP_1)
	v_and_or_b32 v7, 0x80, v4, v5
.LBB93_208:
	s_or_b32 exec_lo, exec_lo, s45
.LBB93_209:
	s_delay_alu instid0(SALU_CYCLE_1)
	s_or_b32 exec_lo, exec_lo, s42
	s_mov_b32 s42, 0
	global_store_b8 v[2:3], v7, off
.LBB93_210:
	s_and_b32 vcc_lo, exec_lo, s42
	s_cbranch_vccz .LBB93_220
; %bb.211:
	v_lshlrev_b32_e32 v6, 16, v1
	s_wait_xcnt 0x0
	v_and_b32_e32 v4, 0xffff, v1
	s_mov_b32 s42, exec_lo
                                        ; implicit-def: $vgpr5
	s_delay_alu instid0(VALU_DEP_2) | instskip(NEXT) | instid1(VALU_DEP_1)
	v_and_b32_e32 v7, 0x7fffffff, v6
	v_cmpx_gt_u32_e32 0x43f00000, v7
	s_xor_b32 s42, exec_lo, s42
	s_cbranch_execz .LBB93_217
; %bb.212:
	s_mov_b32 s44, exec_lo
                                        ; implicit-def: $vgpr5
	v_cmpx_lt_u32_e32 0x3c7fffff, v7
	s_xor_b32 s44, exec_lo, s44
; %bb.213:
	v_bfe_u32 v5, v4, 4, 1
	s_delay_alu instid0(VALU_DEP_1) | instskip(NEXT) | instid1(VALU_DEP_1)
	v_add3_u32 v5, v6, v5, 0x407ffff
	v_and_b32_e32 v6, 0xff00000, v5
	v_lshrrev_b32_e32 v5, 20, v5
	s_delay_alu instid0(VALU_DEP_2) | instskip(NEXT) | instid1(VALU_DEP_2)
	v_cmp_ne_u32_e32 vcc_lo, 0x7f00000, v6
                                        ; implicit-def: $vgpr6
	v_cndmask_b32_e32 v5, 0x7e, v5, vcc_lo
; %bb.214:
	s_and_not1_saveexec_b32 s44, s44
; %bb.215:
	v_add_f32_e64 v5, 0x46800000, |v6|
; %bb.216:
	s_or_b32 exec_lo, exec_lo, s44
                                        ; implicit-def: $vgpr7
.LBB93_217:
	s_and_not1_saveexec_b32 s42, s42
; %bb.218:
	v_mov_b32_e32 v5, 0x7f
	v_cmp_lt_u32_e32 vcc_lo, 0x7f800000, v7
	s_delay_alu instid0(VALU_DEP_2)
	v_cndmask_b32_e32 v5, 0x7e, v5, vcc_lo
; %bb.219:
	s_or_b32 exec_lo, exec_lo, s42
	v_lshrrev_b32_e32 v4, 8, v4
	s_delay_alu instid0(VALU_DEP_1)
	v_and_or_b32 v4, 0x80, v4, v5
	global_store_b8 v[2:3], v4, off
.LBB93_220:
	s_mov_b32 s42, 0
.LBB93_221:
	s_delay_alu instid0(SALU_CYCLE_1)
	s_and_not1_b32 vcc_lo, exec_lo, s42
	s_cbranch_vccnz .LBB93_231
; %bb.222:
	v_lshlrev_b32_e32 v6, 16, v1
	s_wait_xcnt 0x0
	v_and_b32_e32 v4, 0xffff, v1
	s_mov_b32 s42, exec_lo
                                        ; implicit-def: $vgpr5
	s_delay_alu instid0(VALU_DEP_2) | instskip(NEXT) | instid1(VALU_DEP_1)
	v_and_b32_e32 v7, 0x7fffffff, v6
	v_cmpx_gt_u32_e32 0x47800000, v7
	s_xor_b32 s42, exec_lo, s42
	s_cbranch_execz .LBB93_228
; %bb.223:
	s_mov_b32 s44, exec_lo
                                        ; implicit-def: $vgpr5
	v_cmpx_lt_u32_e32 0x387fffff, v7
	s_xor_b32 s44, exec_lo, s44
; %bb.224:
	v_bfe_u32 v5, v4, 5, 1
	s_delay_alu instid0(VALU_DEP_1) | instskip(NEXT) | instid1(VALU_DEP_1)
	v_add3_u32 v5, v6, v5, 0x80fffff
                                        ; implicit-def: $vgpr6
	v_lshrrev_b32_e32 v5, 21, v5
; %bb.225:
	s_and_not1_saveexec_b32 s44, s44
; %bb.226:
	v_add_f32_e64 v5, 0x43000000, |v6|
; %bb.227:
	s_or_b32 exec_lo, exec_lo, s44
                                        ; implicit-def: $vgpr7
.LBB93_228:
	s_and_not1_saveexec_b32 s42, s42
; %bb.229:
	v_mov_b32_e32 v5, 0x7f
	v_cmp_lt_u32_e32 vcc_lo, 0x7f800000, v7
	s_delay_alu instid0(VALU_DEP_2)
	v_cndmask_b32_e32 v5, 0x7c, v5, vcc_lo
; %bb.230:
	s_or_b32 exec_lo, exec_lo, s42
	v_lshrrev_b32_e32 v4, 8, v4
	s_delay_alu instid0(VALU_DEP_1)
	v_and_or_b32 v4, 0x80, v4, v5
	global_store_b8 v[2:3], v4, off
.LBB93_231:
	s_mov_b32 s44, 0
	s_mov_b32 s42, -1
.LBB93_232:
	s_and_not1_b32 vcc_lo, exec_lo, s44
	s_cbranch_vccnz .LBB93_240
; %bb.233:
	s_cmp_gt_i32 s41, 14
	s_mov_b32 s44, -1
	s_cbranch_scc0 .LBB93_237
; %bb.234:
	s_cmp_eq_u32 s41, 15
	s_mov_b32 s0, -1
	s_cbranch_scc0 .LBB93_236
; %bb.235:
	s_mov_b32 s42, -1
	s_mov_b32 s0, 0
	global_store_b16 v[2:3], v1, off
.LBB93_236:
	s_mov_b32 s44, 0
.LBB93_237:
	s_delay_alu instid0(SALU_CYCLE_1)
	s_and_b32 vcc_lo, exec_lo, s44
	s_cbranch_vccz .LBB93_240
; %bb.238:
	s_cmp_eq_u32 s41, 11
	s_mov_b32 s0, -1
	s_cbranch_scc0 .LBB93_240
; %bb.239:
	s_wait_xcnt 0x0
	v_and_b32_e32 v4, 0x7fff, v1
	s_mov_b32 s0, 0
	s_mov_b32 s42, -1
	s_delay_alu instid0(VALU_DEP_1)
	v_cmp_ne_u16_e32 vcc_lo, 0, v4
	v_cndmask_b32_e64 v4, 0, 1, vcc_lo
	global_store_b8 v[2:3], v4, off
.LBB93_240:
	s_mov_b32 s41, 0
.LBB93_241:
	s_delay_alu instid0(SALU_CYCLE_1)
	s_and_b32 vcc_lo, exec_lo, s41
	s_cbranch_vccz .LBB93_280
; %bb.242:
	s_and_b32 s40, 0xffff, s40
	s_mov_b32 s41, -1
	s_cmp_lt_i32 s40, 5
	s_cbranch_scc1 .LBB93_263
; %bb.243:
	s_cmp_lt_i32 s40, 8
	s_cbranch_scc1 .LBB93_253
; %bb.244:
	;; [unrolled: 3-line block ×3, first 2 shown]
	s_cmp_gt_i32 s40, 9
	s_cbranch_scc0 .LBB93_247
; %bb.246:
	s_wait_xcnt 0x0
	v_dual_lshlrev_b32 v4, 16, v1 :: v_dual_mov_b32 v6, 0
	s_mov_b32 s41, 0
	s_delay_alu instid0(VALU_DEP_1) | instskip(NEXT) | instid1(VALU_DEP_2)
	v_cvt_f64_f32_e32 v[4:5], v4
	v_mov_b32_e32 v7, v6
	global_store_b128 v[2:3], v[4:7], off
.LBB93_247:
	s_and_not1_b32 vcc_lo, exec_lo, s41
	s_cbranch_vccnz .LBB93_249
; %bb.248:
	s_wait_xcnt 0x0
	v_dual_mov_b32 v5, 0 :: v_dual_lshlrev_b32 v4, 16, v1
	global_store_b64 v[2:3], v[4:5], off
.LBB93_249:
	s_mov_b32 s41, 0
.LBB93_250:
	s_delay_alu instid0(SALU_CYCLE_1)
	s_and_not1_b32 vcc_lo, exec_lo, s41
	s_cbranch_vccnz .LBB93_252
; %bb.251:
	s_wait_xcnt 0x0
	v_lshlrev_b32_e32 v4, 16, v1
	s_delay_alu instid0(VALU_DEP_1) | instskip(NEXT) | instid1(VALU_DEP_1)
	v_cvt_f16_f32_e32 v4, v4
	v_and_b32_e32 v4, 0xffff, v4
	global_store_b32 v[2:3], v4, off
.LBB93_252:
	s_mov_b32 s41, 0
.LBB93_253:
	s_delay_alu instid0(SALU_CYCLE_1)
	s_and_not1_b32 vcc_lo, exec_lo, s41
	s_cbranch_vccnz .LBB93_262
; %bb.254:
	s_cmp_lt_i32 s40, 6
	s_mov_b32 s41, -1
	s_cbranch_scc1 .LBB93_260
; %bb.255:
	s_cmp_gt_i32 s40, 6
	s_cbranch_scc0 .LBB93_257
; %bb.256:
	s_wait_xcnt 0x0
	v_lshlrev_b32_e32 v4, 16, v1
	s_mov_b32 s41, 0
	s_delay_alu instid0(VALU_DEP_1)
	v_cvt_f64_f32_e32 v[4:5], v4
	global_store_b64 v[2:3], v[4:5], off
.LBB93_257:
	s_and_not1_b32 vcc_lo, exec_lo, s41
	s_cbranch_vccnz .LBB93_259
; %bb.258:
	s_wait_xcnt 0x0
	v_lshlrev_b32_e32 v4, 16, v1
	global_store_b32 v[2:3], v4, off
.LBB93_259:
	s_mov_b32 s41, 0
.LBB93_260:
	s_delay_alu instid0(SALU_CYCLE_1)
	s_and_not1_b32 vcc_lo, exec_lo, s41
	s_cbranch_vccnz .LBB93_262
; %bb.261:
	s_wait_xcnt 0x0
	v_lshlrev_b32_e32 v4, 16, v1
	s_delay_alu instid0(VALU_DEP_1)
	v_cvt_f16_f32_e32 v4, v4
	global_store_b16 v[2:3], v4, off
.LBB93_262:
	s_mov_b32 s41, 0
.LBB93_263:
	s_delay_alu instid0(SALU_CYCLE_1)
	s_and_not1_b32 vcc_lo, exec_lo, s41
	s_cbranch_vccnz .LBB93_279
; %bb.264:
	s_cmp_lt_i32 s40, 2
	s_mov_b32 s41, -1
	s_cbranch_scc1 .LBB93_274
; %bb.265:
	s_cmp_lt_i32 s40, 3
	s_cbranch_scc1 .LBB93_271
; %bb.266:
	s_cmp_gt_i32 s40, 3
	s_cbranch_scc0 .LBB93_268
; %bb.267:
	s_wait_xcnt 0x0
	v_lshlrev_b32_e32 v4, 16, v1
	s_mov_b32 s41, 0
	s_delay_alu instid0(VALU_DEP_1) | instskip(NEXT) | instid1(VALU_DEP_1)
	v_trunc_f32_e32 v4, v4
	v_mul_f32_e64 v5, 0x2f800000, |v4|
	s_delay_alu instid0(VALU_DEP_1) | instskip(NEXT) | instid1(VALU_DEP_1)
	v_floor_f32_e32 v5, v5
	v_fma_f32 v6, 0xcf800000, v5, |v4|
	v_ashrrev_i32_e32 v4, 31, v4
	v_cvt_u32_f32_e32 v7, v5
	s_delay_alu instid0(VALU_DEP_3) | instskip(NEXT) | instid1(VALU_DEP_2)
	v_cvt_u32_f32_e32 v6, v6
	v_dual_mov_b32 v5, v4 :: v_dual_bitop2_b32 v7, v7, v4 bitop3:0x14
	s_delay_alu instid0(VALU_DEP_2) | instskip(NEXT) | instid1(VALU_DEP_1)
	v_xor_b32_e32 v6, v6, v4
	v_sub_nc_u64_e32 v[4:5], v[6:7], v[4:5]
	global_store_b64 v[2:3], v[4:5], off
.LBB93_268:
	s_and_not1_b32 vcc_lo, exec_lo, s41
	s_cbranch_vccnz .LBB93_270
; %bb.269:
	s_wait_xcnt 0x0
	v_lshlrev_b32_e32 v4, 16, v1
	s_delay_alu instid0(VALU_DEP_1)
	v_cvt_i32_f32_e32 v4, v4
	global_store_b32 v[2:3], v4, off
.LBB93_270:
	s_mov_b32 s41, 0
.LBB93_271:
	s_delay_alu instid0(SALU_CYCLE_1)
	s_and_not1_b32 vcc_lo, exec_lo, s41
	s_cbranch_vccnz .LBB93_273
; %bb.272:
	s_wait_xcnt 0x0
	v_lshlrev_b32_e32 v4, 16, v1
	s_delay_alu instid0(VALU_DEP_1)
	v_cvt_i32_f32_e32 v4, v4
	global_store_b16 v[2:3], v4, off
.LBB93_273:
	s_mov_b32 s41, 0
.LBB93_274:
	s_delay_alu instid0(SALU_CYCLE_1)
	s_and_not1_b32 vcc_lo, exec_lo, s41
	s_cbranch_vccnz .LBB93_279
; %bb.275:
	s_cmp_gt_i32 s40, 0
	s_mov_b32 s40, -1
	s_cbranch_scc0 .LBB93_277
; %bb.276:
	s_wait_xcnt 0x0
	v_lshlrev_b32_e32 v4, 16, v1
	s_mov_b32 s40, 0
	s_delay_alu instid0(VALU_DEP_1)
	v_cvt_i32_f32_e32 v4, v4
	global_store_b8 v[2:3], v4, off
.LBB93_277:
	s_and_not1_b32 vcc_lo, exec_lo, s40
	s_cbranch_vccnz .LBB93_279
; %bb.278:
	s_wait_xcnt 0x0
	v_lshlrev_b32_e32 v1, 16, v1
	s_delay_alu instid0(VALU_DEP_1) | instskip(NEXT) | instid1(VALU_DEP_1)
	v_trunc_f32_e32 v1, v1
	v_mul_f32_e64 v4, 0x2f800000, |v1|
	s_delay_alu instid0(VALU_DEP_1) | instskip(NEXT) | instid1(VALU_DEP_1)
	v_floor_f32_e32 v4, v4
	v_fma_f32 v4, 0xcf800000, v4, |v1|
	v_ashrrev_i32_e32 v1, 31, v1
	s_delay_alu instid0(VALU_DEP_2) | instskip(NEXT) | instid1(VALU_DEP_1)
	v_cvt_u32_f32_e32 v4, v4
	v_xor_b32_e32 v4, v4, v1
	s_delay_alu instid0(VALU_DEP_1)
	v_sub_nc_u32_e32 v1, v4, v1
	global_store_b8 v[2:3], v1, off
.LBB93_279:
	s_mov_b32 s42, -1
.LBB93_280:
	s_delay_alu instid0(SALU_CYCLE_1)
	s_and_not1_b32 vcc_lo, exec_lo, s42
	s_cbranch_vccnz .LBB93_393
; %bb.281:
	v_add_nc_u32_e32 v0, 0x80, v0
	s_mov_b32 s44, -1
	s_branch .LBB93_394
.LBB93_282:
	s_mov_b32 s27, -1
                                        ; implicit-def: $vgpr3
.LBB93_283:
	s_mov_b32 s42, 0
.LBB93_284:
	s_delay_alu instid0(SALU_CYCLE_1)
	s_and_b32 vcc_lo, exec_lo, s42
	s_cbranch_vccz .LBB93_288
; %bb.285:
	s_cmp_eq_u32 s40, 29
	s_cbranch_scc0 .LBB93_287
; %bb.286:
	global_load_b64 v[6:7], v[4:5], off
	s_mov_b32 s41, -1
	s_mov_b32 s27, 0
	s_mov_b32 s42, 0
	s_wait_loadcnt 0x0
	v_clz_i32_u32_e32 v3, v7
	s_delay_alu instid0(VALU_DEP_1) | instskip(NEXT) | instid1(VALU_DEP_1)
	v_min_u32_e32 v3, 32, v3
	v_lshlrev_b64_e32 v[6:7], v3, v[6:7]
	v_sub_nc_u32_e32 v3, 32, v3
	s_delay_alu instid0(VALU_DEP_2) | instskip(NEXT) | instid1(VALU_DEP_1)
	v_min_u32_e32 v6, 1, v6
	v_or_b32_e32 v6, v7, v6
	s_delay_alu instid0(VALU_DEP_1) | instskip(NEXT) | instid1(VALU_DEP_1)
	v_cvt_f32_u32_e32 v6, v6
	v_ldexp_f32 v3, v6, v3
	s_delay_alu instid0(VALU_DEP_1) | instskip(NEXT) | instid1(VALU_DEP_1)
	v_bfe_u32 v6, v3, 16, 1
	v_add3_u32 v3, v3, v6, 0x7fff
	s_delay_alu instid0(VALU_DEP_1)
	v_lshrrev_b32_e32 v3, 16, v3
	s_branch .LBB93_289
.LBB93_287:
	s_mov_b32 s27, -1
                                        ; implicit-def: $vgpr3
.LBB93_288:
	s_mov_b32 s42, 0
.LBB93_289:
	s_delay_alu instid0(SALU_CYCLE_1)
	s_and_b32 vcc_lo, exec_lo, s42
	s_cbranch_vccz .LBB93_307
; %bb.290:
	s_cmp_lt_i32 s40, 27
	s_cbranch_scc1 .LBB93_293
; %bb.291:
	s_cmp_gt_i32 s40, 27
	s_cbranch_scc0 .LBB93_294
; %bb.292:
	s_wait_loadcnt 0x0
	global_load_b32 v3, v[4:5], off
	s_mov_b32 s41, 0
	s_wait_loadcnt 0x0
	v_cvt_f32_u32_e32 v3, v3
	s_delay_alu instid0(VALU_DEP_1) | instskip(NEXT) | instid1(VALU_DEP_1)
	v_bfe_u32 v6, v3, 16, 1
	v_add3_u32 v3, v3, v6, 0x7fff
	s_delay_alu instid0(VALU_DEP_1)
	v_lshrrev_b32_e32 v3, 16, v3
	s_branch .LBB93_295
.LBB93_293:
	s_mov_b32 s41, -1
                                        ; implicit-def: $vgpr3
	s_branch .LBB93_298
.LBB93_294:
	s_mov_b32 s41, -1
                                        ; implicit-def: $vgpr3
.LBB93_295:
	s_delay_alu instid0(SALU_CYCLE_1)
	s_and_not1_b32 vcc_lo, exec_lo, s41
	s_cbranch_vccnz .LBB93_297
; %bb.296:
	s_wait_loadcnt 0x0
	global_load_u16 v3, v[4:5], off
	s_wait_loadcnt 0x0
	v_cvt_f32_u32_e32 v3, v3
	s_delay_alu instid0(VALU_DEP_1) | instskip(NEXT) | instid1(VALU_DEP_1)
	v_bfe_u32 v6, v3, 16, 1
	v_add3_u32 v3, v3, v6, 0x7fff
	s_delay_alu instid0(VALU_DEP_1)
	v_lshrrev_b32_e32 v3, 16, v3
.LBB93_297:
	s_mov_b32 s41, 0
.LBB93_298:
	s_delay_alu instid0(SALU_CYCLE_1)
	s_and_not1_b32 vcc_lo, exec_lo, s41
	s_cbranch_vccnz .LBB93_306
; %bb.299:
	s_wait_loadcnt 0x0
	global_load_u8 v3, v[4:5], off
	s_mov_b32 s41, 0
	s_mov_b32 s42, exec_lo
	s_wait_loadcnt 0x0
	v_cmpx_lt_i16_e32 0x7f, v3
	s_xor_b32 s42, exec_lo, s42
	s_cbranch_execz .LBB93_320
; %bb.300:
	s_mov_b32 s41, -1
	s_mov_b32 s44, exec_lo
	v_cmpx_eq_u16_e32 0x80, v3
; %bb.301:
	s_xor_b32 s41, exec_lo, -1
; %bb.302:
	s_or_b32 exec_lo, exec_lo, s44
	s_delay_alu instid0(SALU_CYCLE_1)
	s_and_b32 s41, s41, exec_lo
	s_or_saveexec_b32 s42, s42
	v_mov_b32_e32 v6, 0x7f800001
	s_xor_b32 exec_lo, exec_lo, s42
	s_cbranch_execnz .LBB93_321
.LBB93_303:
	s_or_b32 exec_lo, exec_lo, s42
	s_and_saveexec_b32 s42, s41
	s_cbranch_execz .LBB93_305
.LBB93_304:
	v_and_b32_e32 v6, 0xffff, v3
	s_delay_alu instid0(VALU_DEP_1) | instskip(SKIP_1) | instid1(VALU_DEP_2)
	v_and_b32_e32 v7, 7, v6
	v_bfe_u32 v10, v6, 3, 4
	v_clz_i32_u32_e32 v8, v7
	s_delay_alu instid0(VALU_DEP_2) | instskip(NEXT) | instid1(VALU_DEP_2)
	v_cmp_eq_u32_e32 vcc_lo, 0, v10
	v_min_u32_e32 v8, 32, v8
	s_delay_alu instid0(VALU_DEP_1) | instskip(NEXT) | instid1(VALU_DEP_1)
	v_subrev_nc_u32_e32 v9, 28, v8
	v_dual_lshlrev_b32 v6, v9, v6 :: v_dual_sub_nc_u32 v8, 29, v8
	s_delay_alu instid0(VALU_DEP_1) | instskip(NEXT) | instid1(VALU_DEP_1)
	v_dual_lshlrev_b32 v3, 24, v3 :: v_dual_bitop2_b32 v6, 7, v6 bitop3:0x40
	v_dual_cndmask_b32 v8, v10, v8, vcc_lo :: v_dual_cndmask_b32 v6, v7, v6, vcc_lo
	s_delay_alu instid0(VALU_DEP_2) | instskip(NEXT) | instid1(VALU_DEP_2)
	v_and_b32_e32 v3, 0x80000000, v3
	v_lshl_add_u32 v7, v8, 23, 0x3b800000
	s_delay_alu instid0(VALU_DEP_3) | instskip(NEXT) | instid1(VALU_DEP_1)
	v_lshlrev_b32_e32 v6, 20, v6
	v_or3_b32 v6, v3, v7, v6
.LBB93_305:
	s_or_b32 exec_lo, exec_lo, s42
	s_delay_alu instid0(VALU_DEP_1) | instskip(SKIP_1) | instid1(VALU_DEP_2)
	v_bfe_u32 v3, v6, 16, 1
	v_cmp_o_f32_e32 vcc_lo, v6, v6
	v_add3_u32 v3, v6, v3, 0x7fff
	s_delay_alu instid0(VALU_DEP_1) | instskip(NEXT) | instid1(VALU_DEP_1)
	v_lshrrev_b32_e32 v3, 16, v3
	v_cndmask_b32_e32 v3, 0x7fc0, v3, vcc_lo
.LBB93_306:
	s_mov_b32 s41, -1
.LBB93_307:
	s_mov_b32 s42, 0
.LBB93_308:
	s_delay_alu instid0(SALU_CYCLE_1)
	s_and_b32 vcc_lo, exec_lo, s42
	s_cbranch_vccz .LBB93_343
; %bb.309:
	s_cmp_gt_i32 s40, 22
	s_cbranch_scc0 .LBB93_319
; %bb.310:
	s_cmp_lt_i32 s40, 24
	s_cbranch_scc1 .LBB93_322
; %bb.311:
	s_cmp_gt_i32 s40, 24
	s_cbranch_scc0 .LBB93_323
; %bb.312:
	s_wait_loadcnt 0x0
	global_load_u8 v3, v[4:5], off
	s_mov_b32 s41, 0
	s_mov_b32 s42, exec_lo
	s_wait_loadcnt 0x0
	v_cmpx_lt_i16_e32 0x7f, v3
	s_xor_b32 s42, exec_lo, s42
	s_cbranch_execz .LBB93_335
; %bb.313:
	s_mov_b32 s41, -1
	s_mov_b32 s44, exec_lo
	v_cmpx_eq_u16_e32 0x80, v3
; %bb.314:
	s_xor_b32 s41, exec_lo, -1
; %bb.315:
	s_or_b32 exec_lo, exec_lo, s44
	s_delay_alu instid0(SALU_CYCLE_1)
	s_and_b32 s41, s41, exec_lo
	s_or_saveexec_b32 s42, s42
	v_mov_b32_e32 v6, 0x7f800001
	s_xor_b32 exec_lo, exec_lo, s42
	s_cbranch_execnz .LBB93_336
.LBB93_316:
	s_or_b32 exec_lo, exec_lo, s42
	s_and_saveexec_b32 s42, s41
	s_cbranch_execz .LBB93_318
.LBB93_317:
	v_and_b32_e32 v6, 0xffff, v3
	s_delay_alu instid0(VALU_DEP_1) | instskip(SKIP_1) | instid1(VALU_DEP_2)
	v_and_b32_e32 v7, 3, v6
	v_bfe_u32 v10, v6, 2, 5
	v_clz_i32_u32_e32 v8, v7
	s_delay_alu instid0(VALU_DEP_2) | instskip(NEXT) | instid1(VALU_DEP_2)
	v_cmp_eq_u32_e32 vcc_lo, 0, v10
	v_min_u32_e32 v8, 32, v8
	s_delay_alu instid0(VALU_DEP_1) | instskip(NEXT) | instid1(VALU_DEP_1)
	v_subrev_nc_u32_e32 v9, 29, v8
	v_dual_lshlrev_b32 v6, v9, v6 :: v_dual_sub_nc_u32 v8, 30, v8
	s_delay_alu instid0(VALU_DEP_1) | instskip(NEXT) | instid1(VALU_DEP_1)
	v_dual_lshlrev_b32 v3, 24, v3 :: v_dual_bitop2_b32 v6, 3, v6 bitop3:0x40
	v_dual_cndmask_b32 v8, v10, v8, vcc_lo :: v_dual_cndmask_b32 v6, v7, v6, vcc_lo
	s_delay_alu instid0(VALU_DEP_2) | instskip(NEXT) | instid1(VALU_DEP_2)
	v_and_b32_e32 v3, 0x80000000, v3
	v_lshl_add_u32 v7, v8, 23, 0x37800000
	s_delay_alu instid0(VALU_DEP_3) | instskip(NEXT) | instid1(VALU_DEP_1)
	v_lshlrev_b32_e32 v6, 21, v6
	v_or3_b32 v6, v3, v7, v6
.LBB93_318:
	s_or_b32 exec_lo, exec_lo, s42
	s_delay_alu instid0(VALU_DEP_1) | instskip(SKIP_2) | instid1(VALU_DEP_2)
	v_bfe_u32 v3, v6, 16, 1
	v_cmp_o_f32_e32 vcc_lo, v6, v6
	s_mov_b32 s41, 0
	v_add3_u32 v3, v6, v3, 0x7fff
	s_delay_alu instid0(VALU_DEP_1) | instskip(NEXT) | instid1(VALU_DEP_1)
	v_lshrrev_b32_e32 v3, 16, v3
	v_cndmask_b32_e32 v3, 0x7fc0, v3, vcc_lo
	s_branch .LBB93_324
.LBB93_319:
	s_mov_b32 s42, -1
                                        ; implicit-def: $vgpr3
	s_branch .LBB93_330
.LBB93_320:
	s_or_saveexec_b32 s42, s42
	v_mov_b32_e32 v6, 0x7f800001
	s_xor_b32 exec_lo, exec_lo, s42
	s_cbranch_execz .LBB93_303
.LBB93_321:
	v_cmp_ne_u16_e32 vcc_lo, 0, v3
	v_mov_b32_e32 v6, 0
	s_and_not1_b32 s41, s41, exec_lo
	s_and_b32 s44, vcc_lo, exec_lo
	s_delay_alu instid0(SALU_CYCLE_1)
	s_or_b32 s41, s41, s44
	s_or_b32 exec_lo, exec_lo, s42
	s_and_saveexec_b32 s42, s41
	s_cbranch_execnz .LBB93_304
	s_branch .LBB93_305
.LBB93_322:
	s_mov_b32 s41, -1
                                        ; implicit-def: $vgpr3
	s_branch .LBB93_327
.LBB93_323:
	s_mov_b32 s41, -1
                                        ; implicit-def: $vgpr3
.LBB93_324:
	s_delay_alu instid0(SALU_CYCLE_1)
	s_and_b32 vcc_lo, exec_lo, s41
	s_cbranch_vccz .LBB93_326
; %bb.325:
	s_wait_loadcnt 0x0
	global_load_u8 v3, v[4:5], off
	s_wait_loadcnt 0x0
	v_lshlrev_b32_e32 v3, 24, v3
	s_delay_alu instid0(VALU_DEP_1) | instskip(NEXT) | instid1(VALU_DEP_1)
	v_and_b32_e32 v6, 0x7f000000, v3
	v_clz_i32_u32_e32 v7, v6
	v_cmp_ne_u32_e32 vcc_lo, 0, v6
	v_add_nc_u32_e32 v9, 0x1000000, v6
	s_delay_alu instid0(VALU_DEP_3) | instskip(NEXT) | instid1(VALU_DEP_1)
	v_min_u32_e32 v7, 32, v7
	v_sub_nc_u32_e64 v7, v7, 4 clamp
	s_delay_alu instid0(VALU_DEP_1) | instskip(NEXT) | instid1(VALU_DEP_1)
	v_dual_lshlrev_b32 v8, v7, v6 :: v_dual_lshlrev_b32 v7, 23, v7
	v_lshrrev_b32_e32 v8, 4, v8
	s_delay_alu instid0(VALU_DEP_1) | instskip(NEXT) | instid1(VALU_DEP_1)
	v_dual_sub_nc_u32 v7, v8, v7 :: v_dual_ashrrev_i32 v8, 8, v9
	v_add_nc_u32_e32 v7, 0x3c000000, v7
	s_delay_alu instid0(VALU_DEP_1) | instskip(NEXT) | instid1(VALU_DEP_1)
	v_and_or_b32 v7, 0x7f800000, v8, v7
	v_cndmask_b32_e32 v6, 0, v7, vcc_lo
	s_delay_alu instid0(VALU_DEP_1) | instskip(SKIP_1) | instid1(VALU_DEP_2)
	v_and_or_b32 v3, 0x80000000, v3, v6
	v_bfe_u32 v6, v6, 16, 1
	v_cmp_o_f32_e32 vcc_lo, v3, v3
	s_delay_alu instid0(VALU_DEP_2) | instskip(NEXT) | instid1(VALU_DEP_1)
	v_add3_u32 v6, v3, v6, 0x7fff
	v_lshrrev_b32_e32 v6, 16, v6
	s_delay_alu instid0(VALU_DEP_1)
	v_cndmask_b32_e32 v3, 0x7fc0, v6, vcc_lo
.LBB93_326:
	s_mov_b32 s41, 0
.LBB93_327:
	s_delay_alu instid0(SALU_CYCLE_1)
	s_and_not1_b32 vcc_lo, exec_lo, s41
	s_cbranch_vccnz .LBB93_329
; %bb.328:
	s_wait_loadcnt 0x0
	global_load_u8 v3, v[4:5], off
	s_wait_loadcnt 0x0
	v_lshlrev_b32_e32 v6, 25, v3
	v_lshlrev_b16 v3, 8, v3
	s_delay_alu instid0(VALU_DEP_1) | instskip(SKIP_1) | instid1(VALU_DEP_2)
	v_and_or_b32 v8, 0x7f00, v3, 0.5
	v_bfe_i32 v3, v3, 0, 16
	v_dual_add_f32 v8, -0.5, v8 :: v_dual_lshrrev_b32 v7, 4, v6
	v_cmp_gt_u32_e32 vcc_lo, 0x8000000, v6
	s_delay_alu instid0(VALU_DEP_2) | instskip(NEXT) | instid1(VALU_DEP_1)
	v_or_b32_e32 v7, 0x70000000, v7
	v_mul_f32_e32 v7, 0x7800000, v7
	s_delay_alu instid0(VALU_DEP_1) | instskip(NEXT) | instid1(VALU_DEP_1)
	v_cndmask_b32_e32 v6, v7, v8, vcc_lo
	v_and_or_b32 v3, 0x80000000, v3, v6
	v_bfe_u32 v6, v6, 16, 1
	s_delay_alu instid0(VALU_DEP_2) | instskip(NEXT) | instid1(VALU_DEP_2)
	v_cmp_o_f32_e32 vcc_lo, v3, v3
	v_add3_u32 v6, v3, v6, 0x7fff
	s_delay_alu instid0(VALU_DEP_1) | instskip(NEXT) | instid1(VALU_DEP_1)
	v_lshrrev_b32_e32 v6, 16, v6
	v_cndmask_b32_e32 v3, 0x7fc0, v6, vcc_lo
.LBB93_329:
	s_mov_b32 s42, 0
	s_mov_b32 s41, -1
.LBB93_330:
	s_and_not1_b32 vcc_lo, exec_lo, s42
	s_cbranch_vccnz .LBB93_343
; %bb.331:
	s_cmp_gt_i32 s40, 14
	s_cbranch_scc0 .LBB93_334
; %bb.332:
	s_cmp_eq_u32 s40, 15
	s_cbranch_scc0 .LBB93_337
; %bb.333:
	s_wait_loadcnt 0x0
	global_load_u16 v3, v[4:5], off
	s_mov_b32 s41, -1
	s_mov_b32 s27, 0
	s_branch .LBB93_338
.LBB93_334:
	s_mov_b32 s42, -1
                                        ; implicit-def: $vgpr3
	s_branch .LBB93_339
.LBB93_335:
	s_or_saveexec_b32 s42, s42
	v_mov_b32_e32 v6, 0x7f800001
	s_xor_b32 exec_lo, exec_lo, s42
	s_cbranch_execz .LBB93_316
.LBB93_336:
	v_cmp_ne_u16_e32 vcc_lo, 0, v3
	v_mov_b32_e32 v6, 0
	s_and_not1_b32 s41, s41, exec_lo
	s_and_b32 s44, vcc_lo, exec_lo
	s_delay_alu instid0(SALU_CYCLE_1)
	s_or_b32 s41, s41, s44
	s_or_b32 exec_lo, exec_lo, s42
	s_and_saveexec_b32 s42, s41
	s_cbranch_execnz .LBB93_317
	s_branch .LBB93_318
.LBB93_337:
	s_mov_b32 s27, -1
                                        ; implicit-def: $vgpr3
.LBB93_338:
	s_mov_b32 s42, 0
.LBB93_339:
	s_delay_alu instid0(SALU_CYCLE_1)
	s_and_b32 vcc_lo, exec_lo, s42
	s_cbranch_vccz .LBB93_343
; %bb.340:
	s_cmp_eq_u32 s40, 11
	s_cbranch_scc0 .LBB93_342
; %bb.341:
	s_wait_loadcnt 0x0
	global_load_u8 v3, v[4:5], off
	s_mov_b32 s27, 0
	s_mov_b32 s41, -1
	s_wait_loadcnt 0x0
	v_cmp_ne_u16_e32 vcc_lo, 0, v3
	v_cndmask_b32_e64 v3, 0, 1.0, vcc_lo
	s_delay_alu instid0(VALU_DEP_1)
	v_lshrrev_b32_e32 v3, 16, v3
	s_branch .LBB93_343
.LBB93_342:
	s_mov_b32 s27, -1
                                        ; implicit-def: $vgpr3
.LBB93_343:
	s_branch .LBB93_31
.LBB93_344:
	s_and_b32 s0, 0xffff, s0
	s_delay_alu instid0(SALU_CYCLE_1)
	s_cmp_lt_i32 s0, 5
	s_cbranch_scc1 .LBB93_349
; %bb.345:
	s_cmp_lt_i32 s0, 8
	s_cbranch_scc1 .LBB93_350
; %bb.346:
	s_cmp_lt_i32 s0, 9
	s_cbranch_scc1 .LBB93_351
; %bb.347:
	s_cmp_gt_i32 s0, 9
	s_cbranch_scc0 .LBB93_352
; %bb.348:
	global_load_b64 v[6:7], v[4:5], off
	s_mov_b32 s40, 0
	s_wait_loadcnt 0x0
	v_cvt_f32_f64_e32 v3, v[6:7]
	s_delay_alu instid0(VALU_DEP_1) | instskip(SKIP_1) | instid1(VALU_DEP_2)
	v_bfe_u32 v6, v3, 16, 1
	v_cmp_o_f32_e32 vcc_lo, v3, v3
	v_add3_u32 v6, v3, v6, 0x7fff
	s_delay_alu instid0(VALU_DEP_1) | instskip(NEXT) | instid1(VALU_DEP_1)
	v_lshrrev_b32_e32 v6, 16, v6
	v_cndmask_b32_e32 v3, 0x7fc0, v6, vcc_lo
	s_branch .LBB93_353
.LBB93_349:
	s_mov_b32 s40, -1
                                        ; implicit-def: $vgpr3
	s_branch .LBB93_371
.LBB93_350:
	s_mov_b32 s40, -1
                                        ; implicit-def: $vgpr3
	s_branch .LBB93_359
.LBB93_351:
	s_mov_b32 s40, -1
                                        ; implicit-def: $vgpr3
	s_branch .LBB93_356
.LBB93_352:
	s_mov_b32 s40, -1
                                        ; implicit-def: $vgpr3
.LBB93_353:
	s_delay_alu instid0(SALU_CYCLE_1)
	s_and_not1_b32 vcc_lo, exec_lo, s40
	s_cbranch_vccnz .LBB93_355
; %bb.354:
	s_wait_loadcnt 0x0
	global_load_b32 v3, v[4:5], off
	s_wait_loadcnt 0x0
	v_bfe_u32 v6, v3, 16, 1
	v_cmp_o_f32_e32 vcc_lo, v3, v3
	s_delay_alu instid0(VALU_DEP_2) | instskip(NEXT) | instid1(VALU_DEP_1)
	v_add3_u32 v6, v3, v6, 0x7fff
	v_lshrrev_b32_e32 v6, 16, v6
	s_delay_alu instid0(VALU_DEP_1)
	v_cndmask_b32_e32 v3, 0x7fc0, v6, vcc_lo
.LBB93_355:
	s_mov_b32 s40, 0
.LBB93_356:
	s_delay_alu instid0(SALU_CYCLE_1)
	s_and_not1_b32 vcc_lo, exec_lo, s40
	s_cbranch_vccnz .LBB93_358
; %bb.357:
	s_wait_loadcnt 0x0
	global_load_b32 v3, v[4:5], off
	s_wait_loadcnt 0x0
	v_cvt_f32_f16_e32 v6, v3
	v_cmp_o_f16_e32 vcc_lo, v3, v3
	s_delay_alu instid0(VALU_DEP_2) | instskip(NEXT) | instid1(VALU_DEP_1)
	v_bfe_u32 v7, v6, 16, 1
	v_add3_u32 v6, v6, v7, 0x7fff
	s_delay_alu instid0(VALU_DEP_1) | instskip(NEXT) | instid1(VALU_DEP_1)
	v_lshrrev_b32_e32 v6, 16, v6
	v_cndmask_b32_e32 v3, 0x7fc0, v6, vcc_lo
.LBB93_358:
	s_mov_b32 s40, 0
.LBB93_359:
	s_delay_alu instid0(SALU_CYCLE_1)
	s_and_not1_b32 vcc_lo, exec_lo, s40
	s_cbranch_vccnz .LBB93_370
; %bb.360:
	s_cmp_lt_i32 s0, 6
	s_cbranch_scc1 .LBB93_363
; %bb.361:
	s_cmp_gt_i32 s0, 6
	s_cbranch_scc0 .LBB93_364
; %bb.362:
	global_load_b64 v[6:7], v[4:5], off
	s_mov_b32 s40, 0
	s_wait_loadcnt 0x0
	v_cvt_f32_f64_e32 v3, v[6:7]
	s_delay_alu instid0(VALU_DEP_1) | instskip(SKIP_1) | instid1(VALU_DEP_2)
	v_bfe_u32 v6, v3, 16, 1
	v_cmp_o_f32_e32 vcc_lo, v3, v3
	v_add3_u32 v6, v3, v6, 0x7fff
	s_delay_alu instid0(VALU_DEP_1) | instskip(NEXT) | instid1(VALU_DEP_1)
	v_lshrrev_b32_e32 v6, 16, v6
	v_cndmask_b32_e32 v3, 0x7fc0, v6, vcc_lo
	s_branch .LBB93_365
.LBB93_363:
	s_mov_b32 s40, -1
                                        ; implicit-def: $vgpr3
	s_branch .LBB93_368
.LBB93_364:
	s_mov_b32 s40, -1
                                        ; implicit-def: $vgpr3
.LBB93_365:
	s_delay_alu instid0(SALU_CYCLE_1)
	s_and_not1_b32 vcc_lo, exec_lo, s40
	s_cbranch_vccnz .LBB93_367
; %bb.366:
	s_wait_loadcnt 0x0
	global_load_b32 v3, v[4:5], off
	s_wait_loadcnt 0x0
	v_bfe_u32 v6, v3, 16, 1
	v_cmp_o_f32_e32 vcc_lo, v3, v3
	s_delay_alu instid0(VALU_DEP_2) | instskip(NEXT) | instid1(VALU_DEP_1)
	v_add3_u32 v6, v3, v6, 0x7fff
	v_lshrrev_b32_e32 v6, 16, v6
	s_delay_alu instid0(VALU_DEP_1)
	v_cndmask_b32_e32 v3, 0x7fc0, v6, vcc_lo
.LBB93_367:
	s_mov_b32 s40, 0
.LBB93_368:
	s_delay_alu instid0(SALU_CYCLE_1)
	s_and_not1_b32 vcc_lo, exec_lo, s40
	s_cbranch_vccnz .LBB93_370
; %bb.369:
	s_wait_loadcnt 0x0
	global_load_u16 v3, v[4:5], off
	s_wait_loadcnt 0x0
	v_cvt_f32_f16_e32 v6, v3
	v_cmp_o_f16_e32 vcc_lo, v3, v3
	s_delay_alu instid0(VALU_DEP_2) | instskip(NEXT) | instid1(VALU_DEP_1)
	v_bfe_u32 v7, v6, 16, 1
	v_add3_u32 v6, v6, v7, 0x7fff
	s_delay_alu instid0(VALU_DEP_1) | instskip(NEXT) | instid1(VALU_DEP_1)
	v_lshrrev_b32_e32 v6, 16, v6
	v_cndmask_b32_e32 v3, 0x7fc0, v6, vcc_lo
.LBB93_370:
	s_mov_b32 s40, 0
.LBB93_371:
	s_delay_alu instid0(SALU_CYCLE_1)
	s_and_not1_b32 vcc_lo, exec_lo, s40
	s_cbranch_vccnz .LBB93_391
; %bb.372:
	s_cmp_lt_i32 s0, 2
	s_cbranch_scc1 .LBB93_376
; %bb.373:
	s_cmp_lt_i32 s0, 3
	s_cbranch_scc1 .LBB93_377
; %bb.374:
	s_cmp_gt_i32 s0, 3
	s_cbranch_scc0 .LBB93_378
; %bb.375:
	global_load_b64 v[6:7], v[4:5], off
	s_mov_b32 s40, 0
	s_wait_loadcnt 0x0
	v_xor_b32_e32 v3, v6, v7
	v_cls_i32_e32 v8, v7
	s_delay_alu instid0(VALU_DEP_2) | instskip(NEXT) | instid1(VALU_DEP_1)
	v_ashrrev_i32_e32 v3, 31, v3
	v_add_nc_u32_e32 v3, 32, v3
	s_delay_alu instid0(VALU_DEP_1) | instskip(NEXT) | instid1(VALU_DEP_1)
	v_add_min_u32_e64 v3, v8, -1, v3
	v_lshlrev_b64_e32 v[6:7], v3, v[6:7]
	v_sub_nc_u32_e32 v3, 32, v3
	s_delay_alu instid0(VALU_DEP_2) | instskip(NEXT) | instid1(VALU_DEP_1)
	v_min_u32_e32 v6, 1, v6
	v_or_b32_e32 v6, v7, v6
	s_delay_alu instid0(VALU_DEP_1) | instskip(NEXT) | instid1(VALU_DEP_1)
	v_cvt_f32_i32_e32 v6, v6
	v_ldexp_f32 v3, v6, v3
	s_delay_alu instid0(VALU_DEP_1) | instskip(NEXT) | instid1(VALU_DEP_1)
	v_bfe_u32 v6, v3, 16, 1
	v_add3_u32 v3, v3, v6, 0x7fff
	s_delay_alu instid0(VALU_DEP_1)
	v_lshrrev_b32_e32 v3, 16, v3
	s_branch .LBB93_379
.LBB93_376:
	s_mov_b32 s40, -1
                                        ; implicit-def: $vgpr3
	s_branch .LBB93_385
.LBB93_377:
	s_mov_b32 s40, -1
                                        ; implicit-def: $vgpr3
	s_branch .LBB93_382
.LBB93_378:
	s_mov_b32 s40, -1
                                        ; implicit-def: $vgpr3
.LBB93_379:
	s_delay_alu instid0(SALU_CYCLE_1)
	s_and_not1_b32 vcc_lo, exec_lo, s40
	s_cbranch_vccnz .LBB93_381
; %bb.380:
	s_wait_loadcnt 0x0
	global_load_b32 v3, v[4:5], off
	s_wait_loadcnt 0x0
	v_cvt_f32_i32_e32 v3, v3
	s_delay_alu instid0(VALU_DEP_1) | instskip(NEXT) | instid1(VALU_DEP_1)
	v_bfe_u32 v6, v3, 16, 1
	v_add3_u32 v3, v3, v6, 0x7fff
	s_delay_alu instid0(VALU_DEP_1)
	v_lshrrev_b32_e32 v3, 16, v3
.LBB93_381:
	s_mov_b32 s40, 0
.LBB93_382:
	s_delay_alu instid0(SALU_CYCLE_1)
	s_and_not1_b32 vcc_lo, exec_lo, s40
	s_cbranch_vccnz .LBB93_384
; %bb.383:
	s_wait_loadcnt 0x0
	global_load_i16 v3, v[4:5], off
	s_wait_loadcnt 0x0
	v_cvt_f32_i32_e32 v3, v3
	s_delay_alu instid0(VALU_DEP_1) | instskip(NEXT) | instid1(VALU_DEP_1)
	v_bfe_u32 v6, v3, 16, 1
	v_add3_u32 v3, v3, v6, 0x7fff
	s_delay_alu instid0(VALU_DEP_1)
	v_lshrrev_b32_e32 v3, 16, v3
.LBB93_384:
	s_mov_b32 s40, 0
.LBB93_385:
	s_delay_alu instid0(SALU_CYCLE_1)
	s_and_not1_b32 vcc_lo, exec_lo, s40
	s_cbranch_vccnz .LBB93_391
; %bb.386:
	s_cmp_gt_i32 s0, 0
	s_mov_b32 s0, 0
	s_cbranch_scc0 .LBB93_388
; %bb.387:
	s_wait_loadcnt 0x0
	global_load_i8 v3, v[4:5], off
	s_wait_loadcnt 0x0
	v_cvt_f32_i32_e32 v3, v3
	s_delay_alu instid0(VALU_DEP_1) | instskip(NEXT) | instid1(VALU_DEP_1)
	v_bfe_u32 v6, v3, 16, 1
	v_add3_u32 v3, v3, v6, 0x7fff
	s_delay_alu instid0(VALU_DEP_1)
	v_lshrrev_b32_e32 v3, 16, v3
	s_branch .LBB93_389
.LBB93_388:
	s_mov_b32 s0, -1
                                        ; implicit-def: $vgpr3
.LBB93_389:
	s_delay_alu instid0(SALU_CYCLE_1)
	s_and_not1_b32 vcc_lo, exec_lo, s0
	s_cbranch_vccnz .LBB93_391
; %bb.390:
	s_wait_loadcnt 0x0
	global_load_u8 v3, v[4:5], off
	s_wait_loadcnt 0x0
	v_cvt_f32_ubyte0_e32 v3, v3
	s_delay_alu instid0(VALU_DEP_1) | instskip(NEXT) | instid1(VALU_DEP_1)
	v_bfe_u32 v4, v3, 16, 1
	v_add3_u32 v3, v3, v4, 0x7fff
	s_delay_alu instid0(VALU_DEP_1)
	v_lshrrev_b32_e32 v3, 16, v3
.LBB93_391:
	s_branch .LBB93_32
.LBB93_392:
	s_mov_b32 s0, 0
.LBB93_393:
	s_mov_b32 s44, 0
                                        ; implicit-def: $vgpr0
.LBB93_394:
	s_and_b32 s40, s0, exec_lo
	s_and_b32 s41, s27, exec_lo
	;; [unrolled: 1-line block ×3, first 2 shown]
	s_or_not1_b32 s27, s44, exec_lo
.LBB93_395:
	s_wait_xcnt 0x0
	s_or_b32 exec_lo, exec_lo, s43
	s_mov_b32 s45, 0
	s_mov_b32 s26, 0
                                        ; implicit-def: $sgpr0
                                        ; implicit-def: $vgpr6_vgpr7
                                        ; implicit-def: $vgpr4
                                        ; implicit-def: $vgpr2
                                        ; implicit-def: $vgpr3
	s_and_saveexec_b32 s43, s27
	s_cbranch_execz .LBB93_403
; %bb.396:
	s_mov_b32 s49, -1
	s_mov_b32 s44, s42
	s_mov_b32 s46, s41
	;; [unrolled: 1-line block ×3, first 2 shown]
	s_mov_b32 s47, exec_lo
	v_cmpx_gt_i32_e64 s38, v0
	s_cbranch_execz .LBB93_801
; %bb.397:
	s_and_not1_b32 vcc_lo, exec_lo, s31
	s_cbranch_vccnz .LBB93_406
; %bb.398:
	s_and_not1_b32 vcc_lo, exec_lo, s39
	s_cbranch_vccnz .LBB93_407
; %bb.399:
	s_wait_loadcnt 0x0
	v_dual_mov_b32 v2, 0 :: v_dual_mov_b32 v1, v0
	v_dual_mov_b32 v6, 0 :: v_dual_mov_b32 v4, 0
	s_add_co_i32 s0, s37, 1
	s_mov_b64 s[26:27], 0xffffffffffffffe8
	s_and_b32 s0, s0, 30
	s_add_nc_u64 s[26:27], s[2:3], s[26:27]
.LBB93_400:                             ; =>This Inner Loop Header: Depth=1
	s_clause 0x1
	s_load_b128 s[48:51], s[26:27], 0x1c
	s_load_b64 s[44:45], s[26:27], 0x2c
	s_add_co_i32 s0, s0, -2
	s_delay_alu instid0(SALU_CYCLE_1) | instskip(SKIP_2) | instid1(VALU_DEP_1)
	s_cmp_eq_u32 s0, 0
	s_wait_kmcnt 0x0
	v_mul_hi_u32 v3, s49, v1
	v_add_nc_u32_e32 v3, v1, v3
	s_delay_alu instid0(VALU_DEP_1) | instskip(NEXT) | instid1(VALU_DEP_1)
	v_lshrrev_b32_e32 v3, s50, v3
	v_mul_hi_u32 v5, s44, v3
	v_mul_lo_u32 v7, v3, s48
	s_clause 0x1
	s_load_b128 s[52:55], s[26:27], 0xdc
	s_load_b64 s[48:49], s[26:27], 0xec
	s_wait_xcnt 0x0
	s_add_nc_u64 s[26:27], s[26:27], 24
	s_delay_alu instid0(VALU_DEP_1) | instskip(NEXT) | instid1(VALU_DEP_1)
	v_dual_add_nc_u32 v5, v3, v5 :: v_dual_sub_nc_u32 v7, v1, v7
	v_lshrrev_b32_e32 v1, s45, v5
	s_wait_kmcnt 0x0
	s_delay_alu instid0(VALU_DEP_2) | instskip(NEXT) | instid1(VALU_DEP_2)
	v_mad_u32 v2, v7, s52, v2
	v_mul_lo_u32 v5, v1, s51
	v_mad_u32 v4, v7, s54, v4
	v_mad_u32 v6, v7, s53, v6
	s_delay_alu instid0(VALU_DEP_3) | instskip(NEXT) | instid1(VALU_DEP_1)
	v_sub_nc_u32_e32 v3, v3, v5
	v_mad_u32 v2, v3, s55, v2
	s_delay_alu instid0(VALU_DEP_4) | instskip(NEXT) | instid1(VALU_DEP_4)
	v_mad_u32 v4, v3, s49, v4
	v_mad_u32 v6, v3, s48, v6
	s_cbranch_scc0 .LBB93_400
; %bb.401:
	s_bitcmp1_b32 s37, 0
	s_cselect_b32 s0, -1, 0
	s_delay_alu instid0(SALU_CYCLE_1)
	s_and_b32 vcc_lo, exec_lo, s0
	s_cbranch_vccnz .LBB93_408
; %bb.402:
	s_clause 0x1
	s_load_b96 s[44:46], s[26:27], 0x1c
	s_load_b96 s[48:50], s[26:27], 0xdc
	s_wait_kmcnt 0x0
	v_mul_hi_u32 v3, s45, v1
	s_delay_alu instid0(VALU_DEP_1) | instskip(NEXT) | instid1(VALU_DEP_1)
	v_add_nc_u32_e32 v3, v1, v3
	v_lshrrev_b32_e32 v3, s46, v3
	s_delay_alu instid0(VALU_DEP_1) | instskip(NEXT) | instid1(VALU_DEP_1)
	v_mul_lo_u32 v3, v3, s44
	v_sub_nc_u32_e32 v1, v1, v3
	s_delay_alu instid0(VALU_DEP_1)
	v_mad_u32 v2, v1, s48, v2
	v_mad_u32 v6, v1, s49, v6
	;; [unrolled: 1-line block ×3, first 2 shown]
	s_branch .LBB93_408
.LBB93_403:
	s_or_b32 exec_lo, exec_lo, s43
	s_mov_b32 s1, 0
	s_and_saveexec_b32 s6, s42
	s_cbranch_execnz .LBB93_1303
.LBB93_404:
	s_or_b32 exec_lo, exec_lo, s6
	s_and_saveexec_b32 s6, s21
	s_delay_alu instid0(SALU_CYCLE_1)
	s_xor_b32 s6, exec_lo, s6
	s_cbranch_execz .LBB93_1304
.LBB93_405:
	global_load_u8 v0, v[6:7], off
	s_or_b32 s26, s26, exec_lo
	s_wait_loadcnt 0x0
	v_cmp_ne_u16_e32 vcc_lo, 0, v0
	v_cndmask_b32_e64 v0, 0, 1.0, vcc_lo
	s_delay_alu instid0(VALU_DEP_1)
	v_lshrrev_b32_e32 v3, 16, v0
	s_wait_xcnt 0x0
	s_or_b32 exec_lo, exec_lo, s6
	s_and_saveexec_b32 s6, s45
	s_cbranch_execz .LBB93_1350
	s_branch .LBB93_1305
.LBB93_406:
                                        ; implicit-def: $vgpr4
                                        ; implicit-def: $vgpr6
                                        ; implicit-def: $vgpr2
	s_branch .LBB93_409
.LBB93_407:
	v_dual_mov_b32 v4, 0 :: v_dual_mov_b32 v6, 0
	v_mov_b32_e32 v2, 0
.LBB93_408:
	s_cbranch_execnz .LBB93_411
.LBB93_409:
	s_wait_loadcnt 0x0
	v_mov_b32_e32 v1, 0
	s_and_not1_b32 vcc_lo, exec_lo, s36
	s_delay_alu instid0(VALU_DEP_1) | instskip(NEXT) | instid1(VALU_DEP_1)
	v_mul_u64_e32 v[2:3], s[20:21], v[0:1]
	v_add_nc_u32_e32 v2, v0, v3
	s_delay_alu instid0(VALU_DEP_1) | instskip(NEXT) | instid1(VALU_DEP_1)
	v_lshrrev_b32_e32 v8, s14, v2
	v_mul_lo_u32 v2, v8, s12
	s_delay_alu instid0(VALU_DEP_1) | instskip(NEXT) | instid1(VALU_DEP_1)
	v_sub_nc_u32_e32 v3, v0, v2
	v_mul_lo_u32 v2, v3, s16
	v_mul_lo_u32 v4, v3, s18
	;; [unrolled: 1-line block ×3, first 2 shown]
	s_cbranch_vccnz .LBB93_411
; %bb.410:
	v_mov_b32_e32 v9, v1
	s_delay_alu instid0(VALU_DEP_1) | instskip(NEXT) | instid1(VALU_DEP_1)
	v_mul_u64_e32 v[10:11], s[24:25], v[8:9]
	v_add_nc_u32_e32 v1, v8, v11
	s_delay_alu instid0(VALU_DEP_1) | instskip(NEXT) | instid1(VALU_DEP_1)
	v_lshrrev_b32_e32 v1, s1, v1
	v_mul_lo_u32 v1, v1, s15
	s_delay_alu instid0(VALU_DEP_1) | instskip(NEXT) | instid1(VALU_DEP_1)
	v_sub_nc_u32_e32 v1, v8, v1
	v_mad_u32 v2, v1, s19, v2
	v_mad_u32 v6, v1, s22, v6
	;; [unrolled: 1-line block ×3, first 2 shown]
.LBB93_411:
	v_mov_b32_e32 v7, 0
	s_and_b32 s0, s35, 0xff
	s_delay_alu instid0(SALU_CYCLE_1) | instskip(NEXT) | instid1(VALU_DEP_1)
	s_cmp_lt_i32 s0, 11
	v_add_nc_u64_e32 v[6:7], s[6:7], v[6:7]
	s_cbranch_scc1 .LBB93_418
; %bb.412:
	s_and_b32 s27, 0xffff, s0
	s_delay_alu instid0(SALU_CYCLE_1)
	s_cmp_gt_i32 s27, 25
	s_cbranch_scc0 .LBB93_427
; %bb.413:
	s_cmp_gt_i32 s27, 28
	s_cbranch_scc0 .LBB93_429
; %bb.414:
	;; [unrolled: 3-line block ×4, first 2 shown]
	s_cmp_eq_u32 s27, 46
	s_mov_b32 s45, 0
	s_cbranch_scc0 .LBB93_437
; %bb.417:
	s_wait_loadcnt 0x0
	global_load_b32 v1, v[6:7], off
	s_mov_b32 s44, -1
	s_mov_b32 s26, 0
	s_branch .LBB93_439
.LBB93_418:
	s_mov_b32 s44, 0
	s_mov_b32 s26, s42
                                        ; implicit-def: $vgpr1
	s_cbranch_execnz .LBB93_505
.LBB93_419:
	s_and_not1_b32 vcc_lo, exec_lo, s44
	s_cbranch_vccnz .LBB93_553
.LBB93_420:
	v_mov_b32_e32 v5, 0
	s_and_b32 s0, s13, 0xff
	s_delay_alu instid0(SALU_CYCLE_1) | instskip(NEXT) | instid1(VALU_DEP_1)
	s_cmp_lt_i32 s0, 11
	v_add_nc_u64_e32 v[4:5], s[8:9], v[4:5]
	s_cbranch_scc1 .LBB93_428
; %bb.421:
	s_and_b32 s44, 0xffff, s0
	s_delay_alu instid0(SALU_CYCLE_1)
	s_cmp_gt_i32 s44, 25
	s_cbranch_scc0 .LBB93_430
; %bb.422:
	s_cmp_gt_i32 s44, 28
	s_cbranch_scc0 .LBB93_432
; %bb.423:
	;; [unrolled: 3-line block ×4, first 2 shown]
	s_cmp_eq_u32 s44, 46
	s_mov_b32 s46, 0
	s_cbranch_scc0 .LBB93_556
; %bb.426:
	s_wait_loadcnt 0x0
	global_load_b32 v3, v[4:5], off
	s_mov_b32 s45, -1
	s_mov_b32 s27, 0
	s_branch .LBB93_558
.LBB93_427:
	s_mov_b32 s45, -1
	s_mov_b32 s44, 0
	s_mov_b32 s26, s42
                                        ; implicit-def: $vgpr1
	s_branch .LBB93_469
.LBB93_428:
	s_mov_b32 s44, -1
	s_mov_b32 s45, 0
	s_mov_b32 s27, s41
                                        ; implicit-def: $vgpr3
	s_branch .LBB93_623
.LBB93_429:
	s_mov_b32 s45, -1
	s_mov_b32 s44, 0
	s_mov_b32 s26, s42
                                        ; implicit-def: $vgpr1
	s_branch .LBB93_450
.LBB93_430:
	s_mov_b32 s46, -1
	s_mov_b32 s45, 0
	s_mov_b32 s27, s41
                                        ; implicit-def: $vgpr3
	s_branch .LBB93_587
.LBB93_431:
	s_mov_b32 s45, -1
	s_mov_b32 s44, 0
	s_mov_b32 s26, s42
                                        ; implicit-def: $vgpr1
	s_branch .LBB93_445
.LBB93_432:
	s_mov_b32 s46, -1
	s_mov_b32 s45, 0
	s_mov_b32 s27, s41
                                        ; implicit-def: $vgpr3
	s_branch .LBB93_568
.LBB93_433:
	s_mov_b32 s45, -1
	s_mov_b32 s44, 0
	s_mov_b32 s26, s42
	s_branch .LBB93_438
.LBB93_434:
	s_mov_b32 s46, -1
	s_mov_b32 s45, 0
	s_mov_b32 s27, s41
                                        ; implicit-def: $vgpr3
	s_branch .LBB93_563
.LBB93_435:
	s_and_not1_saveexec_b32 s45, s45
	s_cbranch_execz .LBB93_193
.LBB93_436:
	v_add_f32_e64 v5, 0x46000000, |v6|
	s_and_not1_b32 s44, s44, exec_lo
	s_delay_alu instid0(VALU_DEP_1) | instskip(NEXT) | instid1(VALU_DEP_1)
	v_and_b32_e32 v5, 0xff, v5
	v_cmp_ne_u32_e32 vcc_lo, 0, v5
	s_and_b32 s46, vcc_lo, exec_lo
	s_delay_alu instid0(SALU_CYCLE_1)
	s_or_b32 s44, s44, s46
	s_or_b32 exec_lo, exec_lo, s45
	v_mov_b32_e32 v7, 0
	s_and_saveexec_b32 s45, s44
	s_cbranch_execnz .LBB93_194
	s_branch .LBB93_195
.LBB93_437:
	s_mov_b32 s26, -1
	s_mov_b32 s44, 0
.LBB93_438:
                                        ; implicit-def: $vgpr1
.LBB93_439:
	s_and_b32 vcc_lo, exec_lo, s45
	s_cbranch_vccz .LBB93_444
; %bb.440:
	s_cmp_eq_u32 s27, 44
	s_cbranch_scc0 .LBB93_443
; %bb.441:
	s_wait_loadcnt 0x0
	global_load_u8 v1, v[6:7], off
	s_mov_b32 s26, 0
	s_mov_b32 s44, -1
	s_wait_loadcnt 0x0
	v_lshlrev_b32_e32 v3, 23, v1
	v_cmp_ne_u32_e32 vcc_lo, 0xff, v1
	s_delay_alu instid0(VALU_DEP_2) | instskip(SKIP_1) | instid1(VALU_DEP_2)
	v_cndmask_b32_e32 v3, 0x7f800001, v3, vcc_lo
	v_cmp_ne_u32_e32 vcc_lo, 0, v1
	v_cndmask_b32_e32 v1, 0x400000, v3, vcc_lo
	s_delay_alu instid0(VALU_DEP_1) | instskip(SKIP_1) | instid1(VALU_DEP_2)
	v_add_nc_u32_e32 v3, 0x7fff, v1
	v_cmp_o_f32_e32 vcc_lo, v1, v1
	v_lshrrev_b32_e32 v3, 16, v3
	s_delay_alu instid0(VALU_DEP_1)
	v_cndmask_b32_e32 v1, 0x7fc0, v3, vcc_lo
	s_branch .LBB93_444
.LBB93_442:
	s_mov_b32 s46, -1
	s_mov_b32 s45, 0
	s_mov_b32 s27, s41
	s_branch .LBB93_557
.LBB93_443:
	s_mov_b32 s26, -1
                                        ; implicit-def: $vgpr1
.LBB93_444:
	s_mov_b32 s45, 0
.LBB93_445:
	s_delay_alu instid0(SALU_CYCLE_1)
	s_and_b32 vcc_lo, exec_lo, s45
	s_cbranch_vccz .LBB93_449
; %bb.446:
	s_cmp_eq_u32 s27, 29
	s_cbranch_scc0 .LBB93_448
; %bb.447:
	global_load_b64 v[8:9], v[6:7], off
	s_mov_b32 s44, -1
	s_mov_b32 s26, 0
	s_mov_b32 s45, 0
	s_wait_loadcnt 0x0
	v_clz_i32_u32_e32 v1, v9
	s_delay_alu instid0(VALU_DEP_1) | instskip(NEXT) | instid1(VALU_DEP_1)
	v_min_u32_e32 v1, 32, v1
	v_lshlrev_b64_e32 v[8:9], v1, v[8:9]
	v_sub_nc_u32_e32 v1, 32, v1
	s_delay_alu instid0(VALU_DEP_2) | instskip(NEXT) | instid1(VALU_DEP_1)
	v_min_u32_e32 v3, 1, v8
	v_or_b32_e32 v3, v9, v3
	s_delay_alu instid0(VALU_DEP_1) | instskip(NEXT) | instid1(VALU_DEP_1)
	v_cvt_f32_u32_e32 v3, v3
	v_ldexp_f32 v1, v3, v1
	s_delay_alu instid0(VALU_DEP_1) | instskip(NEXT) | instid1(VALU_DEP_1)
	v_bfe_u32 v3, v1, 16, 1
	v_add3_u32 v1, v1, v3, 0x7fff
	s_delay_alu instid0(VALU_DEP_1)
	v_lshrrev_b32_e32 v1, 16, v1
	s_branch .LBB93_450
.LBB93_448:
	s_mov_b32 s26, -1
                                        ; implicit-def: $vgpr1
.LBB93_449:
	s_mov_b32 s45, 0
.LBB93_450:
	s_delay_alu instid0(SALU_CYCLE_1)
	s_and_b32 vcc_lo, exec_lo, s45
	s_cbranch_vccz .LBB93_468
; %bb.451:
	s_cmp_lt_i32 s27, 27
	s_cbranch_scc1 .LBB93_454
; %bb.452:
	s_cmp_gt_i32 s27, 27
	s_cbranch_scc0 .LBB93_455
; %bb.453:
	s_wait_loadcnt 0x0
	global_load_b32 v1, v[6:7], off
	s_mov_b32 s44, 0
	s_wait_loadcnt 0x0
	v_cvt_f32_u32_e32 v1, v1
	s_delay_alu instid0(VALU_DEP_1) | instskip(NEXT) | instid1(VALU_DEP_1)
	v_bfe_u32 v3, v1, 16, 1
	v_add3_u32 v1, v1, v3, 0x7fff
	s_delay_alu instid0(VALU_DEP_1)
	v_lshrrev_b32_e32 v1, 16, v1
	s_branch .LBB93_456
.LBB93_454:
	s_mov_b32 s44, -1
                                        ; implicit-def: $vgpr1
	s_branch .LBB93_459
.LBB93_455:
	s_mov_b32 s44, -1
                                        ; implicit-def: $vgpr1
.LBB93_456:
	s_delay_alu instid0(SALU_CYCLE_1)
	s_and_not1_b32 vcc_lo, exec_lo, s44
	s_cbranch_vccnz .LBB93_458
; %bb.457:
	s_wait_loadcnt 0x0
	global_load_u16 v1, v[6:7], off
	s_wait_loadcnt 0x0
	v_cvt_f32_u32_e32 v1, v1
	s_delay_alu instid0(VALU_DEP_1) | instskip(NEXT) | instid1(VALU_DEP_1)
	v_bfe_u32 v3, v1, 16, 1
	v_add3_u32 v1, v1, v3, 0x7fff
	s_delay_alu instid0(VALU_DEP_1)
	v_lshrrev_b32_e32 v1, 16, v1
.LBB93_458:
	s_mov_b32 s44, 0
.LBB93_459:
	s_delay_alu instid0(SALU_CYCLE_1)
	s_and_not1_b32 vcc_lo, exec_lo, s44
	s_cbranch_vccnz .LBB93_467
; %bb.460:
	s_wait_loadcnt 0x0
	global_load_u8 v1, v[6:7], off
	s_mov_b32 s44, 0
	s_mov_b32 s45, exec_lo
	s_wait_loadcnt 0x0
	v_cmpx_lt_i16_e32 0x7f, v1
	s_xor_b32 s45, exec_lo, s45
	s_cbranch_execz .LBB93_481
; %bb.461:
	s_mov_b32 s44, -1
	s_mov_b32 s46, exec_lo
	v_cmpx_eq_u16_e32 0x80, v1
; %bb.462:
	s_xor_b32 s44, exec_lo, -1
; %bb.463:
	s_or_b32 exec_lo, exec_lo, s46
	s_delay_alu instid0(SALU_CYCLE_1)
	s_and_b32 s44, s44, exec_lo
	s_or_saveexec_b32 s45, s45
	v_mov_b32_e32 v3, 0x7f800001
	s_xor_b32 exec_lo, exec_lo, s45
	s_cbranch_execnz .LBB93_482
.LBB93_464:
	s_or_b32 exec_lo, exec_lo, s45
	s_and_saveexec_b32 s45, s44
	s_cbranch_execz .LBB93_466
.LBB93_465:
	v_and_b32_e32 v3, 0xffff, v1
	s_delay_alu instid0(VALU_DEP_1) | instskip(SKIP_1) | instid1(VALU_DEP_2)
	v_and_b32_e32 v5, 7, v3
	v_bfe_u32 v10, v3, 3, 4
	v_clz_i32_u32_e32 v8, v5
	s_delay_alu instid0(VALU_DEP_2) | instskip(NEXT) | instid1(VALU_DEP_2)
	v_cmp_eq_u32_e32 vcc_lo, 0, v10
	v_min_u32_e32 v8, 32, v8
	s_delay_alu instid0(VALU_DEP_1) | instskip(NEXT) | instid1(VALU_DEP_1)
	v_subrev_nc_u32_e32 v9, 28, v8
	v_dual_lshlrev_b32 v3, v9, v3 :: v_dual_sub_nc_u32 v8, 29, v8
	s_delay_alu instid0(VALU_DEP_1) | instskip(NEXT) | instid1(VALU_DEP_1)
	v_dual_lshlrev_b32 v1, 24, v1 :: v_dual_bitop2_b32 v3, 7, v3 bitop3:0x40
	v_dual_cndmask_b32 v8, v10, v8 :: v_dual_cndmask_b32 v3, v5, v3
	s_delay_alu instid0(VALU_DEP_2) | instskip(NEXT) | instid1(VALU_DEP_2)
	v_and_b32_e32 v1, 0x80000000, v1
	v_lshl_add_u32 v5, v8, 23, 0x3b800000
	s_delay_alu instid0(VALU_DEP_3) | instskip(NEXT) | instid1(VALU_DEP_1)
	v_lshlrev_b32_e32 v3, 20, v3
	v_or3_b32 v3, v1, v5, v3
.LBB93_466:
	s_or_b32 exec_lo, exec_lo, s45
	s_delay_alu instid0(VALU_DEP_1) | instskip(SKIP_1) | instid1(VALU_DEP_2)
	v_bfe_u32 v1, v3, 16, 1
	v_cmp_o_f32_e32 vcc_lo, v3, v3
	v_add3_u32 v1, v3, v1, 0x7fff
	s_delay_alu instid0(VALU_DEP_1) | instskip(NEXT) | instid1(VALU_DEP_1)
	v_lshrrev_b32_e32 v1, 16, v1
	v_cndmask_b32_e32 v1, 0x7fc0, v1, vcc_lo
.LBB93_467:
	s_mov_b32 s44, -1
.LBB93_468:
	s_mov_b32 s45, 0
.LBB93_469:
	s_delay_alu instid0(SALU_CYCLE_1)
	s_and_b32 vcc_lo, exec_lo, s45
	s_cbranch_vccz .LBB93_504
; %bb.470:
	s_cmp_gt_i32 s27, 22
	s_cbranch_scc0 .LBB93_480
; %bb.471:
	s_cmp_lt_i32 s27, 24
	s_cbranch_scc1 .LBB93_483
; %bb.472:
	s_cmp_gt_i32 s27, 24
	s_cbranch_scc0 .LBB93_484
; %bb.473:
	s_wait_loadcnt 0x0
	global_load_u8 v1, v[6:7], off
	s_mov_b32 s44, 0
	s_mov_b32 s45, exec_lo
	s_wait_loadcnt 0x0
	v_cmpx_lt_i16_e32 0x7f, v1
	s_xor_b32 s45, exec_lo, s45
	s_cbranch_execz .LBB93_496
; %bb.474:
	s_mov_b32 s44, -1
	s_mov_b32 s46, exec_lo
	v_cmpx_eq_u16_e32 0x80, v1
; %bb.475:
	s_xor_b32 s44, exec_lo, -1
; %bb.476:
	s_or_b32 exec_lo, exec_lo, s46
	s_delay_alu instid0(SALU_CYCLE_1)
	s_and_b32 s44, s44, exec_lo
	s_or_saveexec_b32 s45, s45
	v_mov_b32_e32 v3, 0x7f800001
	s_xor_b32 exec_lo, exec_lo, s45
	s_cbranch_execnz .LBB93_497
.LBB93_477:
	s_or_b32 exec_lo, exec_lo, s45
	s_and_saveexec_b32 s45, s44
	s_cbranch_execz .LBB93_479
.LBB93_478:
	v_and_b32_e32 v3, 0xffff, v1
	s_delay_alu instid0(VALU_DEP_1) | instskip(SKIP_1) | instid1(VALU_DEP_2)
	v_and_b32_e32 v5, 3, v3
	v_bfe_u32 v10, v3, 2, 5
	v_clz_i32_u32_e32 v8, v5
	s_delay_alu instid0(VALU_DEP_2) | instskip(NEXT) | instid1(VALU_DEP_2)
	v_cmp_eq_u32_e32 vcc_lo, 0, v10
	v_min_u32_e32 v8, 32, v8
	s_delay_alu instid0(VALU_DEP_1) | instskip(NEXT) | instid1(VALU_DEP_1)
	v_subrev_nc_u32_e32 v9, 29, v8
	v_dual_lshlrev_b32 v3, v9, v3 :: v_dual_sub_nc_u32 v8, 30, v8
	s_delay_alu instid0(VALU_DEP_1) | instskip(NEXT) | instid1(VALU_DEP_1)
	v_dual_lshlrev_b32 v1, 24, v1 :: v_dual_bitop2_b32 v3, 3, v3 bitop3:0x40
	v_dual_cndmask_b32 v8, v10, v8 :: v_dual_cndmask_b32 v3, v5, v3
	s_delay_alu instid0(VALU_DEP_2) | instskip(NEXT) | instid1(VALU_DEP_2)
	v_and_b32_e32 v1, 0x80000000, v1
	v_lshl_add_u32 v5, v8, 23, 0x37800000
	s_delay_alu instid0(VALU_DEP_3) | instskip(NEXT) | instid1(VALU_DEP_1)
	v_lshlrev_b32_e32 v3, 21, v3
	v_or3_b32 v3, v1, v5, v3
.LBB93_479:
	s_or_b32 exec_lo, exec_lo, s45
	s_delay_alu instid0(VALU_DEP_1) | instskip(SKIP_2) | instid1(VALU_DEP_2)
	v_bfe_u32 v1, v3, 16, 1
	v_cmp_o_f32_e32 vcc_lo, v3, v3
	s_mov_b32 s44, 0
	v_add3_u32 v1, v3, v1, 0x7fff
	s_delay_alu instid0(VALU_DEP_1) | instskip(NEXT) | instid1(VALU_DEP_1)
	v_lshrrev_b32_e32 v1, 16, v1
	v_cndmask_b32_e32 v1, 0x7fc0, v1, vcc_lo
	s_branch .LBB93_485
.LBB93_480:
	s_mov_b32 s45, -1
                                        ; implicit-def: $vgpr1
	s_branch .LBB93_491
.LBB93_481:
	s_or_saveexec_b32 s45, s45
	v_mov_b32_e32 v3, 0x7f800001
	s_xor_b32 exec_lo, exec_lo, s45
	s_cbranch_execz .LBB93_464
.LBB93_482:
	v_cmp_ne_u16_e32 vcc_lo, 0, v1
	v_mov_b32_e32 v3, 0
	s_and_not1_b32 s44, s44, exec_lo
	s_and_b32 s46, vcc_lo, exec_lo
	s_delay_alu instid0(SALU_CYCLE_1)
	s_or_b32 s44, s44, s46
	s_or_b32 exec_lo, exec_lo, s45
	s_and_saveexec_b32 s45, s44
	s_cbranch_execnz .LBB93_465
	s_branch .LBB93_466
.LBB93_483:
	s_mov_b32 s44, -1
                                        ; implicit-def: $vgpr1
	s_branch .LBB93_488
.LBB93_484:
	s_mov_b32 s44, -1
                                        ; implicit-def: $vgpr1
.LBB93_485:
	s_delay_alu instid0(SALU_CYCLE_1)
	s_and_b32 vcc_lo, exec_lo, s44
	s_cbranch_vccz .LBB93_487
; %bb.486:
	s_wait_loadcnt 0x0
	global_load_u8 v1, v[6:7], off
	s_wait_loadcnt 0x0
	v_lshlrev_b32_e32 v1, 24, v1
	s_delay_alu instid0(VALU_DEP_1) | instskip(NEXT) | instid1(VALU_DEP_1)
	v_and_b32_e32 v3, 0x7f000000, v1
	v_clz_i32_u32_e32 v5, v3
	v_add_nc_u32_e32 v9, 0x1000000, v3
	v_cmp_ne_u32_e32 vcc_lo, 0, v3
	s_delay_alu instid0(VALU_DEP_3) | instskip(NEXT) | instid1(VALU_DEP_1)
	v_min_u32_e32 v5, 32, v5
	v_sub_nc_u32_e64 v5, v5, 4 clamp
	s_delay_alu instid0(VALU_DEP_1) | instskip(NEXT) | instid1(VALU_DEP_1)
	v_dual_lshlrev_b32 v8, v5, v3 :: v_dual_lshlrev_b32 v5, 23, v5
	v_lshrrev_b32_e32 v8, 4, v8
	s_delay_alu instid0(VALU_DEP_1) | instskip(SKIP_1) | instid1(VALU_DEP_2)
	v_sub_nc_u32_e32 v5, v8, v5
	v_ashrrev_i32_e32 v8, 8, v9
	v_add_nc_u32_e32 v5, 0x3c000000, v5
	s_delay_alu instid0(VALU_DEP_1) | instskip(NEXT) | instid1(VALU_DEP_1)
	v_and_or_b32 v5, 0x7f800000, v8, v5
	v_cndmask_b32_e32 v3, 0, v5, vcc_lo
	s_delay_alu instid0(VALU_DEP_1) | instskip(SKIP_1) | instid1(VALU_DEP_2)
	v_and_or_b32 v1, 0x80000000, v1, v3
	v_bfe_u32 v3, v3, 16, 1
	v_cmp_o_f32_e32 vcc_lo, v1, v1
	s_delay_alu instid0(VALU_DEP_2) | instskip(NEXT) | instid1(VALU_DEP_1)
	v_add3_u32 v3, v1, v3, 0x7fff
	v_lshrrev_b32_e32 v3, 16, v3
	s_delay_alu instid0(VALU_DEP_1)
	v_cndmask_b32_e32 v1, 0x7fc0, v3, vcc_lo
.LBB93_487:
	s_mov_b32 s44, 0
.LBB93_488:
	s_delay_alu instid0(SALU_CYCLE_1)
	s_and_not1_b32 vcc_lo, exec_lo, s44
	s_cbranch_vccnz .LBB93_490
; %bb.489:
	s_wait_loadcnt 0x0
	global_load_u8 v1, v[6:7], off
	s_wait_loadcnt 0x0
	v_lshlrev_b32_e32 v3, 25, v1
	v_lshlrev_b16 v1, 8, v1
	s_delay_alu instid0(VALU_DEP_1) | instskip(SKIP_1) | instid1(VALU_DEP_2)
	v_and_or_b32 v8, 0x7f00, v1, 0.5
	v_bfe_i32 v1, v1, 0, 16
	v_dual_add_f32 v8, -0.5, v8 :: v_dual_lshrrev_b32 v5, 4, v3
	v_cmp_gt_u32_e32 vcc_lo, 0x8000000, v3
	s_delay_alu instid0(VALU_DEP_2) | instskip(NEXT) | instid1(VALU_DEP_1)
	v_or_b32_e32 v5, 0x70000000, v5
	v_mul_f32_e32 v5, 0x7800000, v5
	s_delay_alu instid0(VALU_DEP_1) | instskip(NEXT) | instid1(VALU_DEP_1)
	v_cndmask_b32_e32 v3, v5, v8, vcc_lo
	v_and_or_b32 v1, 0x80000000, v1, v3
	v_bfe_u32 v3, v3, 16, 1
	s_delay_alu instid0(VALU_DEP_2) | instskip(NEXT) | instid1(VALU_DEP_2)
	v_cmp_o_f32_e32 vcc_lo, v1, v1
	v_add3_u32 v3, v1, v3, 0x7fff
	s_delay_alu instid0(VALU_DEP_1) | instskip(NEXT) | instid1(VALU_DEP_1)
	v_lshrrev_b32_e32 v3, 16, v3
	v_cndmask_b32_e32 v1, 0x7fc0, v3, vcc_lo
.LBB93_490:
	s_mov_b32 s45, 0
	s_mov_b32 s44, -1
.LBB93_491:
	s_and_not1_b32 vcc_lo, exec_lo, s45
	s_cbranch_vccnz .LBB93_504
; %bb.492:
	s_cmp_gt_i32 s27, 14
	s_cbranch_scc0 .LBB93_495
; %bb.493:
	s_cmp_eq_u32 s27, 15
	s_cbranch_scc0 .LBB93_498
; %bb.494:
	s_wait_loadcnt 0x0
	global_load_u16 v1, v[6:7], off
	s_mov_b32 s44, -1
	s_mov_b32 s26, 0
	s_branch .LBB93_499
.LBB93_495:
	s_mov_b32 s45, -1
                                        ; implicit-def: $vgpr1
	s_branch .LBB93_500
.LBB93_496:
	s_or_saveexec_b32 s45, s45
	v_mov_b32_e32 v3, 0x7f800001
	s_xor_b32 exec_lo, exec_lo, s45
	s_cbranch_execz .LBB93_477
.LBB93_497:
	v_cmp_ne_u16_e32 vcc_lo, 0, v1
	v_mov_b32_e32 v3, 0
	s_and_not1_b32 s44, s44, exec_lo
	s_and_b32 s46, vcc_lo, exec_lo
	s_delay_alu instid0(SALU_CYCLE_1)
	s_or_b32 s44, s44, s46
	s_or_b32 exec_lo, exec_lo, s45
	s_and_saveexec_b32 s45, s44
	s_cbranch_execnz .LBB93_478
	s_branch .LBB93_479
.LBB93_498:
	s_mov_b32 s26, -1
                                        ; implicit-def: $vgpr1
.LBB93_499:
	s_mov_b32 s45, 0
.LBB93_500:
	s_delay_alu instid0(SALU_CYCLE_1)
	s_and_b32 vcc_lo, exec_lo, s45
	s_cbranch_vccz .LBB93_504
; %bb.501:
	s_cmp_eq_u32 s27, 11
	s_cbranch_scc0 .LBB93_503
; %bb.502:
	s_wait_loadcnt 0x0
	global_load_u8 v1, v[6:7], off
	s_mov_b32 s26, 0
	s_mov_b32 s44, -1
	s_wait_loadcnt 0x0
	v_cmp_ne_u16_e32 vcc_lo, 0, v1
	v_cndmask_b32_e64 v1, 0, 1.0, vcc_lo
	s_delay_alu instid0(VALU_DEP_1)
	v_lshrrev_b32_e32 v1, 16, v1
	s_branch .LBB93_504
.LBB93_503:
	s_mov_b32 s26, -1
                                        ; implicit-def: $vgpr1
.LBB93_504:
	s_branch .LBB93_419
.LBB93_505:
	s_and_b32 s0, 0xffff, s0
	s_delay_alu instid0(SALU_CYCLE_1)
	s_cmp_lt_i32 s0, 5
	s_cbranch_scc1 .LBB93_510
; %bb.506:
	s_cmp_lt_i32 s0, 8
	s_cbranch_scc1 .LBB93_511
; %bb.507:
	s_cmp_lt_i32 s0, 9
	s_cbranch_scc1 .LBB93_512
; %bb.508:
	s_cmp_gt_i32 s0, 9
	s_cbranch_scc0 .LBB93_513
; %bb.509:
	global_load_b64 v[8:9], v[6:7], off
	s_mov_b32 s27, 0
	s_wait_loadcnt 0x0
	v_cvt_f32_f64_e32 v1, v[8:9]
	s_delay_alu instid0(VALU_DEP_1) | instskip(SKIP_1) | instid1(VALU_DEP_2)
	v_bfe_u32 v3, v1, 16, 1
	v_cmp_o_f32_e32 vcc_lo, v1, v1
	v_add3_u32 v3, v1, v3, 0x7fff
	s_delay_alu instid0(VALU_DEP_1) | instskip(NEXT) | instid1(VALU_DEP_1)
	v_lshrrev_b32_e32 v3, 16, v3
	v_cndmask_b32_e32 v1, 0x7fc0, v3, vcc_lo
	s_branch .LBB93_514
.LBB93_510:
	s_mov_b32 s27, -1
                                        ; implicit-def: $vgpr1
	s_branch .LBB93_532
.LBB93_511:
	s_mov_b32 s27, -1
                                        ; implicit-def: $vgpr1
	s_branch .LBB93_520
.LBB93_512:
	s_mov_b32 s27, -1
                                        ; implicit-def: $vgpr1
	s_branch .LBB93_517
.LBB93_513:
	s_mov_b32 s27, -1
                                        ; implicit-def: $vgpr1
.LBB93_514:
	s_delay_alu instid0(SALU_CYCLE_1)
	s_and_not1_b32 vcc_lo, exec_lo, s27
	s_cbranch_vccnz .LBB93_516
; %bb.515:
	s_wait_loadcnt 0x0
	global_load_b32 v1, v[6:7], off
	s_wait_loadcnt 0x0
	v_bfe_u32 v3, v1, 16, 1
	v_cmp_o_f32_e32 vcc_lo, v1, v1
	s_delay_alu instid0(VALU_DEP_2) | instskip(NEXT) | instid1(VALU_DEP_1)
	v_add3_u32 v3, v1, v3, 0x7fff
	v_lshrrev_b32_e32 v3, 16, v3
	s_delay_alu instid0(VALU_DEP_1)
	v_cndmask_b32_e32 v1, 0x7fc0, v3, vcc_lo
.LBB93_516:
	s_mov_b32 s27, 0
.LBB93_517:
	s_delay_alu instid0(SALU_CYCLE_1)
	s_and_not1_b32 vcc_lo, exec_lo, s27
	s_cbranch_vccnz .LBB93_519
; %bb.518:
	s_wait_loadcnt 0x0
	global_load_b32 v1, v[6:7], off
	s_wait_loadcnt 0x0
	v_cvt_f32_f16_e32 v3, v1
	v_cmp_o_f16_e32 vcc_lo, v1, v1
	s_delay_alu instid0(VALU_DEP_2) | instskip(NEXT) | instid1(VALU_DEP_1)
	v_bfe_u32 v5, v3, 16, 1
	v_add3_u32 v3, v3, v5, 0x7fff
	s_delay_alu instid0(VALU_DEP_1) | instskip(NEXT) | instid1(VALU_DEP_1)
	v_lshrrev_b32_e32 v3, 16, v3
	v_cndmask_b32_e32 v1, 0x7fc0, v3, vcc_lo
.LBB93_519:
	s_mov_b32 s27, 0
.LBB93_520:
	s_delay_alu instid0(SALU_CYCLE_1)
	s_and_not1_b32 vcc_lo, exec_lo, s27
	s_cbranch_vccnz .LBB93_531
; %bb.521:
	s_cmp_lt_i32 s0, 6
	s_cbranch_scc1 .LBB93_524
; %bb.522:
	s_cmp_gt_i32 s0, 6
	s_cbranch_scc0 .LBB93_525
; %bb.523:
	global_load_b64 v[8:9], v[6:7], off
	s_mov_b32 s27, 0
	s_wait_loadcnt 0x0
	v_cvt_f32_f64_e32 v1, v[8:9]
	s_delay_alu instid0(VALU_DEP_1) | instskip(SKIP_1) | instid1(VALU_DEP_2)
	v_bfe_u32 v3, v1, 16, 1
	v_cmp_o_f32_e32 vcc_lo, v1, v1
	v_add3_u32 v3, v1, v3, 0x7fff
	s_delay_alu instid0(VALU_DEP_1) | instskip(NEXT) | instid1(VALU_DEP_1)
	v_lshrrev_b32_e32 v3, 16, v3
	v_cndmask_b32_e32 v1, 0x7fc0, v3, vcc_lo
	s_branch .LBB93_526
.LBB93_524:
	s_mov_b32 s27, -1
                                        ; implicit-def: $vgpr1
	s_branch .LBB93_529
.LBB93_525:
	s_mov_b32 s27, -1
                                        ; implicit-def: $vgpr1
.LBB93_526:
	s_delay_alu instid0(SALU_CYCLE_1)
	s_and_not1_b32 vcc_lo, exec_lo, s27
	s_cbranch_vccnz .LBB93_528
; %bb.527:
	s_wait_loadcnt 0x0
	global_load_b32 v1, v[6:7], off
	s_wait_loadcnt 0x0
	v_bfe_u32 v3, v1, 16, 1
	v_cmp_o_f32_e32 vcc_lo, v1, v1
	s_delay_alu instid0(VALU_DEP_2) | instskip(NEXT) | instid1(VALU_DEP_1)
	v_add3_u32 v3, v1, v3, 0x7fff
	v_lshrrev_b32_e32 v3, 16, v3
	s_delay_alu instid0(VALU_DEP_1)
	v_cndmask_b32_e32 v1, 0x7fc0, v3, vcc_lo
.LBB93_528:
	s_mov_b32 s27, 0
.LBB93_529:
	s_delay_alu instid0(SALU_CYCLE_1)
	s_and_not1_b32 vcc_lo, exec_lo, s27
	s_cbranch_vccnz .LBB93_531
; %bb.530:
	s_wait_loadcnt 0x0
	global_load_u16 v1, v[6:7], off
	s_wait_loadcnt 0x0
	v_cvt_f32_f16_e32 v3, v1
	v_cmp_o_f16_e32 vcc_lo, v1, v1
	s_delay_alu instid0(VALU_DEP_2) | instskip(NEXT) | instid1(VALU_DEP_1)
	v_bfe_u32 v5, v3, 16, 1
	v_add3_u32 v3, v3, v5, 0x7fff
	s_delay_alu instid0(VALU_DEP_1) | instskip(NEXT) | instid1(VALU_DEP_1)
	v_lshrrev_b32_e32 v3, 16, v3
	v_cndmask_b32_e32 v1, 0x7fc0, v3, vcc_lo
.LBB93_531:
	s_mov_b32 s27, 0
.LBB93_532:
	s_delay_alu instid0(SALU_CYCLE_1)
	s_and_not1_b32 vcc_lo, exec_lo, s27
	s_cbranch_vccnz .LBB93_552
; %bb.533:
	s_cmp_lt_i32 s0, 2
	s_cbranch_scc1 .LBB93_537
; %bb.534:
	s_cmp_lt_i32 s0, 3
	s_cbranch_scc1 .LBB93_538
; %bb.535:
	s_cmp_gt_i32 s0, 3
	s_cbranch_scc0 .LBB93_539
; %bb.536:
	global_load_b64 v[8:9], v[6:7], off
	s_mov_b32 s27, 0
	s_wait_loadcnt 0x0
	v_xor_b32_e32 v1, v8, v9
	v_cls_i32_e32 v3, v9
	s_delay_alu instid0(VALU_DEP_2) | instskip(NEXT) | instid1(VALU_DEP_1)
	v_ashrrev_i32_e32 v1, 31, v1
	v_add_nc_u32_e32 v1, 32, v1
	s_delay_alu instid0(VALU_DEP_1) | instskip(NEXT) | instid1(VALU_DEP_1)
	v_add_min_u32_e64 v1, v3, -1, v1
	v_lshlrev_b64_e32 v[8:9], v1, v[8:9]
	v_sub_nc_u32_e32 v1, 32, v1
	s_delay_alu instid0(VALU_DEP_2) | instskip(NEXT) | instid1(VALU_DEP_1)
	v_min_u32_e32 v3, 1, v8
	v_or_b32_e32 v3, v9, v3
	s_delay_alu instid0(VALU_DEP_1) | instskip(NEXT) | instid1(VALU_DEP_1)
	v_cvt_f32_i32_e32 v3, v3
	v_ldexp_f32 v1, v3, v1
	s_delay_alu instid0(VALU_DEP_1) | instskip(NEXT) | instid1(VALU_DEP_1)
	v_bfe_u32 v3, v1, 16, 1
	v_add3_u32 v1, v1, v3, 0x7fff
	s_delay_alu instid0(VALU_DEP_1)
	v_lshrrev_b32_e32 v1, 16, v1
	s_branch .LBB93_540
.LBB93_537:
	s_mov_b32 s27, -1
                                        ; implicit-def: $vgpr1
	s_branch .LBB93_546
.LBB93_538:
	s_mov_b32 s27, -1
                                        ; implicit-def: $vgpr1
	s_branch .LBB93_543
.LBB93_539:
	s_mov_b32 s27, -1
                                        ; implicit-def: $vgpr1
.LBB93_540:
	s_delay_alu instid0(SALU_CYCLE_1)
	s_and_not1_b32 vcc_lo, exec_lo, s27
	s_cbranch_vccnz .LBB93_542
; %bb.541:
	s_wait_loadcnt 0x0
	global_load_b32 v1, v[6:7], off
	s_wait_loadcnt 0x0
	v_cvt_f32_i32_e32 v1, v1
	s_delay_alu instid0(VALU_DEP_1) | instskip(NEXT) | instid1(VALU_DEP_1)
	v_bfe_u32 v3, v1, 16, 1
	v_add3_u32 v1, v1, v3, 0x7fff
	s_delay_alu instid0(VALU_DEP_1)
	v_lshrrev_b32_e32 v1, 16, v1
.LBB93_542:
	s_mov_b32 s27, 0
.LBB93_543:
	s_delay_alu instid0(SALU_CYCLE_1)
	s_and_not1_b32 vcc_lo, exec_lo, s27
	s_cbranch_vccnz .LBB93_545
; %bb.544:
	s_wait_loadcnt 0x0
	global_load_i16 v1, v[6:7], off
	s_wait_loadcnt 0x0
	v_cvt_f32_i32_e32 v1, v1
	s_delay_alu instid0(VALU_DEP_1) | instskip(NEXT) | instid1(VALU_DEP_1)
	v_bfe_u32 v3, v1, 16, 1
	v_add3_u32 v1, v1, v3, 0x7fff
	s_delay_alu instid0(VALU_DEP_1)
	v_lshrrev_b32_e32 v1, 16, v1
.LBB93_545:
	s_mov_b32 s27, 0
.LBB93_546:
	s_delay_alu instid0(SALU_CYCLE_1)
	s_and_not1_b32 vcc_lo, exec_lo, s27
	s_cbranch_vccnz .LBB93_552
; %bb.547:
	s_cmp_gt_i32 s0, 0
	s_mov_b32 s0, 0
	s_cbranch_scc0 .LBB93_549
; %bb.548:
	s_wait_loadcnt 0x0
	global_load_i8 v1, v[6:7], off
	s_wait_loadcnt 0x0
	v_cvt_f32_i32_e32 v1, v1
	s_delay_alu instid0(VALU_DEP_1) | instskip(NEXT) | instid1(VALU_DEP_1)
	v_bfe_u32 v3, v1, 16, 1
	v_add3_u32 v1, v1, v3, 0x7fff
	s_delay_alu instid0(VALU_DEP_1)
	v_lshrrev_b32_e32 v1, 16, v1
	s_branch .LBB93_550
.LBB93_549:
	s_mov_b32 s0, -1
                                        ; implicit-def: $vgpr1
.LBB93_550:
	s_delay_alu instid0(SALU_CYCLE_1)
	s_and_not1_b32 vcc_lo, exec_lo, s0
	s_cbranch_vccnz .LBB93_552
; %bb.551:
	s_wait_loadcnt 0x0
	global_load_u8 v1, v[6:7], off
	s_wait_loadcnt 0x0
	v_cvt_f32_ubyte0_e32 v1, v1
	s_delay_alu instid0(VALU_DEP_1) | instskip(NEXT) | instid1(VALU_DEP_1)
	v_bfe_u32 v3, v1, 16, 1
	v_add3_u32 v1, v1, v3, 0x7fff
	s_delay_alu instid0(VALU_DEP_1)
	v_lshrrev_b32_e32 v1, 16, v1
.LBB93_552:
	s_branch .LBB93_420
.LBB93_553:
	s_mov_b32 s48, 0
	s_mov_b32 s0, s40
	;; [unrolled: 1-line block ×3, first 2 shown]
	s_branch .LBB93_799
.LBB93_554:
	s_and_not1_saveexec_b32 s45, s45
	s_cbranch_execz .LBB93_206
.LBB93_555:
	v_add_f32_e64 v5, 0x42800000, |v6|
	s_and_not1_b32 s44, s44, exec_lo
	s_delay_alu instid0(VALU_DEP_1) | instskip(NEXT) | instid1(VALU_DEP_1)
	v_and_b32_e32 v5, 0xff, v5
	v_cmp_ne_u32_e32 vcc_lo, 0, v5
	s_and_b32 s46, vcc_lo, exec_lo
	s_delay_alu instid0(SALU_CYCLE_1)
	s_or_b32 s44, s44, s46
	s_or_b32 exec_lo, exec_lo, s45
	v_mov_b32_e32 v7, 0
	s_and_saveexec_b32 s45, s44
	s_cbranch_execnz .LBB93_207
	s_branch .LBB93_208
.LBB93_556:
	s_mov_b32 s27, -1
	s_mov_b32 s45, 0
.LBB93_557:
                                        ; implicit-def: $vgpr3
.LBB93_558:
	s_and_b32 vcc_lo, exec_lo, s46
	s_cbranch_vccz .LBB93_562
; %bb.559:
	s_cmp_eq_u32 s44, 44
	s_cbranch_scc0 .LBB93_561
; %bb.560:
	s_wait_loadcnt 0x0
	global_load_u8 v3, v[4:5], off
	s_mov_b32 s27, 0
	s_mov_b32 s45, -1
	s_wait_loadcnt 0x0
	s_wait_xcnt 0x1
	v_lshlrev_b32_e32 v6, 23, v3
	v_cmp_ne_u32_e32 vcc_lo, 0xff, v3
	s_delay_alu instid0(VALU_DEP_2) | instskip(SKIP_1) | instid1(VALU_DEP_2)
	v_cndmask_b32_e32 v6, 0x7f800001, v6, vcc_lo
	v_cmp_ne_u32_e32 vcc_lo, 0, v3
	v_cndmask_b32_e32 v3, 0x400000, v6, vcc_lo
	s_delay_alu instid0(VALU_DEP_1) | instskip(NEXT) | instid1(VALU_DEP_1)
	v_add_nc_u32_e32 v6, 0x7fff, v3
	v_lshrrev_b32_e32 v6, 16, v6
	v_cmp_o_f32_e32 vcc_lo, v3, v3
	s_delay_alu instid0(VALU_DEP_2)
	v_cndmask_b32_e32 v3, 0x7fc0, v6, vcc_lo
	s_branch .LBB93_562
.LBB93_561:
	s_mov_b32 s27, -1
                                        ; implicit-def: $vgpr3
.LBB93_562:
	s_mov_b32 s46, 0
.LBB93_563:
	s_delay_alu instid0(SALU_CYCLE_1)
	s_and_b32 vcc_lo, exec_lo, s46
	s_cbranch_vccz .LBB93_567
; %bb.564:
	s_cmp_eq_u32 s44, 29
	s_cbranch_scc0 .LBB93_566
; %bb.565:
	global_load_b64 v[6:7], v[4:5], off
	s_mov_b32 s45, -1
	s_mov_b32 s27, 0
	s_mov_b32 s46, 0
	s_wait_loadcnt 0x0
	v_clz_i32_u32_e32 v3, v7
	s_delay_alu instid0(VALU_DEP_1) | instskip(NEXT) | instid1(VALU_DEP_1)
	v_min_u32_e32 v3, 32, v3
	v_lshlrev_b64_e32 v[6:7], v3, v[6:7]
	v_sub_nc_u32_e32 v3, 32, v3
	s_delay_alu instid0(VALU_DEP_2) | instskip(NEXT) | instid1(VALU_DEP_1)
	v_min_u32_e32 v6, 1, v6
	v_or_b32_e32 v6, v7, v6
	s_delay_alu instid0(VALU_DEP_1) | instskip(NEXT) | instid1(VALU_DEP_1)
	v_cvt_f32_u32_e32 v6, v6
	v_ldexp_f32 v3, v6, v3
	s_delay_alu instid0(VALU_DEP_1) | instskip(NEXT) | instid1(VALU_DEP_1)
	v_bfe_u32 v6, v3, 16, 1
	v_add3_u32 v3, v3, v6, 0x7fff
	s_delay_alu instid0(VALU_DEP_1)
	v_lshrrev_b32_e32 v3, 16, v3
	s_branch .LBB93_568
.LBB93_566:
	s_mov_b32 s27, -1
                                        ; implicit-def: $vgpr3
.LBB93_567:
	s_mov_b32 s46, 0
.LBB93_568:
	s_delay_alu instid0(SALU_CYCLE_1)
	s_and_b32 vcc_lo, exec_lo, s46
	s_cbranch_vccz .LBB93_586
; %bb.569:
	s_cmp_lt_i32 s44, 27
	s_cbranch_scc1 .LBB93_572
; %bb.570:
	s_cmp_gt_i32 s44, 27
	s_cbranch_scc0 .LBB93_573
; %bb.571:
	s_wait_loadcnt 0x0
	global_load_b32 v3, v[4:5], off
	s_mov_b32 s45, 0
	s_wait_loadcnt 0x0
	v_cvt_f32_u32_e32 v3, v3
	s_wait_xcnt 0x1
	s_delay_alu instid0(VALU_DEP_1) | instskip(NEXT) | instid1(VALU_DEP_1)
	v_bfe_u32 v6, v3, 16, 1
	v_add3_u32 v3, v3, v6, 0x7fff
	s_delay_alu instid0(VALU_DEP_1)
	v_lshrrev_b32_e32 v3, 16, v3
	s_branch .LBB93_574
.LBB93_572:
	s_mov_b32 s45, -1
                                        ; implicit-def: $vgpr3
	s_branch .LBB93_577
.LBB93_573:
	s_mov_b32 s45, -1
                                        ; implicit-def: $vgpr3
.LBB93_574:
	s_delay_alu instid0(SALU_CYCLE_1)
	s_and_not1_b32 vcc_lo, exec_lo, s45
	s_cbranch_vccnz .LBB93_576
; %bb.575:
	s_wait_loadcnt 0x0
	global_load_u16 v3, v[4:5], off
	s_wait_loadcnt 0x0
	v_cvt_f32_u32_e32 v3, v3
	s_wait_xcnt 0x1
	s_delay_alu instid0(VALU_DEP_1) | instskip(NEXT) | instid1(VALU_DEP_1)
	v_bfe_u32 v6, v3, 16, 1
	v_add3_u32 v3, v3, v6, 0x7fff
	s_delay_alu instid0(VALU_DEP_1)
	v_lshrrev_b32_e32 v3, 16, v3
.LBB93_576:
	s_mov_b32 s45, 0
.LBB93_577:
	s_delay_alu instid0(SALU_CYCLE_1)
	s_and_not1_b32 vcc_lo, exec_lo, s45
	s_cbranch_vccnz .LBB93_585
; %bb.578:
	s_wait_loadcnt 0x0
	global_load_u8 v3, v[4:5], off
	s_mov_b32 s45, 0
	s_mov_b32 s46, exec_lo
	s_wait_loadcnt 0x0
	v_cmpx_lt_i16_e32 0x7f, v3
	s_xor_b32 s46, exec_lo, s46
	s_cbranch_execz .LBB93_599
; %bb.579:
	s_mov_b32 s45, -1
	s_mov_b32 s48, exec_lo
	v_cmpx_eq_u16_e32 0x80, v3
; %bb.580:
	s_xor_b32 s45, exec_lo, -1
; %bb.581:
	s_or_b32 exec_lo, exec_lo, s48
	s_delay_alu instid0(SALU_CYCLE_1)
	s_and_b32 s45, s45, exec_lo
	s_or_saveexec_b32 s46, s46
	v_mov_b32_e32 v6, 0x7f800001
	s_xor_b32 exec_lo, exec_lo, s46
	s_cbranch_execnz .LBB93_600
.LBB93_582:
	s_or_b32 exec_lo, exec_lo, s46
	s_and_saveexec_b32 s46, s45
	s_cbranch_execz .LBB93_584
.LBB93_583:
	v_and_b32_e32 v6, 0xffff, v3
	s_delay_alu instid0(VALU_DEP_1) | instskip(SKIP_1) | instid1(VALU_DEP_2)
	v_and_b32_e32 v7, 7, v6
	v_bfe_u32 v10, v6, 3, 4
	v_clz_i32_u32_e32 v8, v7
	s_delay_alu instid0(VALU_DEP_2) | instskip(NEXT) | instid1(VALU_DEP_2)
	v_cmp_eq_u32_e32 vcc_lo, 0, v10
	v_min_u32_e32 v8, 32, v8
	s_delay_alu instid0(VALU_DEP_1) | instskip(NEXT) | instid1(VALU_DEP_1)
	v_subrev_nc_u32_e32 v9, 28, v8
	v_dual_lshlrev_b32 v6, v9, v6 :: v_dual_sub_nc_u32 v8, 29, v8
	s_delay_alu instid0(VALU_DEP_1) | instskip(NEXT) | instid1(VALU_DEP_1)
	v_dual_lshlrev_b32 v3, 24, v3 :: v_dual_bitop2_b32 v6, 7, v6 bitop3:0x40
	v_dual_cndmask_b32 v8, v10, v8, vcc_lo :: v_dual_cndmask_b32 v6, v7, v6, vcc_lo
	s_delay_alu instid0(VALU_DEP_2) | instskip(NEXT) | instid1(VALU_DEP_2)
	v_and_b32_e32 v3, 0x80000000, v3
	v_lshl_add_u32 v7, v8, 23, 0x3b800000
	s_delay_alu instid0(VALU_DEP_3) | instskip(NEXT) | instid1(VALU_DEP_1)
	v_lshlrev_b32_e32 v6, 20, v6
	v_or3_b32 v6, v3, v7, v6
.LBB93_584:
	s_or_b32 exec_lo, exec_lo, s46
	s_delay_alu instid0(VALU_DEP_1) | instskip(SKIP_1) | instid1(VALU_DEP_2)
	v_bfe_u32 v3, v6, 16, 1
	v_cmp_o_f32_e32 vcc_lo, v6, v6
	v_add3_u32 v3, v6, v3, 0x7fff
	s_delay_alu instid0(VALU_DEP_1) | instskip(NEXT) | instid1(VALU_DEP_1)
	v_lshrrev_b32_e32 v3, 16, v3
	v_cndmask_b32_e32 v3, 0x7fc0, v3, vcc_lo
.LBB93_585:
	s_mov_b32 s45, -1
.LBB93_586:
	s_mov_b32 s46, 0
.LBB93_587:
	s_delay_alu instid0(SALU_CYCLE_1)
	s_and_b32 vcc_lo, exec_lo, s46
	s_cbranch_vccz .LBB93_622
; %bb.588:
	s_cmp_gt_i32 s44, 22
	s_cbranch_scc0 .LBB93_598
; %bb.589:
	s_cmp_lt_i32 s44, 24
	s_cbranch_scc1 .LBB93_601
; %bb.590:
	s_cmp_gt_i32 s44, 24
	s_cbranch_scc0 .LBB93_602
; %bb.591:
	s_wait_loadcnt 0x0
	global_load_u8 v3, v[4:5], off
	s_mov_b32 s45, 0
	s_mov_b32 s46, exec_lo
	s_wait_loadcnt 0x0
	v_cmpx_lt_i16_e32 0x7f, v3
	s_xor_b32 s46, exec_lo, s46
	s_cbranch_execz .LBB93_614
; %bb.592:
	s_mov_b32 s45, -1
	s_mov_b32 s48, exec_lo
	v_cmpx_eq_u16_e32 0x80, v3
; %bb.593:
	s_xor_b32 s45, exec_lo, -1
; %bb.594:
	s_or_b32 exec_lo, exec_lo, s48
	s_delay_alu instid0(SALU_CYCLE_1)
	s_and_b32 s45, s45, exec_lo
	s_or_saveexec_b32 s46, s46
	v_mov_b32_e32 v6, 0x7f800001
	s_xor_b32 exec_lo, exec_lo, s46
	s_cbranch_execnz .LBB93_615
.LBB93_595:
	s_or_b32 exec_lo, exec_lo, s46
	s_and_saveexec_b32 s46, s45
	s_cbranch_execz .LBB93_597
.LBB93_596:
	v_and_b32_e32 v6, 0xffff, v3
	s_delay_alu instid0(VALU_DEP_1) | instskip(SKIP_1) | instid1(VALU_DEP_2)
	v_and_b32_e32 v7, 3, v6
	v_bfe_u32 v10, v6, 2, 5
	v_clz_i32_u32_e32 v8, v7
	s_delay_alu instid0(VALU_DEP_2) | instskip(NEXT) | instid1(VALU_DEP_2)
	v_cmp_eq_u32_e32 vcc_lo, 0, v10
	v_min_u32_e32 v8, 32, v8
	s_delay_alu instid0(VALU_DEP_1) | instskip(NEXT) | instid1(VALU_DEP_1)
	v_subrev_nc_u32_e32 v9, 29, v8
	v_dual_lshlrev_b32 v6, v9, v6 :: v_dual_sub_nc_u32 v8, 30, v8
	s_delay_alu instid0(VALU_DEP_1) | instskip(NEXT) | instid1(VALU_DEP_1)
	v_dual_lshlrev_b32 v3, 24, v3 :: v_dual_bitop2_b32 v6, 3, v6 bitop3:0x40
	v_dual_cndmask_b32 v8, v10, v8, vcc_lo :: v_dual_cndmask_b32 v6, v7, v6, vcc_lo
	s_delay_alu instid0(VALU_DEP_2) | instskip(NEXT) | instid1(VALU_DEP_2)
	v_and_b32_e32 v3, 0x80000000, v3
	v_lshl_add_u32 v7, v8, 23, 0x37800000
	s_delay_alu instid0(VALU_DEP_3) | instskip(NEXT) | instid1(VALU_DEP_1)
	v_lshlrev_b32_e32 v6, 21, v6
	v_or3_b32 v6, v3, v7, v6
.LBB93_597:
	s_or_b32 exec_lo, exec_lo, s46
	s_delay_alu instid0(VALU_DEP_1) | instskip(SKIP_2) | instid1(VALU_DEP_2)
	v_bfe_u32 v3, v6, 16, 1
	v_cmp_o_f32_e32 vcc_lo, v6, v6
	s_mov_b32 s45, 0
	v_add3_u32 v3, v6, v3, 0x7fff
	s_delay_alu instid0(VALU_DEP_1) | instskip(NEXT) | instid1(VALU_DEP_1)
	v_lshrrev_b32_e32 v3, 16, v3
	v_cndmask_b32_e32 v3, 0x7fc0, v3, vcc_lo
	s_branch .LBB93_603
.LBB93_598:
	s_mov_b32 s46, -1
                                        ; implicit-def: $vgpr3
	s_branch .LBB93_609
.LBB93_599:
	s_or_saveexec_b32 s46, s46
	v_mov_b32_e32 v6, 0x7f800001
	s_xor_b32 exec_lo, exec_lo, s46
	s_cbranch_execz .LBB93_582
.LBB93_600:
	v_cmp_ne_u16_e32 vcc_lo, 0, v3
	v_mov_b32_e32 v6, 0
	s_and_not1_b32 s45, s45, exec_lo
	s_and_b32 s48, vcc_lo, exec_lo
	s_delay_alu instid0(SALU_CYCLE_1)
	s_or_b32 s45, s45, s48
	s_or_b32 exec_lo, exec_lo, s46
	s_and_saveexec_b32 s46, s45
	s_cbranch_execnz .LBB93_583
	s_branch .LBB93_584
.LBB93_601:
	s_mov_b32 s45, -1
                                        ; implicit-def: $vgpr3
	s_branch .LBB93_606
.LBB93_602:
	s_mov_b32 s45, -1
                                        ; implicit-def: $vgpr3
.LBB93_603:
	s_delay_alu instid0(SALU_CYCLE_1)
	s_and_b32 vcc_lo, exec_lo, s45
	s_cbranch_vccz .LBB93_605
; %bb.604:
	s_wait_loadcnt 0x0
	global_load_u8 v3, v[4:5], off
	s_wait_loadcnt 0x0
	v_lshlrev_b32_e32 v3, 24, v3
	s_wait_xcnt 0x1
	s_delay_alu instid0(VALU_DEP_1) | instskip(NEXT) | instid1(VALU_DEP_1)
	v_and_b32_e32 v6, 0x7f000000, v3
	v_clz_i32_u32_e32 v7, v6
	v_cmp_ne_u32_e32 vcc_lo, 0, v6
	v_add_nc_u32_e32 v9, 0x1000000, v6
	s_delay_alu instid0(VALU_DEP_3) | instskip(NEXT) | instid1(VALU_DEP_1)
	v_min_u32_e32 v7, 32, v7
	v_sub_nc_u32_e64 v7, v7, 4 clamp
	s_delay_alu instid0(VALU_DEP_1) | instskip(NEXT) | instid1(VALU_DEP_1)
	v_dual_lshlrev_b32 v8, v7, v6 :: v_dual_lshlrev_b32 v7, 23, v7
	v_lshrrev_b32_e32 v8, 4, v8
	s_delay_alu instid0(VALU_DEP_1) | instskip(NEXT) | instid1(VALU_DEP_1)
	v_dual_sub_nc_u32 v7, v8, v7 :: v_dual_ashrrev_i32 v8, 8, v9
	v_add_nc_u32_e32 v7, 0x3c000000, v7
	s_delay_alu instid0(VALU_DEP_1) | instskip(NEXT) | instid1(VALU_DEP_1)
	v_and_or_b32 v7, 0x7f800000, v8, v7
	v_cndmask_b32_e32 v6, 0, v7, vcc_lo
	s_delay_alu instid0(VALU_DEP_1) | instskip(SKIP_1) | instid1(VALU_DEP_2)
	v_and_or_b32 v3, 0x80000000, v3, v6
	v_bfe_u32 v6, v6, 16, 1
	v_cmp_o_f32_e32 vcc_lo, v3, v3
	s_delay_alu instid0(VALU_DEP_2) | instskip(NEXT) | instid1(VALU_DEP_1)
	v_add3_u32 v6, v3, v6, 0x7fff
	v_lshrrev_b32_e32 v6, 16, v6
	s_delay_alu instid0(VALU_DEP_1)
	v_cndmask_b32_e32 v3, 0x7fc0, v6, vcc_lo
.LBB93_605:
	s_mov_b32 s45, 0
.LBB93_606:
	s_delay_alu instid0(SALU_CYCLE_1)
	s_and_not1_b32 vcc_lo, exec_lo, s45
	s_cbranch_vccnz .LBB93_608
; %bb.607:
	s_wait_loadcnt 0x0
	global_load_u8 v3, v[4:5], off
	s_wait_loadcnt 0x0
	s_wait_xcnt 0x1
	v_lshlrev_b32_e32 v6, 25, v3
	v_lshlrev_b16 v3, 8, v3
	s_delay_alu instid0(VALU_DEP_1) | instskip(SKIP_1) | instid1(VALU_DEP_2)
	v_and_or_b32 v8, 0x7f00, v3, 0.5
	v_bfe_i32 v3, v3, 0, 16
	v_dual_add_f32 v8, -0.5, v8 :: v_dual_lshrrev_b32 v7, 4, v6
	v_cmp_gt_u32_e32 vcc_lo, 0x8000000, v6
	s_delay_alu instid0(VALU_DEP_2) | instskip(NEXT) | instid1(VALU_DEP_1)
	v_or_b32_e32 v7, 0x70000000, v7
	v_mul_f32_e32 v7, 0x7800000, v7
	s_delay_alu instid0(VALU_DEP_1) | instskip(NEXT) | instid1(VALU_DEP_1)
	v_cndmask_b32_e32 v6, v7, v8, vcc_lo
	v_and_or_b32 v3, 0x80000000, v3, v6
	v_bfe_u32 v6, v6, 16, 1
	s_delay_alu instid0(VALU_DEP_2) | instskip(NEXT) | instid1(VALU_DEP_2)
	v_cmp_o_f32_e32 vcc_lo, v3, v3
	v_add3_u32 v6, v3, v6, 0x7fff
	s_delay_alu instid0(VALU_DEP_1) | instskip(NEXT) | instid1(VALU_DEP_1)
	v_lshrrev_b32_e32 v6, 16, v6
	v_cndmask_b32_e32 v3, 0x7fc0, v6, vcc_lo
.LBB93_608:
	s_mov_b32 s46, 0
	s_mov_b32 s45, -1
.LBB93_609:
	s_and_not1_b32 vcc_lo, exec_lo, s46
	s_cbranch_vccnz .LBB93_622
; %bb.610:
	s_cmp_gt_i32 s44, 14
	s_cbranch_scc0 .LBB93_613
; %bb.611:
	s_cmp_eq_u32 s44, 15
	s_cbranch_scc0 .LBB93_616
; %bb.612:
	s_wait_loadcnt 0x0
	global_load_u16 v3, v[4:5], off
	s_mov_b32 s45, -1
	s_mov_b32 s27, 0
	s_branch .LBB93_617
.LBB93_613:
	s_mov_b32 s46, -1
                                        ; implicit-def: $vgpr3
	s_branch .LBB93_618
.LBB93_614:
	s_or_saveexec_b32 s46, s46
	v_mov_b32_e32 v6, 0x7f800001
	s_xor_b32 exec_lo, exec_lo, s46
	s_cbranch_execz .LBB93_595
.LBB93_615:
	v_cmp_ne_u16_e32 vcc_lo, 0, v3
	v_mov_b32_e32 v6, 0
	s_and_not1_b32 s45, s45, exec_lo
	s_and_b32 s48, vcc_lo, exec_lo
	s_delay_alu instid0(SALU_CYCLE_1)
	s_or_b32 s45, s45, s48
	s_or_b32 exec_lo, exec_lo, s46
	s_and_saveexec_b32 s46, s45
	s_cbranch_execnz .LBB93_596
	s_branch .LBB93_597
.LBB93_616:
	s_mov_b32 s27, -1
                                        ; implicit-def: $vgpr3
.LBB93_617:
	s_mov_b32 s46, 0
.LBB93_618:
	s_delay_alu instid0(SALU_CYCLE_1)
	s_and_b32 vcc_lo, exec_lo, s46
	s_cbranch_vccz .LBB93_622
; %bb.619:
	s_cmp_eq_u32 s44, 11
	s_cbranch_scc0 .LBB93_621
; %bb.620:
	s_wait_loadcnt 0x0
	global_load_u8 v3, v[4:5], off
	s_mov_b32 s27, 0
	s_mov_b32 s45, -1
	s_wait_loadcnt 0x0
	v_cmp_ne_u16_e32 vcc_lo, 0, v3
	v_cndmask_b32_e64 v3, 0, 1.0, vcc_lo
	s_delay_alu instid0(VALU_DEP_1)
	v_lshrrev_b32_e32 v3, 16, v3
	s_branch .LBB93_622
.LBB93_621:
	s_mov_b32 s27, -1
                                        ; implicit-def: $vgpr3
.LBB93_622:
	s_mov_b32 s44, 0
.LBB93_623:
	s_delay_alu instid0(SALU_CYCLE_1)
	s_and_b32 vcc_lo, exec_lo, s44
	s_cbranch_vccz .LBB93_672
; %bb.624:
	s_and_b32 s0, 0xffff, s0
	s_delay_alu instid0(SALU_CYCLE_1)
	s_cmp_lt_i32 s0, 5
	s_cbranch_scc1 .LBB93_629
; %bb.625:
	s_cmp_lt_i32 s0, 8
	s_cbranch_scc1 .LBB93_630
; %bb.626:
	;; [unrolled: 3-line block ×3, first 2 shown]
	s_cmp_gt_i32 s0, 9
	s_cbranch_scc0 .LBB93_632
; %bb.628:
	global_load_b64 v[6:7], v[4:5], off
	s_mov_b32 s44, 0
	s_wait_loadcnt 0x0
	v_cvt_f32_f64_e32 v3, v[6:7]
	s_delay_alu instid0(VALU_DEP_1) | instskip(SKIP_1) | instid1(VALU_DEP_2)
	v_bfe_u32 v6, v3, 16, 1
	v_cmp_o_f32_e32 vcc_lo, v3, v3
	v_add3_u32 v6, v3, v6, 0x7fff
	s_delay_alu instid0(VALU_DEP_1) | instskip(NEXT) | instid1(VALU_DEP_1)
	v_lshrrev_b32_e32 v6, 16, v6
	v_cndmask_b32_e32 v3, 0x7fc0, v6, vcc_lo
	s_branch .LBB93_633
.LBB93_629:
	s_mov_b32 s44, -1
                                        ; implicit-def: $vgpr3
	s_branch .LBB93_651
.LBB93_630:
	s_mov_b32 s44, -1
                                        ; implicit-def: $vgpr3
	s_branch .LBB93_639
.LBB93_631:
	s_mov_b32 s44, -1
                                        ; implicit-def: $vgpr3
	s_branch .LBB93_636
.LBB93_632:
	s_mov_b32 s44, -1
                                        ; implicit-def: $vgpr3
.LBB93_633:
	s_delay_alu instid0(SALU_CYCLE_1)
	s_and_not1_b32 vcc_lo, exec_lo, s44
	s_cbranch_vccnz .LBB93_635
; %bb.634:
	s_wait_loadcnt 0x0
	global_load_b32 v3, v[4:5], off
	s_wait_loadcnt 0x0
	s_wait_xcnt 0x1
	v_bfe_u32 v6, v3, 16, 1
	v_cmp_o_f32_e32 vcc_lo, v3, v3
	s_delay_alu instid0(VALU_DEP_2) | instskip(NEXT) | instid1(VALU_DEP_1)
	v_add3_u32 v6, v3, v6, 0x7fff
	v_lshrrev_b32_e32 v6, 16, v6
	s_delay_alu instid0(VALU_DEP_1)
	v_cndmask_b32_e32 v3, 0x7fc0, v6, vcc_lo
.LBB93_635:
	s_mov_b32 s44, 0
.LBB93_636:
	s_delay_alu instid0(SALU_CYCLE_1)
	s_and_not1_b32 vcc_lo, exec_lo, s44
	s_cbranch_vccnz .LBB93_638
; %bb.637:
	s_wait_loadcnt 0x0
	global_load_b32 v3, v[4:5], off
	s_wait_loadcnt 0x0
	s_wait_xcnt 0x1
	v_cvt_f32_f16_e32 v6, v3
	v_cmp_o_f16_e32 vcc_lo, v3, v3
	s_delay_alu instid0(VALU_DEP_2) | instskip(NEXT) | instid1(VALU_DEP_1)
	v_bfe_u32 v7, v6, 16, 1
	v_add3_u32 v6, v6, v7, 0x7fff
	s_delay_alu instid0(VALU_DEP_1) | instskip(NEXT) | instid1(VALU_DEP_1)
	v_lshrrev_b32_e32 v6, 16, v6
	v_cndmask_b32_e32 v3, 0x7fc0, v6, vcc_lo
.LBB93_638:
	s_mov_b32 s44, 0
.LBB93_639:
	s_delay_alu instid0(SALU_CYCLE_1)
	s_and_not1_b32 vcc_lo, exec_lo, s44
	s_cbranch_vccnz .LBB93_650
; %bb.640:
	s_cmp_lt_i32 s0, 6
	s_cbranch_scc1 .LBB93_643
; %bb.641:
	s_cmp_gt_i32 s0, 6
	s_cbranch_scc0 .LBB93_644
; %bb.642:
	global_load_b64 v[6:7], v[4:5], off
	s_mov_b32 s44, 0
	s_wait_loadcnt 0x0
	v_cvt_f32_f64_e32 v3, v[6:7]
	s_delay_alu instid0(VALU_DEP_1) | instskip(SKIP_1) | instid1(VALU_DEP_2)
	v_bfe_u32 v6, v3, 16, 1
	v_cmp_o_f32_e32 vcc_lo, v3, v3
	v_add3_u32 v6, v3, v6, 0x7fff
	s_delay_alu instid0(VALU_DEP_1) | instskip(NEXT) | instid1(VALU_DEP_1)
	v_lshrrev_b32_e32 v6, 16, v6
	v_cndmask_b32_e32 v3, 0x7fc0, v6, vcc_lo
	s_branch .LBB93_645
.LBB93_643:
	s_mov_b32 s44, -1
                                        ; implicit-def: $vgpr3
	s_branch .LBB93_648
.LBB93_644:
	s_mov_b32 s44, -1
                                        ; implicit-def: $vgpr3
.LBB93_645:
	s_delay_alu instid0(SALU_CYCLE_1)
	s_and_not1_b32 vcc_lo, exec_lo, s44
	s_cbranch_vccnz .LBB93_647
; %bb.646:
	s_wait_loadcnt 0x0
	global_load_b32 v3, v[4:5], off
	s_wait_loadcnt 0x0
	s_wait_xcnt 0x1
	v_bfe_u32 v6, v3, 16, 1
	v_cmp_o_f32_e32 vcc_lo, v3, v3
	s_delay_alu instid0(VALU_DEP_2) | instskip(NEXT) | instid1(VALU_DEP_1)
	v_add3_u32 v6, v3, v6, 0x7fff
	v_lshrrev_b32_e32 v6, 16, v6
	s_delay_alu instid0(VALU_DEP_1)
	v_cndmask_b32_e32 v3, 0x7fc0, v6, vcc_lo
.LBB93_647:
	s_mov_b32 s44, 0
.LBB93_648:
	s_delay_alu instid0(SALU_CYCLE_1)
	s_and_not1_b32 vcc_lo, exec_lo, s44
	s_cbranch_vccnz .LBB93_650
; %bb.649:
	s_wait_loadcnt 0x0
	global_load_u16 v3, v[4:5], off
	s_wait_loadcnt 0x0
	s_wait_xcnt 0x1
	v_cvt_f32_f16_e32 v6, v3
	v_cmp_o_f16_e32 vcc_lo, v3, v3
	s_delay_alu instid0(VALU_DEP_2) | instskip(NEXT) | instid1(VALU_DEP_1)
	v_bfe_u32 v7, v6, 16, 1
	v_add3_u32 v6, v6, v7, 0x7fff
	s_delay_alu instid0(VALU_DEP_1) | instskip(NEXT) | instid1(VALU_DEP_1)
	v_lshrrev_b32_e32 v6, 16, v6
	v_cndmask_b32_e32 v3, 0x7fc0, v6, vcc_lo
.LBB93_650:
	s_mov_b32 s44, 0
.LBB93_651:
	s_delay_alu instid0(SALU_CYCLE_1)
	s_and_not1_b32 vcc_lo, exec_lo, s44
	s_cbranch_vccnz .LBB93_671
; %bb.652:
	s_cmp_lt_i32 s0, 2
	s_cbranch_scc1 .LBB93_656
; %bb.653:
	s_cmp_lt_i32 s0, 3
	s_cbranch_scc1 .LBB93_657
; %bb.654:
	s_cmp_gt_i32 s0, 3
	s_cbranch_scc0 .LBB93_658
; %bb.655:
	global_load_b64 v[6:7], v[4:5], off
	s_mov_b32 s44, 0
	s_wait_loadcnt 0x0
	v_xor_b32_e32 v3, v6, v7
	v_cls_i32_e32 v8, v7
	s_delay_alu instid0(VALU_DEP_2) | instskip(NEXT) | instid1(VALU_DEP_1)
	v_ashrrev_i32_e32 v3, 31, v3
	v_add_nc_u32_e32 v3, 32, v3
	s_delay_alu instid0(VALU_DEP_1) | instskip(NEXT) | instid1(VALU_DEP_1)
	v_add_min_u32_e64 v3, v8, -1, v3
	v_lshlrev_b64_e32 v[6:7], v3, v[6:7]
	v_sub_nc_u32_e32 v3, 32, v3
	s_delay_alu instid0(VALU_DEP_2) | instskip(NEXT) | instid1(VALU_DEP_1)
	v_min_u32_e32 v6, 1, v6
	v_or_b32_e32 v6, v7, v6
	s_delay_alu instid0(VALU_DEP_1) | instskip(NEXT) | instid1(VALU_DEP_1)
	v_cvt_f32_i32_e32 v6, v6
	v_ldexp_f32 v3, v6, v3
	s_delay_alu instid0(VALU_DEP_1) | instskip(NEXT) | instid1(VALU_DEP_1)
	v_bfe_u32 v6, v3, 16, 1
	v_add3_u32 v3, v3, v6, 0x7fff
	s_delay_alu instid0(VALU_DEP_1)
	v_lshrrev_b32_e32 v3, 16, v3
	s_branch .LBB93_659
.LBB93_656:
	s_mov_b32 s44, -1
                                        ; implicit-def: $vgpr3
	s_branch .LBB93_665
.LBB93_657:
	s_mov_b32 s44, -1
                                        ; implicit-def: $vgpr3
	s_branch .LBB93_662
.LBB93_658:
	s_mov_b32 s44, -1
                                        ; implicit-def: $vgpr3
.LBB93_659:
	s_delay_alu instid0(SALU_CYCLE_1)
	s_and_not1_b32 vcc_lo, exec_lo, s44
	s_cbranch_vccnz .LBB93_661
; %bb.660:
	s_wait_loadcnt 0x0
	global_load_b32 v3, v[4:5], off
	s_wait_loadcnt 0x0
	v_cvt_f32_i32_e32 v3, v3
	s_wait_xcnt 0x1
	s_delay_alu instid0(VALU_DEP_1) | instskip(NEXT) | instid1(VALU_DEP_1)
	v_bfe_u32 v6, v3, 16, 1
	v_add3_u32 v3, v3, v6, 0x7fff
	s_delay_alu instid0(VALU_DEP_1)
	v_lshrrev_b32_e32 v3, 16, v3
.LBB93_661:
	s_mov_b32 s44, 0
.LBB93_662:
	s_delay_alu instid0(SALU_CYCLE_1)
	s_and_not1_b32 vcc_lo, exec_lo, s44
	s_cbranch_vccnz .LBB93_664
; %bb.663:
	s_wait_loadcnt 0x0
	global_load_i16 v3, v[4:5], off
	s_wait_loadcnt 0x0
	v_cvt_f32_i32_e32 v3, v3
	s_wait_xcnt 0x1
	s_delay_alu instid0(VALU_DEP_1) | instskip(NEXT) | instid1(VALU_DEP_1)
	v_bfe_u32 v6, v3, 16, 1
	v_add3_u32 v3, v3, v6, 0x7fff
	s_delay_alu instid0(VALU_DEP_1)
	v_lshrrev_b32_e32 v3, 16, v3
.LBB93_664:
	s_mov_b32 s44, 0
.LBB93_665:
	s_delay_alu instid0(SALU_CYCLE_1)
	s_and_not1_b32 vcc_lo, exec_lo, s44
	s_cbranch_vccnz .LBB93_671
; %bb.666:
	s_cmp_gt_i32 s0, 0
	s_mov_b32 s0, 0
	s_cbranch_scc0 .LBB93_668
; %bb.667:
	s_wait_loadcnt 0x0
	global_load_i8 v3, v[4:5], off
	s_wait_loadcnt 0x0
	v_cvt_f32_i32_e32 v3, v3
	s_wait_xcnt 0x1
	s_delay_alu instid0(VALU_DEP_1) | instskip(NEXT) | instid1(VALU_DEP_1)
	v_bfe_u32 v6, v3, 16, 1
	v_add3_u32 v3, v3, v6, 0x7fff
	s_delay_alu instid0(VALU_DEP_1)
	v_lshrrev_b32_e32 v3, 16, v3
	s_branch .LBB93_669
.LBB93_668:
	s_mov_b32 s0, -1
                                        ; implicit-def: $vgpr3
.LBB93_669:
	s_delay_alu instid0(SALU_CYCLE_1)
	s_and_not1_b32 vcc_lo, exec_lo, s0
	s_cbranch_vccnz .LBB93_671
; %bb.670:
	s_wait_loadcnt 0x0
	global_load_u8 v3, v[4:5], off
	s_wait_loadcnt 0x0
	v_cvt_f32_ubyte0_e32 v3, v3
	s_wait_xcnt 0x0
	s_delay_alu instid0(VALU_DEP_1) | instskip(NEXT) | instid1(VALU_DEP_1)
	v_bfe_u32 v4, v3, 16, 1
	v_add3_u32 v3, v3, v4, 0x7fff
	s_delay_alu instid0(VALU_DEP_1)
	v_lshrrev_b32_e32 v3, 16, v3
.LBB93_671:
	s_mov_b32 s45, -1
.LBB93_672:
	s_delay_alu instid0(SALU_CYCLE_1)
	s_and_not1_b32 vcc_lo, exec_lo, s45
	s_cbranch_vccnz .LBB93_682
; %bb.673:
	s_wait_loadcnt 0x0
	v_dual_lshlrev_b32 v3, 16, v3 :: v_dual_lshlrev_b32 v1, 16, v1
	s_mov_b32 s0, exec_lo
	s_delay_alu instid0(VALU_DEP_1) | instskip(SKIP_1) | instid1(VALU_DEP_1)
	v_mul_f32_e32 v3, s10, v3
	s_wait_xcnt 0x0
	v_cmpx_nlt_f32_e32 s11, v3
	s_cbranch_execz .LBB93_675
; %bb.674:
	v_mul_f32_e32 v4, 0x3fb8aa3b, v3
	v_cmp_ngt_f32_e32 vcc_lo, 0xc2ce8ed0, v3
	s_delay_alu instid0(VALU_DEP_2) | instskip(SKIP_1) | instid1(VALU_DEP_2)
	v_rndne_f32_e32 v5, v4
	v_fma_f32 v6, 0x3fb8aa3b, v3, -v4
	v_sub_f32_e32 v4, v4, v5
	s_delay_alu instid0(VALU_DEP_2) | instskip(SKIP_1) | instid1(VALU_DEP_2)
	v_fmamk_f32 v6, v3, 0x32a5705f, v6
	v_cvt_i32_f32_e32 v5, v5
	v_add_f32_e32 v4, v4, v6
	s_delay_alu instid0(VALU_DEP_1) | instskip(SKIP_1) | instid1(TRANS32_DEP_1)
	v_exp_f32_e32 v4, v4
	v_nop
	v_ldexp_f32 v4, v4, v5
	s_delay_alu instid0(VALU_DEP_1) | instskip(SKIP_1) | instid1(VALU_DEP_2)
	v_cndmask_b32_e32 v4, 0, v4, vcc_lo
	v_cmp_nlt_f32_e32 vcc_lo, 0x42b17218, v3
	v_cndmask_b32_e32 v3, 0x7f800000, v4, vcc_lo
	s_delay_alu instid0(VALU_DEP_1) | instskip(NEXT) | instid1(VALU_DEP_1)
	v_dual_mul_f32 v1, v3, v1 :: v_dual_add_f32 v3, 1.0, v3
	v_div_scale_f32 v4, null, v3, v3, v1
	s_delay_alu instid0(VALU_DEP_1) | instskip(SKIP_1) | instid1(TRANS32_DEP_1)
	v_rcp_f32_e32 v5, v4
	v_nop
	v_fma_f32 v6, -v4, v5, 1.0
	s_delay_alu instid0(VALU_DEP_1) | instskip(SKIP_1) | instid1(VALU_DEP_1)
	v_fmac_f32_e32 v5, v6, v5
	v_div_scale_f32 v6, vcc_lo, v1, v3, v1
	v_mul_f32_e32 v7, v6, v5
	s_delay_alu instid0(VALU_DEP_1) | instskip(NEXT) | instid1(VALU_DEP_1)
	v_fma_f32 v8, -v4, v7, v6
	v_fmac_f32_e32 v7, v8, v5
	s_delay_alu instid0(VALU_DEP_1) | instskip(NEXT) | instid1(VALU_DEP_1)
	v_fma_f32 v4, -v4, v7, v6
	v_div_fmas_f32 v4, v4, v5, v7
	s_delay_alu instid0(VALU_DEP_1)
	v_div_fixup_f32 v1, v4, v3, v1
.LBB93_675:
	s_or_b32 exec_lo, exec_lo, s0
	s_delay_alu instid0(VALU_DEP_1) | instskip(SKIP_2) | instid1(SALU_CYCLE_1)
	v_bfe_u32 v3, v1, 16, 1
	v_cmp_o_f32_e32 vcc_lo, v1, v1
	s_and_b32 s44, s34, 0xff
	s_cmp_lt_i32 s44, 11
	s_delay_alu instid0(VALU_DEP_2) | instskip(NEXT) | instid1(VALU_DEP_1)
	v_add3_u32 v4, v1, v3, 0x7fff
	v_dual_mov_b32 v3, 0 :: v_dual_lshrrev_b32 v4, 16, v4
	s_delay_alu instid0(VALU_DEP_1) | instskip(NEXT) | instid1(VALU_DEP_2)
	v_add_nc_u64_e32 v[2:3], s[4:5], v[2:3]
	v_cndmask_b32_e32 v1, 0x7fc0, v4, vcc_lo
	s_cbranch_scc1 .LBB93_683
; %bb.676:
	s_and_b32 s45, 0xffff, s44
	s_delay_alu instid0(SALU_CYCLE_1)
	s_cmp_gt_i32 s45, 25
	s_cbranch_scc0 .LBB93_684
; %bb.677:
	s_cmp_gt_i32 s45, 28
	s_cbranch_scc0 .LBB93_685
; %bb.678:
	;; [unrolled: 3-line block ×4, first 2 shown]
	s_mov_b32 s48, 0
	s_mov_b32 s0, -1
	s_cmp_eq_u32 s45, 46
	s_mov_b32 s46, 0
	s_cbranch_scc0 .LBB93_688
; %bb.681:
	v_and_b32_e32 v4, 0xffff, v1
	s_mov_b32 s46, -1
	s_mov_b32 s0, 0
	global_store_b32 v[2:3], v4, off
	s_branch .LBB93_688
.LBB93_682:
	s_mov_b32 s48, 0
	s_mov_b32 s0, s40
	s_branch .LBB93_799
.LBB93_683:
	s_mov_b32 s45, -1
	s_mov_b32 s46, 0
	s_mov_b32 s0, s40
	s_branch .LBB93_757
.LBB93_684:
	s_mov_b32 s48, -1
	s_mov_b32 s46, 0
	s_mov_b32 s0, s40
	s_branch .LBB93_715
.LBB93_685:
	s_mov_b32 s48, -1
	s_mov_b32 s46, 0
	s_mov_b32 s0, s40
	s_branch .LBB93_698
.LBB93_686:
	s_mov_b32 s48, -1
	s_mov_b32 s46, 0
	s_mov_b32 s0, s40
	s_branch .LBB93_694
.LBB93_687:
	s_mov_b32 s48, -1
	s_mov_b32 s46, 0
	s_mov_b32 s0, s40
.LBB93_688:
	s_and_b32 vcc_lo, exec_lo, s48
	s_cbranch_vccz .LBB93_693
; %bb.689:
	s_cmp_eq_u32 s45, 44
	s_mov_b32 s0, -1
	s_cbranch_scc0 .LBB93_693
; %bb.690:
	s_wait_xcnt 0x0
	v_and_b32_e32 v4, 0xffff, v1
	v_mov_b32_e32 v5, 0xff
	s_mov_b32 s46, exec_lo
	s_delay_alu instid0(VALU_DEP_2) | instskip(NEXT) | instid1(VALU_DEP_1)
	v_bfe_u32 v6, v4, 7, 8
	v_cmpx_ne_u32_e32 0xff, v6
	s_cbranch_execz .LBB93_692
; %bb.691:
	v_dual_lshlrev_b32 v5, 16, v4 :: v_dual_bitop2_b32 v7, 64, v4 bitop3:0x40
	v_lshrrev_b32_e32 v4, 7, v4
	s_delay_alu instid0(VALU_DEP_2) | instskip(NEXT) | instid1(VALU_DEP_3)
	v_and_or_b32 v5, 0x3f0000, v5, v6
	v_cmp_ne_u32_e32 vcc_lo, 0, v7
	s_delay_alu instid0(VALU_DEP_2) | instskip(SKIP_1) | instid1(SALU_CYCLE_1)
	v_cmp_ne_u32_e64 s0, 0, v5
	s_and_b32 s0, vcc_lo, s0
	v_cndmask_b32_e64 v5, 0, 1, s0
	s_delay_alu instid0(VALU_DEP_1)
	v_add_nc_u32_e32 v5, v4, v5
.LBB93_692:
	s_or_b32 exec_lo, exec_lo, s46
	s_mov_b32 s46, -1
	s_mov_b32 s0, 0
	global_store_b8 v[2:3], v5, off
.LBB93_693:
	s_mov_b32 s48, 0
.LBB93_694:
	s_delay_alu instid0(SALU_CYCLE_1)
	s_and_b32 vcc_lo, exec_lo, s48
	s_cbranch_vccz .LBB93_697
; %bb.695:
	s_cmp_eq_u32 s45, 29
	s_mov_b32 s0, -1
	s_cbranch_scc0 .LBB93_697
; %bb.696:
	s_wait_xcnt 0x0
	v_lshlrev_b32_e32 v4, 16, v1
	s_mov_b32 s46, -1
	s_mov_b32 s0, 0
	s_mov_b32 s48, 0
	s_delay_alu instid0(VALU_DEP_1) | instskip(NEXT) | instid1(VALU_DEP_1)
	v_trunc_f32_e32 v4, v4
	v_mul_f32_e32 v5, 0x2f800000, v4
	s_delay_alu instid0(VALU_DEP_1) | instskip(NEXT) | instid1(VALU_DEP_1)
	v_floor_f32_e32 v5, v5
	v_fmamk_f32 v4, v5, 0xcf800000, v4
	v_cvt_u32_f32_e32 v5, v5
	s_delay_alu instid0(VALU_DEP_2)
	v_cvt_u32_f32_e32 v4, v4
	global_store_b64 v[2:3], v[4:5], off
	s_branch .LBB93_698
.LBB93_697:
	s_mov_b32 s48, 0
.LBB93_698:
	s_delay_alu instid0(SALU_CYCLE_1)
	s_and_b32 vcc_lo, exec_lo, s48
	s_cbranch_vccz .LBB93_714
; %bb.699:
	s_cmp_lt_i32 s45, 27
	s_mov_b32 s46, -1
	s_cbranch_scc1 .LBB93_705
; %bb.700:
	s_cmp_gt_i32 s45, 27
	s_cbranch_scc0 .LBB93_702
; %bb.701:
	s_wait_xcnt 0x0
	v_lshlrev_b32_e32 v4, 16, v1
	s_mov_b32 s46, 0
	s_delay_alu instid0(VALU_DEP_1)
	v_cvt_u32_f32_e32 v4, v4
	global_store_b32 v[2:3], v4, off
.LBB93_702:
	s_and_not1_b32 vcc_lo, exec_lo, s46
	s_cbranch_vccnz .LBB93_704
; %bb.703:
	s_wait_xcnt 0x0
	v_lshlrev_b32_e32 v4, 16, v1
	s_delay_alu instid0(VALU_DEP_1)
	v_cvt_u32_f32_e32 v4, v4
	global_store_b16 v[2:3], v4, off
.LBB93_704:
	s_mov_b32 s46, 0
.LBB93_705:
	s_delay_alu instid0(SALU_CYCLE_1)
	s_and_not1_b32 vcc_lo, exec_lo, s46
	s_cbranch_vccnz .LBB93_713
; %bb.706:
	v_dual_mov_b32 v7, 0x80 :: v_dual_lshlrev_b32 v6, 16, v1
	s_mov_b32 s46, exec_lo
	s_wait_xcnt 0x0
	s_delay_alu instid0(VALU_DEP_1) | instskip(NEXT) | instid1(VALU_DEP_1)
	v_and_b32_e32 v5, 0x7fffffff, v6
	v_cmpx_gt_u32_e32 0x43800000, v5
	s_cbranch_execz .LBB93_712
; %bb.707:
	v_and_b32_e32 v4, 0xffff, v1
	v_cmp_lt_u32_e32 vcc_lo, 0x3bffffff, v5
	s_mov_b32 s48, 0
                                        ; implicit-def: $vgpr5
	s_and_saveexec_b32 s49, vcc_lo
	s_delay_alu instid0(SALU_CYCLE_1)
	s_xor_b32 s49, exec_lo, s49
	s_cbranch_execz .LBB93_827
; %bb.708:
	v_bfe_u32 v5, v4, 4, 1
	s_mov_b32 s48, exec_lo
	s_delay_alu instid0(VALU_DEP_1) | instskip(NEXT) | instid1(VALU_DEP_1)
	v_add3_u32 v5, v6, v5, 0x487ffff
                                        ; implicit-def: $vgpr6
	v_lshrrev_b32_e32 v5, 20, v5
	s_and_not1_saveexec_b32 s49, s49
	s_cbranch_execnz .LBB93_828
.LBB93_709:
	s_or_b32 exec_lo, exec_lo, s49
	v_mov_b32_e32 v7, 0
	s_and_saveexec_b32 s49, s48
.LBB93_710:
	v_lshrrev_b32_e32 v4, 8, v4
	s_delay_alu instid0(VALU_DEP_1)
	v_and_or_b32 v7, 0x80, v4, v5
.LBB93_711:
	s_or_b32 exec_lo, exec_lo, s49
.LBB93_712:
	s_delay_alu instid0(SALU_CYCLE_1)
	s_or_b32 exec_lo, exec_lo, s46
	global_store_b8 v[2:3], v7, off
.LBB93_713:
	s_mov_b32 s46, -1
.LBB93_714:
	s_mov_b32 s48, 0
.LBB93_715:
	s_delay_alu instid0(SALU_CYCLE_1)
	s_and_b32 vcc_lo, exec_lo, s48
	s_cbranch_vccz .LBB93_756
; %bb.716:
	s_cmp_gt_i32 s45, 22
	s_mov_b32 s48, -1
	s_cbranch_scc0 .LBB93_748
; %bb.717:
	s_cmp_lt_i32 s45, 24
	s_mov_b32 s46, -1
	s_cbranch_scc1 .LBB93_737
; %bb.718:
	s_cmp_gt_i32 s45, 24
	s_cbranch_scc0 .LBB93_726
; %bb.719:
	s_wait_xcnt 0x0
	v_dual_mov_b32 v7, 0x80 :: v_dual_lshlrev_b32 v6, 16, v1
	s_mov_b32 s46, exec_lo
	s_delay_alu instid0(VALU_DEP_1) | instskip(NEXT) | instid1(VALU_DEP_1)
	v_and_b32_e32 v5, 0x7fffffff, v6
	v_cmpx_gt_u32_e32 0x47800000, v5
	s_cbranch_execz .LBB93_725
; %bb.720:
	v_and_b32_e32 v4, 0xffff, v1
	v_cmp_lt_u32_e32 vcc_lo, 0x37ffffff, v5
	s_mov_b32 s48, 0
                                        ; implicit-def: $vgpr5
	s_and_saveexec_b32 s49, vcc_lo
	s_delay_alu instid0(SALU_CYCLE_1)
	s_xor_b32 s49, exec_lo, s49
	s_cbranch_execz .LBB93_959
; %bb.721:
	v_bfe_u32 v5, v4, 5, 1
	s_mov_b32 s48, exec_lo
	s_delay_alu instid0(VALU_DEP_1) | instskip(NEXT) | instid1(VALU_DEP_1)
	v_add3_u32 v5, v6, v5, 0x88fffff
                                        ; implicit-def: $vgpr6
	v_lshrrev_b32_e32 v5, 21, v5
	s_and_not1_saveexec_b32 s49, s49
	s_cbranch_execnz .LBB93_960
.LBB93_722:
	s_or_b32 exec_lo, exec_lo, s49
	v_mov_b32_e32 v7, 0
	s_and_saveexec_b32 s49, s48
.LBB93_723:
	v_lshrrev_b32_e32 v4, 8, v4
	s_delay_alu instid0(VALU_DEP_1)
	v_and_or_b32 v7, 0x80, v4, v5
.LBB93_724:
	s_or_b32 exec_lo, exec_lo, s49
.LBB93_725:
	s_delay_alu instid0(SALU_CYCLE_1)
	s_or_b32 exec_lo, exec_lo, s46
	s_mov_b32 s46, 0
	global_store_b8 v[2:3], v7, off
.LBB93_726:
	s_and_b32 vcc_lo, exec_lo, s46
	s_cbranch_vccz .LBB93_736
; %bb.727:
	v_lshlrev_b32_e32 v6, 16, v1
	s_wait_xcnt 0x0
	v_and_b32_e32 v4, 0xffff, v1
	s_mov_b32 s46, exec_lo
                                        ; implicit-def: $vgpr5
	s_delay_alu instid0(VALU_DEP_2) | instskip(NEXT) | instid1(VALU_DEP_1)
	v_and_b32_e32 v7, 0x7fffffff, v6
	v_cmpx_gt_u32_e32 0x43f00000, v7
	s_xor_b32 s46, exec_lo, s46
	s_cbranch_execz .LBB93_733
; %bb.728:
	s_mov_b32 s48, exec_lo
                                        ; implicit-def: $vgpr5
	v_cmpx_lt_u32_e32 0x3c7fffff, v7
	s_xor_b32 s48, exec_lo, s48
; %bb.729:
	v_bfe_u32 v5, v4, 4, 1
	s_delay_alu instid0(VALU_DEP_1) | instskip(NEXT) | instid1(VALU_DEP_1)
	v_add3_u32 v5, v6, v5, 0x407ffff
	v_and_b32_e32 v6, 0xff00000, v5
	v_lshrrev_b32_e32 v5, 20, v5
	s_delay_alu instid0(VALU_DEP_2) | instskip(NEXT) | instid1(VALU_DEP_2)
	v_cmp_ne_u32_e32 vcc_lo, 0x7f00000, v6
                                        ; implicit-def: $vgpr6
	v_cndmask_b32_e32 v5, 0x7e, v5, vcc_lo
; %bb.730:
	s_and_not1_saveexec_b32 s48, s48
; %bb.731:
	v_add_f32_e64 v5, 0x46800000, |v6|
; %bb.732:
	s_or_b32 exec_lo, exec_lo, s48
                                        ; implicit-def: $vgpr7
.LBB93_733:
	s_and_not1_saveexec_b32 s46, s46
; %bb.734:
	v_mov_b32_e32 v5, 0x7f
	v_cmp_lt_u32_e32 vcc_lo, 0x7f800000, v7
	s_delay_alu instid0(VALU_DEP_2)
	v_cndmask_b32_e32 v5, 0x7e, v5, vcc_lo
; %bb.735:
	s_or_b32 exec_lo, exec_lo, s46
	v_lshrrev_b32_e32 v4, 8, v4
	s_delay_alu instid0(VALU_DEP_1)
	v_and_or_b32 v4, 0x80, v4, v5
	global_store_b8 v[2:3], v4, off
.LBB93_736:
	s_mov_b32 s46, 0
.LBB93_737:
	s_delay_alu instid0(SALU_CYCLE_1)
	s_and_not1_b32 vcc_lo, exec_lo, s46
	s_cbranch_vccnz .LBB93_747
; %bb.738:
	v_lshlrev_b32_e32 v6, 16, v1
	s_wait_xcnt 0x0
	v_and_b32_e32 v4, 0xffff, v1
	s_mov_b32 s46, exec_lo
                                        ; implicit-def: $vgpr5
	s_delay_alu instid0(VALU_DEP_2) | instskip(NEXT) | instid1(VALU_DEP_1)
	v_and_b32_e32 v7, 0x7fffffff, v6
	v_cmpx_gt_u32_e32 0x47800000, v7
	s_xor_b32 s46, exec_lo, s46
	s_cbranch_execz .LBB93_744
; %bb.739:
	s_mov_b32 s48, exec_lo
                                        ; implicit-def: $vgpr5
	v_cmpx_lt_u32_e32 0x387fffff, v7
	s_xor_b32 s48, exec_lo, s48
; %bb.740:
	v_bfe_u32 v5, v4, 5, 1
	s_delay_alu instid0(VALU_DEP_1) | instskip(NEXT) | instid1(VALU_DEP_1)
	v_add3_u32 v5, v6, v5, 0x80fffff
                                        ; implicit-def: $vgpr6
	v_lshrrev_b32_e32 v5, 21, v5
; %bb.741:
	s_and_not1_saveexec_b32 s48, s48
; %bb.742:
	v_add_f32_e64 v5, 0x43000000, |v6|
; %bb.743:
	s_or_b32 exec_lo, exec_lo, s48
                                        ; implicit-def: $vgpr7
.LBB93_744:
	s_and_not1_saveexec_b32 s46, s46
; %bb.745:
	v_mov_b32_e32 v5, 0x7f
	v_cmp_lt_u32_e32 vcc_lo, 0x7f800000, v7
	s_delay_alu instid0(VALU_DEP_2)
	v_cndmask_b32_e32 v5, 0x7c, v5, vcc_lo
; %bb.746:
	s_or_b32 exec_lo, exec_lo, s46
	v_lshrrev_b32_e32 v4, 8, v4
	s_delay_alu instid0(VALU_DEP_1)
	v_and_or_b32 v4, 0x80, v4, v5
	global_store_b8 v[2:3], v4, off
.LBB93_747:
	s_mov_b32 s48, 0
	s_mov_b32 s46, -1
.LBB93_748:
	s_and_not1_b32 vcc_lo, exec_lo, s48
	s_cbranch_vccnz .LBB93_756
; %bb.749:
	s_cmp_gt_i32 s45, 14
	s_mov_b32 s48, -1
	s_cbranch_scc0 .LBB93_753
; %bb.750:
	s_cmp_eq_u32 s45, 15
	s_mov_b32 s0, -1
	s_cbranch_scc0 .LBB93_752
; %bb.751:
	s_mov_b32 s46, -1
	s_mov_b32 s0, 0
	global_store_b16 v[2:3], v1, off
.LBB93_752:
	s_mov_b32 s48, 0
.LBB93_753:
	s_delay_alu instid0(SALU_CYCLE_1)
	s_and_b32 vcc_lo, exec_lo, s48
	s_cbranch_vccz .LBB93_756
; %bb.754:
	s_cmp_eq_u32 s45, 11
	s_mov_b32 s0, -1
	s_cbranch_scc0 .LBB93_756
; %bb.755:
	s_wait_xcnt 0x0
	v_and_b32_e32 v4, 0x7fff, v1
	s_mov_b32 s0, 0
	s_mov_b32 s46, -1
	s_delay_alu instid0(VALU_DEP_1)
	v_cmp_ne_u16_e32 vcc_lo, 0, v4
	v_cndmask_b32_e64 v4, 0, 1, vcc_lo
	global_store_b8 v[2:3], v4, off
.LBB93_756:
	s_mov_b32 s45, 0
.LBB93_757:
	s_delay_alu instid0(SALU_CYCLE_1)
	s_and_b32 vcc_lo, exec_lo, s45
	s_cbranch_vccz .LBB93_796
; %bb.758:
	s_and_b32 s44, 0xffff, s44
	s_mov_b32 s45, -1
	s_cmp_lt_i32 s44, 5
	s_cbranch_scc1 .LBB93_779
; %bb.759:
	s_cmp_lt_i32 s44, 8
	s_cbranch_scc1 .LBB93_769
; %bb.760:
	;; [unrolled: 3-line block ×3, first 2 shown]
	s_cmp_gt_i32 s44, 9
	s_cbranch_scc0 .LBB93_763
; %bb.762:
	s_wait_xcnt 0x0
	v_dual_lshlrev_b32 v4, 16, v1 :: v_dual_mov_b32 v6, 0
	s_mov_b32 s45, 0
	s_delay_alu instid0(VALU_DEP_1) | instskip(NEXT) | instid1(VALU_DEP_2)
	v_cvt_f64_f32_e32 v[4:5], v4
	v_mov_b32_e32 v7, v6
	global_store_b128 v[2:3], v[4:7], off
.LBB93_763:
	s_and_not1_b32 vcc_lo, exec_lo, s45
	s_cbranch_vccnz .LBB93_765
; %bb.764:
	s_wait_xcnt 0x0
	v_dual_mov_b32 v5, 0 :: v_dual_lshlrev_b32 v4, 16, v1
	global_store_b64 v[2:3], v[4:5], off
.LBB93_765:
	s_mov_b32 s45, 0
.LBB93_766:
	s_delay_alu instid0(SALU_CYCLE_1)
	s_and_not1_b32 vcc_lo, exec_lo, s45
	s_cbranch_vccnz .LBB93_768
; %bb.767:
	s_wait_xcnt 0x0
	v_lshlrev_b32_e32 v4, 16, v1
	s_delay_alu instid0(VALU_DEP_1) | instskip(NEXT) | instid1(VALU_DEP_1)
	v_cvt_f16_f32_e32 v4, v4
	v_and_b32_e32 v4, 0xffff, v4
	global_store_b32 v[2:3], v4, off
.LBB93_768:
	s_mov_b32 s45, 0
.LBB93_769:
	s_delay_alu instid0(SALU_CYCLE_1)
	s_and_not1_b32 vcc_lo, exec_lo, s45
	s_cbranch_vccnz .LBB93_778
; %bb.770:
	s_cmp_lt_i32 s44, 6
	s_mov_b32 s45, -1
	s_cbranch_scc1 .LBB93_776
; %bb.771:
	s_cmp_gt_i32 s44, 6
	s_cbranch_scc0 .LBB93_773
; %bb.772:
	s_wait_xcnt 0x0
	v_lshlrev_b32_e32 v4, 16, v1
	s_mov_b32 s45, 0
	s_delay_alu instid0(VALU_DEP_1)
	v_cvt_f64_f32_e32 v[4:5], v4
	global_store_b64 v[2:3], v[4:5], off
.LBB93_773:
	s_and_not1_b32 vcc_lo, exec_lo, s45
	s_cbranch_vccnz .LBB93_775
; %bb.774:
	s_wait_xcnt 0x0
	v_lshlrev_b32_e32 v4, 16, v1
	global_store_b32 v[2:3], v4, off
.LBB93_775:
	s_mov_b32 s45, 0
.LBB93_776:
	s_delay_alu instid0(SALU_CYCLE_1)
	s_and_not1_b32 vcc_lo, exec_lo, s45
	s_cbranch_vccnz .LBB93_778
; %bb.777:
	s_wait_xcnt 0x0
	v_lshlrev_b32_e32 v4, 16, v1
	s_delay_alu instid0(VALU_DEP_1)
	v_cvt_f16_f32_e32 v4, v4
	global_store_b16 v[2:3], v4, off
.LBB93_778:
	s_mov_b32 s45, 0
.LBB93_779:
	s_delay_alu instid0(SALU_CYCLE_1)
	s_and_not1_b32 vcc_lo, exec_lo, s45
	s_cbranch_vccnz .LBB93_795
; %bb.780:
	s_cmp_lt_i32 s44, 2
	s_mov_b32 s45, -1
	s_cbranch_scc1 .LBB93_790
; %bb.781:
	s_cmp_lt_i32 s44, 3
	s_cbranch_scc1 .LBB93_787
; %bb.782:
	s_cmp_gt_i32 s44, 3
	s_cbranch_scc0 .LBB93_784
; %bb.783:
	s_wait_xcnt 0x0
	v_lshlrev_b32_e32 v4, 16, v1
	s_mov_b32 s45, 0
	s_delay_alu instid0(VALU_DEP_1) | instskip(NEXT) | instid1(VALU_DEP_1)
	v_trunc_f32_e32 v4, v4
	v_mul_f32_e64 v5, 0x2f800000, |v4|
	s_delay_alu instid0(VALU_DEP_1) | instskip(NEXT) | instid1(VALU_DEP_1)
	v_floor_f32_e32 v5, v5
	v_fma_f32 v6, 0xcf800000, v5, |v4|
	v_ashrrev_i32_e32 v4, 31, v4
	v_cvt_u32_f32_e32 v7, v5
	s_delay_alu instid0(VALU_DEP_3) | instskip(NEXT) | instid1(VALU_DEP_2)
	v_cvt_u32_f32_e32 v6, v6
	v_dual_mov_b32 v5, v4 :: v_dual_bitop2_b32 v7, v7, v4 bitop3:0x14
	s_delay_alu instid0(VALU_DEP_2) | instskip(NEXT) | instid1(VALU_DEP_1)
	v_xor_b32_e32 v6, v6, v4
	v_sub_nc_u64_e32 v[4:5], v[6:7], v[4:5]
	global_store_b64 v[2:3], v[4:5], off
.LBB93_784:
	s_and_not1_b32 vcc_lo, exec_lo, s45
	s_cbranch_vccnz .LBB93_786
; %bb.785:
	s_wait_xcnt 0x0
	v_lshlrev_b32_e32 v4, 16, v1
	s_delay_alu instid0(VALU_DEP_1)
	v_cvt_i32_f32_e32 v4, v4
	global_store_b32 v[2:3], v4, off
.LBB93_786:
	s_mov_b32 s45, 0
.LBB93_787:
	s_delay_alu instid0(SALU_CYCLE_1)
	s_and_not1_b32 vcc_lo, exec_lo, s45
	s_cbranch_vccnz .LBB93_789
; %bb.788:
	s_wait_xcnt 0x0
	v_lshlrev_b32_e32 v4, 16, v1
	s_delay_alu instid0(VALU_DEP_1)
	v_cvt_i32_f32_e32 v4, v4
	global_store_b16 v[2:3], v4, off
.LBB93_789:
	s_mov_b32 s45, 0
.LBB93_790:
	s_delay_alu instid0(SALU_CYCLE_1)
	s_and_not1_b32 vcc_lo, exec_lo, s45
	s_cbranch_vccnz .LBB93_795
; %bb.791:
	s_wait_xcnt 0x0
	v_lshlrev_b32_e32 v1, 16, v1
	s_cmp_gt_i32 s44, 0
	s_mov_b32 s44, -1
	s_cbranch_scc0 .LBB93_793
; %bb.792:
	s_delay_alu instid0(VALU_DEP_1)
	v_cvt_i32_f32_e32 v4, v1
	s_mov_b32 s44, 0
	global_store_b8 v[2:3], v4, off
.LBB93_793:
	s_and_not1_b32 vcc_lo, exec_lo, s44
	s_cbranch_vccnz .LBB93_795
; %bb.794:
	v_trunc_f32_e32 v1, v1
	s_wait_xcnt 0x0
	s_delay_alu instid0(VALU_DEP_1) | instskip(NEXT) | instid1(VALU_DEP_1)
	v_mul_f32_e64 v4, 0x2f800000, |v1|
	v_floor_f32_e32 v4, v4
	s_delay_alu instid0(VALU_DEP_1) | instskip(SKIP_1) | instid1(VALU_DEP_2)
	v_fma_f32 v4, 0xcf800000, v4, |v1|
	v_ashrrev_i32_e32 v1, 31, v1
	v_cvt_u32_f32_e32 v4, v4
	s_delay_alu instid0(VALU_DEP_1) | instskip(NEXT) | instid1(VALU_DEP_1)
	v_xor_b32_e32 v4, v4, v1
	v_sub_nc_u32_e32 v1, v4, v1
	global_store_b8 v[2:3], v1, off
.LBB93_795:
	s_mov_b32 s46, -1
.LBB93_796:
	s_delay_alu instid0(SALU_CYCLE_1)
	s_and_not1_b32 vcc_lo, exec_lo, s46
	s_cbranch_vccnz .LBB93_798
; %bb.797:
	v_add_nc_u32_e32 v0, 0x80, v0
	s_mov_b32 s48, -1
	s_branch .LBB93_800
.LBB93_798:
	s_mov_b32 s48, 0
.LBB93_799:
                                        ; implicit-def: $vgpr0
.LBB93_800:
	s_and_not1_b32 s44, s40, exec_lo
	s_and_b32 s0, s0, exec_lo
	s_and_b32 s27, s27, exec_lo
	s_or_b32 s45, s44, s0
	s_and_not1_b32 s0, s41, exec_lo
	s_and_not1_b32 s44, s42, exec_lo
	s_and_b32 s26, s26, exec_lo
	s_or_b32 s46, s0, s27
	s_or_b32 s44, s44, s26
	s_or_not1_b32 s49, s48, exec_lo
.LBB93_801:
	s_wait_xcnt 0x0
	s_or_b32 exec_lo, exec_lo, s47
	s_mov_b32 s27, 0
	s_mov_b32 s48, 0
	;; [unrolled: 1-line block ×3, first 2 shown]
                                        ; implicit-def: $sgpr0
                                        ; implicit-def: $vgpr6_vgpr7
                                        ; implicit-def: $vgpr4
                                        ; implicit-def: $vgpr2
                                        ; implicit-def: $vgpr3
	s_and_saveexec_b32 s47, s49
	s_cbranch_execz .LBB93_1302
; %bb.802:
	s_mov_b32 s53, -1
	s_mov_b32 s49, s44
	s_mov_b32 s51, s46
	;; [unrolled: 1-line block ×3, first 2 shown]
	s_mov_b32 s48, exec_lo
	v_cmpx_gt_i32_e64 s38, v0
	s_cbranch_execz .LBB93_1206
; %bb.803:
	s_and_not1_b32 vcc_lo, exec_lo, s31
	s_cbranch_vccnz .LBB93_809
; %bb.804:
	s_and_not1_b32 vcc_lo, exec_lo, s39
	s_cbranch_vccnz .LBB93_810
; %bb.805:
	s_wait_loadcnt 0x0
	v_dual_mov_b32 v2, 0 :: v_dual_mov_b32 v1, v0
	v_dual_mov_b32 v6, 0 :: v_dual_mov_b32 v4, 0
	s_add_co_i32 s0, s37, 1
	s_mov_b64 s[26:27], 0xffffffffffffffe8
	s_and_b32 s0, s0, 30
	s_add_nc_u64 s[26:27], s[2:3], s[26:27]
.LBB93_806:                             ; =>This Inner Loop Header: Depth=1
	s_clause 0x1
	s_load_b128 s[52:55], s[26:27], 0x1c
	s_load_b64 s[50:51], s[26:27], 0x2c
	s_add_co_i32 s0, s0, -2
	s_delay_alu instid0(SALU_CYCLE_1) | instskip(SKIP_2) | instid1(VALU_DEP_1)
	s_cmp_eq_u32 s0, 0
	s_wait_kmcnt 0x0
	v_mul_hi_u32 v3, s53, v1
	v_add_nc_u32_e32 v3, v1, v3
	s_delay_alu instid0(VALU_DEP_1) | instskip(NEXT) | instid1(VALU_DEP_1)
	v_lshrrev_b32_e32 v3, s54, v3
	v_mul_hi_u32 v5, s50, v3
	v_mul_lo_u32 v7, v3, s52
	s_clause 0x1
	s_load_b128 s[56:59], s[26:27], 0xdc
	s_load_b64 s[52:53], s[26:27], 0xec
	s_wait_xcnt 0x0
	s_add_nc_u64 s[26:27], s[26:27], 24
	s_delay_alu instid0(VALU_DEP_1) | instskip(NEXT) | instid1(VALU_DEP_1)
	v_dual_add_nc_u32 v5, v3, v5 :: v_dual_sub_nc_u32 v7, v1, v7
	v_lshrrev_b32_e32 v1, s51, v5
	s_wait_kmcnt 0x0
	s_delay_alu instid0(VALU_DEP_2) | instskip(NEXT) | instid1(VALU_DEP_2)
	v_mad_u32 v2, v7, s56, v2
	v_mul_lo_u32 v5, v1, s55
	v_mad_u32 v4, v7, s58, v4
	v_mad_u32 v6, v7, s57, v6
	s_delay_alu instid0(VALU_DEP_3) | instskip(NEXT) | instid1(VALU_DEP_1)
	v_sub_nc_u32_e32 v3, v3, v5
	v_mad_u32 v2, v3, s59, v2
	s_delay_alu instid0(VALU_DEP_4) | instskip(NEXT) | instid1(VALU_DEP_4)
	v_mad_u32 v4, v3, s53, v4
	v_mad_u32 v6, v3, s52, v6
	s_cbranch_scc0 .LBB93_806
; %bb.807:
	s_bitcmp1_b32 s37, 0
	s_cselect_b32 s0, -1, 0
	s_delay_alu instid0(SALU_CYCLE_1)
	s_and_b32 vcc_lo, exec_lo, s0
	s_cbranch_vccnz .LBB93_811
; %bb.808:
	s_clause 0x1
	s_load_b96 s[52:54], s[26:27], 0x1c
	s_load_b96 s[56:58], s[26:27], 0xdc
	s_wait_kmcnt 0x0
	v_mul_hi_u32 v3, s53, v1
	s_delay_alu instid0(VALU_DEP_1) | instskip(NEXT) | instid1(VALU_DEP_1)
	v_add_nc_u32_e32 v3, v1, v3
	v_lshrrev_b32_e32 v3, s54, v3
	s_delay_alu instid0(VALU_DEP_1) | instskip(NEXT) | instid1(VALU_DEP_1)
	v_mul_lo_u32 v3, v3, s52
	v_sub_nc_u32_e32 v1, v1, v3
	s_delay_alu instid0(VALU_DEP_1)
	v_mad_u32 v2, v1, s56, v2
	v_mad_u32 v6, v1, s57, v6
	v_mad_u32 v4, v1, s58, v4
	s_branch .LBB93_811
.LBB93_809:
	s_mov_b32 s0, -1
                                        ; implicit-def: $vgpr4
                                        ; implicit-def: $vgpr6
                                        ; implicit-def: $vgpr2
	s_branch .LBB93_812
.LBB93_810:
	v_dual_mov_b32 v4, 0 :: v_dual_mov_b32 v6, 0
	v_mov_b32_e32 v2, 0
.LBB93_811:
	s_mov_b32 s0, 0
.LBB93_812:
	s_delay_alu instid0(SALU_CYCLE_1)
	s_and_not1_b32 vcc_lo, exec_lo, s0
	s_cbranch_vccnz .LBB93_815
; %bb.813:
	s_wait_loadcnt 0x0
	v_mov_b32_e32 v1, 0
	s_and_not1_b32 vcc_lo, exec_lo, s36
	s_delay_alu instid0(VALU_DEP_1) | instskip(NEXT) | instid1(VALU_DEP_1)
	v_mul_u64_e32 v[2:3], s[20:21], v[0:1]
	v_add_nc_u32_e32 v2, v0, v3
	s_delay_alu instid0(VALU_DEP_1) | instskip(NEXT) | instid1(VALU_DEP_1)
	v_lshrrev_b32_e32 v8, s14, v2
	v_mul_lo_u32 v2, v8, s12
	s_delay_alu instid0(VALU_DEP_1) | instskip(NEXT) | instid1(VALU_DEP_1)
	v_sub_nc_u32_e32 v3, v0, v2
	v_mul_lo_u32 v2, v3, s16
	v_mul_lo_u32 v4, v3, s18
	;; [unrolled: 1-line block ×3, first 2 shown]
	s_cbranch_vccnz .LBB93_815
; %bb.814:
	v_mov_b32_e32 v9, v1
	s_delay_alu instid0(VALU_DEP_1) | instskip(NEXT) | instid1(VALU_DEP_1)
	v_mul_u64_e32 v[10:11], s[24:25], v[8:9]
	v_add_nc_u32_e32 v1, v8, v11
	s_delay_alu instid0(VALU_DEP_1) | instskip(NEXT) | instid1(VALU_DEP_1)
	v_lshrrev_b32_e32 v1, s1, v1
	v_mul_lo_u32 v1, v1, s15
	s_delay_alu instid0(VALU_DEP_1) | instskip(NEXT) | instid1(VALU_DEP_1)
	v_sub_nc_u32_e32 v1, v8, v1
	v_mad_u32 v2, v1, s19, v2
	v_mad_u32 v6, v1, s22, v6
	;; [unrolled: 1-line block ×3, first 2 shown]
.LBB93_815:
	v_mov_b32_e32 v7, 0
	s_and_b32 s0, s35, 0xff
	s_delay_alu instid0(SALU_CYCLE_1) | instskip(NEXT) | instid1(VALU_DEP_1)
	s_cmp_lt_i32 s0, 11
	v_add_nc_u64_e32 v[6:7], s[6:7], v[6:7]
	s_cbranch_scc1 .LBB93_822
; %bb.816:
	s_and_b32 s27, 0xffff, s0
	s_delay_alu instid0(SALU_CYCLE_1)
	s_cmp_gt_i32 s27, 25
	s_cbranch_scc0 .LBB93_823
; %bb.817:
	s_cmp_gt_i32 s27, 28
	s_cbranch_scc0 .LBB93_824
; %bb.818:
	;; [unrolled: 3-line block ×4, first 2 shown]
	s_cmp_eq_u32 s27, 46
	s_mov_b32 s50, 0
	s_cbranch_scc0 .LBB93_829
; %bb.821:
	s_wait_loadcnt 0x0
	global_load_b32 v1, v[6:7], off
	s_mov_b32 s49, -1
	s_mov_b32 s26, 0
	s_branch .LBB93_831
.LBB93_822:
	s_mov_b32 s27, -1
	s_mov_b32 s49, 0
	s_mov_b32 s26, s44
                                        ; implicit-def: $vgpr1
	s_branch .LBB93_896
.LBB93_823:
	s_mov_b32 s50, -1
	s_mov_b32 s49, 0
	s_mov_b32 s26, s44
                                        ; implicit-def: $vgpr1
	s_branch .LBB93_860
.LBB93_824:
	s_mov_b32 s50, -1
	s_mov_b32 s49, 0
	s_mov_b32 s26, s44
                                        ; implicit-def: $vgpr1
	s_branch .LBB93_841
.LBB93_825:
	s_mov_b32 s50, -1
	s_mov_b32 s49, 0
	s_mov_b32 s26, s44
                                        ; implicit-def: $vgpr1
	s_branch .LBB93_836
.LBB93_826:
	s_mov_b32 s50, -1
	s_mov_b32 s49, 0
	s_mov_b32 s26, s44
	s_branch .LBB93_830
.LBB93_827:
	s_and_not1_saveexec_b32 s49, s49
	s_cbranch_execz .LBB93_709
.LBB93_828:
	v_add_f32_e64 v5, 0x46000000, |v6|
	s_and_not1_b32 s48, s48, exec_lo
	s_delay_alu instid0(VALU_DEP_1) | instskip(NEXT) | instid1(VALU_DEP_1)
	v_and_b32_e32 v5, 0xff, v5
	v_cmp_ne_u32_e32 vcc_lo, 0, v5
	s_and_b32 s50, vcc_lo, exec_lo
	s_delay_alu instid0(SALU_CYCLE_1)
	s_or_b32 s48, s48, s50
	s_or_b32 exec_lo, exec_lo, s49
	v_mov_b32_e32 v7, 0
	s_and_saveexec_b32 s49, s48
	s_cbranch_execnz .LBB93_710
	s_branch .LBB93_711
.LBB93_829:
	s_mov_b32 s26, -1
	s_mov_b32 s49, 0
.LBB93_830:
                                        ; implicit-def: $vgpr1
.LBB93_831:
	s_and_b32 vcc_lo, exec_lo, s50
	s_cbranch_vccz .LBB93_835
; %bb.832:
	s_cmp_eq_u32 s27, 44
	s_cbranch_scc0 .LBB93_834
; %bb.833:
	s_wait_loadcnt 0x0
	global_load_u8 v1, v[6:7], off
	s_mov_b32 s26, 0
	s_mov_b32 s49, -1
	s_wait_loadcnt 0x0
	v_lshlrev_b32_e32 v3, 23, v1
	v_cmp_ne_u32_e32 vcc_lo, 0xff, v1
	s_delay_alu instid0(VALU_DEP_2) | instskip(SKIP_1) | instid1(VALU_DEP_2)
	v_cndmask_b32_e32 v3, 0x7f800001, v3, vcc_lo
	v_cmp_ne_u32_e32 vcc_lo, 0, v1
	v_cndmask_b32_e32 v1, 0x400000, v3, vcc_lo
	s_delay_alu instid0(VALU_DEP_1) | instskip(SKIP_1) | instid1(VALU_DEP_2)
	v_add_nc_u32_e32 v3, 0x7fff, v1
	v_cmp_o_f32_e32 vcc_lo, v1, v1
	v_lshrrev_b32_e32 v3, 16, v3
	s_delay_alu instid0(VALU_DEP_1)
	v_cndmask_b32_e32 v1, 0x7fc0, v3, vcc_lo
	s_branch .LBB93_835
.LBB93_834:
	s_mov_b32 s26, -1
                                        ; implicit-def: $vgpr1
.LBB93_835:
	s_mov_b32 s50, 0
.LBB93_836:
	s_delay_alu instid0(SALU_CYCLE_1)
	s_and_b32 vcc_lo, exec_lo, s50
	s_cbranch_vccz .LBB93_840
; %bb.837:
	s_cmp_eq_u32 s27, 29
	s_cbranch_scc0 .LBB93_839
; %bb.838:
	global_load_b64 v[8:9], v[6:7], off
	s_mov_b32 s49, -1
	s_mov_b32 s26, 0
	s_mov_b32 s50, 0
	s_wait_loadcnt 0x0
	v_clz_i32_u32_e32 v1, v9
	s_delay_alu instid0(VALU_DEP_1) | instskip(NEXT) | instid1(VALU_DEP_1)
	v_min_u32_e32 v1, 32, v1
	v_lshlrev_b64_e32 v[8:9], v1, v[8:9]
	v_sub_nc_u32_e32 v1, 32, v1
	s_delay_alu instid0(VALU_DEP_2) | instskip(NEXT) | instid1(VALU_DEP_1)
	v_min_u32_e32 v3, 1, v8
	v_or_b32_e32 v3, v9, v3
	s_delay_alu instid0(VALU_DEP_1) | instskip(NEXT) | instid1(VALU_DEP_1)
	v_cvt_f32_u32_e32 v3, v3
	v_ldexp_f32 v1, v3, v1
	s_delay_alu instid0(VALU_DEP_1) | instskip(NEXT) | instid1(VALU_DEP_1)
	v_bfe_u32 v3, v1, 16, 1
	v_add3_u32 v1, v1, v3, 0x7fff
	s_delay_alu instid0(VALU_DEP_1)
	v_lshrrev_b32_e32 v1, 16, v1
	s_branch .LBB93_841
.LBB93_839:
	s_mov_b32 s26, -1
                                        ; implicit-def: $vgpr1
.LBB93_840:
	s_mov_b32 s50, 0
.LBB93_841:
	s_delay_alu instid0(SALU_CYCLE_1)
	s_and_b32 vcc_lo, exec_lo, s50
	s_cbranch_vccz .LBB93_859
; %bb.842:
	s_cmp_lt_i32 s27, 27
	s_cbranch_scc1 .LBB93_845
; %bb.843:
	s_cmp_gt_i32 s27, 27
	s_cbranch_scc0 .LBB93_846
; %bb.844:
	s_wait_loadcnt 0x0
	global_load_b32 v1, v[6:7], off
	s_mov_b32 s49, 0
	s_wait_loadcnt 0x0
	v_cvt_f32_u32_e32 v1, v1
	s_delay_alu instid0(VALU_DEP_1) | instskip(NEXT) | instid1(VALU_DEP_1)
	v_bfe_u32 v3, v1, 16, 1
	v_add3_u32 v1, v1, v3, 0x7fff
	s_delay_alu instid0(VALU_DEP_1)
	v_lshrrev_b32_e32 v1, 16, v1
	s_branch .LBB93_847
.LBB93_845:
	s_mov_b32 s49, -1
                                        ; implicit-def: $vgpr1
	s_branch .LBB93_850
.LBB93_846:
	s_mov_b32 s49, -1
                                        ; implicit-def: $vgpr1
.LBB93_847:
	s_delay_alu instid0(SALU_CYCLE_1)
	s_and_not1_b32 vcc_lo, exec_lo, s49
	s_cbranch_vccnz .LBB93_849
; %bb.848:
	s_wait_loadcnt 0x0
	global_load_u16 v1, v[6:7], off
	s_wait_loadcnt 0x0
	v_cvt_f32_u32_e32 v1, v1
	s_delay_alu instid0(VALU_DEP_1) | instskip(NEXT) | instid1(VALU_DEP_1)
	v_bfe_u32 v3, v1, 16, 1
	v_add3_u32 v1, v1, v3, 0x7fff
	s_delay_alu instid0(VALU_DEP_1)
	v_lshrrev_b32_e32 v1, 16, v1
.LBB93_849:
	s_mov_b32 s49, 0
.LBB93_850:
	s_delay_alu instid0(SALU_CYCLE_1)
	s_and_not1_b32 vcc_lo, exec_lo, s49
	s_cbranch_vccnz .LBB93_858
; %bb.851:
	s_wait_loadcnt 0x0
	global_load_u8 v1, v[6:7], off
	s_mov_b32 s49, 0
	s_mov_b32 s50, exec_lo
	s_wait_loadcnt 0x0
	v_cmpx_lt_i16_e32 0x7f, v1
	s_xor_b32 s50, exec_lo, s50
	s_cbranch_execz .LBB93_872
; %bb.852:
	s_mov_b32 s49, -1
	s_mov_b32 s51, exec_lo
	v_cmpx_eq_u16_e32 0x80, v1
; %bb.853:
	s_xor_b32 s49, exec_lo, -1
; %bb.854:
	s_or_b32 exec_lo, exec_lo, s51
	s_delay_alu instid0(SALU_CYCLE_1)
	s_and_b32 s49, s49, exec_lo
	s_or_saveexec_b32 s50, s50
	v_mov_b32_e32 v3, 0x7f800001
	s_xor_b32 exec_lo, exec_lo, s50
	s_cbranch_execnz .LBB93_873
.LBB93_855:
	s_or_b32 exec_lo, exec_lo, s50
	s_and_saveexec_b32 s50, s49
	s_cbranch_execz .LBB93_857
.LBB93_856:
	v_and_b32_e32 v3, 0xffff, v1
	s_delay_alu instid0(VALU_DEP_1) | instskip(SKIP_1) | instid1(VALU_DEP_2)
	v_and_b32_e32 v5, 7, v3
	v_bfe_u32 v10, v3, 3, 4
	v_clz_i32_u32_e32 v8, v5
	s_delay_alu instid0(VALU_DEP_2) | instskip(NEXT) | instid1(VALU_DEP_2)
	v_cmp_eq_u32_e32 vcc_lo, 0, v10
	v_min_u32_e32 v8, 32, v8
	s_delay_alu instid0(VALU_DEP_1) | instskip(NEXT) | instid1(VALU_DEP_1)
	v_subrev_nc_u32_e32 v9, 28, v8
	v_dual_lshlrev_b32 v3, v9, v3 :: v_dual_sub_nc_u32 v8, 29, v8
	s_delay_alu instid0(VALU_DEP_1) | instskip(NEXT) | instid1(VALU_DEP_1)
	v_dual_lshlrev_b32 v1, 24, v1 :: v_dual_bitop2_b32 v3, 7, v3 bitop3:0x40
	v_dual_cndmask_b32 v8, v10, v8 :: v_dual_cndmask_b32 v3, v5, v3
	s_delay_alu instid0(VALU_DEP_2) | instskip(NEXT) | instid1(VALU_DEP_2)
	v_and_b32_e32 v1, 0x80000000, v1
	v_lshl_add_u32 v5, v8, 23, 0x3b800000
	s_delay_alu instid0(VALU_DEP_3) | instskip(NEXT) | instid1(VALU_DEP_1)
	v_lshlrev_b32_e32 v3, 20, v3
	v_or3_b32 v3, v1, v5, v3
.LBB93_857:
	s_or_b32 exec_lo, exec_lo, s50
	s_delay_alu instid0(VALU_DEP_1) | instskip(SKIP_1) | instid1(VALU_DEP_2)
	v_bfe_u32 v1, v3, 16, 1
	v_cmp_o_f32_e32 vcc_lo, v3, v3
	v_add3_u32 v1, v3, v1, 0x7fff
	s_delay_alu instid0(VALU_DEP_1) | instskip(NEXT) | instid1(VALU_DEP_1)
	v_lshrrev_b32_e32 v1, 16, v1
	v_cndmask_b32_e32 v1, 0x7fc0, v1, vcc_lo
.LBB93_858:
	s_mov_b32 s49, -1
.LBB93_859:
	s_mov_b32 s50, 0
.LBB93_860:
	s_delay_alu instid0(SALU_CYCLE_1)
	s_and_b32 vcc_lo, exec_lo, s50
	s_cbranch_vccz .LBB93_895
; %bb.861:
	s_cmp_gt_i32 s27, 22
	s_cbranch_scc0 .LBB93_871
; %bb.862:
	s_cmp_lt_i32 s27, 24
	s_cbranch_scc1 .LBB93_874
; %bb.863:
	s_cmp_gt_i32 s27, 24
	s_cbranch_scc0 .LBB93_875
; %bb.864:
	s_wait_loadcnt 0x0
	global_load_u8 v1, v[6:7], off
	s_mov_b32 s49, 0
	s_mov_b32 s50, exec_lo
	s_wait_loadcnt 0x0
	v_cmpx_lt_i16_e32 0x7f, v1
	s_xor_b32 s50, exec_lo, s50
	s_cbranch_execz .LBB93_887
; %bb.865:
	s_mov_b32 s49, -1
	s_mov_b32 s51, exec_lo
	v_cmpx_eq_u16_e32 0x80, v1
; %bb.866:
	s_xor_b32 s49, exec_lo, -1
; %bb.867:
	s_or_b32 exec_lo, exec_lo, s51
	s_delay_alu instid0(SALU_CYCLE_1)
	s_and_b32 s49, s49, exec_lo
	s_or_saveexec_b32 s50, s50
	v_mov_b32_e32 v3, 0x7f800001
	s_xor_b32 exec_lo, exec_lo, s50
	s_cbranch_execnz .LBB93_888
.LBB93_868:
	s_or_b32 exec_lo, exec_lo, s50
	s_and_saveexec_b32 s50, s49
	s_cbranch_execz .LBB93_870
.LBB93_869:
	v_and_b32_e32 v3, 0xffff, v1
	s_delay_alu instid0(VALU_DEP_1) | instskip(SKIP_1) | instid1(VALU_DEP_2)
	v_and_b32_e32 v5, 3, v3
	v_bfe_u32 v10, v3, 2, 5
	v_clz_i32_u32_e32 v8, v5
	s_delay_alu instid0(VALU_DEP_2) | instskip(NEXT) | instid1(VALU_DEP_2)
	v_cmp_eq_u32_e32 vcc_lo, 0, v10
	v_min_u32_e32 v8, 32, v8
	s_delay_alu instid0(VALU_DEP_1) | instskip(NEXT) | instid1(VALU_DEP_1)
	v_subrev_nc_u32_e32 v9, 29, v8
	v_dual_lshlrev_b32 v3, v9, v3 :: v_dual_sub_nc_u32 v8, 30, v8
	s_delay_alu instid0(VALU_DEP_1) | instskip(NEXT) | instid1(VALU_DEP_1)
	v_dual_lshlrev_b32 v1, 24, v1 :: v_dual_bitop2_b32 v3, 3, v3 bitop3:0x40
	v_dual_cndmask_b32 v8, v10, v8 :: v_dual_cndmask_b32 v3, v5, v3
	s_delay_alu instid0(VALU_DEP_2) | instskip(NEXT) | instid1(VALU_DEP_2)
	v_and_b32_e32 v1, 0x80000000, v1
	v_lshl_add_u32 v5, v8, 23, 0x37800000
	s_delay_alu instid0(VALU_DEP_3) | instskip(NEXT) | instid1(VALU_DEP_1)
	v_lshlrev_b32_e32 v3, 21, v3
	v_or3_b32 v3, v1, v5, v3
.LBB93_870:
	s_or_b32 exec_lo, exec_lo, s50
	s_delay_alu instid0(VALU_DEP_1) | instskip(SKIP_2) | instid1(VALU_DEP_2)
	v_bfe_u32 v1, v3, 16, 1
	v_cmp_o_f32_e32 vcc_lo, v3, v3
	s_mov_b32 s49, 0
	v_add3_u32 v1, v3, v1, 0x7fff
	s_delay_alu instid0(VALU_DEP_1) | instskip(NEXT) | instid1(VALU_DEP_1)
	v_lshrrev_b32_e32 v1, 16, v1
	v_cndmask_b32_e32 v1, 0x7fc0, v1, vcc_lo
	s_branch .LBB93_876
.LBB93_871:
	s_mov_b32 s50, -1
                                        ; implicit-def: $vgpr1
	s_branch .LBB93_882
.LBB93_872:
	s_or_saveexec_b32 s50, s50
	v_mov_b32_e32 v3, 0x7f800001
	s_xor_b32 exec_lo, exec_lo, s50
	s_cbranch_execz .LBB93_855
.LBB93_873:
	v_cmp_ne_u16_e32 vcc_lo, 0, v1
	v_mov_b32_e32 v3, 0
	s_and_not1_b32 s49, s49, exec_lo
	s_and_b32 s51, vcc_lo, exec_lo
	s_delay_alu instid0(SALU_CYCLE_1)
	s_or_b32 s49, s49, s51
	s_or_b32 exec_lo, exec_lo, s50
	s_and_saveexec_b32 s50, s49
	s_cbranch_execnz .LBB93_856
	s_branch .LBB93_857
.LBB93_874:
	s_mov_b32 s49, -1
                                        ; implicit-def: $vgpr1
	s_branch .LBB93_879
.LBB93_875:
	s_mov_b32 s49, -1
                                        ; implicit-def: $vgpr1
.LBB93_876:
	s_delay_alu instid0(SALU_CYCLE_1)
	s_and_b32 vcc_lo, exec_lo, s49
	s_cbranch_vccz .LBB93_878
; %bb.877:
	s_wait_loadcnt 0x0
	global_load_u8 v1, v[6:7], off
	s_wait_loadcnt 0x0
	v_lshlrev_b32_e32 v1, 24, v1
	s_delay_alu instid0(VALU_DEP_1) | instskip(NEXT) | instid1(VALU_DEP_1)
	v_and_b32_e32 v3, 0x7f000000, v1
	v_clz_i32_u32_e32 v5, v3
	v_add_nc_u32_e32 v9, 0x1000000, v3
	v_cmp_ne_u32_e32 vcc_lo, 0, v3
	s_delay_alu instid0(VALU_DEP_3) | instskip(NEXT) | instid1(VALU_DEP_1)
	v_min_u32_e32 v5, 32, v5
	v_sub_nc_u32_e64 v5, v5, 4 clamp
	s_delay_alu instid0(VALU_DEP_1) | instskip(NEXT) | instid1(VALU_DEP_1)
	v_dual_lshlrev_b32 v8, v5, v3 :: v_dual_lshlrev_b32 v5, 23, v5
	v_lshrrev_b32_e32 v8, 4, v8
	s_delay_alu instid0(VALU_DEP_1) | instskip(SKIP_1) | instid1(VALU_DEP_2)
	v_sub_nc_u32_e32 v5, v8, v5
	v_ashrrev_i32_e32 v8, 8, v9
	v_add_nc_u32_e32 v5, 0x3c000000, v5
	s_delay_alu instid0(VALU_DEP_1) | instskip(NEXT) | instid1(VALU_DEP_1)
	v_and_or_b32 v5, 0x7f800000, v8, v5
	v_cndmask_b32_e32 v3, 0, v5, vcc_lo
	s_delay_alu instid0(VALU_DEP_1) | instskip(SKIP_1) | instid1(VALU_DEP_2)
	v_and_or_b32 v1, 0x80000000, v1, v3
	v_bfe_u32 v3, v3, 16, 1
	v_cmp_o_f32_e32 vcc_lo, v1, v1
	s_delay_alu instid0(VALU_DEP_2) | instskip(NEXT) | instid1(VALU_DEP_1)
	v_add3_u32 v3, v1, v3, 0x7fff
	v_lshrrev_b32_e32 v3, 16, v3
	s_delay_alu instid0(VALU_DEP_1)
	v_cndmask_b32_e32 v1, 0x7fc0, v3, vcc_lo
.LBB93_878:
	s_mov_b32 s49, 0
.LBB93_879:
	s_delay_alu instid0(SALU_CYCLE_1)
	s_and_not1_b32 vcc_lo, exec_lo, s49
	s_cbranch_vccnz .LBB93_881
; %bb.880:
	s_wait_loadcnt 0x0
	global_load_u8 v1, v[6:7], off
	s_wait_loadcnt 0x0
	v_lshlrev_b32_e32 v3, 25, v1
	v_lshlrev_b16 v1, 8, v1
	s_delay_alu instid0(VALU_DEP_1) | instskip(SKIP_1) | instid1(VALU_DEP_2)
	v_and_or_b32 v8, 0x7f00, v1, 0.5
	v_bfe_i32 v1, v1, 0, 16
	v_dual_add_f32 v8, -0.5, v8 :: v_dual_lshrrev_b32 v5, 4, v3
	v_cmp_gt_u32_e32 vcc_lo, 0x8000000, v3
	s_delay_alu instid0(VALU_DEP_2) | instskip(NEXT) | instid1(VALU_DEP_1)
	v_or_b32_e32 v5, 0x70000000, v5
	v_mul_f32_e32 v5, 0x7800000, v5
	s_delay_alu instid0(VALU_DEP_1) | instskip(NEXT) | instid1(VALU_DEP_1)
	v_cndmask_b32_e32 v3, v5, v8, vcc_lo
	v_and_or_b32 v1, 0x80000000, v1, v3
	v_bfe_u32 v3, v3, 16, 1
	s_delay_alu instid0(VALU_DEP_2) | instskip(NEXT) | instid1(VALU_DEP_2)
	v_cmp_o_f32_e32 vcc_lo, v1, v1
	v_add3_u32 v3, v1, v3, 0x7fff
	s_delay_alu instid0(VALU_DEP_1) | instskip(NEXT) | instid1(VALU_DEP_1)
	v_lshrrev_b32_e32 v3, 16, v3
	v_cndmask_b32_e32 v1, 0x7fc0, v3, vcc_lo
.LBB93_881:
	s_mov_b32 s50, 0
	s_mov_b32 s49, -1
.LBB93_882:
	s_and_not1_b32 vcc_lo, exec_lo, s50
	s_cbranch_vccnz .LBB93_895
; %bb.883:
	s_cmp_gt_i32 s27, 14
	s_cbranch_scc0 .LBB93_886
; %bb.884:
	s_cmp_eq_u32 s27, 15
	s_cbranch_scc0 .LBB93_889
; %bb.885:
	s_wait_loadcnt 0x0
	global_load_u16 v1, v[6:7], off
	s_mov_b32 s49, -1
	s_mov_b32 s26, 0
	s_branch .LBB93_890
.LBB93_886:
	s_mov_b32 s50, -1
                                        ; implicit-def: $vgpr1
	s_branch .LBB93_891
.LBB93_887:
	s_or_saveexec_b32 s50, s50
	v_mov_b32_e32 v3, 0x7f800001
	s_xor_b32 exec_lo, exec_lo, s50
	s_cbranch_execz .LBB93_868
.LBB93_888:
	v_cmp_ne_u16_e32 vcc_lo, 0, v1
	v_mov_b32_e32 v3, 0
	s_and_not1_b32 s49, s49, exec_lo
	s_and_b32 s51, vcc_lo, exec_lo
	s_delay_alu instid0(SALU_CYCLE_1)
	s_or_b32 s49, s49, s51
	s_or_b32 exec_lo, exec_lo, s50
	s_and_saveexec_b32 s50, s49
	s_cbranch_execnz .LBB93_869
	s_branch .LBB93_870
.LBB93_889:
	s_mov_b32 s26, -1
                                        ; implicit-def: $vgpr1
.LBB93_890:
	s_mov_b32 s50, 0
.LBB93_891:
	s_delay_alu instid0(SALU_CYCLE_1)
	s_and_b32 vcc_lo, exec_lo, s50
	s_cbranch_vccz .LBB93_895
; %bb.892:
	s_cmp_eq_u32 s27, 11
	s_cbranch_scc0 .LBB93_894
; %bb.893:
	s_wait_loadcnt 0x0
	global_load_u8 v1, v[6:7], off
	s_mov_b32 s26, 0
	s_mov_b32 s49, -1
	s_wait_loadcnt 0x0
	v_cmp_ne_u16_e32 vcc_lo, 0, v1
	v_cndmask_b32_e64 v1, 0, 1.0, vcc_lo
	s_delay_alu instid0(VALU_DEP_1)
	v_lshrrev_b32_e32 v1, 16, v1
	s_branch .LBB93_895
.LBB93_894:
	s_mov_b32 s26, -1
                                        ; implicit-def: $vgpr1
.LBB93_895:
	s_mov_b32 s27, 0
.LBB93_896:
	s_delay_alu instid0(SALU_CYCLE_1)
	s_and_b32 vcc_lo, exec_lo, s27
	s_cbranch_vccz .LBB93_945
; %bb.897:
	s_and_b32 s0, 0xffff, s0
	s_delay_alu instid0(SALU_CYCLE_1)
	s_cmp_lt_i32 s0, 5
	s_cbranch_scc1 .LBB93_902
; %bb.898:
	s_cmp_lt_i32 s0, 8
	s_cbranch_scc1 .LBB93_903
; %bb.899:
	;; [unrolled: 3-line block ×3, first 2 shown]
	s_cmp_gt_i32 s0, 9
	s_cbranch_scc0 .LBB93_905
; %bb.901:
	global_load_b64 v[8:9], v[6:7], off
	s_mov_b32 s27, 0
	s_wait_loadcnt 0x0
	v_cvt_f32_f64_e32 v1, v[8:9]
	s_delay_alu instid0(VALU_DEP_1) | instskip(SKIP_1) | instid1(VALU_DEP_2)
	v_bfe_u32 v3, v1, 16, 1
	v_cmp_o_f32_e32 vcc_lo, v1, v1
	v_add3_u32 v3, v1, v3, 0x7fff
	s_delay_alu instid0(VALU_DEP_1) | instskip(NEXT) | instid1(VALU_DEP_1)
	v_lshrrev_b32_e32 v3, 16, v3
	v_cndmask_b32_e32 v1, 0x7fc0, v3, vcc_lo
	s_branch .LBB93_906
.LBB93_902:
	s_mov_b32 s27, -1
                                        ; implicit-def: $vgpr1
	s_branch .LBB93_924
.LBB93_903:
	s_mov_b32 s27, -1
                                        ; implicit-def: $vgpr1
	s_branch .LBB93_912
.LBB93_904:
	s_mov_b32 s27, -1
                                        ; implicit-def: $vgpr1
	s_branch .LBB93_909
.LBB93_905:
	s_mov_b32 s27, -1
                                        ; implicit-def: $vgpr1
.LBB93_906:
	s_delay_alu instid0(SALU_CYCLE_1)
	s_and_not1_b32 vcc_lo, exec_lo, s27
	s_cbranch_vccnz .LBB93_908
; %bb.907:
	s_wait_loadcnt 0x0
	global_load_b32 v1, v[6:7], off
	s_wait_loadcnt 0x0
	v_bfe_u32 v3, v1, 16, 1
	v_cmp_o_f32_e32 vcc_lo, v1, v1
	s_delay_alu instid0(VALU_DEP_2) | instskip(NEXT) | instid1(VALU_DEP_1)
	v_add3_u32 v3, v1, v3, 0x7fff
	v_lshrrev_b32_e32 v3, 16, v3
	s_delay_alu instid0(VALU_DEP_1)
	v_cndmask_b32_e32 v1, 0x7fc0, v3, vcc_lo
.LBB93_908:
	s_mov_b32 s27, 0
.LBB93_909:
	s_delay_alu instid0(SALU_CYCLE_1)
	s_and_not1_b32 vcc_lo, exec_lo, s27
	s_cbranch_vccnz .LBB93_911
; %bb.910:
	s_wait_loadcnt 0x0
	global_load_b32 v1, v[6:7], off
	s_wait_loadcnt 0x0
	v_cvt_f32_f16_e32 v3, v1
	v_cmp_o_f16_e32 vcc_lo, v1, v1
	s_delay_alu instid0(VALU_DEP_2) | instskip(NEXT) | instid1(VALU_DEP_1)
	v_bfe_u32 v5, v3, 16, 1
	v_add3_u32 v3, v3, v5, 0x7fff
	s_delay_alu instid0(VALU_DEP_1) | instskip(NEXT) | instid1(VALU_DEP_1)
	v_lshrrev_b32_e32 v3, 16, v3
	v_cndmask_b32_e32 v1, 0x7fc0, v3, vcc_lo
.LBB93_911:
	s_mov_b32 s27, 0
.LBB93_912:
	s_delay_alu instid0(SALU_CYCLE_1)
	s_and_not1_b32 vcc_lo, exec_lo, s27
	s_cbranch_vccnz .LBB93_923
; %bb.913:
	s_cmp_lt_i32 s0, 6
	s_cbranch_scc1 .LBB93_916
; %bb.914:
	s_cmp_gt_i32 s0, 6
	s_cbranch_scc0 .LBB93_917
; %bb.915:
	global_load_b64 v[8:9], v[6:7], off
	s_mov_b32 s27, 0
	s_wait_loadcnt 0x0
	v_cvt_f32_f64_e32 v1, v[8:9]
	s_delay_alu instid0(VALU_DEP_1) | instskip(SKIP_1) | instid1(VALU_DEP_2)
	v_bfe_u32 v3, v1, 16, 1
	v_cmp_o_f32_e32 vcc_lo, v1, v1
	v_add3_u32 v3, v1, v3, 0x7fff
	s_delay_alu instid0(VALU_DEP_1) | instskip(NEXT) | instid1(VALU_DEP_1)
	v_lshrrev_b32_e32 v3, 16, v3
	v_cndmask_b32_e32 v1, 0x7fc0, v3, vcc_lo
	s_branch .LBB93_918
.LBB93_916:
	s_mov_b32 s27, -1
                                        ; implicit-def: $vgpr1
	s_branch .LBB93_921
.LBB93_917:
	s_mov_b32 s27, -1
                                        ; implicit-def: $vgpr1
.LBB93_918:
	s_delay_alu instid0(SALU_CYCLE_1)
	s_and_not1_b32 vcc_lo, exec_lo, s27
	s_cbranch_vccnz .LBB93_920
; %bb.919:
	s_wait_loadcnt 0x0
	global_load_b32 v1, v[6:7], off
	s_wait_loadcnt 0x0
	v_bfe_u32 v3, v1, 16, 1
	v_cmp_o_f32_e32 vcc_lo, v1, v1
	s_delay_alu instid0(VALU_DEP_2) | instskip(NEXT) | instid1(VALU_DEP_1)
	v_add3_u32 v3, v1, v3, 0x7fff
	v_lshrrev_b32_e32 v3, 16, v3
	s_delay_alu instid0(VALU_DEP_1)
	v_cndmask_b32_e32 v1, 0x7fc0, v3, vcc_lo
.LBB93_920:
	s_mov_b32 s27, 0
.LBB93_921:
	s_delay_alu instid0(SALU_CYCLE_1)
	s_and_not1_b32 vcc_lo, exec_lo, s27
	s_cbranch_vccnz .LBB93_923
; %bb.922:
	s_wait_loadcnt 0x0
	global_load_u16 v1, v[6:7], off
	s_wait_loadcnt 0x0
	v_cvt_f32_f16_e32 v3, v1
	v_cmp_o_f16_e32 vcc_lo, v1, v1
	s_delay_alu instid0(VALU_DEP_2) | instskip(NEXT) | instid1(VALU_DEP_1)
	v_bfe_u32 v5, v3, 16, 1
	v_add3_u32 v3, v3, v5, 0x7fff
	s_delay_alu instid0(VALU_DEP_1) | instskip(NEXT) | instid1(VALU_DEP_1)
	v_lshrrev_b32_e32 v3, 16, v3
	v_cndmask_b32_e32 v1, 0x7fc0, v3, vcc_lo
.LBB93_923:
	s_mov_b32 s27, 0
.LBB93_924:
	s_delay_alu instid0(SALU_CYCLE_1)
	s_and_not1_b32 vcc_lo, exec_lo, s27
	s_cbranch_vccnz .LBB93_944
; %bb.925:
	s_cmp_lt_i32 s0, 2
	s_cbranch_scc1 .LBB93_929
; %bb.926:
	s_cmp_lt_i32 s0, 3
	s_cbranch_scc1 .LBB93_930
; %bb.927:
	s_cmp_gt_i32 s0, 3
	s_cbranch_scc0 .LBB93_931
; %bb.928:
	global_load_b64 v[8:9], v[6:7], off
	s_mov_b32 s27, 0
	s_wait_loadcnt 0x0
	v_xor_b32_e32 v1, v8, v9
	v_cls_i32_e32 v3, v9
	s_delay_alu instid0(VALU_DEP_2) | instskip(NEXT) | instid1(VALU_DEP_1)
	v_ashrrev_i32_e32 v1, 31, v1
	v_add_nc_u32_e32 v1, 32, v1
	s_delay_alu instid0(VALU_DEP_1) | instskip(NEXT) | instid1(VALU_DEP_1)
	v_add_min_u32_e64 v1, v3, -1, v1
	v_lshlrev_b64_e32 v[8:9], v1, v[8:9]
	v_sub_nc_u32_e32 v1, 32, v1
	s_delay_alu instid0(VALU_DEP_2) | instskip(NEXT) | instid1(VALU_DEP_1)
	v_min_u32_e32 v3, 1, v8
	v_or_b32_e32 v3, v9, v3
	s_delay_alu instid0(VALU_DEP_1) | instskip(NEXT) | instid1(VALU_DEP_1)
	v_cvt_f32_i32_e32 v3, v3
	v_ldexp_f32 v1, v3, v1
	s_delay_alu instid0(VALU_DEP_1) | instskip(NEXT) | instid1(VALU_DEP_1)
	v_bfe_u32 v3, v1, 16, 1
	v_add3_u32 v1, v1, v3, 0x7fff
	s_delay_alu instid0(VALU_DEP_1)
	v_lshrrev_b32_e32 v1, 16, v1
	s_branch .LBB93_932
.LBB93_929:
	s_mov_b32 s27, -1
                                        ; implicit-def: $vgpr1
	s_branch .LBB93_938
.LBB93_930:
	s_mov_b32 s27, -1
                                        ; implicit-def: $vgpr1
	s_branch .LBB93_935
.LBB93_931:
	s_mov_b32 s27, -1
                                        ; implicit-def: $vgpr1
.LBB93_932:
	s_delay_alu instid0(SALU_CYCLE_1)
	s_and_not1_b32 vcc_lo, exec_lo, s27
	s_cbranch_vccnz .LBB93_934
; %bb.933:
	s_wait_loadcnt 0x0
	global_load_b32 v1, v[6:7], off
	s_wait_loadcnt 0x0
	v_cvt_f32_i32_e32 v1, v1
	s_delay_alu instid0(VALU_DEP_1) | instskip(NEXT) | instid1(VALU_DEP_1)
	v_bfe_u32 v3, v1, 16, 1
	v_add3_u32 v1, v1, v3, 0x7fff
	s_delay_alu instid0(VALU_DEP_1)
	v_lshrrev_b32_e32 v1, 16, v1
.LBB93_934:
	s_mov_b32 s27, 0
.LBB93_935:
	s_delay_alu instid0(SALU_CYCLE_1)
	s_and_not1_b32 vcc_lo, exec_lo, s27
	s_cbranch_vccnz .LBB93_937
; %bb.936:
	s_wait_loadcnt 0x0
	global_load_i16 v1, v[6:7], off
	s_wait_loadcnt 0x0
	v_cvt_f32_i32_e32 v1, v1
	s_delay_alu instid0(VALU_DEP_1) | instskip(NEXT) | instid1(VALU_DEP_1)
	v_bfe_u32 v3, v1, 16, 1
	v_add3_u32 v1, v1, v3, 0x7fff
	s_delay_alu instid0(VALU_DEP_1)
	v_lshrrev_b32_e32 v1, 16, v1
.LBB93_937:
	s_mov_b32 s27, 0
.LBB93_938:
	s_delay_alu instid0(SALU_CYCLE_1)
	s_and_not1_b32 vcc_lo, exec_lo, s27
	s_cbranch_vccnz .LBB93_944
; %bb.939:
	s_cmp_gt_i32 s0, 0
	s_mov_b32 s0, 0
	s_cbranch_scc0 .LBB93_941
; %bb.940:
	s_wait_loadcnt 0x0
	global_load_i8 v1, v[6:7], off
	s_wait_loadcnt 0x0
	v_cvt_f32_i32_e32 v1, v1
	s_delay_alu instid0(VALU_DEP_1) | instskip(NEXT) | instid1(VALU_DEP_1)
	v_bfe_u32 v3, v1, 16, 1
	v_add3_u32 v1, v1, v3, 0x7fff
	s_delay_alu instid0(VALU_DEP_1)
	v_lshrrev_b32_e32 v1, 16, v1
	s_branch .LBB93_942
.LBB93_941:
	s_mov_b32 s0, -1
                                        ; implicit-def: $vgpr1
.LBB93_942:
	s_delay_alu instid0(SALU_CYCLE_1)
	s_and_not1_b32 vcc_lo, exec_lo, s0
	s_cbranch_vccnz .LBB93_944
; %bb.943:
	s_wait_loadcnt 0x0
	global_load_u8 v1, v[6:7], off
	s_wait_loadcnt 0x0
	v_cvt_f32_ubyte0_e32 v1, v1
	s_delay_alu instid0(VALU_DEP_1) | instskip(NEXT) | instid1(VALU_DEP_1)
	v_bfe_u32 v3, v1, 16, 1
	v_add3_u32 v1, v1, v3, 0x7fff
	s_delay_alu instid0(VALU_DEP_1)
	v_lshrrev_b32_e32 v1, 16, v1
.LBB93_944:
	s_mov_b32 s49, -1
.LBB93_945:
	s_delay_alu instid0(SALU_CYCLE_1)
	s_and_not1_b32 vcc_lo, exec_lo, s49
	s_cbranch_vccnz .LBB93_953
; %bb.946:
	v_mov_b32_e32 v5, 0
	s_and_b32 s0, s13, 0xff
	s_delay_alu instid0(SALU_CYCLE_1) | instskip(NEXT) | instid1(VALU_DEP_1)
	s_cmp_lt_i32 s0, 11
	v_add_nc_u64_e32 v[4:5], s[8:9], v[4:5]
	s_cbranch_scc1 .LBB93_954
; %bb.947:
	s_and_b32 s49, 0xffff, s0
	s_delay_alu instid0(SALU_CYCLE_1)
	s_cmp_gt_i32 s49, 25
	s_cbranch_scc0 .LBB93_955
; %bb.948:
	s_cmp_gt_i32 s49, 28
	s_cbranch_scc0 .LBB93_956
; %bb.949:
	;; [unrolled: 3-line block ×4, first 2 shown]
	s_cmp_eq_u32 s49, 46
	s_mov_b32 s51, 0
	s_cbranch_scc0 .LBB93_961
; %bb.952:
	s_wait_loadcnt 0x0
	global_load_b32 v3, v[4:5], off
	s_mov_b32 s50, -1
	s_mov_b32 s27, 0
	s_branch .LBB93_963
.LBB93_953:
	s_mov_b32 s52, 0
	s_mov_b32 s0, s45
	;; [unrolled: 1-line block ×3, first 2 shown]
	s_branch .LBB93_1204
.LBB93_954:
	s_mov_b32 s49, -1
	s_mov_b32 s50, 0
	s_mov_b32 s27, s46
                                        ; implicit-def: $vgpr3
	s_branch .LBB93_1028
.LBB93_955:
	s_mov_b32 s51, -1
	s_mov_b32 s50, 0
	s_mov_b32 s27, s46
                                        ; implicit-def: $vgpr3
	s_branch .LBB93_992
.LBB93_956:
	s_mov_b32 s51, -1
	s_mov_b32 s50, 0
	s_mov_b32 s27, s46
                                        ; implicit-def: $vgpr3
	s_branch .LBB93_973
.LBB93_957:
	s_mov_b32 s51, -1
	s_mov_b32 s50, 0
	s_mov_b32 s27, s46
                                        ; implicit-def: $vgpr3
	s_branch .LBB93_968
.LBB93_958:
	s_mov_b32 s51, -1
	s_mov_b32 s50, 0
	s_mov_b32 s27, s46
	s_branch .LBB93_962
.LBB93_959:
	s_and_not1_saveexec_b32 s49, s49
	s_cbranch_execz .LBB93_722
.LBB93_960:
	v_add_f32_e64 v5, 0x42800000, |v6|
	s_and_not1_b32 s48, s48, exec_lo
	s_delay_alu instid0(VALU_DEP_1) | instskip(NEXT) | instid1(VALU_DEP_1)
	v_and_b32_e32 v5, 0xff, v5
	v_cmp_ne_u32_e32 vcc_lo, 0, v5
	s_and_b32 s50, vcc_lo, exec_lo
	s_delay_alu instid0(SALU_CYCLE_1)
	s_or_b32 s48, s48, s50
	s_or_b32 exec_lo, exec_lo, s49
	v_mov_b32_e32 v7, 0
	s_and_saveexec_b32 s49, s48
	s_cbranch_execnz .LBB93_723
	s_branch .LBB93_724
.LBB93_961:
	s_mov_b32 s27, -1
	s_mov_b32 s50, 0
.LBB93_962:
                                        ; implicit-def: $vgpr3
.LBB93_963:
	s_and_b32 vcc_lo, exec_lo, s51
	s_cbranch_vccz .LBB93_967
; %bb.964:
	s_cmp_eq_u32 s49, 44
	s_cbranch_scc0 .LBB93_966
; %bb.965:
	s_wait_loadcnt 0x0
	global_load_u8 v3, v[4:5], off
	s_mov_b32 s27, 0
	s_mov_b32 s50, -1
	s_wait_loadcnt 0x0
	s_wait_xcnt 0x1
	v_lshlrev_b32_e32 v6, 23, v3
	v_cmp_ne_u32_e32 vcc_lo, 0xff, v3
	s_delay_alu instid0(VALU_DEP_2) | instskip(SKIP_1) | instid1(VALU_DEP_2)
	v_cndmask_b32_e32 v6, 0x7f800001, v6, vcc_lo
	v_cmp_ne_u32_e32 vcc_lo, 0, v3
	v_cndmask_b32_e32 v3, 0x400000, v6, vcc_lo
	s_delay_alu instid0(VALU_DEP_1) | instskip(NEXT) | instid1(VALU_DEP_1)
	v_add_nc_u32_e32 v6, 0x7fff, v3
	v_lshrrev_b32_e32 v6, 16, v6
	v_cmp_o_f32_e32 vcc_lo, v3, v3
	s_delay_alu instid0(VALU_DEP_2)
	v_cndmask_b32_e32 v3, 0x7fc0, v6, vcc_lo
	s_branch .LBB93_967
.LBB93_966:
	s_mov_b32 s27, -1
                                        ; implicit-def: $vgpr3
.LBB93_967:
	s_mov_b32 s51, 0
.LBB93_968:
	s_delay_alu instid0(SALU_CYCLE_1)
	s_and_b32 vcc_lo, exec_lo, s51
	s_cbranch_vccz .LBB93_972
; %bb.969:
	s_cmp_eq_u32 s49, 29
	s_cbranch_scc0 .LBB93_971
; %bb.970:
	global_load_b64 v[6:7], v[4:5], off
	s_mov_b32 s50, -1
	s_mov_b32 s27, 0
	s_mov_b32 s51, 0
	s_wait_loadcnt 0x0
	v_clz_i32_u32_e32 v3, v7
	s_delay_alu instid0(VALU_DEP_1) | instskip(NEXT) | instid1(VALU_DEP_1)
	v_min_u32_e32 v3, 32, v3
	v_lshlrev_b64_e32 v[6:7], v3, v[6:7]
	v_sub_nc_u32_e32 v3, 32, v3
	s_delay_alu instid0(VALU_DEP_2) | instskip(NEXT) | instid1(VALU_DEP_1)
	v_min_u32_e32 v6, 1, v6
	v_or_b32_e32 v6, v7, v6
	s_delay_alu instid0(VALU_DEP_1) | instskip(NEXT) | instid1(VALU_DEP_1)
	v_cvt_f32_u32_e32 v6, v6
	v_ldexp_f32 v3, v6, v3
	s_delay_alu instid0(VALU_DEP_1) | instskip(NEXT) | instid1(VALU_DEP_1)
	v_bfe_u32 v6, v3, 16, 1
	v_add3_u32 v3, v3, v6, 0x7fff
	s_delay_alu instid0(VALU_DEP_1)
	v_lshrrev_b32_e32 v3, 16, v3
	s_branch .LBB93_973
.LBB93_971:
	s_mov_b32 s27, -1
                                        ; implicit-def: $vgpr3
.LBB93_972:
	s_mov_b32 s51, 0
.LBB93_973:
	s_delay_alu instid0(SALU_CYCLE_1)
	s_and_b32 vcc_lo, exec_lo, s51
	s_cbranch_vccz .LBB93_991
; %bb.974:
	s_cmp_lt_i32 s49, 27
	s_cbranch_scc1 .LBB93_977
; %bb.975:
	s_cmp_gt_i32 s49, 27
	s_cbranch_scc0 .LBB93_978
; %bb.976:
	s_wait_loadcnt 0x0
	global_load_b32 v3, v[4:5], off
	s_mov_b32 s50, 0
	s_wait_loadcnt 0x0
	v_cvt_f32_u32_e32 v3, v3
	s_wait_xcnt 0x1
	s_delay_alu instid0(VALU_DEP_1) | instskip(NEXT) | instid1(VALU_DEP_1)
	v_bfe_u32 v6, v3, 16, 1
	v_add3_u32 v3, v3, v6, 0x7fff
	s_delay_alu instid0(VALU_DEP_1)
	v_lshrrev_b32_e32 v3, 16, v3
	s_branch .LBB93_979
.LBB93_977:
	s_mov_b32 s50, -1
                                        ; implicit-def: $vgpr3
	s_branch .LBB93_982
.LBB93_978:
	s_mov_b32 s50, -1
                                        ; implicit-def: $vgpr3
.LBB93_979:
	s_delay_alu instid0(SALU_CYCLE_1)
	s_and_not1_b32 vcc_lo, exec_lo, s50
	s_cbranch_vccnz .LBB93_981
; %bb.980:
	s_wait_loadcnt 0x0
	global_load_u16 v3, v[4:5], off
	s_wait_loadcnt 0x0
	v_cvt_f32_u32_e32 v3, v3
	s_wait_xcnt 0x1
	s_delay_alu instid0(VALU_DEP_1) | instskip(NEXT) | instid1(VALU_DEP_1)
	v_bfe_u32 v6, v3, 16, 1
	v_add3_u32 v3, v3, v6, 0x7fff
	s_delay_alu instid0(VALU_DEP_1)
	v_lshrrev_b32_e32 v3, 16, v3
.LBB93_981:
	s_mov_b32 s50, 0
.LBB93_982:
	s_delay_alu instid0(SALU_CYCLE_1)
	s_and_not1_b32 vcc_lo, exec_lo, s50
	s_cbranch_vccnz .LBB93_990
; %bb.983:
	s_wait_loadcnt 0x0
	global_load_u8 v3, v[4:5], off
	s_mov_b32 s50, 0
	s_mov_b32 s51, exec_lo
	s_wait_loadcnt 0x0
	v_cmpx_lt_i16_e32 0x7f, v3
	s_xor_b32 s51, exec_lo, s51
	s_cbranch_execz .LBB93_1004
; %bb.984:
	s_mov_b32 s50, -1
	s_mov_b32 s52, exec_lo
	v_cmpx_eq_u16_e32 0x80, v3
; %bb.985:
	s_xor_b32 s50, exec_lo, -1
; %bb.986:
	s_or_b32 exec_lo, exec_lo, s52
	s_delay_alu instid0(SALU_CYCLE_1)
	s_and_b32 s50, s50, exec_lo
	s_or_saveexec_b32 s51, s51
	v_mov_b32_e32 v6, 0x7f800001
	s_xor_b32 exec_lo, exec_lo, s51
	s_cbranch_execnz .LBB93_1005
.LBB93_987:
	s_or_b32 exec_lo, exec_lo, s51
	s_and_saveexec_b32 s51, s50
	s_cbranch_execz .LBB93_989
.LBB93_988:
	v_and_b32_e32 v6, 0xffff, v3
	s_delay_alu instid0(VALU_DEP_1) | instskip(SKIP_1) | instid1(VALU_DEP_2)
	v_and_b32_e32 v7, 7, v6
	v_bfe_u32 v10, v6, 3, 4
	v_clz_i32_u32_e32 v8, v7
	s_delay_alu instid0(VALU_DEP_2) | instskip(NEXT) | instid1(VALU_DEP_2)
	v_cmp_eq_u32_e32 vcc_lo, 0, v10
	v_min_u32_e32 v8, 32, v8
	s_delay_alu instid0(VALU_DEP_1) | instskip(NEXT) | instid1(VALU_DEP_1)
	v_subrev_nc_u32_e32 v9, 28, v8
	v_dual_lshlrev_b32 v6, v9, v6 :: v_dual_sub_nc_u32 v8, 29, v8
	s_delay_alu instid0(VALU_DEP_1) | instskip(NEXT) | instid1(VALU_DEP_1)
	v_dual_lshlrev_b32 v3, 24, v3 :: v_dual_bitop2_b32 v6, 7, v6 bitop3:0x40
	v_dual_cndmask_b32 v8, v10, v8, vcc_lo :: v_dual_cndmask_b32 v6, v7, v6, vcc_lo
	s_delay_alu instid0(VALU_DEP_2) | instskip(NEXT) | instid1(VALU_DEP_2)
	v_and_b32_e32 v3, 0x80000000, v3
	v_lshl_add_u32 v7, v8, 23, 0x3b800000
	s_delay_alu instid0(VALU_DEP_3) | instskip(NEXT) | instid1(VALU_DEP_1)
	v_lshlrev_b32_e32 v6, 20, v6
	v_or3_b32 v6, v3, v7, v6
.LBB93_989:
	s_or_b32 exec_lo, exec_lo, s51
	s_delay_alu instid0(VALU_DEP_1) | instskip(SKIP_1) | instid1(VALU_DEP_2)
	v_bfe_u32 v3, v6, 16, 1
	v_cmp_o_f32_e32 vcc_lo, v6, v6
	v_add3_u32 v3, v6, v3, 0x7fff
	s_delay_alu instid0(VALU_DEP_1) | instskip(NEXT) | instid1(VALU_DEP_1)
	v_lshrrev_b32_e32 v3, 16, v3
	v_cndmask_b32_e32 v3, 0x7fc0, v3, vcc_lo
.LBB93_990:
	s_mov_b32 s50, -1
.LBB93_991:
	s_mov_b32 s51, 0
.LBB93_992:
	s_delay_alu instid0(SALU_CYCLE_1)
	s_and_b32 vcc_lo, exec_lo, s51
	s_cbranch_vccz .LBB93_1027
; %bb.993:
	s_cmp_gt_i32 s49, 22
	s_cbranch_scc0 .LBB93_1003
; %bb.994:
	s_cmp_lt_i32 s49, 24
	s_cbranch_scc1 .LBB93_1006
; %bb.995:
	s_cmp_gt_i32 s49, 24
	s_cbranch_scc0 .LBB93_1007
; %bb.996:
	s_wait_loadcnt 0x0
	global_load_u8 v3, v[4:5], off
	s_mov_b32 s50, 0
	s_mov_b32 s51, exec_lo
	s_wait_loadcnt 0x0
	v_cmpx_lt_i16_e32 0x7f, v3
	s_xor_b32 s51, exec_lo, s51
	s_cbranch_execz .LBB93_1019
; %bb.997:
	s_mov_b32 s50, -1
	s_mov_b32 s52, exec_lo
	v_cmpx_eq_u16_e32 0x80, v3
; %bb.998:
	s_xor_b32 s50, exec_lo, -1
; %bb.999:
	s_or_b32 exec_lo, exec_lo, s52
	s_delay_alu instid0(SALU_CYCLE_1)
	s_and_b32 s50, s50, exec_lo
	s_or_saveexec_b32 s51, s51
	v_mov_b32_e32 v6, 0x7f800001
	s_xor_b32 exec_lo, exec_lo, s51
	s_cbranch_execnz .LBB93_1020
.LBB93_1000:
	s_or_b32 exec_lo, exec_lo, s51
	s_and_saveexec_b32 s51, s50
	s_cbranch_execz .LBB93_1002
.LBB93_1001:
	v_and_b32_e32 v6, 0xffff, v3
	s_delay_alu instid0(VALU_DEP_1) | instskip(SKIP_1) | instid1(VALU_DEP_2)
	v_and_b32_e32 v7, 3, v6
	v_bfe_u32 v10, v6, 2, 5
	v_clz_i32_u32_e32 v8, v7
	s_delay_alu instid0(VALU_DEP_2) | instskip(NEXT) | instid1(VALU_DEP_2)
	v_cmp_eq_u32_e32 vcc_lo, 0, v10
	v_min_u32_e32 v8, 32, v8
	s_delay_alu instid0(VALU_DEP_1) | instskip(NEXT) | instid1(VALU_DEP_1)
	v_subrev_nc_u32_e32 v9, 29, v8
	v_dual_lshlrev_b32 v6, v9, v6 :: v_dual_sub_nc_u32 v8, 30, v8
	s_delay_alu instid0(VALU_DEP_1) | instskip(NEXT) | instid1(VALU_DEP_1)
	v_dual_lshlrev_b32 v3, 24, v3 :: v_dual_bitop2_b32 v6, 3, v6 bitop3:0x40
	v_dual_cndmask_b32 v8, v10, v8, vcc_lo :: v_dual_cndmask_b32 v6, v7, v6, vcc_lo
	s_delay_alu instid0(VALU_DEP_2) | instskip(NEXT) | instid1(VALU_DEP_2)
	v_and_b32_e32 v3, 0x80000000, v3
	v_lshl_add_u32 v7, v8, 23, 0x37800000
	s_delay_alu instid0(VALU_DEP_3) | instskip(NEXT) | instid1(VALU_DEP_1)
	v_lshlrev_b32_e32 v6, 21, v6
	v_or3_b32 v6, v3, v7, v6
.LBB93_1002:
	s_or_b32 exec_lo, exec_lo, s51
	s_delay_alu instid0(VALU_DEP_1) | instskip(SKIP_2) | instid1(VALU_DEP_2)
	v_bfe_u32 v3, v6, 16, 1
	v_cmp_o_f32_e32 vcc_lo, v6, v6
	s_mov_b32 s50, 0
	v_add3_u32 v3, v6, v3, 0x7fff
	s_delay_alu instid0(VALU_DEP_1) | instskip(NEXT) | instid1(VALU_DEP_1)
	v_lshrrev_b32_e32 v3, 16, v3
	v_cndmask_b32_e32 v3, 0x7fc0, v3, vcc_lo
	s_branch .LBB93_1008
.LBB93_1003:
	s_mov_b32 s51, -1
                                        ; implicit-def: $vgpr3
	s_branch .LBB93_1014
.LBB93_1004:
	s_or_saveexec_b32 s51, s51
	v_mov_b32_e32 v6, 0x7f800001
	s_xor_b32 exec_lo, exec_lo, s51
	s_cbranch_execz .LBB93_987
.LBB93_1005:
	v_cmp_ne_u16_e32 vcc_lo, 0, v3
	v_mov_b32_e32 v6, 0
	s_and_not1_b32 s50, s50, exec_lo
	s_and_b32 s52, vcc_lo, exec_lo
	s_delay_alu instid0(SALU_CYCLE_1)
	s_or_b32 s50, s50, s52
	s_or_b32 exec_lo, exec_lo, s51
	s_and_saveexec_b32 s51, s50
	s_cbranch_execnz .LBB93_988
	s_branch .LBB93_989
.LBB93_1006:
	s_mov_b32 s50, -1
                                        ; implicit-def: $vgpr3
	s_branch .LBB93_1011
.LBB93_1007:
	s_mov_b32 s50, -1
                                        ; implicit-def: $vgpr3
.LBB93_1008:
	s_delay_alu instid0(SALU_CYCLE_1)
	s_and_b32 vcc_lo, exec_lo, s50
	s_cbranch_vccz .LBB93_1010
; %bb.1009:
	s_wait_loadcnt 0x0
	global_load_u8 v3, v[4:5], off
	s_wait_loadcnt 0x0
	v_lshlrev_b32_e32 v3, 24, v3
	s_wait_xcnt 0x1
	s_delay_alu instid0(VALU_DEP_1) | instskip(NEXT) | instid1(VALU_DEP_1)
	v_and_b32_e32 v6, 0x7f000000, v3
	v_clz_i32_u32_e32 v7, v6
	v_cmp_ne_u32_e32 vcc_lo, 0, v6
	v_add_nc_u32_e32 v9, 0x1000000, v6
	s_delay_alu instid0(VALU_DEP_3) | instskip(NEXT) | instid1(VALU_DEP_1)
	v_min_u32_e32 v7, 32, v7
	v_sub_nc_u32_e64 v7, v7, 4 clamp
	s_delay_alu instid0(VALU_DEP_1) | instskip(NEXT) | instid1(VALU_DEP_1)
	v_dual_lshlrev_b32 v8, v7, v6 :: v_dual_lshlrev_b32 v7, 23, v7
	v_lshrrev_b32_e32 v8, 4, v8
	s_delay_alu instid0(VALU_DEP_1) | instskip(NEXT) | instid1(VALU_DEP_1)
	v_dual_sub_nc_u32 v7, v8, v7 :: v_dual_ashrrev_i32 v8, 8, v9
	v_add_nc_u32_e32 v7, 0x3c000000, v7
	s_delay_alu instid0(VALU_DEP_1) | instskip(NEXT) | instid1(VALU_DEP_1)
	v_and_or_b32 v7, 0x7f800000, v8, v7
	v_cndmask_b32_e32 v6, 0, v7, vcc_lo
	s_delay_alu instid0(VALU_DEP_1) | instskip(SKIP_1) | instid1(VALU_DEP_2)
	v_and_or_b32 v3, 0x80000000, v3, v6
	v_bfe_u32 v6, v6, 16, 1
	v_cmp_o_f32_e32 vcc_lo, v3, v3
	s_delay_alu instid0(VALU_DEP_2) | instskip(NEXT) | instid1(VALU_DEP_1)
	v_add3_u32 v6, v3, v6, 0x7fff
	v_lshrrev_b32_e32 v6, 16, v6
	s_delay_alu instid0(VALU_DEP_1)
	v_cndmask_b32_e32 v3, 0x7fc0, v6, vcc_lo
.LBB93_1010:
	s_mov_b32 s50, 0
.LBB93_1011:
	s_delay_alu instid0(SALU_CYCLE_1)
	s_and_not1_b32 vcc_lo, exec_lo, s50
	s_cbranch_vccnz .LBB93_1013
; %bb.1012:
	s_wait_loadcnt 0x0
	global_load_u8 v3, v[4:5], off
	s_wait_loadcnt 0x0
	s_wait_xcnt 0x1
	v_lshlrev_b32_e32 v6, 25, v3
	v_lshlrev_b16 v3, 8, v3
	s_delay_alu instid0(VALU_DEP_1) | instskip(SKIP_1) | instid1(VALU_DEP_2)
	v_and_or_b32 v8, 0x7f00, v3, 0.5
	v_bfe_i32 v3, v3, 0, 16
	v_dual_add_f32 v8, -0.5, v8 :: v_dual_lshrrev_b32 v7, 4, v6
	v_cmp_gt_u32_e32 vcc_lo, 0x8000000, v6
	s_delay_alu instid0(VALU_DEP_2) | instskip(NEXT) | instid1(VALU_DEP_1)
	v_or_b32_e32 v7, 0x70000000, v7
	v_mul_f32_e32 v7, 0x7800000, v7
	s_delay_alu instid0(VALU_DEP_1) | instskip(NEXT) | instid1(VALU_DEP_1)
	v_cndmask_b32_e32 v6, v7, v8, vcc_lo
	v_and_or_b32 v3, 0x80000000, v3, v6
	v_bfe_u32 v6, v6, 16, 1
	s_delay_alu instid0(VALU_DEP_2) | instskip(NEXT) | instid1(VALU_DEP_2)
	v_cmp_o_f32_e32 vcc_lo, v3, v3
	v_add3_u32 v6, v3, v6, 0x7fff
	s_delay_alu instid0(VALU_DEP_1) | instskip(NEXT) | instid1(VALU_DEP_1)
	v_lshrrev_b32_e32 v6, 16, v6
	v_cndmask_b32_e32 v3, 0x7fc0, v6, vcc_lo
.LBB93_1013:
	s_mov_b32 s51, 0
	s_mov_b32 s50, -1
.LBB93_1014:
	s_and_not1_b32 vcc_lo, exec_lo, s51
	s_cbranch_vccnz .LBB93_1027
; %bb.1015:
	s_cmp_gt_i32 s49, 14
	s_cbranch_scc0 .LBB93_1018
; %bb.1016:
	s_cmp_eq_u32 s49, 15
	s_cbranch_scc0 .LBB93_1021
; %bb.1017:
	s_wait_loadcnt 0x0
	global_load_u16 v3, v[4:5], off
	s_mov_b32 s50, -1
	s_mov_b32 s27, 0
	s_branch .LBB93_1022
.LBB93_1018:
	s_mov_b32 s51, -1
                                        ; implicit-def: $vgpr3
	s_branch .LBB93_1023
.LBB93_1019:
	s_or_saveexec_b32 s51, s51
	v_mov_b32_e32 v6, 0x7f800001
	s_xor_b32 exec_lo, exec_lo, s51
	s_cbranch_execz .LBB93_1000
.LBB93_1020:
	v_cmp_ne_u16_e32 vcc_lo, 0, v3
	v_mov_b32_e32 v6, 0
	s_and_not1_b32 s50, s50, exec_lo
	s_and_b32 s52, vcc_lo, exec_lo
	s_delay_alu instid0(SALU_CYCLE_1)
	s_or_b32 s50, s50, s52
	s_or_b32 exec_lo, exec_lo, s51
	s_and_saveexec_b32 s51, s50
	s_cbranch_execnz .LBB93_1001
	s_branch .LBB93_1002
.LBB93_1021:
	s_mov_b32 s27, -1
                                        ; implicit-def: $vgpr3
.LBB93_1022:
	s_mov_b32 s51, 0
.LBB93_1023:
	s_delay_alu instid0(SALU_CYCLE_1)
	s_and_b32 vcc_lo, exec_lo, s51
	s_cbranch_vccz .LBB93_1027
; %bb.1024:
	s_cmp_eq_u32 s49, 11
	s_cbranch_scc0 .LBB93_1026
; %bb.1025:
	s_wait_loadcnt 0x0
	global_load_u8 v3, v[4:5], off
	s_mov_b32 s27, 0
	s_mov_b32 s50, -1
	s_wait_loadcnt 0x0
	v_cmp_ne_u16_e32 vcc_lo, 0, v3
	v_cndmask_b32_e64 v3, 0, 1.0, vcc_lo
	s_delay_alu instid0(VALU_DEP_1)
	v_lshrrev_b32_e32 v3, 16, v3
	s_branch .LBB93_1027
.LBB93_1026:
	s_mov_b32 s27, -1
                                        ; implicit-def: $vgpr3
.LBB93_1027:
	s_mov_b32 s49, 0
.LBB93_1028:
	s_delay_alu instid0(SALU_CYCLE_1)
	s_and_b32 vcc_lo, exec_lo, s49
	s_cbranch_vccz .LBB93_1077
; %bb.1029:
	s_and_b32 s0, 0xffff, s0
	s_delay_alu instid0(SALU_CYCLE_1)
	s_cmp_lt_i32 s0, 5
	s_cbranch_scc1 .LBB93_1034
; %bb.1030:
	s_cmp_lt_i32 s0, 8
	s_cbranch_scc1 .LBB93_1035
; %bb.1031:
	;; [unrolled: 3-line block ×3, first 2 shown]
	s_cmp_gt_i32 s0, 9
	s_cbranch_scc0 .LBB93_1037
; %bb.1033:
	global_load_b64 v[6:7], v[4:5], off
	s_mov_b32 s49, 0
	s_wait_loadcnt 0x0
	v_cvt_f32_f64_e32 v3, v[6:7]
	s_delay_alu instid0(VALU_DEP_1) | instskip(SKIP_1) | instid1(VALU_DEP_2)
	v_bfe_u32 v6, v3, 16, 1
	v_cmp_o_f32_e32 vcc_lo, v3, v3
	v_add3_u32 v6, v3, v6, 0x7fff
	s_delay_alu instid0(VALU_DEP_1) | instskip(NEXT) | instid1(VALU_DEP_1)
	v_lshrrev_b32_e32 v6, 16, v6
	v_cndmask_b32_e32 v3, 0x7fc0, v6, vcc_lo
	s_branch .LBB93_1038
.LBB93_1034:
	s_mov_b32 s49, -1
                                        ; implicit-def: $vgpr3
	s_branch .LBB93_1056
.LBB93_1035:
	s_mov_b32 s49, -1
                                        ; implicit-def: $vgpr3
	s_branch .LBB93_1044
.LBB93_1036:
	s_mov_b32 s49, -1
                                        ; implicit-def: $vgpr3
	s_branch .LBB93_1041
.LBB93_1037:
	s_mov_b32 s49, -1
                                        ; implicit-def: $vgpr3
.LBB93_1038:
	s_delay_alu instid0(SALU_CYCLE_1)
	s_and_not1_b32 vcc_lo, exec_lo, s49
	s_cbranch_vccnz .LBB93_1040
; %bb.1039:
	s_wait_loadcnt 0x0
	global_load_b32 v3, v[4:5], off
	s_wait_loadcnt 0x0
	s_wait_xcnt 0x1
	v_bfe_u32 v6, v3, 16, 1
	v_cmp_o_f32_e32 vcc_lo, v3, v3
	s_delay_alu instid0(VALU_DEP_2) | instskip(NEXT) | instid1(VALU_DEP_1)
	v_add3_u32 v6, v3, v6, 0x7fff
	v_lshrrev_b32_e32 v6, 16, v6
	s_delay_alu instid0(VALU_DEP_1)
	v_cndmask_b32_e32 v3, 0x7fc0, v6, vcc_lo
.LBB93_1040:
	s_mov_b32 s49, 0
.LBB93_1041:
	s_delay_alu instid0(SALU_CYCLE_1)
	s_and_not1_b32 vcc_lo, exec_lo, s49
	s_cbranch_vccnz .LBB93_1043
; %bb.1042:
	s_wait_loadcnt 0x0
	global_load_b32 v3, v[4:5], off
	s_wait_loadcnt 0x0
	s_wait_xcnt 0x1
	v_cvt_f32_f16_e32 v6, v3
	v_cmp_o_f16_e32 vcc_lo, v3, v3
	s_delay_alu instid0(VALU_DEP_2) | instskip(NEXT) | instid1(VALU_DEP_1)
	v_bfe_u32 v7, v6, 16, 1
	v_add3_u32 v6, v6, v7, 0x7fff
	s_delay_alu instid0(VALU_DEP_1) | instskip(NEXT) | instid1(VALU_DEP_1)
	v_lshrrev_b32_e32 v6, 16, v6
	v_cndmask_b32_e32 v3, 0x7fc0, v6, vcc_lo
.LBB93_1043:
	s_mov_b32 s49, 0
.LBB93_1044:
	s_delay_alu instid0(SALU_CYCLE_1)
	s_and_not1_b32 vcc_lo, exec_lo, s49
	s_cbranch_vccnz .LBB93_1055
; %bb.1045:
	s_cmp_lt_i32 s0, 6
	s_cbranch_scc1 .LBB93_1048
; %bb.1046:
	s_cmp_gt_i32 s0, 6
	s_cbranch_scc0 .LBB93_1049
; %bb.1047:
	global_load_b64 v[6:7], v[4:5], off
	s_mov_b32 s49, 0
	s_wait_loadcnt 0x0
	v_cvt_f32_f64_e32 v3, v[6:7]
	s_delay_alu instid0(VALU_DEP_1) | instskip(SKIP_1) | instid1(VALU_DEP_2)
	v_bfe_u32 v6, v3, 16, 1
	v_cmp_o_f32_e32 vcc_lo, v3, v3
	v_add3_u32 v6, v3, v6, 0x7fff
	s_delay_alu instid0(VALU_DEP_1) | instskip(NEXT) | instid1(VALU_DEP_1)
	v_lshrrev_b32_e32 v6, 16, v6
	v_cndmask_b32_e32 v3, 0x7fc0, v6, vcc_lo
	s_branch .LBB93_1050
.LBB93_1048:
	s_mov_b32 s49, -1
                                        ; implicit-def: $vgpr3
	s_branch .LBB93_1053
.LBB93_1049:
	s_mov_b32 s49, -1
                                        ; implicit-def: $vgpr3
.LBB93_1050:
	s_delay_alu instid0(SALU_CYCLE_1)
	s_and_not1_b32 vcc_lo, exec_lo, s49
	s_cbranch_vccnz .LBB93_1052
; %bb.1051:
	s_wait_loadcnt 0x0
	global_load_b32 v3, v[4:5], off
	s_wait_loadcnt 0x0
	s_wait_xcnt 0x1
	v_bfe_u32 v6, v3, 16, 1
	v_cmp_o_f32_e32 vcc_lo, v3, v3
	s_delay_alu instid0(VALU_DEP_2) | instskip(NEXT) | instid1(VALU_DEP_1)
	v_add3_u32 v6, v3, v6, 0x7fff
	v_lshrrev_b32_e32 v6, 16, v6
	s_delay_alu instid0(VALU_DEP_1)
	v_cndmask_b32_e32 v3, 0x7fc0, v6, vcc_lo
.LBB93_1052:
	s_mov_b32 s49, 0
.LBB93_1053:
	s_delay_alu instid0(SALU_CYCLE_1)
	s_and_not1_b32 vcc_lo, exec_lo, s49
	s_cbranch_vccnz .LBB93_1055
; %bb.1054:
	s_wait_loadcnt 0x0
	global_load_u16 v3, v[4:5], off
	s_wait_loadcnt 0x0
	s_wait_xcnt 0x1
	v_cvt_f32_f16_e32 v6, v3
	v_cmp_o_f16_e32 vcc_lo, v3, v3
	s_delay_alu instid0(VALU_DEP_2) | instskip(NEXT) | instid1(VALU_DEP_1)
	v_bfe_u32 v7, v6, 16, 1
	v_add3_u32 v6, v6, v7, 0x7fff
	s_delay_alu instid0(VALU_DEP_1) | instskip(NEXT) | instid1(VALU_DEP_1)
	v_lshrrev_b32_e32 v6, 16, v6
	v_cndmask_b32_e32 v3, 0x7fc0, v6, vcc_lo
.LBB93_1055:
	s_mov_b32 s49, 0
.LBB93_1056:
	s_delay_alu instid0(SALU_CYCLE_1)
	s_and_not1_b32 vcc_lo, exec_lo, s49
	s_cbranch_vccnz .LBB93_1076
; %bb.1057:
	s_cmp_lt_i32 s0, 2
	s_cbranch_scc1 .LBB93_1061
; %bb.1058:
	s_cmp_lt_i32 s0, 3
	s_cbranch_scc1 .LBB93_1062
; %bb.1059:
	s_cmp_gt_i32 s0, 3
	s_cbranch_scc0 .LBB93_1063
; %bb.1060:
	global_load_b64 v[6:7], v[4:5], off
	s_mov_b32 s49, 0
	s_wait_loadcnt 0x0
	v_xor_b32_e32 v3, v6, v7
	v_cls_i32_e32 v8, v7
	s_delay_alu instid0(VALU_DEP_2) | instskip(NEXT) | instid1(VALU_DEP_1)
	v_ashrrev_i32_e32 v3, 31, v3
	v_add_nc_u32_e32 v3, 32, v3
	s_delay_alu instid0(VALU_DEP_1) | instskip(NEXT) | instid1(VALU_DEP_1)
	v_add_min_u32_e64 v3, v8, -1, v3
	v_lshlrev_b64_e32 v[6:7], v3, v[6:7]
	v_sub_nc_u32_e32 v3, 32, v3
	s_delay_alu instid0(VALU_DEP_2) | instskip(NEXT) | instid1(VALU_DEP_1)
	v_min_u32_e32 v6, 1, v6
	v_or_b32_e32 v6, v7, v6
	s_delay_alu instid0(VALU_DEP_1) | instskip(NEXT) | instid1(VALU_DEP_1)
	v_cvt_f32_i32_e32 v6, v6
	v_ldexp_f32 v3, v6, v3
	s_delay_alu instid0(VALU_DEP_1) | instskip(NEXT) | instid1(VALU_DEP_1)
	v_bfe_u32 v6, v3, 16, 1
	v_add3_u32 v3, v3, v6, 0x7fff
	s_delay_alu instid0(VALU_DEP_1)
	v_lshrrev_b32_e32 v3, 16, v3
	s_branch .LBB93_1064
.LBB93_1061:
	s_mov_b32 s49, -1
                                        ; implicit-def: $vgpr3
	s_branch .LBB93_1070
.LBB93_1062:
	s_mov_b32 s49, -1
                                        ; implicit-def: $vgpr3
	s_branch .LBB93_1067
.LBB93_1063:
	s_mov_b32 s49, -1
                                        ; implicit-def: $vgpr3
.LBB93_1064:
	s_delay_alu instid0(SALU_CYCLE_1)
	s_and_not1_b32 vcc_lo, exec_lo, s49
	s_cbranch_vccnz .LBB93_1066
; %bb.1065:
	s_wait_loadcnt 0x0
	global_load_b32 v3, v[4:5], off
	s_wait_loadcnt 0x0
	v_cvt_f32_i32_e32 v3, v3
	s_wait_xcnt 0x1
	s_delay_alu instid0(VALU_DEP_1) | instskip(NEXT) | instid1(VALU_DEP_1)
	v_bfe_u32 v6, v3, 16, 1
	v_add3_u32 v3, v3, v6, 0x7fff
	s_delay_alu instid0(VALU_DEP_1)
	v_lshrrev_b32_e32 v3, 16, v3
.LBB93_1066:
	s_mov_b32 s49, 0
.LBB93_1067:
	s_delay_alu instid0(SALU_CYCLE_1)
	s_and_not1_b32 vcc_lo, exec_lo, s49
	s_cbranch_vccnz .LBB93_1069
; %bb.1068:
	s_wait_loadcnt 0x0
	global_load_i16 v3, v[4:5], off
	s_wait_loadcnt 0x0
	v_cvt_f32_i32_e32 v3, v3
	s_wait_xcnt 0x1
	s_delay_alu instid0(VALU_DEP_1) | instskip(NEXT) | instid1(VALU_DEP_1)
	v_bfe_u32 v6, v3, 16, 1
	v_add3_u32 v3, v3, v6, 0x7fff
	s_delay_alu instid0(VALU_DEP_1)
	v_lshrrev_b32_e32 v3, 16, v3
.LBB93_1069:
	s_mov_b32 s49, 0
.LBB93_1070:
	s_delay_alu instid0(SALU_CYCLE_1)
	s_and_not1_b32 vcc_lo, exec_lo, s49
	s_cbranch_vccnz .LBB93_1076
; %bb.1071:
	s_cmp_gt_i32 s0, 0
	s_mov_b32 s0, 0
	s_cbranch_scc0 .LBB93_1073
; %bb.1072:
	s_wait_loadcnt 0x0
	global_load_i8 v3, v[4:5], off
	s_wait_loadcnt 0x0
	v_cvt_f32_i32_e32 v3, v3
	s_wait_xcnt 0x1
	s_delay_alu instid0(VALU_DEP_1) | instskip(NEXT) | instid1(VALU_DEP_1)
	v_bfe_u32 v6, v3, 16, 1
	v_add3_u32 v3, v3, v6, 0x7fff
	s_delay_alu instid0(VALU_DEP_1)
	v_lshrrev_b32_e32 v3, 16, v3
	s_branch .LBB93_1074
.LBB93_1073:
	s_mov_b32 s0, -1
                                        ; implicit-def: $vgpr3
.LBB93_1074:
	s_delay_alu instid0(SALU_CYCLE_1)
	s_and_not1_b32 vcc_lo, exec_lo, s0
	s_cbranch_vccnz .LBB93_1076
; %bb.1075:
	s_wait_loadcnt 0x0
	global_load_u8 v3, v[4:5], off
	s_wait_loadcnt 0x0
	v_cvt_f32_ubyte0_e32 v3, v3
	s_wait_xcnt 0x0
	s_delay_alu instid0(VALU_DEP_1) | instskip(NEXT) | instid1(VALU_DEP_1)
	v_bfe_u32 v4, v3, 16, 1
	v_add3_u32 v3, v3, v4, 0x7fff
	s_delay_alu instid0(VALU_DEP_1)
	v_lshrrev_b32_e32 v3, 16, v3
.LBB93_1076:
	s_mov_b32 s50, -1
.LBB93_1077:
	s_delay_alu instid0(SALU_CYCLE_1)
	s_and_not1_b32 vcc_lo, exec_lo, s50
	s_cbranch_vccnz .LBB93_1087
; %bb.1078:
	s_wait_loadcnt 0x0
	v_dual_lshlrev_b32 v3, 16, v3 :: v_dual_lshlrev_b32 v1, 16, v1
	s_mov_b32 s0, exec_lo
	s_delay_alu instid0(VALU_DEP_1) | instskip(SKIP_1) | instid1(VALU_DEP_1)
	v_mul_f32_e32 v3, s10, v3
	s_wait_xcnt 0x0
	v_cmpx_nlt_f32_e32 s11, v3
	s_cbranch_execz .LBB93_1080
; %bb.1079:
	v_mul_f32_e32 v4, 0x3fb8aa3b, v3
	v_cmp_ngt_f32_e32 vcc_lo, 0xc2ce8ed0, v3
	s_delay_alu instid0(VALU_DEP_2) | instskip(SKIP_1) | instid1(VALU_DEP_2)
	v_rndne_f32_e32 v5, v4
	v_fma_f32 v6, 0x3fb8aa3b, v3, -v4
	v_sub_f32_e32 v4, v4, v5
	s_delay_alu instid0(VALU_DEP_2) | instskip(SKIP_1) | instid1(VALU_DEP_2)
	v_fmamk_f32 v6, v3, 0x32a5705f, v6
	v_cvt_i32_f32_e32 v5, v5
	v_add_f32_e32 v4, v4, v6
	s_delay_alu instid0(VALU_DEP_1) | instskip(SKIP_1) | instid1(TRANS32_DEP_1)
	v_exp_f32_e32 v4, v4
	v_nop
	v_ldexp_f32 v4, v4, v5
	s_delay_alu instid0(VALU_DEP_1) | instskip(SKIP_1) | instid1(VALU_DEP_2)
	v_cndmask_b32_e32 v4, 0, v4, vcc_lo
	v_cmp_nlt_f32_e32 vcc_lo, 0x42b17218, v3
	v_cndmask_b32_e32 v3, 0x7f800000, v4, vcc_lo
	s_delay_alu instid0(VALU_DEP_1) | instskip(NEXT) | instid1(VALU_DEP_1)
	v_dual_mul_f32 v1, v3, v1 :: v_dual_add_f32 v3, 1.0, v3
	v_div_scale_f32 v4, null, v3, v3, v1
	s_delay_alu instid0(VALU_DEP_1) | instskip(SKIP_1) | instid1(TRANS32_DEP_1)
	v_rcp_f32_e32 v5, v4
	v_nop
	v_fma_f32 v6, -v4, v5, 1.0
	s_delay_alu instid0(VALU_DEP_1) | instskip(SKIP_1) | instid1(VALU_DEP_1)
	v_fmac_f32_e32 v5, v6, v5
	v_div_scale_f32 v6, vcc_lo, v1, v3, v1
	v_mul_f32_e32 v7, v6, v5
	s_delay_alu instid0(VALU_DEP_1) | instskip(NEXT) | instid1(VALU_DEP_1)
	v_fma_f32 v8, -v4, v7, v6
	v_fmac_f32_e32 v7, v8, v5
	s_delay_alu instid0(VALU_DEP_1) | instskip(NEXT) | instid1(VALU_DEP_1)
	v_fma_f32 v4, -v4, v7, v6
	v_div_fmas_f32 v4, v4, v5, v7
	s_delay_alu instid0(VALU_DEP_1)
	v_div_fixup_f32 v1, v4, v3, v1
.LBB93_1080:
	s_or_b32 exec_lo, exec_lo, s0
	s_delay_alu instid0(VALU_DEP_1) | instskip(SKIP_2) | instid1(SALU_CYCLE_1)
	v_bfe_u32 v3, v1, 16, 1
	v_cmp_o_f32_e32 vcc_lo, v1, v1
	s_and_b32 s49, s34, 0xff
	s_cmp_lt_i32 s49, 11
	s_delay_alu instid0(VALU_DEP_2) | instskip(NEXT) | instid1(VALU_DEP_1)
	v_add3_u32 v4, v1, v3, 0x7fff
	v_dual_mov_b32 v3, 0 :: v_dual_lshrrev_b32 v4, 16, v4
	s_delay_alu instid0(VALU_DEP_1) | instskip(NEXT) | instid1(VALU_DEP_2)
	v_add_nc_u64_e32 v[2:3], s[4:5], v[2:3]
	v_cndmask_b32_e32 v1, 0x7fc0, v4, vcc_lo
	s_cbranch_scc1 .LBB93_1088
; %bb.1081:
	s_and_b32 s50, 0xffff, s49
	s_delay_alu instid0(SALU_CYCLE_1)
	s_cmp_gt_i32 s50, 25
	s_cbranch_scc0 .LBB93_1089
; %bb.1082:
	s_cmp_gt_i32 s50, 28
	s_cbranch_scc0 .LBB93_1090
; %bb.1083:
	;; [unrolled: 3-line block ×4, first 2 shown]
	s_mov_b32 s52, 0
	s_mov_b32 s0, -1
	s_cmp_eq_u32 s50, 46
	s_mov_b32 s51, 0
	s_cbranch_scc0 .LBB93_1093
; %bb.1086:
	v_and_b32_e32 v4, 0xffff, v1
	s_mov_b32 s51, -1
	s_mov_b32 s0, 0
	global_store_b32 v[2:3], v4, off
	s_branch .LBB93_1093
.LBB93_1087:
	s_mov_b32 s52, 0
	s_mov_b32 s0, s45
	s_branch .LBB93_1204
.LBB93_1088:
	s_mov_b32 s50, -1
	s_mov_b32 s51, 0
	s_mov_b32 s0, s45
	s_branch .LBB93_1162
.LBB93_1089:
	s_mov_b32 s52, -1
	s_mov_b32 s51, 0
	s_mov_b32 s0, s45
	s_branch .LBB93_1120
.LBB93_1090:
	s_mov_b32 s52, -1
	s_mov_b32 s51, 0
	s_mov_b32 s0, s45
	s_branch .LBB93_1103
.LBB93_1091:
	s_mov_b32 s52, -1
	s_mov_b32 s51, 0
	s_mov_b32 s0, s45
	s_branch .LBB93_1099
.LBB93_1092:
	s_mov_b32 s52, -1
	s_mov_b32 s51, 0
	s_mov_b32 s0, s45
.LBB93_1093:
	s_and_b32 vcc_lo, exec_lo, s52
	s_cbranch_vccz .LBB93_1098
; %bb.1094:
	s_cmp_eq_u32 s50, 44
	s_mov_b32 s0, -1
	s_cbranch_scc0 .LBB93_1098
; %bb.1095:
	s_wait_xcnt 0x0
	v_and_b32_e32 v4, 0xffff, v1
	v_mov_b32_e32 v5, 0xff
	s_mov_b32 s51, exec_lo
	s_delay_alu instid0(VALU_DEP_2) | instskip(NEXT) | instid1(VALU_DEP_1)
	v_bfe_u32 v6, v4, 7, 8
	v_cmpx_ne_u32_e32 0xff, v6
	s_cbranch_execz .LBB93_1097
; %bb.1096:
	v_dual_lshlrev_b32 v5, 16, v4 :: v_dual_bitop2_b32 v7, 64, v4 bitop3:0x40
	v_lshrrev_b32_e32 v4, 7, v4
	s_delay_alu instid0(VALU_DEP_2) | instskip(NEXT) | instid1(VALU_DEP_3)
	v_and_or_b32 v5, 0x3f0000, v5, v6
	v_cmp_ne_u32_e32 vcc_lo, 0, v7
	s_delay_alu instid0(VALU_DEP_2) | instskip(SKIP_1) | instid1(SALU_CYCLE_1)
	v_cmp_ne_u32_e64 s0, 0, v5
	s_and_b32 s0, vcc_lo, s0
	v_cndmask_b32_e64 v5, 0, 1, s0
	s_delay_alu instid0(VALU_DEP_1)
	v_add_nc_u32_e32 v5, v4, v5
.LBB93_1097:
	s_or_b32 exec_lo, exec_lo, s51
	s_mov_b32 s51, -1
	s_mov_b32 s0, 0
	global_store_b8 v[2:3], v5, off
.LBB93_1098:
	s_mov_b32 s52, 0
.LBB93_1099:
	s_delay_alu instid0(SALU_CYCLE_1)
	s_and_b32 vcc_lo, exec_lo, s52
	s_cbranch_vccz .LBB93_1102
; %bb.1100:
	s_cmp_eq_u32 s50, 29
	s_mov_b32 s0, -1
	s_cbranch_scc0 .LBB93_1102
; %bb.1101:
	s_wait_xcnt 0x0
	v_lshlrev_b32_e32 v4, 16, v1
	s_mov_b32 s51, -1
	s_mov_b32 s0, 0
	s_mov_b32 s52, 0
	s_delay_alu instid0(VALU_DEP_1) | instskip(NEXT) | instid1(VALU_DEP_1)
	v_trunc_f32_e32 v4, v4
	v_mul_f32_e32 v5, 0x2f800000, v4
	s_delay_alu instid0(VALU_DEP_1) | instskip(NEXT) | instid1(VALU_DEP_1)
	v_floor_f32_e32 v5, v5
	v_fmamk_f32 v4, v5, 0xcf800000, v4
	v_cvt_u32_f32_e32 v5, v5
	s_delay_alu instid0(VALU_DEP_2)
	v_cvt_u32_f32_e32 v4, v4
	global_store_b64 v[2:3], v[4:5], off
	s_branch .LBB93_1103
.LBB93_1102:
	s_mov_b32 s52, 0
.LBB93_1103:
	s_delay_alu instid0(SALU_CYCLE_1)
	s_and_b32 vcc_lo, exec_lo, s52
	s_cbranch_vccz .LBB93_1119
; %bb.1104:
	s_cmp_lt_i32 s50, 27
	s_mov_b32 s51, -1
	s_cbranch_scc1 .LBB93_1110
; %bb.1105:
	s_cmp_gt_i32 s50, 27
	s_cbranch_scc0 .LBB93_1107
; %bb.1106:
	s_wait_xcnt 0x0
	v_lshlrev_b32_e32 v4, 16, v1
	s_mov_b32 s51, 0
	s_delay_alu instid0(VALU_DEP_1)
	v_cvt_u32_f32_e32 v4, v4
	global_store_b32 v[2:3], v4, off
.LBB93_1107:
	s_and_not1_b32 vcc_lo, exec_lo, s51
	s_cbranch_vccnz .LBB93_1109
; %bb.1108:
	s_wait_xcnt 0x0
	v_lshlrev_b32_e32 v4, 16, v1
	s_delay_alu instid0(VALU_DEP_1)
	v_cvt_u32_f32_e32 v4, v4
	global_store_b16 v[2:3], v4, off
.LBB93_1109:
	s_mov_b32 s51, 0
.LBB93_1110:
	s_delay_alu instid0(SALU_CYCLE_1)
	s_and_not1_b32 vcc_lo, exec_lo, s51
	s_cbranch_vccnz .LBB93_1118
; %bb.1111:
	v_dual_mov_b32 v7, 0x80 :: v_dual_lshlrev_b32 v6, 16, v1
	s_mov_b32 s51, exec_lo
	s_wait_xcnt 0x0
	s_delay_alu instid0(VALU_DEP_1) | instskip(NEXT) | instid1(VALU_DEP_1)
	v_and_b32_e32 v5, 0x7fffffff, v6
	v_cmpx_gt_u32_e32 0x43800000, v5
	s_cbranch_execz .LBB93_1117
; %bb.1112:
	v_and_b32_e32 v4, 0xffff, v1
	v_cmp_lt_u32_e32 vcc_lo, 0x3bffffff, v5
	s_mov_b32 s52, 0
                                        ; implicit-def: $vgpr5
	s_and_saveexec_b32 s53, vcc_lo
	s_delay_alu instid0(SALU_CYCLE_1)
	s_xor_b32 s53, exec_lo, s53
	s_cbranch_execz .LBB93_1232
; %bb.1113:
	v_bfe_u32 v5, v4, 4, 1
	s_mov_b32 s52, exec_lo
	s_delay_alu instid0(VALU_DEP_1) | instskip(NEXT) | instid1(VALU_DEP_1)
	v_add3_u32 v5, v6, v5, 0x487ffff
                                        ; implicit-def: $vgpr6
	v_lshrrev_b32_e32 v5, 20, v5
	s_and_not1_saveexec_b32 s53, s53
	s_cbranch_execnz .LBB93_1233
.LBB93_1114:
	s_or_b32 exec_lo, exec_lo, s53
	v_mov_b32_e32 v7, 0
	s_and_saveexec_b32 s53, s52
.LBB93_1115:
	v_lshrrev_b32_e32 v4, 8, v4
	s_delay_alu instid0(VALU_DEP_1)
	v_and_or_b32 v7, 0x80, v4, v5
.LBB93_1116:
	s_or_b32 exec_lo, exec_lo, s53
.LBB93_1117:
	s_delay_alu instid0(SALU_CYCLE_1)
	s_or_b32 exec_lo, exec_lo, s51
	global_store_b8 v[2:3], v7, off
.LBB93_1118:
	s_mov_b32 s51, -1
.LBB93_1119:
	s_mov_b32 s52, 0
.LBB93_1120:
	s_delay_alu instid0(SALU_CYCLE_1)
	s_and_b32 vcc_lo, exec_lo, s52
	s_cbranch_vccz .LBB93_1161
; %bb.1121:
	s_cmp_gt_i32 s50, 22
	s_mov_b32 s52, -1
	s_cbranch_scc0 .LBB93_1153
; %bb.1122:
	s_cmp_lt_i32 s50, 24
	s_mov_b32 s51, -1
	s_cbranch_scc1 .LBB93_1142
; %bb.1123:
	s_cmp_gt_i32 s50, 24
	s_cbranch_scc0 .LBB93_1131
; %bb.1124:
	s_wait_xcnt 0x0
	v_dual_mov_b32 v7, 0x80 :: v_dual_lshlrev_b32 v6, 16, v1
	s_mov_b32 s51, exec_lo
	s_delay_alu instid0(VALU_DEP_1) | instskip(NEXT) | instid1(VALU_DEP_1)
	v_and_b32_e32 v5, 0x7fffffff, v6
	v_cmpx_gt_u32_e32 0x47800000, v5
	s_cbranch_execz .LBB93_1130
; %bb.1125:
	v_and_b32_e32 v4, 0xffff, v1
	v_cmp_lt_u32_e32 vcc_lo, 0x37ffffff, v5
	s_mov_b32 s52, 0
                                        ; implicit-def: $vgpr5
	s_and_saveexec_b32 s53, vcc_lo
	s_delay_alu instid0(SALU_CYCLE_1)
	s_xor_b32 s53, exec_lo, s53
	s_cbranch_execz .LBB93_2310
; %bb.1126:
	v_bfe_u32 v5, v4, 5, 1
	s_mov_b32 s52, exec_lo
	s_delay_alu instid0(VALU_DEP_1) | instskip(NEXT) | instid1(VALU_DEP_1)
	v_add3_u32 v5, v6, v5, 0x88fffff
                                        ; implicit-def: $vgpr6
	v_lshrrev_b32_e32 v5, 21, v5
	s_and_not1_saveexec_b32 s53, s53
	s_cbranch_execnz .LBB93_2311
.LBB93_1127:
	s_or_b32 exec_lo, exec_lo, s53
	v_mov_b32_e32 v7, 0
	s_and_saveexec_b32 s53, s52
.LBB93_1128:
	v_lshrrev_b32_e32 v4, 8, v4
	s_delay_alu instid0(VALU_DEP_1)
	v_and_or_b32 v7, 0x80, v4, v5
.LBB93_1129:
	s_or_b32 exec_lo, exec_lo, s53
.LBB93_1130:
	s_delay_alu instid0(SALU_CYCLE_1)
	s_or_b32 exec_lo, exec_lo, s51
	s_mov_b32 s51, 0
	global_store_b8 v[2:3], v7, off
.LBB93_1131:
	s_and_b32 vcc_lo, exec_lo, s51
	s_cbranch_vccz .LBB93_1141
; %bb.1132:
	v_lshlrev_b32_e32 v6, 16, v1
	s_wait_xcnt 0x0
	v_and_b32_e32 v4, 0xffff, v1
	s_mov_b32 s51, exec_lo
                                        ; implicit-def: $vgpr5
	s_delay_alu instid0(VALU_DEP_2) | instskip(NEXT) | instid1(VALU_DEP_1)
	v_and_b32_e32 v7, 0x7fffffff, v6
	v_cmpx_gt_u32_e32 0x43f00000, v7
	s_xor_b32 s51, exec_lo, s51
	s_cbranch_execz .LBB93_1138
; %bb.1133:
	s_mov_b32 s52, exec_lo
                                        ; implicit-def: $vgpr5
	v_cmpx_lt_u32_e32 0x3c7fffff, v7
	s_xor_b32 s52, exec_lo, s52
; %bb.1134:
	v_bfe_u32 v5, v4, 4, 1
	s_delay_alu instid0(VALU_DEP_1) | instskip(NEXT) | instid1(VALU_DEP_1)
	v_add3_u32 v5, v6, v5, 0x407ffff
	v_and_b32_e32 v6, 0xff00000, v5
	v_lshrrev_b32_e32 v5, 20, v5
	s_delay_alu instid0(VALU_DEP_2) | instskip(NEXT) | instid1(VALU_DEP_2)
	v_cmp_ne_u32_e32 vcc_lo, 0x7f00000, v6
                                        ; implicit-def: $vgpr6
	v_cndmask_b32_e32 v5, 0x7e, v5, vcc_lo
; %bb.1135:
	s_and_not1_saveexec_b32 s52, s52
; %bb.1136:
	v_add_f32_e64 v5, 0x46800000, |v6|
; %bb.1137:
	s_or_b32 exec_lo, exec_lo, s52
                                        ; implicit-def: $vgpr7
.LBB93_1138:
	s_and_not1_saveexec_b32 s51, s51
; %bb.1139:
	v_mov_b32_e32 v5, 0x7f
	v_cmp_lt_u32_e32 vcc_lo, 0x7f800000, v7
	s_delay_alu instid0(VALU_DEP_2)
	v_cndmask_b32_e32 v5, 0x7e, v5, vcc_lo
; %bb.1140:
	s_or_b32 exec_lo, exec_lo, s51
	v_lshrrev_b32_e32 v4, 8, v4
	s_delay_alu instid0(VALU_DEP_1)
	v_and_or_b32 v4, 0x80, v4, v5
	global_store_b8 v[2:3], v4, off
.LBB93_1141:
	s_mov_b32 s51, 0
.LBB93_1142:
	s_delay_alu instid0(SALU_CYCLE_1)
	s_and_not1_b32 vcc_lo, exec_lo, s51
	s_cbranch_vccnz .LBB93_1152
; %bb.1143:
	v_lshlrev_b32_e32 v6, 16, v1
	s_wait_xcnt 0x0
	v_and_b32_e32 v4, 0xffff, v1
	s_mov_b32 s51, exec_lo
                                        ; implicit-def: $vgpr5
	s_delay_alu instid0(VALU_DEP_2) | instskip(NEXT) | instid1(VALU_DEP_1)
	v_and_b32_e32 v7, 0x7fffffff, v6
	v_cmpx_gt_u32_e32 0x47800000, v7
	s_xor_b32 s51, exec_lo, s51
	s_cbranch_execz .LBB93_1149
; %bb.1144:
	s_mov_b32 s52, exec_lo
                                        ; implicit-def: $vgpr5
	v_cmpx_lt_u32_e32 0x387fffff, v7
	s_xor_b32 s52, exec_lo, s52
; %bb.1145:
	v_bfe_u32 v5, v4, 5, 1
	s_delay_alu instid0(VALU_DEP_1) | instskip(NEXT) | instid1(VALU_DEP_1)
	v_add3_u32 v5, v6, v5, 0x80fffff
                                        ; implicit-def: $vgpr6
	v_lshrrev_b32_e32 v5, 21, v5
; %bb.1146:
	s_and_not1_saveexec_b32 s52, s52
; %bb.1147:
	v_add_f32_e64 v5, 0x43000000, |v6|
; %bb.1148:
	s_or_b32 exec_lo, exec_lo, s52
                                        ; implicit-def: $vgpr7
.LBB93_1149:
	s_and_not1_saveexec_b32 s51, s51
; %bb.1150:
	v_mov_b32_e32 v5, 0x7f
	v_cmp_lt_u32_e32 vcc_lo, 0x7f800000, v7
	s_delay_alu instid0(VALU_DEP_2)
	v_cndmask_b32_e32 v5, 0x7c, v5, vcc_lo
; %bb.1151:
	s_or_b32 exec_lo, exec_lo, s51
	v_lshrrev_b32_e32 v4, 8, v4
	s_delay_alu instid0(VALU_DEP_1)
	v_and_or_b32 v4, 0x80, v4, v5
	global_store_b8 v[2:3], v4, off
.LBB93_1152:
	s_mov_b32 s52, 0
	s_mov_b32 s51, -1
.LBB93_1153:
	s_and_not1_b32 vcc_lo, exec_lo, s52
	s_cbranch_vccnz .LBB93_1161
; %bb.1154:
	s_cmp_gt_i32 s50, 14
	s_mov_b32 s52, -1
	s_cbranch_scc0 .LBB93_1158
; %bb.1155:
	s_cmp_eq_u32 s50, 15
	s_mov_b32 s0, -1
	s_cbranch_scc0 .LBB93_1157
; %bb.1156:
	s_mov_b32 s51, -1
	s_mov_b32 s0, 0
	global_store_b16 v[2:3], v1, off
.LBB93_1157:
	s_mov_b32 s52, 0
.LBB93_1158:
	s_delay_alu instid0(SALU_CYCLE_1)
	s_and_b32 vcc_lo, exec_lo, s52
	s_cbranch_vccz .LBB93_1161
; %bb.1159:
	s_cmp_eq_u32 s50, 11
	s_mov_b32 s0, -1
	s_cbranch_scc0 .LBB93_1161
; %bb.1160:
	s_wait_xcnt 0x0
	v_and_b32_e32 v4, 0x7fff, v1
	s_mov_b32 s0, 0
	s_mov_b32 s51, -1
	s_delay_alu instid0(VALU_DEP_1)
	v_cmp_ne_u16_e32 vcc_lo, 0, v4
	v_cndmask_b32_e64 v4, 0, 1, vcc_lo
	global_store_b8 v[2:3], v4, off
.LBB93_1161:
	s_mov_b32 s50, 0
.LBB93_1162:
	s_delay_alu instid0(SALU_CYCLE_1)
	s_and_b32 vcc_lo, exec_lo, s50
	s_cbranch_vccz .LBB93_1201
; %bb.1163:
	s_and_b32 s49, 0xffff, s49
	s_mov_b32 s50, -1
	s_cmp_lt_i32 s49, 5
	s_cbranch_scc1 .LBB93_1184
; %bb.1164:
	s_cmp_lt_i32 s49, 8
	s_cbranch_scc1 .LBB93_1174
; %bb.1165:
	;; [unrolled: 3-line block ×3, first 2 shown]
	s_cmp_gt_i32 s49, 9
	s_cbranch_scc0 .LBB93_1168
; %bb.1167:
	s_wait_xcnt 0x0
	v_dual_lshlrev_b32 v4, 16, v1 :: v_dual_mov_b32 v6, 0
	s_mov_b32 s50, 0
	s_delay_alu instid0(VALU_DEP_1) | instskip(NEXT) | instid1(VALU_DEP_2)
	v_cvt_f64_f32_e32 v[4:5], v4
	v_mov_b32_e32 v7, v6
	global_store_b128 v[2:3], v[4:7], off
.LBB93_1168:
	s_and_not1_b32 vcc_lo, exec_lo, s50
	s_cbranch_vccnz .LBB93_1170
; %bb.1169:
	s_wait_xcnt 0x0
	v_dual_mov_b32 v5, 0 :: v_dual_lshlrev_b32 v4, 16, v1
	global_store_b64 v[2:3], v[4:5], off
.LBB93_1170:
	s_mov_b32 s50, 0
.LBB93_1171:
	s_delay_alu instid0(SALU_CYCLE_1)
	s_and_not1_b32 vcc_lo, exec_lo, s50
	s_cbranch_vccnz .LBB93_1173
; %bb.1172:
	s_wait_xcnt 0x0
	v_lshlrev_b32_e32 v4, 16, v1
	s_delay_alu instid0(VALU_DEP_1) | instskip(NEXT) | instid1(VALU_DEP_1)
	v_cvt_f16_f32_e32 v4, v4
	v_and_b32_e32 v4, 0xffff, v4
	global_store_b32 v[2:3], v4, off
.LBB93_1173:
	s_mov_b32 s50, 0
.LBB93_1174:
	s_delay_alu instid0(SALU_CYCLE_1)
	s_and_not1_b32 vcc_lo, exec_lo, s50
	s_cbranch_vccnz .LBB93_1183
; %bb.1175:
	s_cmp_lt_i32 s49, 6
	s_mov_b32 s50, -1
	s_cbranch_scc1 .LBB93_1181
; %bb.1176:
	s_cmp_gt_i32 s49, 6
	s_cbranch_scc0 .LBB93_1178
; %bb.1177:
	s_wait_xcnt 0x0
	v_lshlrev_b32_e32 v4, 16, v1
	s_mov_b32 s50, 0
	s_delay_alu instid0(VALU_DEP_1)
	v_cvt_f64_f32_e32 v[4:5], v4
	global_store_b64 v[2:3], v[4:5], off
.LBB93_1178:
	s_and_not1_b32 vcc_lo, exec_lo, s50
	s_cbranch_vccnz .LBB93_1180
; %bb.1179:
	s_wait_xcnt 0x0
	v_lshlrev_b32_e32 v4, 16, v1
	global_store_b32 v[2:3], v4, off
.LBB93_1180:
	s_mov_b32 s50, 0
.LBB93_1181:
	s_delay_alu instid0(SALU_CYCLE_1)
	s_and_not1_b32 vcc_lo, exec_lo, s50
	s_cbranch_vccnz .LBB93_1183
; %bb.1182:
	s_wait_xcnt 0x0
	v_lshlrev_b32_e32 v4, 16, v1
	s_delay_alu instid0(VALU_DEP_1)
	v_cvt_f16_f32_e32 v4, v4
	global_store_b16 v[2:3], v4, off
.LBB93_1183:
	s_mov_b32 s50, 0
.LBB93_1184:
	s_delay_alu instid0(SALU_CYCLE_1)
	s_and_not1_b32 vcc_lo, exec_lo, s50
	s_cbranch_vccnz .LBB93_1200
; %bb.1185:
	s_cmp_lt_i32 s49, 2
	s_mov_b32 s50, -1
	s_cbranch_scc1 .LBB93_1195
; %bb.1186:
	s_cmp_lt_i32 s49, 3
	s_cbranch_scc1 .LBB93_1192
; %bb.1187:
	s_cmp_gt_i32 s49, 3
	s_cbranch_scc0 .LBB93_1189
; %bb.1188:
	s_wait_xcnt 0x0
	v_lshlrev_b32_e32 v4, 16, v1
	s_mov_b32 s50, 0
	s_delay_alu instid0(VALU_DEP_1) | instskip(NEXT) | instid1(VALU_DEP_1)
	v_trunc_f32_e32 v4, v4
	v_mul_f32_e64 v5, 0x2f800000, |v4|
	s_delay_alu instid0(VALU_DEP_1) | instskip(NEXT) | instid1(VALU_DEP_1)
	v_floor_f32_e32 v5, v5
	v_fma_f32 v6, 0xcf800000, v5, |v4|
	v_ashrrev_i32_e32 v4, 31, v4
	v_cvt_u32_f32_e32 v7, v5
	s_delay_alu instid0(VALU_DEP_3) | instskip(NEXT) | instid1(VALU_DEP_2)
	v_cvt_u32_f32_e32 v6, v6
	v_dual_mov_b32 v5, v4 :: v_dual_bitop2_b32 v7, v7, v4 bitop3:0x14
	s_delay_alu instid0(VALU_DEP_2) | instskip(NEXT) | instid1(VALU_DEP_1)
	v_xor_b32_e32 v6, v6, v4
	v_sub_nc_u64_e32 v[4:5], v[6:7], v[4:5]
	global_store_b64 v[2:3], v[4:5], off
.LBB93_1189:
	s_and_not1_b32 vcc_lo, exec_lo, s50
	s_cbranch_vccnz .LBB93_1191
; %bb.1190:
	s_wait_xcnt 0x0
	v_lshlrev_b32_e32 v4, 16, v1
	s_delay_alu instid0(VALU_DEP_1)
	v_cvt_i32_f32_e32 v4, v4
	global_store_b32 v[2:3], v4, off
.LBB93_1191:
	s_mov_b32 s50, 0
.LBB93_1192:
	s_delay_alu instid0(SALU_CYCLE_1)
	s_and_not1_b32 vcc_lo, exec_lo, s50
	s_cbranch_vccnz .LBB93_1194
; %bb.1193:
	s_wait_xcnt 0x0
	v_lshlrev_b32_e32 v4, 16, v1
	s_delay_alu instid0(VALU_DEP_1)
	v_cvt_i32_f32_e32 v4, v4
	global_store_b16 v[2:3], v4, off
.LBB93_1194:
	s_mov_b32 s50, 0
.LBB93_1195:
	s_delay_alu instid0(SALU_CYCLE_1)
	s_and_not1_b32 vcc_lo, exec_lo, s50
	s_cbranch_vccnz .LBB93_1200
; %bb.1196:
	s_wait_xcnt 0x0
	v_lshlrev_b32_e32 v1, 16, v1
	s_cmp_gt_i32 s49, 0
	s_mov_b32 s49, -1
	s_cbranch_scc0 .LBB93_1198
; %bb.1197:
	s_delay_alu instid0(VALU_DEP_1)
	v_cvt_i32_f32_e32 v4, v1
	s_mov_b32 s49, 0
	global_store_b8 v[2:3], v4, off
.LBB93_1198:
	s_and_not1_b32 vcc_lo, exec_lo, s49
	s_cbranch_vccnz .LBB93_1200
; %bb.1199:
	v_trunc_f32_e32 v1, v1
	s_wait_xcnt 0x0
	s_delay_alu instid0(VALU_DEP_1) | instskip(NEXT) | instid1(VALU_DEP_1)
	v_mul_f32_e64 v4, 0x2f800000, |v1|
	v_floor_f32_e32 v4, v4
	s_delay_alu instid0(VALU_DEP_1) | instskip(SKIP_1) | instid1(VALU_DEP_2)
	v_fma_f32 v4, 0xcf800000, v4, |v1|
	v_ashrrev_i32_e32 v1, 31, v1
	v_cvt_u32_f32_e32 v4, v4
	s_delay_alu instid0(VALU_DEP_1) | instskip(NEXT) | instid1(VALU_DEP_1)
	v_xor_b32_e32 v4, v4, v1
	v_sub_nc_u32_e32 v1, v4, v1
	global_store_b8 v[2:3], v1, off
.LBB93_1200:
	s_mov_b32 s51, -1
.LBB93_1201:
	s_delay_alu instid0(SALU_CYCLE_1)
	s_and_not1_b32 vcc_lo, exec_lo, s51
	s_cbranch_vccnz .LBB93_1203
; %bb.1202:
	v_add_nc_u32_e32 v0, 0x80, v0
	s_mov_b32 s52, -1
	s_branch .LBB93_1205
.LBB93_1203:
	s_mov_b32 s52, 0
.LBB93_1204:
                                        ; implicit-def: $vgpr0
.LBB93_1205:
	s_and_not1_b32 s49, s45, exec_lo
	s_and_b32 s0, s0, exec_lo
	s_and_b32 s27, s27, exec_lo
	s_or_b32 s50, s49, s0
	s_and_not1_b32 s0, s46, exec_lo
	s_and_not1_b32 s49, s44, exec_lo
	s_and_b32 s26, s26, exec_lo
	s_or_b32 s51, s0, s27
	s_or_b32 s49, s49, s26
	s_or_not1_b32 s53, s52, exec_lo
.LBB93_1206:
	s_wait_xcnt 0x0
	s_or_b32 exec_lo, exec_lo, s48
	s_mov_b32 s27, 0
	s_mov_b32 s52, 0
	;; [unrolled: 1-line block ×3, first 2 shown]
                                        ; implicit-def: $sgpr0
                                        ; implicit-def: $vgpr6_vgpr7
                                        ; implicit-def: $vgpr4
                                        ; implicit-def: $vgpr2
                                        ; implicit-def: $vgpr3
	s_and_saveexec_b32 s48, s53
	s_cbranch_execz .LBB93_1301
; %bb.1207:
	v_cmp_gt_i32_e32 vcc_lo, s38, v0
	s_mov_b32 s53, s49
                                        ; implicit-def: $sgpr0
                                        ; implicit-def: $vgpr6_vgpr7
                                        ; implicit-def: $vgpr4
                                        ; implicit-def: $vgpr2
                                        ; implicit-def: $vgpr3
	s_and_saveexec_b32 s38, vcc_lo
	s_cbranch_execz .LBB93_1300
; %bb.1208:
	s_and_not1_b32 vcc_lo, exec_lo, s31
	s_cbranch_vccnz .LBB93_1214
; %bb.1209:
	s_and_not1_b32 vcc_lo, exec_lo, s39
	s_cbranch_vccnz .LBB93_1215
; %bb.1210:
	s_wait_loadcnt 0x0
	v_dual_mov_b32 v2, 0 :: v_dual_mov_b32 v1, v0
	v_dual_mov_b32 v6, 0 :: v_dual_mov_b32 v4, 0
	s_add_co_i32 s0, s37, 1
	s_mov_b64 s[26:27], 0xffffffffffffffe8
	s_and_b32 s0, s0, 30
	s_add_nc_u64 s[26:27], s[2:3], s[26:27]
.LBB93_1211:                            ; =>This Inner Loop Header: Depth=1
	s_clause 0x1
	s_load_b128 s[52:55], s[26:27], 0x1c
	s_load_b64 s[60:61], s[26:27], 0x2c
	s_add_co_i32 s0, s0, -2
	s_delay_alu instid0(SALU_CYCLE_1) | instskip(SKIP_2) | instid1(VALU_DEP_1)
	s_cmp_eq_u32 s0, 0
	s_wait_kmcnt 0x0
	v_mul_hi_u32 v3, s53, v1
	v_add_nc_u32_e32 v3, v1, v3
	s_delay_alu instid0(VALU_DEP_1) | instskip(NEXT) | instid1(VALU_DEP_1)
	v_lshrrev_b32_e32 v3, s54, v3
	v_mul_hi_u32 v5, s60, v3
	v_mul_lo_u32 v7, v3, s52
	s_clause 0x1
	s_load_b128 s[56:59], s[26:27], 0xdc
	s_load_b64 s[52:53], s[26:27], 0xec
	s_wait_xcnt 0x0
	s_add_nc_u64 s[26:27], s[26:27], 24
	s_delay_alu instid0(VALU_DEP_1) | instskip(NEXT) | instid1(VALU_DEP_1)
	v_dual_add_nc_u32 v5, v3, v5 :: v_dual_sub_nc_u32 v7, v1, v7
	v_lshrrev_b32_e32 v1, s61, v5
	s_wait_kmcnt 0x0
	s_delay_alu instid0(VALU_DEP_2) | instskip(NEXT) | instid1(VALU_DEP_2)
	v_mad_u32 v2, v7, s56, v2
	v_mul_lo_u32 v5, v1, s55
	v_mad_u32 v4, v7, s58, v4
	v_mad_u32 v6, v7, s57, v6
	s_delay_alu instid0(VALU_DEP_3) | instskip(NEXT) | instid1(VALU_DEP_1)
	v_sub_nc_u32_e32 v3, v3, v5
	v_mad_u32 v2, v3, s59, v2
	s_delay_alu instid0(VALU_DEP_4) | instskip(NEXT) | instid1(VALU_DEP_4)
	v_mad_u32 v4, v3, s53, v4
	v_mad_u32 v6, v3, s52, v6
	s_cbranch_scc0 .LBB93_1211
; %bb.1212:
	s_bitcmp1_b32 s37, 0
	s_cselect_b32 s0, -1, 0
	s_delay_alu instid0(SALU_CYCLE_1)
	s_and_b32 vcc_lo, exec_lo, s0
	s_cbranch_vccnz .LBB93_1216
; %bb.1213:
	s_clause 0x1
	s_load_b96 s[52:54], s[26:27], 0x1c
	s_load_b96 s[56:58], s[26:27], 0xdc
	s_wait_kmcnt 0x0
	v_mul_hi_u32 v3, s53, v1
	s_delay_alu instid0(VALU_DEP_1) | instskip(NEXT) | instid1(VALU_DEP_1)
	v_add_nc_u32_e32 v3, v1, v3
	v_lshrrev_b32_e32 v3, s54, v3
	s_delay_alu instid0(VALU_DEP_1) | instskip(NEXT) | instid1(VALU_DEP_1)
	v_mul_lo_u32 v3, v3, s52
	v_sub_nc_u32_e32 v1, v1, v3
	s_delay_alu instid0(VALU_DEP_1)
	v_mad_u32 v2, v1, s56, v2
	v_mad_u32 v6, v1, s57, v6
	;; [unrolled: 1-line block ×3, first 2 shown]
	s_branch .LBB93_1216
.LBB93_1214:
	s_mov_b32 s0, -1
                                        ; implicit-def: $vgpr4
                                        ; implicit-def: $vgpr6
                                        ; implicit-def: $vgpr2
	s_branch .LBB93_1217
.LBB93_1215:
	v_dual_mov_b32 v4, 0 :: v_dual_mov_b32 v6, 0
	v_mov_b32_e32 v2, 0
.LBB93_1216:
	s_mov_b32 s0, 0
.LBB93_1217:
	s_delay_alu instid0(SALU_CYCLE_1)
	s_and_not1_b32 vcc_lo, exec_lo, s0
	s_cbranch_vccnz .LBB93_1220
; %bb.1218:
	s_wait_loadcnt 0x0
	v_mov_b32_e32 v1, 0
	s_and_not1_b32 vcc_lo, exec_lo, s36
	s_delay_alu instid0(VALU_DEP_1) | instskip(NEXT) | instid1(VALU_DEP_1)
	v_mul_u64_e32 v[2:3], s[20:21], v[0:1]
	v_add_nc_u32_e32 v2, v0, v3
	s_delay_alu instid0(VALU_DEP_1) | instskip(NEXT) | instid1(VALU_DEP_1)
	v_lshrrev_b32_e32 v8, s14, v2
	v_mul_lo_u32 v2, v8, s12
	s_delay_alu instid0(VALU_DEP_1) | instskip(NEXT) | instid1(VALU_DEP_1)
	v_sub_nc_u32_e32 v0, v0, v2
	v_mul_lo_u32 v2, v0, s16
	v_mul_lo_u32 v4, v0, s18
	;; [unrolled: 1-line block ×3, first 2 shown]
	s_cbranch_vccnz .LBB93_1220
; %bb.1219:
	v_mov_b32_e32 v9, v1
	s_delay_alu instid0(VALU_DEP_1) | instskip(NEXT) | instid1(VALU_DEP_1)
	v_mul_u64_e32 v[0:1], s[24:25], v[8:9]
	v_add_nc_u32_e32 v0, v8, v1
	s_delay_alu instid0(VALU_DEP_1) | instskip(NEXT) | instid1(VALU_DEP_1)
	v_lshrrev_b32_e32 v0, s1, v0
	v_mul_lo_u32 v0, v0, s15
	s_delay_alu instid0(VALU_DEP_1) | instskip(NEXT) | instid1(VALU_DEP_1)
	v_sub_nc_u32_e32 v0, v8, v0
	v_mad_u32 v2, v0, s19, v2
	v_mad_u32 v6, v0, s22, v6
	;; [unrolled: 1-line block ×3, first 2 shown]
.LBB93_1220:
	v_mov_b32_e32 v7, 0
	s_and_b32 s0, s35, 0xff
	s_delay_alu instid0(SALU_CYCLE_1) | instskip(NEXT) | instid1(VALU_DEP_1)
	s_cmp_lt_i32 s0, 11
	v_add_nc_u64_e32 v[6:7], s[6:7], v[6:7]
	s_cbranch_scc1 .LBB93_1227
; %bb.1221:
	s_and_b32 s1, 0xffff, s0
	s_mov_b32 s7, 0
	s_cmp_gt_i32 s1, 25
	s_cbranch_scc0 .LBB93_1228
; %bb.1222:
	s_cmp_gt_i32 s1, 28
	s_cbranch_scc0 .LBB93_1229
; %bb.1223:
	;; [unrolled: 3-line block ×4, first 2 shown]
	s_cmp_eq_u32 s1, 46
	s_mov_b32 s14, 0
	s_cbranch_scc0 .LBB93_1234
; %bb.1226:
	s_wait_loadcnt 0x0
	global_load_b32 v3, v[6:7], off
	s_mov_b32 s6, 0
	s_mov_b32 s12, -1
	s_branch .LBB93_1236
.LBB93_1227:
	s_mov_b32 s1, -1
	s_mov_b32 s12, 0
	s_mov_b32 s7, 0
	;; [unrolled: 1-line block ×3, first 2 shown]
                                        ; implicit-def: $vgpr3
	s_branch .LBB93_1299
.LBB93_1228:
	s_mov_b32 s14, -1
	s_mov_b32 s12, 0
	s_mov_b32 s6, s49
                                        ; implicit-def: $vgpr3
	s_branch .LBB93_1265
.LBB93_1229:
	s_mov_b32 s14, -1
	s_mov_b32 s12, 0
	s_mov_b32 s6, s49
                                        ; implicit-def: $vgpr3
	s_branch .LBB93_1246
.LBB93_1230:
	s_mov_b32 s14, -1
	s_mov_b32 s12, 0
	s_mov_b32 s6, s49
                                        ; implicit-def: $vgpr3
	s_branch .LBB93_1241
.LBB93_1231:
	s_mov_b32 s14, -1
	s_mov_b32 s12, 0
	s_mov_b32 s6, s49
	s_branch .LBB93_1235
.LBB93_1232:
	s_and_not1_saveexec_b32 s53, s53
	s_cbranch_execz .LBB93_1114
.LBB93_1233:
	v_add_f32_e64 v5, 0x46000000, |v6|
	s_and_not1_b32 s52, s52, exec_lo
	s_delay_alu instid0(VALU_DEP_1) | instskip(NEXT) | instid1(VALU_DEP_1)
	v_and_b32_e32 v5, 0xff, v5
	v_cmp_ne_u32_e32 vcc_lo, 0, v5
	s_and_b32 s54, vcc_lo, exec_lo
	s_delay_alu instid0(SALU_CYCLE_1)
	s_or_b32 s52, s52, s54
	s_or_b32 exec_lo, exec_lo, s53
	v_mov_b32_e32 v7, 0
	s_and_saveexec_b32 s53, s52
	s_cbranch_execnz .LBB93_1115
	s_branch .LBB93_1116
.LBB93_1234:
	s_mov_b32 s6, -1
	s_mov_b32 s12, 0
.LBB93_1235:
                                        ; implicit-def: $vgpr3
.LBB93_1236:
	s_and_b32 vcc_lo, exec_lo, s14
	s_cbranch_vccz .LBB93_1240
; %bb.1237:
	s_cmp_eq_u32 s1, 44
	s_cbranch_scc0 .LBB93_1239
; %bb.1238:
	global_load_u8 v0, v[6:7], off
	s_mov_b32 s6, 0
	s_mov_b32 s12, -1
	s_wait_loadcnt 0x0
	v_lshlrev_b32_e32 v1, 23, v0
	v_cmp_ne_u32_e32 vcc_lo, 0xff, v0
	s_delay_alu instid0(VALU_DEP_2) | instskip(SKIP_1) | instid1(VALU_DEP_2)
	v_cndmask_b32_e32 v1, 0x7f800001, v1, vcc_lo
	v_cmp_ne_u32_e32 vcc_lo, 0, v0
	v_cndmask_b32_e32 v0, 0x400000, v1, vcc_lo
	s_delay_alu instid0(VALU_DEP_1) | instskip(NEXT) | instid1(VALU_DEP_1)
	v_add_nc_u32_e32 v1, 0x7fff, v0
	v_lshrrev_b32_e32 v1, 16, v1
	v_cmp_o_f32_e32 vcc_lo, v0, v0
	s_delay_alu instid0(VALU_DEP_2)
	v_cndmask_b32_e32 v3, 0x7fc0, v1, vcc_lo
	s_branch .LBB93_1240
.LBB93_1239:
	s_mov_b32 s6, -1
                                        ; implicit-def: $vgpr3
.LBB93_1240:
	s_mov_b32 s14, 0
.LBB93_1241:
	s_delay_alu instid0(SALU_CYCLE_1)
	s_and_b32 vcc_lo, exec_lo, s14
	s_cbranch_vccz .LBB93_1245
; %bb.1242:
	s_cmp_eq_u32 s1, 29
	s_cbranch_scc0 .LBB93_1244
; %bb.1243:
	s_wait_loadcnt 0x0
	global_load_b64 v[0:1], v[6:7], off
	s_mov_b32 s6, 0
	s_mov_b32 s12, -1
	s_mov_b32 s14, 0
	s_wait_loadcnt 0x0
	v_clz_i32_u32_e32 v3, v1
	s_delay_alu instid0(VALU_DEP_1) | instskip(NEXT) | instid1(VALU_DEP_1)
	v_min_u32_e32 v3, 32, v3
	v_lshlrev_b64_e32 v[0:1], v3, v[0:1]
	s_delay_alu instid0(VALU_DEP_1) | instskip(NEXT) | instid1(VALU_DEP_1)
	v_min_u32_e32 v0, 1, v0
	v_dual_sub_nc_u32 v1, 32, v3 :: v_dual_bitop2_b32 v0, v1, v0 bitop3:0x54
	s_delay_alu instid0(VALU_DEP_1) | instskip(NEXT) | instid1(VALU_DEP_1)
	v_cvt_f32_u32_e32 v0, v0
	v_ldexp_f32 v0, v0, v1
	s_delay_alu instid0(VALU_DEP_1) | instskip(NEXT) | instid1(VALU_DEP_1)
	v_bfe_u32 v1, v0, 16, 1
	v_add3_u32 v0, v0, v1, 0x7fff
	s_delay_alu instid0(VALU_DEP_1)
	v_lshrrev_b32_e32 v3, 16, v0
	s_branch .LBB93_1246
.LBB93_1244:
	s_mov_b32 s6, -1
                                        ; implicit-def: $vgpr3
.LBB93_1245:
	s_mov_b32 s14, 0
.LBB93_1246:
	s_delay_alu instid0(SALU_CYCLE_1)
	s_and_b32 vcc_lo, exec_lo, s14
	s_cbranch_vccz .LBB93_1264
; %bb.1247:
	s_cmp_lt_i32 s1, 27
	s_cbranch_scc1 .LBB93_1250
; %bb.1248:
	s_cmp_gt_i32 s1, 27
	s_cbranch_scc0 .LBB93_1251
; %bb.1249:
	global_load_b32 v0, v[6:7], off
	s_mov_b32 s12, 0
	s_wait_loadcnt 0x0
	v_cvt_f32_u32_e32 v0, v0
	s_delay_alu instid0(VALU_DEP_1) | instskip(NEXT) | instid1(VALU_DEP_1)
	v_bfe_u32 v1, v0, 16, 1
	v_add3_u32 v0, v0, v1, 0x7fff
	s_delay_alu instid0(VALU_DEP_1)
	v_lshrrev_b32_e32 v3, 16, v0
	s_branch .LBB93_1252
.LBB93_1250:
	s_mov_b32 s12, -1
                                        ; implicit-def: $vgpr3
	s_branch .LBB93_1255
.LBB93_1251:
	s_mov_b32 s12, -1
                                        ; implicit-def: $vgpr3
.LBB93_1252:
	s_delay_alu instid0(SALU_CYCLE_1)
	s_and_not1_b32 vcc_lo, exec_lo, s12
	s_cbranch_vccnz .LBB93_1254
; %bb.1253:
	global_load_u16 v0, v[6:7], off
	s_wait_loadcnt 0x0
	v_cvt_f32_u32_e32 v0, v0
	s_delay_alu instid0(VALU_DEP_1) | instskip(NEXT) | instid1(VALU_DEP_1)
	v_bfe_u32 v1, v0, 16, 1
	v_add3_u32 v0, v0, v1, 0x7fff
	s_delay_alu instid0(VALU_DEP_1)
	v_lshrrev_b32_e32 v3, 16, v0
.LBB93_1254:
	s_mov_b32 s12, 0
.LBB93_1255:
	s_delay_alu instid0(SALU_CYCLE_1)
	s_and_not1_b32 vcc_lo, exec_lo, s12
	s_cbranch_vccnz .LBB93_1263
; %bb.1256:
	global_load_u8 v0, v[6:7], off
	s_mov_b32 s12, 0
	s_mov_b32 s14, exec_lo
	s_wait_loadcnt 0x0
	v_cmpx_lt_i16_e32 0x7f, v0
	s_xor_b32 s14, exec_lo, s14
	s_cbranch_execz .LBB93_1277
; %bb.1257:
	s_mov_b32 s12, -1
	s_mov_b32 s15, exec_lo
	v_cmpx_eq_u16_e32 0x80, v0
; %bb.1258:
	s_xor_b32 s12, exec_lo, -1
; %bb.1259:
	s_or_b32 exec_lo, exec_lo, s15
	s_delay_alu instid0(SALU_CYCLE_1)
	s_and_b32 s12, s12, exec_lo
	s_or_saveexec_b32 s14, s14
	v_mov_b32_e32 v1, 0x7f800001
	s_xor_b32 exec_lo, exec_lo, s14
	s_cbranch_execnz .LBB93_1278
.LBB93_1260:
	s_or_b32 exec_lo, exec_lo, s14
	s_and_saveexec_b32 s14, s12
	s_cbranch_execz .LBB93_1262
.LBB93_1261:
	v_and_b32_e32 v1, 0xffff, v0
	s_delay_alu instid0(VALU_DEP_1) | instskip(SKIP_1) | instid1(VALU_DEP_2)
	v_dual_lshlrev_b32 v0, 24, v0 :: v_dual_bitop2_b32 v3, 7, v1 bitop3:0x40
	v_bfe_u32 v9, v1, 3, 4
	v_and_b32_e32 v0, 0x80000000, v0
	s_delay_alu instid0(VALU_DEP_3) | instskip(NEXT) | instid1(VALU_DEP_3)
	v_clz_i32_u32_e32 v5, v3
	v_cmp_eq_u32_e32 vcc_lo, 0, v9
	s_delay_alu instid0(VALU_DEP_2) | instskip(NEXT) | instid1(VALU_DEP_1)
	v_min_u32_e32 v5, 32, v5
	v_subrev_nc_u32_e32 v8, 28, v5
	v_sub_nc_u32_e32 v5, 29, v5
	s_delay_alu instid0(VALU_DEP_2) | instskip(NEXT) | instid1(VALU_DEP_2)
	v_lshlrev_b32_e32 v1, v8, v1
	v_cndmask_b32_e32 v5, v9, v5, vcc_lo
	s_delay_alu instid0(VALU_DEP_2) | instskip(NEXT) | instid1(VALU_DEP_1)
	v_and_b32_e32 v1, 7, v1
	v_cndmask_b32_e32 v1, v3, v1, vcc_lo
	s_delay_alu instid0(VALU_DEP_3) | instskip(NEXT) | instid1(VALU_DEP_2)
	v_lshl_add_u32 v3, v5, 23, 0x3b800000
	v_lshlrev_b32_e32 v1, 20, v1
	s_delay_alu instid0(VALU_DEP_1)
	v_or3_b32 v1, v0, v3, v1
.LBB93_1262:
	s_or_b32 exec_lo, exec_lo, s14
	s_delay_alu instid0(VALU_DEP_1) | instskip(SKIP_1) | instid1(VALU_DEP_2)
	v_bfe_u32 v0, v1, 16, 1
	v_cmp_o_f32_e32 vcc_lo, v1, v1
	v_add3_u32 v0, v1, v0, 0x7fff
	s_delay_alu instid0(VALU_DEP_1) | instskip(NEXT) | instid1(VALU_DEP_1)
	v_lshrrev_b32_e32 v0, 16, v0
	v_cndmask_b32_e32 v3, 0x7fc0, v0, vcc_lo
.LBB93_1263:
	s_mov_b32 s12, -1
.LBB93_1264:
	s_mov_b32 s14, 0
.LBB93_1265:
	s_delay_alu instid0(SALU_CYCLE_1)
	s_and_b32 vcc_lo, exec_lo, s14
	s_cbranch_vccz .LBB93_1298
; %bb.1266:
	s_cmp_gt_i32 s1, 22
	s_cbranch_scc0 .LBB93_1276
; %bb.1267:
	s_cmp_lt_i32 s1, 24
	s_cbranch_scc1 .LBB93_1279
; %bb.1268:
	s_cmp_gt_i32 s1, 24
	s_cbranch_scc0 .LBB93_1280
; %bb.1269:
	global_load_u8 v0, v[6:7], off
	s_mov_b32 s12, exec_lo
	s_wait_loadcnt 0x0
	v_cmpx_lt_i16_e32 0x7f, v0
	s_xor_b32 s12, exec_lo, s12
	s_cbranch_execz .LBB93_1292
; %bb.1270:
	s_mov_b32 s7, -1
	s_mov_b32 s14, exec_lo
	v_cmpx_eq_u16_e32 0x80, v0
; %bb.1271:
	s_xor_b32 s7, exec_lo, -1
; %bb.1272:
	s_or_b32 exec_lo, exec_lo, s14
	s_delay_alu instid0(SALU_CYCLE_1)
	s_and_b32 s7, s7, exec_lo
	s_or_saveexec_b32 s12, s12
	v_mov_b32_e32 v1, 0x7f800001
	s_xor_b32 exec_lo, exec_lo, s12
	s_cbranch_execnz .LBB93_1293
.LBB93_1273:
	s_or_b32 exec_lo, exec_lo, s12
	s_and_saveexec_b32 s12, s7
	s_cbranch_execz .LBB93_1275
.LBB93_1274:
	v_and_b32_e32 v1, 0xffff, v0
	s_delay_alu instid0(VALU_DEP_1) | instskip(SKIP_1) | instid1(VALU_DEP_2)
	v_dual_lshlrev_b32 v0, 24, v0 :: v_dual_bitop2_b32 v3, 3, v1 bitop3:0x40
	v_bfe_u32 v9, v1, 2, 5
	v_and_b32_e32 v0, 0x80000000, v0
	s_delay_alu instid0(VALU_DEP_3) | instskip(NEXT) | instid1(VALU_DEP_3)
	v_clz_i32_u32_e32 v5, v3
	v_cmp_eq_u32_e32 vcc_lo, 0, v9
	s_delay_alu instid0(VALU_DEP_2) | instskip(NEXT) | instid1(VALU_DEP_1)
	v_min_u32_e32 v5, 32, v5
	v_subrev_nc_u32_e32 v8, 29, v5
	v_sub_nc_u32_e32 v5, 30, v5
	s_delay_alu instid0(VALU_DEP_2) | instskip(NEXT) | instid1(VALU_DEP_2)
	v_lshlrev_b32_e32 v1, v8, v1
	v_cndmask_b32_e32 v5, v9, v5, vcc_lo
	s_delay_alu instid0(VALU_DEP_2) | instskip(NEXT) | instid1(VALU_DEP_1)
	v_and_b32_e32 v1, 3, v1
	v_cndmask_b32_e32 v1, v3, v1, vcc_lo
	s_delay_alu instid0(VALU_DEP_3) | instskip(NEXT) | instid1(VALU_DEP_2)
	v_lshl_add_u32 v3, v5, 23, 0x37800000
	v_lshlrev_b32_e32 v1, 21, v1
	s_delay_alu instid0(VALU_DEP_1)
	v_or3_b32 v1, v0, v3, v1
.LBB93_1275:
	s_or_b32 exec_lo, exec_lo, s12
	s_delay_alu instid0(VALU_DEP_1) | instskip(SKIP_2) | instid1(VALU_DEP_2)
	v_bfe_u32 v0, v1, 16, 1
	v_cmp_o_f32_e32 vcc_lo, v1, v1
	s_mov_b32 s7, 0
	v_add3_u32 v0, v1, v0, 0x7fff
	s_delay_alu instid0(VALU_DEP_1) | instskip(NEXT) | instid1(VALU_DEP_1)
	v_lshrrev_b32_e32 v0, 16, v0
	v_cndmask_b32_e32 v3, 0x7fc0, v0, vcc_lo
	s_branch .LBB93_1281
.LBB93_1276:
	s_mov_b32 s7, -1
                                        ; implicit-def: $vgpr3
	s_branch .LBB93_1287
.LBB93_1277:
	s_or_saveexec_b32 s14, s14
	v_mov_b32_e32 v1, 0x7f800001
	s_xor_b32 exec_lo, exec_lo, s14
	s_cbranch_execz .LBB93_1260
.LBB93_1278:
	v_cmp_ne_u16_e32 vcc_lo, 0, v0
	v_mov_b32_e32 v1, 0
	s_and_not1_b32 s12, s12, exec_lo
	s_and_b32 s15, vcc_lo, exec_lo
	s_delay_alu instid0(SALU_CYCLE_1)
	s_or_b32 s12, s12, s15
	s_or_b32 exec_lo, exec_lo, s14
	s_and_saveexec_b32 s14, s12
	s_cbranch_execnz .LBB93_1261
	s_branch .LBB93_1262
.LBB93_1279:
	s_mov_b32 s7, -1
                                        ; implicit-def: $vgpr3
	s_branch .LBB93_1284
.LBB93_1280:
	s_mov_b32 s7, -1
                                        ; implicit-def: $vgpr3
.LBB93_1281:
	s_delay_alu instid0(SALU_CYCLE_1)
	s_and_b32 vcc_lo, exec_lo, s7
	s_cbranch_vccz .LBB93_1283
; %bb.1282:
	global_load_u8 v0, v[6:7], off
	s_wait_loadcnt 0x0
	v_lshlrev_b32_e32 v0, 24, v0
	s_delay_alu instid0(VALU_DEP_1) | instskip(NEXT) | instid1(VALU_DEP_1)
	v_and_b32_e32 v1, 0x7f000000, v0
	v_clz_i32_u32_e32 v3, v1
	v_cmp_ne_u32_e32 vcc_lo, 0, v1
	v_add_nc_u32_e32 v8, 0x1000000, v1
	s_delay_alu instid0(VALU_DEP_3) | instskip(NEXT) | instid1(VALU_DEP_1)
	v_min_u32_e32 v3, 32, v3
	v_sub_nc_u32_e64 v3, v3, 4 clamp
	s_delay_alu instid0(VALU_DEP_1) | instskip(NEXT) | instid1(VALU_DEP_1)
	v_dual_lshlrev_b32 v5, v3, v1 :: v_dual_lshlrev_b32 v3, 23, v3
	v_lshrrev_b32_e32 v5, 4, v5
	s_delay_alu instid0(VALU_DEP_1) | instskip(NEXT) | instid1(VALU_DEP_1)
	v_dual_sub_nc_u32 v3, v5, v3 :: v_dual_ashrrev_i32 v5, 8, v8
	v_add_nc_u32_e32 v3, 0x3c000000, v3
	s_delay_alu instid0(VALU_DEP_1) | instskip(NEXT) | instid1(VALU_DEP_1)
	v_and_or_b32 v3, 0x7f800000, v5, v3
	v_cndmask_b32_e32 v1, 0, v3, vcc_lo
	s_delay_alu instid0(VALU_DEP_1) | instskip(SKIP_1) | instid1(VALU_DEP_2)
	v_and_or_b32 v0, 0x80000000, v0, v1
	v_bfe_u32 v1, v1, 16, 1
	v_cmp_o_f32_e32 vcc_lo, v0, v0
	s_delay_alu instid0(VALU_DEP_2) | instskip(NEXT) | instid1(VALU_DEP_1)
	v_add3_u32 v1, v0, v1, 0x7fff
	v_lshrrev_b32_e32 v1, 16, v1
	s_delay_alu instid0(VALU_DEP_1)
	v_cndmask_b32_e32 v3, 0x7fc0, v1, vcc_lo
.LBB93_1283:
	s_mov_b32 s7, 0
.LBB93_1284:
	s_delay_alu instid0(SALU_CYCLE_1)
	s_and_not1_b32 vcc_lo, exec_lo, s7
	s_cbranch_vccnz .LBB93_1286
; %bb.1285:
	global_load_u8 v0, v[6:7], off
	s_wait_loadcnt 0x0
	v_lshlrev_b32_e32 v1, 25, v0
	v_lshlrev_b16 v0, 8, v0
	s_delay_alu instid0(VALU_DEP_1) | instskip(SKIP_1) | instid1(VALU_DEP_2)
	v_and_or_b32 v5, 0x7f00, v0, 0.5
	v_bfe_i32 v0, v0, 0, 16
	v_add_f32_e32 v5, -0.5, v5
	v_lshrrev_b32_e32 v3, 4, v1
	v_cmp_gt_u32_e32 vcc_lo, 0x8000000, v1
	s_delay_alu instid0(VALU_DEP_2) | instskip(NEXT) | instid1(VALU_DEP_1)
	v_or_b32_e32 v3, 0x70000000, v3
	v_mul_f32_e32 v3, 0x7800000, v3
	s_delay_alu instid0(VALU_DEP_1) | instskip(NEXT) | instid1(VALU_DEP_1)
	v_cndmask_b32_e32 v1, v3, v5, vcc_lo
	v_and_or_b32 v0, 0x80000000, v0, v1
	v_bfe_u32 v1, v1, 16, 1
	s_delay_alu instid0(VALU_DEP_2) | instskip(NEXT) | instid1(VALU_DEP_2)
	v_cmp_o_f32_e32 vcc_lo, v0, v0
	v_add3_u32 v1, v0, v1, 0x7fff
	s_delay_alu instid0(VALU_DEP_1) | instskip(NEXT) | instid1(VALU_DEP_1)
	v_lshrrev_b32_e32 v1, 16, v1
	v_cndmask_b32_e32 v3, 0x7fc0, v1, vcc_lo
.LBB93_1286:
	s_mov_b32 s7, 0
	s_mov_b32 s12, -1
.LBB93_1287:
	s_and_not1_b32 vcc_lo, exec_lo, s7
	s_mov_b32 s7, 0
	s_cbranch_vccnz .LBB93_1298
; %bb.1288:
	s_cmp_gt_i32 s1, 14
	s_cbranch_scc0 .LBB93_1291
; %bb.1289:
	s_cmp_eq_u32 s1, 15
	s_cbranch_scc0 .LBB93_1294
; %bb.1290:
	s_wait_loadcnt 0x0
	global_load_u16 v3, v[6:7], off
	s_mov_b32 s6, 0
	s_mov_b32 s12, -1
	s_branch .LBB93_1296
.LBB93_1291:
	s_mov_b32 s7, -1
	s_branch .LBB93_1295
.LBB93_1292:
	s_or_saveexec_b32 s12, s12
	v_mov_b32_e32 v1, 0x7f800001
	s_xor_b32 exec_lo, exec_lo, s12
	s_cbranch_execz .LBB93_1273
.LBB93_1293:
	v_cmp_ne_u16_e32 vcc_lo, 0, v0
	v_mov_b32_e32 v1, 0
	s_and_not1_b32 s7, s7, exec_lo
	s_and_b32 s14, vcc_lo, exec_lo
	s_delay_alu instid0(SALU_CYCLE_1)
	s_or_b32 s7, s7, s14
	s_or_b32 exec_lo, exec_lo, s12
	s_and_saveexec_b32 s12, s7
	s_cbranch_execnz .LBB93_1274
	s_branch .LBB93_1275
.LBB93_1294:
	s_mov_b32 s6, -1
.LBB93_1295:
                                        ; implicit-def: $vgpr3
.LBB93_1296:
	s_and_b32 vcc_lo, exec_lo, s7
	s_mov_b32 s7, 0
	s_cbranch_vccz .LBB93_1298
; %bb.1297:
	s_cmp_lg_u32 s1, 11
	s_mov_b32 s7, -1
	s_cselect_b32 s1, -1, 0
	s_and_not1_b32 s6, s6, exec_lo
	s_and_b32 s1, s1, exec_lo
	s_delay_alu instid0(SALU_CYCLE_1)
	s_or_b32 s6, s6, s1
.LBB93_1298:
	s_mov_b32 s1, 0
.LBB93_1299:
	s_delay_alu instid0(SALU_CYCLE_1)
	s_and_b32 s52, s1, exec_lo
	s_and_not1_b32 s1, s49, exec_lo
	s_and_b32 s6, s6, exec_lo
	s_and_b32 s26, s12, exec_lo
	;; [unrolled: 1-line block ×3, first 2 shown]
	s_or_b32 s53, s1, s6
.LBB93_1300:
	s_wait_xcnt 0x0
	s_or_b32 exec_lo, exec_lo, s38
	s_delay_alu instid0(SALU_CYCLE_1)
	s_and_not1_b32 s1, s49, exec_lo
	s_and_b32 s6, s53, exec_lo
	s_and_b32 s26, s26, exec_lo
	;; [unrolled: 1-line block ×4, first 2 shown]
	s_or_b32 s49, s1, s6
.LBB93_1301:
	s_or_b32 exec_lo, exec_lo, s48
	s_delay_alu instid0(SALU_CYCLE_1)
	s_and_not1_b32 s1, s45, exec_lo
	s_and_b32 s6, s50, exec_lo
	s_and_not1_b32 s7, s46, exec_lo
	s_and_b32 s12, s51, exec_lo
	s_or_b32 s45, s1, s6
	s_and_not1_b32 s1, s44, exec_lo
	s_and_b32 s6, s49, exec_lo
	s_or_b32 s46, s7, s12
	s_and_b32 s26, s26, exec_lo
	s_and_b32 s48, s52, exec_lo
	;; [unrolled: 1-line block ×3, first 2 shown]
	s_or_b32 s44, s1, s6
.LBB93_1302:
	s_or_b32 exec_lo, exec_lo, s47
	s_delay_alu instid0(SALU_CYCLE_1)
	s_and_not1_b32 s1, s40, exec_lo
	s_and_b32 s6, s45, exec_lo
	s_and_not1_b32 s7, s41, exec_lo
	s_and_b32 s12, s46, exec_lo
	s_or_b32 s40, s1, s6
	s_and_not1_b32 s1, s42, exec_lo
	s_and_b32 s6, s44, exec_lo
	s_or_b32 s41, s7, s12
	s_and_b32 s26, s26, exec_lo
	s_and_b32 s45, s48, exec_lo
	;; [unrolled: 1-line block ×3, first 2 shown]
	s_or_b32 s42, s1, s6
	s_or_b32 exec_lo, exec_lo, s43
	s_mov_b32 s1, 0
	s_and_saveexec_b32 s6, s42
	s_cbranch_execz .LBB93_404
.LBB93_1303:
	s_mov_b32 s1, exec_lo
	s_and_not1_b32 s21, s21, exec_lo
	s_trap 2
	s_or_b32 exec_lo, exec_lo, s6
	s_and_saveexec_b32 s6, s21
	s_delay_alu instid0(SALU_CYCLE_1)
	s_xor_b32 s6, exec_lo, s6
	s_cbranch_execnz .LBB93_405
.LBB93_1304:
	s_or_b32 exec_lo, exec_lo, s6
	s_and_saveexec_b32 s6, s45
	s_cbranch_execz .LBB93_1350
.LBB93_1305:
	s_sext_i32_i16 s7, s0
	s_delay_alu instid0(SALU_CYCLE_1)
	s_cmp_lt_i32 s7, 5
	s_cbranch_scc1 .LBB93_1310
; %bb.1306:
	s_cmp_lt_i32 s7, 8
	s_cbranch_scc1 .LBB93_1311
; %bb.1307:
	;; [unrolled: 3-line block ×3, first 2 shown]
	s_cmp_gt_i32 s7, 9
	s_cbranch_scc0 .LBB93_1313
; %bb.1309:
	s_wait_loadcnt 0x0
	global_load_b64 v[0:1], v[6:7], off
	s_mov_b32 s7, 0
	s_wait_loadcnt 0x0
	v_cvt_f32_f64_e32 v0, v[0:1]
	s_delay_alu instid0(VALU_DEP_1) | instskip(SKIP_1) | instid1(VALU_DEP_2)
	v_bfe_u32 v1, v0, 16, 1
	v_cmp_o_f32_e32 vcc_lo, v0, v0
	v_add3_u32 v1, v0, v1, 0x7fff
	s_delay_alu instid0(VALU_DEP_1) | instskip(NEXT) | instid1(VALU_DEP_1)
	v_lshrrev_b32_e32 v1, 16, v1
	v_cndmask_b32_e32 v3, 0x7fc0, v1, vcc_lo
	s_branch .LBB93_1314
.LBB93_1310:
                                        ; implicit-def: $vgpr3
	s_branch .LBB93_1331
.LBB93_1311:
                                        ; implicit-def: $vgpr3
	s_branch .LBB93_1320
.LBB93_1312:
	s_mov_b32 s7, -1
                                        ; implicit-def: $vgpr3
	s_branch .LBB93_1317
.LBB93_1313:
	s_mov_b32 s7, -1
                                        ; implicit-def: $vgpr3
.LBB93_1314:
	s_delay_alu instid0(SALU_CYCLE_1)
	s_and_not1_b32 vcc_lo, exec_lo, s7
	s_cbranch_vccnz .LBB93_1316
; %bb.1315:
	global_load_b32 v0, v[6:7], off
	s_wait_loadcnt 0x0
	v_bfe_u32 v1, v0, 16, 1
	v_cmp_o_f32_e32 vcc_lo, v0, v0
	s_delay_alu instid0(VALU_DEP_2) | instskip(NEXT) | instid1(VALU_DEP_1)
	v_add3_u32 v1, v0, v1, 0x7fff
	v_lshrrev_b32_e32 v1, 16, v1
	s_delay_alu instid0(VALU_DEP_1)
	v_cndmask_b32_e32 v3, 0x7fc0, v1, vcc_lo
.LBB93_1316:
	s_mov_b32 s7, 0
.LBB93_1317:
	s_delay_alu instid0(SALU_CYCLE_1)
	s_and_not1_b32 vcc_lo, exec_lo, s7
	s_cbranch_vccnz .LBB93_1319
; %bb.1318:
	global_load_b32 v0, v[6:7], off
	s_wait_loadcnt 0x0
	v_cvt_f32_f16_e32 v1, v0
	v_cmp_o_f16_e32 vcc_lo, v0, v0
	s_delay_alu instid0(VALU_DEP_2) | instskip(NEXT) | instid1(VALU_DEP_1)
	v_bfe_u32 v3, v1, 16, 1
	v_add3_u32 v1, v1, v3, 0x7fff
	s_delay_alu instid0(VALU_DEP_1) | instskip(NEXT) | instid1(VALU_DEP_1)
	v_lshrrev_b32_e32 v1, 16, v1
	v_cndmask_b32_e32 v3, 0x7fc0, v1, vcc_lo
.LBB93_1319:
	s_cbranch_execnz .LBB93_1330
.LBB93_1320:
	s_sext_i32_i16 s7, s0
	s_delay_alu instid0(SALU_CYCLE_1)
	s_cmp_lt_i32 s7, 6
	s_cbranch_scc1 .LBB93_1323
; %bb.1321:
	s_cmp_gt_i32 s7, 6
	s_cbranch_scc0 .LBB93_1324
; %bb.1322:
	s_wait_loadcnt 0x0
	global_load_b64 v[0:1], v[6:7], off
	s_mov_b32 s7, 0
	s_wait_loadcnt 0x0
	v_cvt_f32_f64_e32 v0, v[0:1]
	s_delay_alu instid0(VALU_DEP_1) | instskip(SKIP_1) | instid1(VALU_DEP_2)
	v_bfe_u32 v1, v0, 16, 1
	v_cmp_o_f32_e32 vcc_lo, v0, v0
	v_add3_u32 v1, v0, v1, 0x7fff
	s_delay_alu instid0(VALU_DEP_1) | instskip(NEXT) | instid1(VALU_DEP_1)
	v_lshrrev_b32_e32 v1, 16, v1
	v_cndmask_b32_e32 v3, 0x7fc0, v1, vcc_lo
	s_branch .LBB93_1325
.LBB93_1323:
	s_mov_b32 s7, -1
                                        ; implicit-def: $vgpr3
	s_branch .LBB93_1328
.LBB93_1324:
	s_mov_b32 s7, -1
                                        ; implicit-def: $vgpr3
.LBB93_1325:
	s_delay_alu instid0(SALU_CYCLE_1)
	s_and_not1_b32 vcc_lo, exec_lo, s7
	s_cbranch_vccnz .LBB93_1327
; %bb.1326:
	global_load_b32 v0, v[6:7], off
	s_wait_loadcnt 0x0
	v_bfe_u32 v1, v0, 16, 1
	v_cmp_o_f32_e32 vcc_lo, v0, v0
	s_delay_alu instid0(VALU_DEP_2) | instskip(NEXT) | instid1(VALU_DEP_1)
	v_add3_u32 v1, v0, v1, 0x7fff
	v_lshrrev_b32_e32 v1, 16, v1
	s_delay_alu instid0(VALU_DEP_1)
	v_cndmask_b32_e32 v3, 0x7fc0, v1, vcc_lo
.LBB93_1327:
	s_mov_b32 s7, 0
.LBB93_1328:
	s_delay_alu instid0(SALU_CYCLE_1)
	s_and_not1_b32 vcc_lo, exec_lo, s7
	s_cbranch_vccnz .LBB93_1330
; %bb.1329:
	global_load_u16 v0, v[6:7], off
	s_wait_loadcnt 0x0
	v_cvt_f32_f16_e32 v1, v0
	v_cmp_o_f16_e32 vcc_lo, v0, v0
	s_delay_alu instid0(VALU_DEP_2) | instskip(NEXT) | instid1(VALU_DEP_1)
	v_bfe_u32 v3, v1, 16, 1
	v_add3_u32 v1, v1, v3, 0x7fff
	s_delay_alu instid0(VALU_DEP_1) | instskip(NEXT) | instid1(VALU_DEP_1)
	v_lshrrev_b32_e32 v1, 16, v1
	v_cndmask_b32_e32 v3, 0x7fc0, v1, vcc_lo
.LBB93_1330:
	s_cbranch_execnz .LBB93_1349
.LBB93_1331:
	s_sext_i32_i16 s7, s0
	s_delay_alu instid0(SALU_CYCLE_1)
	s_cmp_lt_i32 s7, 2
	s_cbranch_scc1 .LBB93_1335
; %bb.1332:
	s_cmp_lt_i32 s7, 3
	s_cbranch_scc1 .LBB93_1336
; %bb.1333:
	s_cmp_gt_i32 s7, 3
	s_cbranch_scc0 .LBB93_1337
; %bb.1334:
	s_wait_loadcnt 0x0
	global_load_b64 v[0:1], v[6:7], off
	s_mov_b32 s7, 0
	s_wait_loadcnt 0x0
	v_xor_b32_e32 v3, v0, v1
	v_cls_i32_e32 v5, v1
	s_delay_alu instid0(VALU_DEP_2) | instskip(NEXT) | instid1(VALU_DEP_1)
	v_ashrrev_i32_e32 v3, 31, v3
	v_add_nc_u32_e32 v3, 32, v3
	s_delay_alu instid0(VALU_DEP_1) | instskip(NEXT) | instid1(VALU_DEP_1)
	v_add_min_u32_e64 v3, v5, -1, v3
	v_lshlrev_b64_e32 v[0:1], v3, v[0:1]
	s_delay_alu instid0(VALU_DEP_1) | instskip(NEXT) | instid1(VALU_DEP_1)
	v_min_u32_e32 v0, 1, v0
	v_dual_sub_nc_u32 v1, 32, v3 :: v_dual_bitop2_b32 v0, v1, v0 bitop3:0x54
	s_delay_alu instid0(VALU_DEP_1) | instskip(NEXT) | instid1(VALU_DEP_1)
	v_cvt_f32_i32_e32 v0, v0
	v_ldexp_f32 v0, v0, v1
	s_delay_alu instid0(VALU_DEP_1) | instskip(NEXT) | instid1(VALU_DEP_1)
	v_bfe_u32 v1, v0, 16, 1
	v_add3_u32 v0, v0, v1, 0x7fff
	s_delay_alu instid0(VALU_DEP_1)
	v_lshrrev_b32_e32 v3, 16, v0
	s_branch .LBB93_1338
.LBB93_1335:
                                        ; implicit-def: $vgpr3
	s_branch .LBB93_1344
.LBB93_1336:
	s_mov_b32 s7, -1
                                        ; implicit-def: $vgpr3
	s_branch .LBB93_1341
.LBB93_1337:
	s_mov_b32 s7, -1
                                        ; implicit-def: $vgpr3
.LBB93_1338:
	s_delay_alu instid0(SALU_CYCLE_1)
	s_and_not1_b32 vcc_lo, exec_lo, s7
	s_cbranch_vccnz .LBB93_1340
; %bb.1339:
	global_load_b32 v0, v[6:7], off
	s_wait_loadcnt 0x0
	v_cvt_f32_i32_e32 v0, v0
	s_delay_alu instid0(VALU_DEP_1) | instskip(NEXT) | instid1(VALU_DEP_1)
	v_bfe_u32 v1, v0, 16, 1
	v_add3_u32 v0, v0, v1, 0x7fff
	s_delay_alu instid0(VALU_DEP_1)
	v_lshrrev_b32_e32 v3, 16, v0
.LBB93_1340:
	s_mov_b32 s7, 0
.LBB93_1341:
	s_delay_alu instid0(SALU_CYCLE_1)
	s_and_not1_b32 vcc_lo, exec_lo, s7
	s_cbranch_vccnz .LBB93_1343
; %bb.1342:
	global_load_i16 v0, v[6:7], off
	s_wait_loadcnt 0x0
	v_cvt_f32_i32_e32 v0, v0
	s_delay_alu instid0(VALU_DEP_1) | instskip(NEXT) | instid1(VALU_DEP_1)
	v_bfe_u32 v1, v0, 16, 1
	v_add3_u32 v0, v0, v1, 0x7fff
	s_delay_alu instid0(VALU_DEP_1)
	v_lshrrev_b32_e32 v3, 16, v0
.LBB93_1343:
	s_cbranch_execnz .LBB93_1349
.LBB93_1344:
	s_sext_i32_i16 s0, s0
	s_delay_alu instid0(SALU_CYCLE_1)
	s_cmp_gt_i32 s0, 0
	s_mov_b32 s0, 0
	s_cbranch_scc0 .LBB93_1346
; %bb.1345:
	global_load_i8 v0, v[6:7], off
	s_wait_loadcnt 0x0
	v_cvt_f32_i32_e32 v0, v0
	s_delay_alu instid0(VALU_DEP_1) | instskip(NEXT) | instid1(VALU_DEP_1)
	v_bfe_u32 v1, v0, 16, 1
	v_add3_u32 v0, v0, v1, 0x7fff
	s_delay_alu instid0(VALU_DEP_1)
	v_lshrrev_b32_e32 v3, 16, v0
	s_branch .LBB93_1347
.LBB93_1346:
	s_mov_b32 s0, -1
                                        ; implicit-def: $vgpr3
.LBB93_1347:
	s_delay_alu instid0(SALU_CYCLE_1)
	s_and_not1_b32 vcc_lo, exec_lo, s0
	s_cbranch_vccnz .LBB93_1349
; %bb.1348:
	global_load_u8 v0, v[6:7], off
	s_wait_loadcnt 0x0
	v_cvt_f32_ubyte0_e32 v0, v0
	s_delay_alu instid0(VALU_DEP_1) | instskip(NEXT) | instid1(VALU_DEP_1)
	v_bfe_u32 v1, v0, 16, 1
	v_add3_u32 v0, v0, v1, 0x7fff
	s_delay_alu instid0(VALU_DEP_1)
	v_lshrrev_b32_e32 v3, 16, v0
.LBB93_1349:
	s_or_b32 s26, s26, exec_lo
.LBB93_1350:
	s_wait_xcnt 0x0
	s_or_b32 exec_lo, exec_lo, s6
	s_mov_b32 s14, 0
	s_mov_b32 s7, 0
	;; [unrolled: 1-line block ×3, first 2 shown]
                                        ; implicit-def: $sgpr0
                                        ; implicit-def: $vgpr0_vgpr1
                                        ; implicit-def: $vgpr5
	s_and_saveexec_b32 s6, s26
	s_cbranch_execz .LBB93_1358
; %bb.1351:
	v_mov_b32_e32 v5, 0
	s_and_b32 s0, s13, 0xff
	s_delay_alu instid0(SALU_CYCLE_1) | instskip(SKIP_1) | instid1(VALU_DEP_1)
	s_cmp_lt_i32 s0, 11
	s_wait_loadcnt 0x0
	v_add_nc_u64_e32 v[0:1], s[8:9], v[4:5]
	s_cbranch_scc1 .LBB93_1361
; %bb.1352:
	s_and_b32 s7, 0xffff, s0
	s_mov_b32 s9, 0
	s_cmp_gt_i32 s7, 25
	s_cbranch_scc0 .LBB93_1362
; %bb.1353:
	s_cmp_gt_i32 s7, 28
	s_cbranch_scc0 .LBB93_1363
; %bb.1354:
	;; [unrolled: 3-line block ×4, first 2 shown]
	s_cmp_eq_u32 s7, 46
	s_mov_b32 s13, 0
	s_cbranch_scc0 .LBB93_1366
; %bb.1357:
	global_load_b32 v5, v[0:1], off
	s_mov_b32 s8, 0
	s_mov_b32 s12, -1
	s_branch .LBB93_1368
.LBB93_1358:
	s_or_b32 exec_lo, exec_lo, s6
	s_and_saveexec_b32 s6, s41
	s_cbranch_execnz .LBB93_1431
.LBB93_1359:
	s_or_b32 exec_lo, exec_lo, s6
	s_and_saveexec_b32 s6, s14
	s_delay_alu instid0(SALU_CYCLE_1)
	s_xor_b32 s6, exec_lo, s6
	s_cbranch_execz .LBB93_1432
.LBB93_1360:
	s_wait_loadcnt 0x0
	global_load_u8 v4, v[0:1], off
	s_or_b32 s12, s12, exec_lo
	s_wait_loadcnt 0x0
	v_cmp_ne_u16_e32 vcc_lo, 0, v4
	v_cndmask_b32_e64 v4, 0, 1.0, vcc_lo
	s_delay_alu instid0(VALU_DEP_1)
	v_lshrrev_b32_e32 v5, 16, v4
	s_wait_xcnt 0x0
	s_or_b32 exec_lo, exec_lo, s6
	s_and_saveexec_b32 s6, s7
	s_cbranch_execz .LBB93_1478
	s_branch .LBB93_1433
.LBB93_1361:
	s_mov_b32 s7, -1
	s_mov_b32 s9, 0
	s_mov_b32 s8, s41
                                        ; implicit-def: $vgpr5
	s_branch .LBB93_1430
.LBB93_1362:
	s_mov_b32 s8, s41
                                        ; implicit-def: $vgpr5
	s_cbranch_execnz .LBB93_1397
	s_branch .LBB93_1429
.LBB93_1363:
	s_mov_b32 s13, -1
	s_mov_b32 s8, s41
                                        ; implicit-def: $vgpr5
	s_branch .LBB93_1378
.LBB93_1364:
	s_mov_b32 s13, -1
	s_mov_b32 s8, s41
                                        ; implicit-def: $vgpr5
	s_branch .LBB93_1373
.LBB93_1365:
	s_mov_b32 s13, -1
	s_mov_b32 s8, s41
	s_branch .LBB93_1367
.LBB93_1366:
	s_mov_b32 s8, -1
.LBB93_1367:
                                        ; implicit-def: $vgpr5
.LBB93_1368:
	s_and_b32 vcc_lo, exec_lo, s13
	s_cbranch_vccz .LBB93_1372
; %bb.1369:
	s_cmp_eq_u32 s7, 44
	s_cbranch_scc0 .LBB93_1371
; %bb.1370:
	global_load_u8 v4, v[0:1], off
	s_mov_b32 s8, 0
	s_mov_b32 s12, -1
	s_wait_loadcnt 0x0
	v_lshlrev_b32_e32 v5, 23, v4
	v_cmp_ne_u32_e32 vcc_lo, 0xff, v4
	s_delay_alu instid0(VALU_DEP_2) | instskip(SKIP_1) | instid1(VALU_DEP_2)
	v_cndmask_b32_e32 v5, 0x7f800001, v5, vcc_lo
	v_cmp_ne_u32_e32 vcc_lo, 0, v4
	v_cndmask_b32_e32 v4, 0x400000, v5, vcc_lo
	s_delay_alu instid0(VALU_DEP_1) | instskip(NEXT) | instid1(VALU_DEP_1)
	v_add_nc_u32_e32 v5, 0x7fff, v4
	v_lshrrev_b32_e32 v5, 16, v5
	v_cmp_o_f32_e32 vcc_lo, v4, v4
	s_delay_alu instid0(VALU_DEP_2)
	v_cndmask_b32_e32 v5, 0x7fc0, v5, vcc_lo
	s_branch .LBB93_1372
.LBB93_1371:
	s_mov_b32 s8, -1
                                        ; implicit-def: $vgpr5
.LBB93_1372:
	s_mov_b32 s13, 0
.LBB93_1373:
	s_delay_alu instid0(SALU_CYCLE_1)
	s_and_b32 vcc_lo, exec_lo, s13
	s_cbranch_vccz .LBB93_1377
; %bb.1374:
	s_cmp_eq_u32 s7, 29
	s_cbranch_scc0 .LBB93_1376
; %bb.1375:
	s_wait_loadcnt 0x0
	global_load_b64 v[4:5], v[0:1], off
	s_mov_b32 s8, 0
	s_mov_b32 s12, -1
	s_mov_b32 s13, 0
	s_wait_loadcnt 0x0
	v_clz_i32_u32_e32 v6, v5
	s_delay_alu instid0(VALU_DEP_1) | instskip(NEXT) | instid1(VALU_DEP_1)
	v_min_u32_e32 v6, 32, v6
	v_lshlrev_b64_e32 v[4:5], v6, v[4:5]
	s_delay_alu instid0(VALU_DEP_1) | instskip(NEXT) | instid1(VALU_DEP_1)
	v_min_u32_e32 v4, 1, v4
	v_dual_sub_nc_u32 v5, 32, v6 :: v_dual_bitop2_b32 v4, v5, v4 bitop3:0x54
	s_delay_alu instid0(VALU_DEP_1) | instskip(NEXT) | instid1(VALU_DEP_1)
	v_cvt_f32_u32_e32 v4, v4
	v_ldexp_f32 v4, v4, v5
	s_delay_alu instid0(VALU_DEP_1) | instskip(NEXT) | instid1(VALU_DEP_1)
	v_bfe_u32 v5, v4, 16, 1
	v_add3_u32 v4, v4, v5, 0x7fff
	s_delay_alu instid0(VALU_DEP_1)
	v_lshrrev_b32_e32 v5, 16, v4
	s_branch .LBB93_1378
.LBB93_1376:
	s_mov_b32 s8, -1
                                        ; implicit-def: $vgpr5
.LBB93_1377:
	s_mov_b32 s13, 0
.LBB93_1378:
	s_delay_alu instid0(SALU_CYCLE_1)
	s_and_b32 vcc_lo, exec_lo, s13
	s_cbranch_vccz .LBB93_1396
; %bb.1379:
	s_cmp_lt_i32 s7, 27
	s_cbranch_scc1 .LBB93_1382
; %bb.1380:
	s_cmp_gt_i32 s7, 27
	s_cbranch_scc0 .LBB93_1383
; %bb.1381:
	global_load_b32 v4, v[0:1], off
	s_mov_b32 s12, 0
	s_wait_loadcnt 0x0
	v_cvt_f32_u32_e32 v4, v4
	s_delay_alu instid0(VALU_DEP_1) | instskip(NEXT) | instid1(VALU_DEP_1)
	v_bfe_u32 v5, v4, 16, 1
	v_add3_u32 v4, v4, v5, 0x7fff
	s_delay_alu instid0(VALU_DEP_1)
	v_lshrrev_b32_e32 v5, 16, v4
	s_branch .LBB93_1384
.LBB93_1382:
	s_mov_b32 s12, -1
                                        ; implicit-def: $vgpr5
	s_branch .LBB93_1387
.LBB93_1383:
	s_mov_b32 s12, -1
                                        ; implicit-def: $vgpr5
.LBB93_1384:
	s_delay_alu instid0(SALU_CYCLE_1)
	s_and_not1_b32 vcc_lo, exec_lo, s12
	s_cbranch_vccnz .LBB93_1386
; %bb.1385:
	global_load_u16 v4, v[0:1], off
	s_wait_loadcnt 0x0
	v_cvt_f32_u32_e32 v4, v4
	s_delay_alu instid0(VALU_DEP_1) | instskip(NEXT) | instid1(VALU_DEP_1)
	v_bfe_u32 v5, v4, 16, 1
	v_add3_u32 v4, v4, v5, 0x7fff
	s_delay_alu instid0(VALU_DEP_1)
	v_lshrrev_b32_e32 v5, 16, v4
.LBB93_1386:
	s_mov_b32 s12, 0
.LBB93_1387:
	s_delay_alu instid0(SALU_CYCLE_1)
	s_and_not1_b32 vcc_lo, exec_lo, s12
	s_cbranch_vccnz .LBB93_1395
; %bb.1388:
	global_load_u8 v4, v[0:1], off
	s_mov_b32 s12, 0
	s_mov_b32 s13, exec_lo
	s_wait_loadcnt 0x0
	v_cmpx_lt_i16_e32 0x7f, v4
	s_xor_b32 s13, exec_lo, s13
	s_cbranch_execz .LBB93_1408
; %bb.1389:
	s_mov_b32 s12, -1
	s_mov_b32 s14, exec_lo
	v_cmpx_eq_u16_e32 0x80, v4
; %bb.1390:
	s_xor_b32 s12, exec_lo, -1
; %bb.1391:
	s_or_b32 exec_lo, exec_lo, s14
	s_delay_alu instid0(SALU_CYCLE_1)
	s_and_b32 s12, s12, exec_lo
	s_or_saveexec_b32 s13, s13
	v_mov_b32_e32 v5, 0x7f800001
	s_xor_b32 exec_lo, exec_lo, s13
	s_cbranch_execnz .LBB93_1409
.LBB93_1392:
	s_or_b32 exec_lo, exec_lo, s13
	s_and_saveexec_b32 s13, s12
	s_cbranch_execz .LBB93_1394
.LBB93_1393:
	v_and_b32_e32 v5, 0xffff, v4
	s_delay_alu instid0(VALU_DEP_1) | instskip(SKIP_1) | instid1(VALU_DEP_2)
	v_and_b32_e32 v6, 7, v5
	v_bfe_u32 v9, v5, 3, 4
	v_clz_i32_u32_e32 v7, v6
	s_delay_alu instid0(VALU_DEP_2) | instskip(NEXT) | instid1(VALU_DEP_2)
	v_cmp_eq_u32_e32 vcc_lo, 0, v9
	v_min_u32_e32 v7, 32, v7
	s_delay_alu instid0(VALU_DEP_1) | instskip(NEXT) | instid1(VALU_DEP_1)
	v_subrev_nc_u32_e32 v8, 28, v7
	v_dual_lshlrev_b32 v5, v8, v5 :: v_dual_sub_nc_u32 v7, 29, v7
	s_delay_alu instid0(VALU_DEP_1) | instskip(NEXT) | instid1(VALU_DEP_1)
	v_dual_lshlrev_b32 v4, 24, v4 :: v_dual_bitop2_b32 v5, 7, v5 bitop3:0x40
	v_dual_cndmask_b32 v7, v9, v7, vcc_lo :: v_dual_cndmask_b32 v5, v6, v5, vcc_lo
	s_delay_alu instid0(VALU_DEP_2) | instskip(NEXT) | instid1(VALU_DEP_2)
	v_and_b32_e32 v4, 0x80000000, v4
	v_lshl_add_u32 v6, v7, 23, 0x3b800000
	s_delay_alu instid0(VALU_DEP_3) | instskip(NEXT) | instid1(VALU_DEP_1)
	v_lshlrev_b32_e32 v5, 20, v5
	v_or3_b32 v5, v4, v6, v5
.LBB93_1394:
	s_or_b32 exec_lo, exec_lo, s13
	s_delay_alu instid0(VALU_DEP_1) | instskip(SKIP_1) | instid1(VALU_DEP_2)
	v_bfe_u32 v4, v5, 16, 1
	v_cmp_o_f32_e32 vcc_lo, v5, v5
	v_add3_u32 v4, v5, v4, 0x7fff
	s_delay_alu instid0(VALU_DEP_1) | instskip(NEXT) | instid1(VALU_DEP_1)
	v_lshrrev_b32_e32 v4, 16, v4
	v_cndmask_b32_e32 v5, 0x7fc0, v4, vcc_lo
.LBB93_1395:
	s_mov_b32 s12, -1
.LBB93_1396:
	s_branch .LBB93_1429
.LBB93_1397:
	s_cmp_gt_i32 s7, 22
	s_cbranch_scc0 .LBB93_1407
; %bb.1398:
	s_cmp_lt_i32 s7, 24
	s_cbranch_scc1 .LBB93_1410
; %bb.1399:
	s_cmp_gt_i32 s7, 24
	s_cbranch_scc0 .LBB93_1411
; %bb.1400:
	global_load_u8 v4, v[0:1], off
	s_mov_b32 s12, exec_lo
	s_wait_loadcnt 0x0
	v_cmpx_lt_i16_e32 0x7f, v4
	s_xor_b32 s12, exec_lo, s12
	s_cbranch_execz .LBB93_1423
; %bb.1401:
	s_mov_b32 s9, -1
	s_mov_b32 s13, exec_lo
	v_cmpx_eq_u16_e32 0x80, v4
; %bb.1402:
	s_xor_b32 s9, exec_lo, -1
; %bb.1403:
	s_or_b32 exec_lo, exec_lo, s13
	s_delay_alu instid0(SALU_CYCLE_1)
	s_and_b32 s9, s9, exec_lo
	s_or_saveexec_b32 s12, s12
	v_mov_b32_e32 v5, 0x7f800001
	s_xor_b32 exec_lo, exec_lo, s12
	s_cbranch_execnz .LBB93_1424
.LBB93_1404:
	s_or_b32 exec_lo, exec_lo, s12
	s_and_saveexec_b32 s12, s9
	s_cbranch_execz .LBB93_1406
.LBB93_1405:
	v_and_b32_e32 v5, 0xffff, v4
	s_delay_alu instid0(VALU_DEP_1) | instskip(SKIP_1) | instid1(VALU_DEP_2)
	v_and_b32_e32 v6, 3, v5
	v_bfe_u32 v9, v5, 2, 5
	v_clz_i32_u32_e32 v7, v6
	s_delay_alu instid0(VALU_DEP_2) | instskip(NEXT) | instid1(VALU_DEP_2)
	v_cmp_eq_u32_e32 vcc_lo, 0, v9
	v_min_u32_e32 v7, 32, v7
	s_delay_alu instid0(VALU_DEP_1) | instskip(NEXT) | instid1(VALU_DEP_1)
	v_subrev_nc_u32_e32 v8, 29, v7
	v_dual_lshlrev_b32 v5, v8, v5 :: v_dual_sub_nc_u32 v7, 30, v7
	s_delay_alu instid0(VALU_DEP_1) | instskip(NEXT) | instid1(VALU_DEP_1)
	v_dual_lshlrev_b32 v4, 24, v4 :: v_dual_bitop2_b32 v5, 3, v5 bitop3:0x40
	v_dual_cndmask_b32 v7, v9, v7, vcc_lo :: v_dual_cndmask_b32 v5, v6, v5, vcc_lo
	s_delay_alu instid0(VALU_DEP_2) | instskip(NEXT) | instid1(VALU_DEP_2)
	v_and_b32_e32 v4, 0x80000000, v4
	v_lshl_add_u32 v6, v7, 23, 0x37800000
	s_delay_alu instid0(VALU_DEP_3) | instskip(NEXT) | instid1(VALU_DEP_1)
	v_lshlrev_b32_e32 v5, 21, v5
	v_or3_b32 v5, v4, v6, v5
.LBB93_1406:
	s_or_b32 exec_lo, exec_lo, s12
	s_delay_alu instid0(VALU_DEP_1) | instskip(SKIP_2) | instid1(VALU_DEP_2)
	v_bfe_u32 v4, v5, 16, 1
	v_cmp_o_f32_e32 vcc_lo, v5, v5
	s_mov_b32 s9, 0
	v_add3_u32 v4, v5, v4, 0x7fff
	s_delay_alu instid0(VALU_DEP_1) | instskip(NEXT) | instid1(VALU_DEP_1)
	v_lshrrev_b32_e32 v4, 16, v4
	v_cndmask_b32_e32 v5, 0x7fc0, v4, vcc_lo
	s_branch .LBB93_1412
.LBB93_1407:
	s_mov_b32 s9, -1
                                        ; implicit-def: $vgpr5
	s_branch .LBB93_1418
.LBB93_1408:
	s_or_saveexec_b32 s13, s13
	v_mov_b32_e32 v5, 0x7f800001
	s_xor_b32 exec_lo, exec_lo, s13
	s_cbranch_execz .LBB93_1392
.LBB93_1409:
	v_cmp_ne_u16_e32 vcc_lo, 0, v4
	v_mov_b32_e32 v5, 0
	s_and_not1_b32 s12, s12, exec_lo
	s_and_b32 s14, vcc_lo, exec_lo
	s_delay_alu instid0(SALU_CYCLE_1)
	s_or_b32 s12, s12, s14
	s_or_b32 exec_lo, exec_lo, s13
	s_and_saveexec_b32 s13, s12
	s_cbranch_execnz .LBB93_1393
	s_branch .LBB93_1394
.LBB93_1410:
	s_mov_b32 s9, -1
                                        ; implicit-def: $vgpr5
	s_branch .LBB93_1415
.LBB93_1411:
	s_mov_b32 s9, -1
                                        ; implicit-def: $vgpr5
.LBB93_1412:
	s_delay_alu instid0(SALU_CYCLE_1)
	s_and_b32 vcc_lo, exec_lo, s9
	s_cbranch_vccz .LBB93_1414
; %bb.1413:
	global_load_u8 v4, v[0:1], off
	s_wait_loadcnt 0x0
	v_lshlrev_b32_e32 v4, 24, v4
	s_delay_alu instid0(VALU_DEP_1) | instskip(NEXT) | instid1(VALU_DEP_1)
	v_and_b32_e32 v5, 0x7f000000, v4
	v_clz_i32_u32_e32 v6, v5
	v_cmp_ne_u32_e32 vcc_lo, 0, v5
	v_add_nc_u32_e32 v8, 0x1000000, v5
	s_delay_alu instid0(VALU_DEP_3) | instskip(NEXT) | instid1(VALU_DEP_1)
	v_min_u32_e32 v6, 32, v6
	v_sub_nc_u32_e64 v6, v6, 4 clamp
	s_delay_alu instid0(VALU_DEP_1) | instskip(NEXT) | instid1(VALU_DEP_1)
	v_dual_lshlrev_b32 v7, v6, v5 :: v_dual_lshlrev_b32 v6, 23, v6
	v_lshrrev_b32_e32 v7, 4, v7
	s_delay_alu instid0(VALU_DEP_1) | instskip(NEXT) | instid1(VALU_DEP_1)
	v_dual_sub_nc_u32 v6, v7, v6 :: v_dual_ashrrev_i32 v7, 8, v8
	v_add_nc_u32_e32 v6, 0x3c000000, v6
	s_delay_alu instid0(VALU_DEP_1) | instskip(NEXT) | instid1(VALU_DEP_1)
	v_and_or_b32 v6, 0x7f800000, v7, v6
	v_cndmask_b32_e32 v5, 0, v6, vcc_lo
	s_delay_alu instid0(VALU_DEP_1) | instskip(SKIP_1) | instid1(VALU_DEP_2)
	v_and_or_b32 v4, 0x80000000, v4, v5
	v_bfe_u32 v5, v5, 16, 1
	v_cmp_o_f32_e32 vcc_lo, v4, v4
	s_delay_alu instid0(VALU_DEP_2) | instskip(NEXT) | instid1(VALU_DEP_1)
	v_add3_u32 v5, v4, v5, 0x7fff
	v_lshrrev_b32_e32 v5, 16, v5
	s_delay_alu instid0(VALU_DEP_1)
	v_cndmask_b32_e32 v5, 0x7fc0, v5, vcc_lo
.LBB93_1414:
	s_mov_b32 s9, 0
.LBB93_1415:
	s_delay_alu instid0(SALU_CYCLE_1)
	s_and_not1_b32 vcc_lo, exec_lo, s9
	s_cbranch_vccnz .LBB93_1417
; %bb.1416:
	global_load_u8 v4, v[0:1], off
	s_wait_loadcnt 0x0
	v_lshlrev_b32_e32 v5, 25, v4
	v_lshlrev_b16 v4, 8, v4
	s_delay_alu instid0(VALU_DEP_1) | instskip(SKIP_1) | instid1(VALU_DEP_2)
	v_and_or_b32 v7, 0x7f00, v4, 0.5
	v_bfe_i32 v4, v4, 0, 16
	v_dual_add_f32 v7, -0.5, v7 :: v_dual_lshrrev_b32 v6, 4, v5
	v_cmp_gt_u32_e32 vcc_lo, 0x8000000, v5
	s_delay_alu instid0(VALU_DEP_2) | instskip(NEXT) | instid1(VALU_DEP_1)
	v_or_b32_e32 v6, 0x70000000, v6
	v_mul_f32_e32 v6, 0x7800000, v6
	s_delay_alu instid0(VALU_DEP_1) | instskip(NEXT) | instid1(VALU_DEP_1)
	v_cndmask_b32_e32 v5, v6, v7, vcc_lo
	v_and_or_b32 v4, 0x80000000, v4, v5
	v_bfe_u32 v5, v5, 16, 1
	s_delay_alu instid0(VALU_DEP_2) | instskip(NEXT) | instid1(VALU_DEP_2)
	v_cmp_o_f32_e32 vcc_lo, v4, v4
	v_add3_u32 v5, v4, v5, 0x7fff
	s_delay_alu instid0(VALU_DEP_1) | instskip(NEXT) | instid1(VALU_DEP_1)
	v_lshrrev_b32_e32 v5, 16, v5
	v_cndmask_b32_e32 v5, 0x7fc0, v5, vcc_lo
.LBB93_1417:
	s_mov_b32 s9, 0
	s_mov_b32 s12, -1
.LBB93_1418:
	s_and_not1_b32 vcc_lo, exec_lo, s9
	s_mov_b32 s9, 0
	s_cbranch_vccnz .LBB93_1429
; %bb.1419:
	s_cmp_gt_i32 s7, 14
	s_cbranch_scc0 .LBB93_1422
; %bb.1420:
	s_cmp_eq_u32 s7, 15
	s_cbranch_scc0 .LBB93_1425
; %bb.1421:
	s_wait_loadcnt 0x0
	global_load_u16 v5, v[0:1], off
	s_mov_b32 s8, 0
	s_mov_b32 s12, -1
	s_branch .LBB93_1427
.LBB93_1422:
	s_mov_b32 s9, -1
	s_branch .LBB93_1426
.LBB93_1423:
	s_or_saveexec_b32 s12, s12
	v_mov_b32_e32 v5, 0x7f800001
	s_xor_b32 exec_lo, exec_lo, s12
	s_cbranch_execz .LBB93_1404
.LBB93_1424:
	v_cmp_ne_u16_e32 vcc_lo, 0, v4
	v_mov_b32_e32 v5, 0
	s_and_not1_b32 s9, s9, exec_lo
	s_and_b32 s13, vcc_lo, exec_lo
	s_delay_alu instid0(SALU_CYCLE_1)
	s_or_b32 s9, s9, s13
	s_or_b32 exec_lo, exec_lo, s12
	s_and_saveexec_b32 s12, s9
	s_cbranch_execnz .LBB93_1405
	s_branch .LBB93_1406
.LBB93_1425:
	s_mov_b32 s8, -1
.LBB93_1426:
                                        ; implicit-def: $vgpr5
.LBB93_1427:
	s_and_b32 vcc_lo, exec_lo, s9
	s_mov_b32 s9, 0
	s_cbranch_vccz .LBB93_1429
; %bb.1428:
	s_cmp_lg_u32 s7, 11
	s_mov_b32 s9, -1
	s_cselect_b32 s7, -1, 0
	s_and_not1_b32 s8, s8, exec_lo
	s_and_b32 s7, s7, exec_lo
	s_delay_alu instid0(SALU_CYCLE_1)
	s_or_b32 s8, s8, s7
.LBB93_1429:
	s_mov_b32 s7, 0
.LBB93_1430:
	s_and_not1_b32 s13, s41, exec_lo
	s_and_b32 s8, s8, exec_lo
	s_and_b32 s12, s12, exec_lo
	;; [unrolled: 1-line block ×4, first 2 shown]
	s_or_b32 s41, s13, s8
	s_wait_xcnt 0x0
	s_or_b32 exec_lo, exec_lo, s6
	s_and_saveexec_b32 s6, s41
	s_cbranch_execz .LBB93_1359
.LBB93_1431:
	s_or_b32 s1, s1, exec_lo
	s_and_not1_b32 s14, s14, exec_lo
	s_trap 2
	s_or_b32 exec_lo, exec_lo, s6
	s_and_saveexec_b32 s6, s14
	s_delay_alu instid0(SALU_CYCLE_1)
	s_xor_b32 s6, exec_lo, s6
	s_cbranch_execnz .LBB93_1360
.LBB93_1432:
	s_or_b32 exec_lo, exec_lo, s6
	s_and_saveexec_b32 s6, s7
	s_cbranch_execz .LBB93_1478
.LBB93_1433:
	s_sext_i32_i16 s7, s0
	s_delay_alu instid0(SALU_CYCLE_1)
	s_cmp_lt_i32 s7, 5
	s_cbranch_scc1 .LBB93_1438
; %bb.1434:
	s_cmp_lt_i32 s7, 8
	s_cbranch_scc1 .LBB93_1439
; %bb.1435:
	s_cmp_lt_i32 s7, 9
	s_cbranch_scc1 .LBB93_1440
; %bb.1436:
	s_cmp_gt_i32 s7, 9
	s_cbranch_scc0 .LBB93_1441
; %bb.1437:
	s_wait_loadcnt 0x0
	global_load_b64 v[4:5], v[0:1], off
	s_mov_b32 s7, 0
	s_wait_loadcnt 0x0
	v_cvt_f32_f64_e32 v4, v[4:5]
	s_delay_alu instid0(VALU_DEP_1) | instskip(SKIP_1) | instid1(VALU_DEP_2)
	v_bfe_u32 v5, v4, 16, 1
	v_cmp_o_f32_e32 vcc_lo, v4, v4
	v_add3_u32 v5, v4, v5, 0x7fff
	s_delay_alu instid0(VALU_DEP_1) | instskip(NEXT) | instid1(VALU_DEP_1)
	v_lshrrev_b32_e32 v5, 16, v5
	v_cndmask_b32_e32 v5, 0x7fc0, v5, vcc_lo
	s_branch .LBB93_1442
.LBB93_1438:
                                        ; implicit-def: $vgpr5
	s_branch .LBB93_1459
.LBB93_1439:
                                        ; implicit-def: $vgpr5
	s_branch .LBB93_1448
.LBB93_1440:
	s_mov_b32 s7, -1
                                        ; implicit-def: $vgpr5
	s_branch .LBB93_1445
.LBB93_1441:
	s_mov_b32 s7, -1
                                        ; implicit-def: $vgpr5
.LBB93_1442:
	s_delay_alu instid0(SALU_CYCLE_1)
	s_and_not1_b32 vcc_lo, exec_lo, s7
	s_cbranch_vccnz .LBB93_1444
; %bb.1443:
	s_wait_loadcnt 0x0
	global_load_b32 v4, v[0:1], off
	s_wait_loadcnt 0x0
	v_bfe_u32 v5, v4, 16, 1
	v_cmp_o_f32_e32 vcc_lo, v4, v4
	s_delay_alu instid0(VALU_DEP_2) | instskip(NEXT) | instid1(VALU_DEP_1)
	v_add3_u32 v5, v4, v5, 0x7fff
	v_lshrrev_b32_e32 v5, 16, v5
	s_delay_alu instid0(VALU_DEP_1)
	v_cndmask_b32_e32 v5, 0x7fc0, v5, vcc_lo
.LBB93_1444:
	s_mov_b32 s7, 0
.LBB93_1445:
	s_delay_alu instid0(SALU_CYCLE_1)
	s_and_not1_b32 vcc_lo, exec_lo, s7
	s_cbranch_vccnz .LBB93_1447
; %bb.1446:
	s_wait_loadcnt 0x0
	global_load_b32 v4, v[0:1], off
	s_wait_loadcnt 0x0
	v_cvt_f32_f16_e32 v5, v4
	v_cmp_o_f16_e32 vcc_lo, v4, v4
	s_delay_alu instid0(VALU_DEP_2) | instskip(NEXT) | instid1(VALU_DEP_1)
	v_bfe_u32 v6, v5, 16, 1
	v_add3_u32 v5, v5, v6, 0x7fff
	s_delay_alu instid0(VALU_DEP_1) | instskip(NEXT) | instid1(VALU_DEP_1)
	v_lshrrev_b32_e32 v5, 16, v5
	v_cndmask_b32_e32 v5, 0x7fc0, v5, vcc_lo
.LBB93_1447:
	s_cbranch_execnz .LBB93_1458
.LBB93_1448:
	s_sext_i32_i16 s7, s0
	s_delay_alu instid0(SALU_CYCLE_1)
	s_cmp_lt_i32 s7, 6
	s_cbranch_scc1 .LBB93_1451
; %bb.1449:
	s_cmp_gt_i32 s7, 6
	s_cbranch_scc0 .LBB93_1452
; %bb.1450:
	s_wait_loadcnt 0x0
	global_load_b64 v[4:5], v[0:1], off
	s_mov_b32 s7, 0
	s_wait_loadcnt 0x0
	v_cvt_f32_f64_e32 v4, v[4:5]
	s_delay_alu instid0(VALU_DEP_1) | instskip(SKIP_1) | instid1(VALU_DEP_2)
	v_bfe_u32 v5, v4, 16, 1
	v_cmp_o_f32_e32 vcc_lo, v4, v4
	v_add3_u32 v5, v4, v5, 0x7fff
	s_delay_alu instid0(VALU_DEP_1) | instskip(NEXT) | instid1(VALU_DEP_1)
	v_lshrrev_b32_e32 v5, 16, v5
	v_cndmask_b32_e32 v5, 0x7fc0, v5, vcc_lo
	s_branch .LBB93_1453
.LBB93_1451:
	s_mov_b32 s7, -1
                                        ; implicit-def: $vgpr5
	s_branch .LBB93_1456
.LBB93_1452:
	s_mov_b32 s7, -1
                                        ; implicit-def: $vgpr5
.LBB93_1453:
	s_delay_alu instid0(SALU_CYCLE_1)
	s_and_not1_b32 vcc_lo, exec_lo, s7
	s_cbranch_vccnz .LBB93_1455
; %bb.1454:
	s_wait_loadcnt 0x0
	global_load_b32 v4, v[0:1], off
	s_wait_loadcnt 0x0
	v_bfe_u32 v5, v4, 16, 1
	v_cmp_o_f32_e32 vcc_lo, v4, v4
	s_delay_alu instid0(VALU_DEP_2) | instskip(NEXT) | instid1(VALU_DEP_1)
	v_add3_u32 v5, v4, v5, 0x7fff
	v_lshrrev_b32_e32 v5, 16, v5
	s_delay_alu instid0(VALU_DEP_1)
	v_cndmask_b32_e32 v5, 0x7fc0, v5, vcc_lo
.LBB93_1455:
	s_mov_b32 s7, 0
.LBB93_1456:
	s_delay_alu instid0(SALU_CYCLE_1)
	s_and_not1_b32 vcc_lo, exec_lo, s7
	s_cbranch_vccnz .LBB93_1458
; %bb.1457:
	s_wait_loadcnt 0x0
	global_load_u16 v4, v[0:1], off
	s_wait_loadcnt 0x0
	v_cvt_f32_f16_e32 v5, v4
	v_cmp_o_f16_e32 vcc_lo, v4, v4
	s_delay_alu instid0(VALU_DEP_2) | instskip(NEXT) | instid1(VALU_DEP_1)
	v_bfe_u32 v6, v5, 16, 1
	v_add3_u32 v5, v5, v6, 0x7fff
	s_delay_alu instid0(VALU_DEP_1) | instskip(NEXT) | instid1(VALU_DEP_1)
	v_lshrrev_b32_e32 v5, 16, v5
	v_cndmask_b32_e32 v5, 0x7fc0, v5, vcc_lo
.LBB93_1458:
	s_cbranch_execnz .LBB93_1477
.LBB93_1459:
	s_sext_i32_i16 s7, s0
	s_delay_alu instid0(SALU_CYCLE_1)
	s_cmp_lt_i32 s7, 2
	s_cbranch_scc1 .LBB93_1463
; %bb.1460:
	s_cmp_lt_i32 s7, 3
	s_cbranch_scc1 .LBB93_1464
; %bb.1461:
	s_cmp_gt_i32 s7, 3
	s_cbranch_scc0 .LBB93_1465
; %bb.1462:
	s_wait_loadcnt 0x0
	global_load_b64 v[4:5], v[0:1], off
	s_mov_b32 s7, 0
	s_wait_loadcnt 0x0
	v_xor_b32_e32 v6, v4, v5
	v_cls_i32_e32 v7, v5
	s_delay_alu instid0(VALU_DEP_2) | instskip(NEXT) | instid1(VALU_DEP_1)
	v_ashrrev_i32_e32 v6, 31, v6
	v_add_nc_u32_e32 v6, 32, v6
	s_delay_alu instid0(VALU_DEP_1) | instskip(NEXT) | instid1(VALU_DEP_1)
	v_add_min_u32_e64 v6, v7, -1, v6
	v_lshlrev_b64_e32 v[4:5], v6, v[4:5]
	s_delay_alu instid0(VALU_DEP_1) | instskip(NEXT) | instid1(VALU_DEP_1)
	v_min_u32_e32 v4, 1, v4
	v_dual_sub_nc_u32 v5, 32, v6 :: v_dual_bitop2_b32 v4, v5, v4 bitop3:0x54
	s_delay_alu instid0(VALU_DEP_1) | instskip(NEXT) | instid1(VALU_DEP_1)
	v_cvt_f32_i32_e32 v4, v4
	v_ldexp_f32 v4, v4, v5
	s_delay_alu instid0(VALU_DEP_1) | instskip(NEXT) | instid1(VALU_DEP_1)
	v_bfe_u32 v5, v4, 16, 1
	v_add3_u32 v4, v4, v5, 0x7fff
	s_delay_alu instid0(VALU_DEP_1)
	v_lshrrev_b32_e32 v5, 16, v4
	s_branch .LBB93_1466
.LBB93_1463:
                                        ; implicit-def: $vgpr5
	s_branch .LBB93_1472
.LBB93_1464:
	s_mov_b32 s7, -1
                                        ; implicit-def: $vgpr5
	s_branch .LBB93_1469
.LBB93_1465:
	s_mov_b32 s7, -1
                                        ; implicit-def: $vgpr5
.LBB93_1466:
	s_delay_alu instid0(SALU_CYCLE_1)
	s_and_not1_b32 vcc_lo, exec_lo, s7
	s_cbranch_vccnz .LBB93_1468
; %bb.1467:
	s_wait_loadcnt 0x0
	global_load_b32 v4, v[0:1], off
	s_wait_loadcnt 0x0
	v_cvt_f32_i32_e32 v4, v4
	s_delay_alu instid0(VALU_DEP_1) | instskip(NEXT) | instid1(VALU_DEP_1)
	v_bfe_u32 v5, v4, 16, 1
	v_add3_u32 v4, v4, v5, 0x7fff
	s_delay_alu instid0(VALU_DEP_1)
	v_lshrrev_b32_e32 v5, 16, v4
.LBB93_1468:
	s_mov_b32 s7, 0
.LBB93_1469:
	s_delay_alu instid0(SALU_CYCLE_1)
	s_and_not1_b32 vcc_lo, exec_lo, s7
	s_cbranch_vccnz .LBB93_1471
; %bb.1470:
	s_wait_loadcnt 0x0
	global_load_i16 v4, v[0:1], off
	s_wait_loadcnt 0x0
	v_cvt_f32_i32_e32 v4, v4
	s_delay_alu instid0(VALU_DEP_1) | instskip(NEXT) | instid1(VALU_DEP_1)
	v_bfe_u32 v5, v4, 16, 1
	v_add3_u32 v4, v4, v5, 0x7fff
	s_delay_alu instid0(VALU_DEP_1)
	v_lshrrev_b32_e32 v5, 16, v4
.LBB93_1471:
	s_cbranch_execnz .LBB93_1477
.LBB93_1472:
	s_sext_i32_i16 s0, s0
	s_delay_alu instid0(SALU_CYCLE_1)
	s_cmp_gt_i32 s0, 0
	s_mov_b32 s0, 0
	s_cbranch_scc0 .LBB93_1474
; %bb.1473:
	s_wait_loadcnt 0x0
	global_load_i8 v4, v[0:1], off
	s_wait_loadcnt 0x0
	v_cvt_f32_i32_e32 v4, v4
	s_delay_alu instid0(VALU_DEP_1) | instskip(NEXT) | instid1(VALU_DEP_1)
	v_bfe_u32 v5, v4, 16, 1
	v_add3_u32 v4, v4, v5, 0x7fff
	s_delay_alu instid0(VALU_DEP_1)
	v_lshrrev_b32_e32 v5, 16, v4
	s_branch .LBB93_1475
.LBB93_1474:
	s_mov_b32 s0, -1
                                        ; implicit-def: $vgpr5
.LBB93_1475:
	s_delay_alu instid0(SALU_CYCLE_1)
	s_and_not1_b32 vcc_lo, exec_lo, s0
	s_cbranch_vccnz .LBB93_1477
; %bb.1476:
	s_wait_loadcnt 0x0
	global_load_u8 v0, v[0:1], off
	s_wait_loadcnt 0x0
	v_cvt_f32_ubyte0_e32 v0, v0
	s_delay_alu instid0(VALU_DEP_1) | instskip(NEXT) | instid1(VALU_DEP_1)
	v_bfe_u32 v1, v0, 16, 1
	v_add3_u32 v0, v0, v1, 0x7fff
	s_delay_alu instid0(VALU_DEP_1)
	v_lshrrev_b32_e32 v5, 16, v0
.LBB93_1477:
	s_or_b32 s12, s12, exec_lo
.LBB93_1478:
	s_wait_xcnt 0x0
	s_or_b32 exec_lo, exec_lo, s6
	s_mov_b32 s0, 0
	s_mov_b32 s8, 0
                                        ; implicit-def: $sgpr6
                                        ; implicit-def: $vgpr0_vgpr1
                                        ; implicit-def: $vgpr4
	s_and_saveexec_b32 s7, s12
	s_cbranch_execz .LBB93_1488
; %bb.1479:
	s_wait_loadcnt 0x0
	v_dual_lshlrev_b32 v0, 16, v5 :: v_dual_lshlrev_b32 v4, 16, v3
	s_mov_b32 s0, exec_lo
	s_delay_alu instid0(VALU_DEP_1) | instskip(NEXT) | instid1(VALU_DEP_1)
	v_mul_f32_e32 v0, s10, v0
	v_cmpx_nlt_f32_e32 s11, v0
	s_cbranch_execz .LBB93_1481
; %bb.1480:
	v_mul_f32_e32 v1, 0x3fb8aa3b, v0
	v_cmp_ngt_f32_e32 vcc_lo, 0xc2ce8ed0, v0
	s_delay_alu instid0(VALU_DEP_2) | instskip(SKIP_1) | instid1(VALU_DEP_2)
	v_rndne_f32_e32 v3, v1
	v_fma_f32 v5, 0x3fb8aa3b, v0, -v1
	v_sub_f32_e32 v1, v1, v3
	s_delay_alu instid0(VALU_DEP_2) | instskip(SKIP_1) | instid1(VALU_DEP_2)
	v_fmamk_f32 v5, v0, 0x32a5705f, v5
	v_cvt_i32_f32_e32 v3, v3
	v_add_f32_e32 v1, v1, v5
	s_delay_alu instid0(VALU_DEP_1) | instskip(SKIP_1) | instid1(TRANS32_DEP_1)
	v_exp_f32_e32 v1, v1
	v_nop
	v_ldexp_f32 v1, v1, v3
	s_delay_alu instid0(VALU_DEP_1) | instskip(SKIP_1) | instid1(VALU_DEP_2)
	v_cndmask_b32_e32 v1, 0, v1, vcc_lo
	v_cmp_nlt_f32_e32 vcc_lo, 0x42b17218, v0
	v_cndmask_b32_e32 v0, 0x7f800000, v1, vcc_lo
	s_delay_alu instid0(VALU_DEP_1) | instskip(SKIP_1) | instid1(VALU_DEP_1)
	v_mul_f32_e32 v1, v0, v4
	v_add_f32_e32 v0, 1.0, v0
	v_div_scale_f32 v3, null, v0, v0, v1
	s_delay_alu instid0(VALU_DEP_1) | instskip(SKIP_1) | instid1(TRANS32_DEP_1)
	v_rcp_f32_e32 v4, v3
	v_nop
	v_fma_f32 v5, -v3, v4, 1.0
	s_delay_alu instid0(VALU_DEP_1) | instskip(SKIP_1) | instid1(VALU_DEP_1)
	v_fmac_f32_e32 v4, v5, v4
	v_div_scale_f32 v5, vcc_lo, v1, v0, v1
	v_mul_f32_e32 v6, v5, v4
	s_delay_alu instid0(VALU_DEP_1) | instskip(NEXT) | instid1(VALU_DEP_1)
	v_fma_f32 v7, -v3, v6, v5
	v_fmac_f32_e32 v6, v7, v4
	s_delay_alu instid0(VALU_DEP_1) | instskip(NEXT) | instid1(VALU_DEP_1)
	v_fma_f32 v3, -v3, v6, v5
	v_div_fmas_f32 v3, v3, v4, v6
	s_delay_alu instid0(VALU_DEP_1)
	v_div_fixup_f32 v4, v3, v0, v1
.LBB93_1481:
	s_or_b32 exec_lo, exec_lo, s0
	s_delay_alu instid0(VALU_DEP_1) | instskip(SKIP_2) | instid1(SALU_CYCLE_1)
	v_bfe_u32 v0, v4, 16, 1
	v_cmp_o_f32_e32 vcc_lo, v4, v4
	s_and_b32 s6, s34, 0xff
	s_cmp_lt_i32 s6, 11
	s_delay_alu instid0(VALU_DEP_2) | instskip(NEXT) | instid1(VALU_DEP_1)
	v_add3_u32 v0, v4, v0, 0x7fff
	v_dual_mov_b32 v3, 0 :: v_dual_lshrrev_b32 v5, 16, v0
	s_delay_alu instid0(VALU_DEP_1) | instskip(NEXT) | instid1(VALU_DEP_2)
	v_add_nc_u64_e32 v[0:1], s[4:5], v[2:3]
	v_cndmask_b32_e32 v4, 0x7fc0, v5, vcc_lo
	s_cbranch_scc1 .LBB93_1491
; %bb.1482:
	s_and_b32 s4, 0xffff, s6
	s_mov_b32 s5, -1
	s_cmp_gt_i32 s4, 25
	s_mov_b32 s0, s40
	s_cbranch_scc0 .LBB93_1519
; %bb.1483:
	s_cmp_gt_i32 s4, 28
	s_mov_b32 s0, s40
	s_cbranch_scc0 .LBB93_1503
; %bb.1484:
	;; [unrolled: 4-line block ×4, first 2 shown]
	s_cmp_eq_u32 s4, 46
	s_mov_b32 s0, -1
	s_cbranch_scc0 .LBB93_1492
; %bb.1487:
	v_and_b32_e32 v2, 0xffff, v4
	s_mov_b32 s0, 0
	s_mov_b32 s5, 0
	global_store_b32 v[0:1], v2, off
	s_branch .LBB93_1493
.LBB93_1488:
	s_or_b32 exec_lo, exec_lo, s7
	s_and_saveexec_b32 s4, s40
	s_cbranch_execnz .LBB93_1561
.LBB93_1489:
	s_or_b32 exec_lo, exec_lo, s4
	s_and_saveexec_b32 s4, s0
	s_delay_alu instid0(SALU_CYCLE_1)
	s_xor_b32 s0, exec_lo, s4
	s_cbranch_execz .LBB93_1562
.LBB93_1490:
	v_and_b32_e32 v2, 0x7fff, v4
	s_delay_alu instid0(VALU_DEP_1)
	v_cmp_ne_u16_e32 vcc_lo, 0, v2
	v_cndmask_b32_e64 v2, 0, 1, vcc_lo
	s_wait_loadcnt 0x0
	global_store_b8 v[0:1], v2, off
	s_wait_xcnt 0x0
	s_or_b32 exec_lo, exec_lo, s0
	s_and_saveexec_b32 s0, s8
	s_delay_alu instid0(SALU_CYCLE_1)
	s_xor_b32 s0, exec_lo, s0
	s_cbranch_execz .LBB93_1600
	s_branch .LBB93_1563
.LBB93_1491:
	s_mov_b32 s9, 0
	s_mov_b32 s5, -1
	s_mov_b32 s0, s40
	s_branch .LBB93_1560
.LBB93_1492:
	s_mov_b32 s5, 0
.LBB93_1493:
	s_delay_alu instid0(SALU_CYCLE_1)
	s_and_b32 vcc_lo, exec_lo, s5
	s_cbranch_vccz .LBB93_1498
; %bb.1494:
	s_cmp_eq_u32 s4, 44
	s_mov_b32 s0, -1
	s_cbranch_scc0 .LBB93_1498
; %bb.1495:
	s_wait_xcnt 0x0
	v_and_b32_e32 v2, 0xffff, v4
	v_mov_b32_e32 v3, 0xff
	s_mov_b32 s5, exec_lo
	s_delay_alu instid0(VALU_DEP_2) | instskip(NEXT) | instid1(VALU_DEP_1)
	v_bfe_u32 v5, v2, 7, 8
	v_cmpx_ne_u32_e32 0xff, v5
	s_cbranch_execz .LBB93_1497
; %bb.1496:
	v_dual_lshlrev_b32 v3, 16, v2 :: v_dual_bitop2_b32 v6, 64, v2 bitop3:0x40
	v_lshrrev_b32_e32 v2, 7, v2
	s_delay_alu instid0(VALU_DEP_2) | instskip(NEXT) | instid1(VALU_DEP_3)
	v_and_or_b32 v3, 0x3f0000, v3, v5
	v_cmp_ne_u32_e32 vcc_lo, 0, v6
	s_delay_alu instid0(VALU_DEP_2) | instskip(SKIP_1) | instid1(SALU_CYCLE_1)
	v_cmp_ne_u32_e64 s0, 0, v3
	s_and_b32 s0, vcc_lo, s0
	v_cndmask_b32_e64 v3, 0, 1, s0
	s_delay_alu instid0(VALU_DEP_1)
	v_add_nc_u32_e32 v3, v2, v3
.LBB93_1497:
	s_or_b32 exec_lo, exec_lo, s5
	s_mov_b32 s0, 0
	global_store_b8 v[0:1], v3, off
.LBB93_1498:
	s_mov_b32 s5, 0
.LBB93_1499:
	s_delay_alu instid0(SALU_CYCLE_1)
	s_and_b32 vcc_lo, exec_lo, s5
	s_cbranch_vccz .LBB93_1502
; %bb.1500:
	s_cmp_eq_u32 s4, 29
	s_mov_b32 s0, -1
	s_cbranch_scc0 .LBB93_1502
; %bb.1501:
	s_wait_xcnt 0x0
	v_lshlrev_b32_e32 v2, 16, v4
	s_mov_b32 s0, 0
	s_mov_b32 s5, 0
	s_delay_alu instid0(VALU_DEP_1) | instskip(NEXT) | instid1(VALU_DEP_1)
	v_trunc_f32_e32 v2, v2
	v_mul_f32_e32 v3, 0x2f800000, v2
	s_delay_alu instid0(VALU_DEP_1) | instskip(NEXT) | instid1(VALU_DEP_1)
	v_floor_f32_e32 v3, v3
	v_fmamk_f32 v2, v3, 0xcf800000, v2
	v_cvt_u32_f32_e32 v3, v3
	s_delay_alu instid0(VALU_DEP_2)
	v_cvt_u32_f32_e32 v2, v2
	global_store_b64 v[0:1], v[2:3], off
	s_branch .LBB93_1503
.LBB93_1502:
	s_mov_b32 s5, 0
.LBB93_1503:
	s_delay_alu instid0(SALU_CYCLE_1)
	s_and_b32 vcc_lo, exec_lo, s5
	s_cbranch_vccz .LBB93_1518
; %bb.1504:
	s_cmp_lt_i32 s4, 27
	s_mov_b32 s5, -1
	s_cbranch_scc1 .LBB93_1510
; %bb.1505:
	s_cmp_gt_i32 s4, 27
	s_cbranch_scc0 .LBB93_1507
; %bb.1506:
	s_wait_xcnt 0x0
	v_lshlrev_b32_e32 v2, 16, v4
	s_mov_b32 s5, 0
	s_delay_alu instid0(VALU_DEP_1)
	v_cvt_u32_f32_e32 v2, v2
	global_store_b32 v[0:1], v2, off
.LBB93_1507:
	s_and_not1_b32 vcc_lo, exec_lo, s5
	s_cbranch_vccnz .LBB93_1509
; %bb.1508:
	s_wait_xcnt 0x0
	v_lshlrev_b32_e32 v2, 16, v4
	s_delay_alu instid0(VALU_DEP_1)
	v_cvt_u32_f32_e32 v2, v2
	global_store_b16 v[0:1], v2, off
.LBB93_1509:
	s_mov_b32 s5, 0
.LBB93_1510:
	s_delay_alu instid0(SALU_CYCLE_1)
	s_and_not1_b32 vcc_lo, exec_lo, s5
	s_cbranch_vccnz .LBB93_1518
; %bb.1511:
	v_dual_mov_b32 v6, 0x80 :: v_dual_lshlrev_b32 v5, 16, v4
	s_mov_b32 s5, exec_lo
	s_wait_xcnt 0x0
	s_delay_alu instid0(VALU_DEP_1) | instskip(NEXT) | instid1(VALU_DEP_1)
	v_and_b32_e32 v3, 0x7fffffff, v5
	v_cmpx_gt_u32_e32 0x43800000, v3
	s_cbranch_execz .LBB93_1517
; %bb.1512:
	v_and_b32_e32 v2, 0xffff, v4
	v_cmp_lt_u32_e32 vcc_lo, 0x3bffffff, v3
                                        ; implicit-def: $vgpr3
	s_and_saveexec_b32 s9, vcc_lo
	s_delay_alu instid0(SALU_CYCLE_1)
	s_xor_b32 s9, exec_lo, s9
	s_cbranch_execz .LBB93_1659
; %bb.1513:
	v_bfe_u32 v3, v2, 4, 1
	s_mov_b32 s8, exec_lo
	s_delay_alu instid0(VALU_DEP_1) | instskip(NEXT) | instid1(VALU_DEP_1)
	v_add3_u32 v3, v5, v3, 0x487ffff
                                        ; implicit-def: $vgpr5
	v_lshrrev_b32_e32 v3, 20, v3
	s_and_not1_saveexec_b32 s9, s9
	s_cbranch_execnz .LBB93_1660
.LBB93_1514:
	s_or_b32 exec_lo, exec_lo, s9
	v_mov_b32_e32 v6, 0
	s_and_saveexec_b32 s9, s8
.LBB93_1515:
	v_lshrrev_b32_e32 v2, 8, v2
	s_delay_alu instid0(VALU_DEP_1)
	v_and_or_b32 v6, 0x80, v2, v3
.LBB93_1516:
	s_or_b32 exec_lo, exec_lo, s9
.LBB93_1517:
	s_delay_alu instid0(SALU_CYCLE_1)
	s_or_b32 exec_lo, exec_lo, s5
	global_store_b8 v[0:1], v6, off
.LBB93_1518:
	s_mov_b32 s5, 0
.LBB93_1519:
	s_delay_alu instid0(SALU_CYCLE_1)
	s_and_b32 vcc_lo, exec_lo, s5
	s_mov_b32 s5, 0
	s_cbranch_vccz .LBB93_1559
; %bb.1520:
	s_cmp_gt_i32 s4, 22
	s_mov_b32 s8, -1
	s_cbranch_scc0 .LBB93_1552
; %bb.1521:
	s_cmp_lt_i32 s4, 24
	s_cbranch_scc1 .LBB93_1541
; %bb.1522:
	s_cmp_gt_i32 s4, 24
	s_cbranch_scc0 .LBB93_1530
; %bb.1523:
	s_wait_xcnt 0x0
	v_dual_mov_b32 v6, 0x80 :: v_dual_lshlrev_b32 v5, 16, v4
	s_mov_b32 s8, exec_lo
	s_delay_alu instid0(VALU_DEP_1) | instskip(NEXT) | instid1(VALU_DEP_1)
	v_and_b32_e32 v3, 0x7fffffff, v5
	v_cmpx_gt_u32_e32 0x47800000, v3
	s_cbranch_execz .LBB93_1529
; %bb.1524:
	v_and_b32_e32 v2, 0xffff, v4
	v_cmp_lt_u32_e32 vcc_lo, 0x37ffffff, v3
	s_mov_b32 s9, 0
                                        ; implicit-def: $vgpr3
	s_and_saveexec_b32 s10, vcc_lo
	s_delay_alu instid0(SALU_CYCLE_1)
	s_xor_b32 s10, exec_lo, s10
	s_cbranch_execz .LBB93_1785
; %bb.1525:
	v_bfe_u32 v3, v2, 5, 1
	s_mov_b32 s9, exec_lo
	s_delay_alu instid0(VALU_DEP_1) | instskip(NEXT) | instid1(VALU_DEP_1)
	v_add3_u32 v3, v5, v3, 0x88fffff
                                        ; implicit-def: $vgpr5
	v_lshrrev_b32_e32 v3, 21, v3
	s_and_not1_saveexec_b32 s10, s10
	s_cbranch_execnz .LBB93_1786
.LBB93_1526:
	s_or_b32 exec_lo, exec_lo, s10
	v_mov_b32_e32 v6, 0
	s_and_saveexec_b32 s10, s9
.LBB93_1527:
	v_lshrrev_b32_e32 v2, 8, v2
	s_delay_alu instid0(VALU_DEP_1)
	v_and_or_b32 v6, 0x80, v2, v3
.LBB93_1528:
	s_or_b32 exec_lo, exec_lo, s10
.LBB93_1529:
	s_delay_alu instid0(SALU_CYCLE_1)
	s_or_b32 exec_lo, exec_lo, s8
	s_mov_b32 s8, 0
	global_store_b8 v[0:1], v6, off
.LBB93_1530:
	s_and_b32 vcc_lo, exec_lo, s8
	s_cbranch_vccz .LBB93_1540
; %bb.1531:
	v_lshlrev_b32_e32 v5, 16, v4
	s_wait_xcnt 0x0
	v_and_b32_e32 v2, 0xffff, v4
	s_mov_b32 s8, exec_lo
                                        ; implicit-def: $vgpr3
	s_delay_alu instid0(VALU_DEP_2) | instskip(NEXT) | instid1(VALU_DEP_1)
	v_and_b32_e32 v6, 0x7fffffff, v5
	v_cmpx_gt_u32_e32 0x43f00000, v6
	s_xor_b32 s8, exec_lo, s8
	s_cbranch_execz .LBB93_1537
; %bb.1532:
	s_mov_b32 s9, exec_lo
                                        ; implicit-def: $vgpr3
	v_cmpx_lt_u32_e32 0x3c7fffff, v6
	s_xor_b32 s9, exec_lo, s9
; %bb.1533:
	v_bfe_u32 v3, v2, 4, 1
	s_delay_alu instid0(VALU_DEP_1) | instskip(NEXT) | instid1(VALU_DEP_1)
	v_add3_u32 v3, v5, v3, 0x407ffff
	v_and_b32_e32 v5, 0xff00000, v3
	v_lshrrev_b32_e32 v3, 20, v3
	s_delay_alu instid0(VALU_DEP_2) | instskip(NEXT) | instid1(VALU_DEP_2)
	v_cmp_ne_u32_e32 vcc_lo, 0x7f00000, v5
                                        ; implicit-def: $vgpr5
	v_cndmask_b32_e32 v3, 0x7e, v3, vcc_lo
; %bb.1534:
	s_and_not1_saveexec_b32 s9, s9
; %bb.1535:
	v_add_f32_e64 v3, 0x46800000, |v5|
; %bb.1536:
	s_or_b32 exec_lo, exec_lo, s9
                                        ; implicit-def: $vgpr6
.LBB93_1537:
	s_and_not1_saveexec_b32 s8, s8
; %bb.1538:
	v_mov_b32_e32 v3, 0x7f
	v_cmp_lt_u32_e32 vcc_lo, 0x7f800000, v6
	s_delay_alu instid0(VALU_DEP_2)
	v_cndmask_b32_e32 v3, 0x7e, v3, vcc_lo
; %bb.1539:
	s_or_b32 exec_lo, exec_lo, s8
	v_lshrrev_b32_e32 v2, 8, v2
	s_delay_alu instid0(VALU_DEP_1)
	v_and_or_b32 v2, 0x80, v2, v3
	global_store_b8 v[0:1], v2, off
.LBB93_1540:
	s_mov_b32 s8, 0
.LBB93_1541:
	s_delay_alu instid0(SALU_CYCLE_1)
	s_and_not1_b32 vcc_lo, exec_lo, s8
	s_cbranch_vccnz .LBB93_1551
; %bb.1542:
	v_lshlrev_b32_e32 v5, 16, v4
	s_wait_xcnt 0x0
	v_and_b32_e32 v2, 0xffff, v4
	s_mov_b32 s8, exec_lo
                                        ; implicit-def: $vgpr3
	s_delay_alu instid0(VALU_DEP_2) | instskip(NEXT) | instid1(VALU_DEP_1)
	v_and_b32_e32 v6, 0x7fffffff, v5
	v_cmpx_gt_u32_e32 0x47800000, v6
	s_xor_b32 s8, exec_lo, s8
	s_cbranch_execz .LBB93_1548
; %bb.1543:
	s_mov_b32 s9, exec_lo
                                        ; implicit-def: $vgpr3
	v_cmpx_lt_u32_e32 0x387fffff, v6
	s_xor_b32 s9, exec_lo, s9
; %bb.1544:
	v_bfe_u32 v3, v2, 5, 1
	s_delay_alu instid0(VALU_DEP_1) | instskip(NEXT) | instid1(VALU_DEP_1)
	v_add3_u32 v3, v5, v3, 0x80fffff
                                        ; implicit-def: $vgpr5
	v_lshrrev_b32_e32 v3, 21, v3
; %bb.1545:
	s_and_not1_saveexec_b32 s9, s9
; %bb.1546:
	v_add_f32_e64 v3, 0x43000000, |v5|
; %bb.1547:
	s_or_b32 exec_lo, exec_lo, s9
                                        ; implicit-def: $vgpr6
.LBB93_1548:
	s_and_not1_saveexec_b32 s8, s8
; %bb.1549:
	v_mov_b32_e32 v3, 0x7f
	v_cmp_lt_u32_e32 vcc_lo, 0x7f800000, v6
	s_delay_alu instid0(VALU_DEP_2)
	v_cndmask_b32_e32 v3, 0x7c, v3, vcc_lo
; %bb.1550:
	s_or_b32 exec_lo, exec_lo, s8
	v_lshrrev_b32_e32 v2, 8, v2
	s_delay_alu instid0(VALU_DEP_1)
	v_and_or_b32 v2, 0x80, v2, v3
	global_store_b8 v[0:1], v2, off
.LBB93_1551:
	s_mov_b32 s8, 0
.LBB93_1552:
	s_delay_alu instid0(SALU_CYCLE_1)
	s_and_not1_b32 vcc_lo, exec_lo, s8
	s_mov_b32 s9, 0
	s_cbranch_vccnz .LBB93_1560
; %bb.1553:
	s_cmp_gt_i32 s4, 14
	s_mov_b32 s8, -1
	s_cbranch_scc0 .LBB93_1557
; %bb.1554:
	s_cmp_eq_u32 s4, 15
	s_mov_b32 s0, -1
	s_cbranch_scc0 .LBB93_1556
; %bb.1555:
	s_mov_b32 s0, 0
	global_store_b16 v[0:1], v4, off
.LBB93_1556:
	s_mov_b32 s8, 0
.LBB93_1557:
	s_delay_alu instid0(SALU_CYCLE_1)
	s_and_b32 vcc_lo, exec_lo, s8
	s_cbranch_vccz .LBB93_1560
; %bb.1558:
	s_cmp_lg_u32 s4, 11
	s_mov_b32 s9, -1
	s_cselect_b32 s4, -1, 0
	s_and_not1_b32 s0, s0, exec_lo
	s_and_b32 s4, s4, exec_lo
	s_delay_alu instid0(SALU_CYCLE_1)
	s_or_b32 s0, s0, s4
	s_branch .LBB93_1560
.LBB93_1559:
	s_mov_b32 s9, 0
.LBB93_1560:
	s_and_b32 s8, s5, exec_lo
	s_and_not1_b32 s4, s40, exec_lo
	s_and_b32 s5, s0, exec_lo
	s_and_b32 s0, s9, exec_lo
	s_or_b32 s40, s4, s5
	s_wait_xcnt 0x0
	s_or_b32 exec_lo, exec_lo, s7
	s_and_saveexec_b32 s4, s40
	s_cbranch_execz .LBB93_1489
.LBB93_1561:
	s_or_b32 s1, s1, exec_lo
	s_and_not1_b32 s0, s0, exec_lo
	s_trap 2
	s_or_b32 exec_lo, exec_lo, s4
	s_and_saveexec_b32 s4, s0
	s_delay_alu instid0(SALU_CYCLE_1)
	s_xor_b32 s0, exec_lo, s4
	s_cbranch_execnz .LBB93_1490
.LBB93_1562:
	s_or_b32 exec_lo, exec_lo, s0
	s_and_saveexec_b32 s0, s8
	s_delay_alu instid0(SALU_CYCLE_1)
	s_xor_b32 s0, exec_lo, s0
	s_cbranch_execz .LBB93_1600
.LBB93_1563:
	s_sext_i32_i16 s5, s6
	s_mov_b32 s4, -1
	s_cmp_lt_i32 s5, 5
	s_cbranch_scc1 .LBB93_1584
; %bb.1564:
	s_cmp_lt_i32 s5, 8
	s_cbranch_scc1 .LBB93_1574
; %bb.1565:
	;; [unrolled: 3-line block ×3, first 2 shown]
	s_cmp_gt_i32 s5, 9
	s_cbranch_scc0 .LBB93_1568
; %bb.1567:
	v_dual_lshlrev_b32 v2, 16, v4 :: v_dual_mov_b32 v8, 0
	s_mov_b32 s4, 0
	s_delay_alu instid0(VALU_DEP_1) | instskip(NEXT) | instid1(VALU_DEP_2)
	v_cvt_f64_f32_e32 v[6:7], v2
	v_mov_b32_e32 v9, v8
	s_wait_loadcnt 0x0
	global_store_b128 v[0:1], v[6:9], off
.LBB93_1568:
	s_and_not1_b32 vcc_lo, exec_lo, s4
	s_cbranch_vccnz .LBB93_1570
; %bb.1569:
	s_wait_loadcnt 0x0
	v_dual_mov_b32 v3, 0 :: v_dual_lshlrev_b32 v2, 16, v4
	global_store_b64 v[0:1], v[2:3], off
.LBB93_1570:
	s_mov_b32 s4, 0
.LBB93_1571:
	s_delay_alu instid0(SALU_CYCLE_1)
	s_and_not1_b32 vcc_lo, exec_lo, s4
	s_cbranch_vccnz .LBB93_1573
; %bb.1572:
	s_wait_xcnt 0x0
	v_lshlrev_b32_e32 v2, 16, v4
	s_delay_alu instid0(VALU_DEP_1) | instskip(NEXT) | instid1(VALU_DEP_1)
	v_cvt_f16_f32_e32 v2, v2
	v_and_b32_e32 v2, 0xffff, v2
	s_wait_loadcnt 0x0
	global_store_b32 v[0:1], v2, off
.LBB93_1573:
	s_mov_b32 s4, 0
.LBB93_1574:
	s_delay_alu instid0(SALU_CYCLE_1)
	s_and_not1_b32 vcc_lo, exec_lo, s4
	s_cbranch_vccnz .LBB93_1583
; %bb.1575:
	s_sext_i32_i16 s5, s6
	s_mov_b32 s4, -1
	s_cmp_lt_i32 s5, 6
	s_cbranch_scc1 .LBB93_1581
; %bb.1576:
	s_cmp_gt_i32 s5, 6
	s_cbranch_scc0 .LBB93_1578
; %bb.1577:
	s_wait_xcnt 0x0
	v_lshlrev_b32_e32 v2, 16, v4
	s_mov_b32 s4, 0
	s_wait_loadcnt 0x0
	s_delay_alu instid0(VALU_DEP_1)
	v_cvt_f64_f32_e32 v[2:3], v2
	global_store_b64 v[0:1], v[2:3], off
.LBB93_1578:
	s_and_not1_b32 vcc_lo, exec_lo, s4
	s_cbranch_vccnz .LBB93_1580
; %bb.1579:
	s_wait_xcnt 0x0
	v_lshlrev_b32_e32 v2, 16, v4
	s_wait_loadcnt 0x0
	global_store_b32 v[0:1], v2, off
.LBB93_1580:
	s_mov_b32 s4, 0
.LBB93_1581:
	s_delay_alu instid0(SALU_CYCLE_1)
	s_and_not1_b32 vcc_lo, exec_lo, s4
	s_cbranch_vccnz .LBB93_1583
; %bb.1582:
	s_wait_xcnt 0x0
	v_lshlrev_b32_e32 v2, 16, v4
	s_delay_alu instid0(VALU_DEP_1)
	v_cvt_f16_f32_e32 v2, v2
	s_wait_loadcnt 0x0
	global_store_b16 v[0:1], v2, off
.LBB93_1583:
	s_mov_b32 s4, 0
.LBB93_1584:
	s_delay_alu instid0(SALU_CYCLE_1)
	s_and_not1_b32 vcc_lo, exec_lo, s4
	s_cbranch_vccnz .LBB93_1600
; %bb.1585:
	s_sext_i32_i16 s5, s6
	s_mov_b32 s4, -1
	s_cmp_lt_i32 s5, 2
	s_cbranch_scc1 .LBB93_1595
; %bb.1586:
	s_cmp_lt_i32 s5, 3
	s_cbranch_scc1 .LBB93_1592
; %bb.1587:
	s_cmp_gt_i32 s5, 3
	s_cbranch_scc0 .LBB93_1589
; %bb.1588:
	s_wait_xcnt 0x0
	v_lshlrev_b32_e32 v2, 16, v4
	s_mov_b32 s4, 0
	s_delay_alu instid0(VALU_DEP_1) | instskip(SKIP_1) | instid1(VALU_DEP_1)
	v_trunc_f32_e32 v2, v2
	s_wait_loadcnt 0x0
	v_mul_f32_e64 v3, 0x2f800000, |v2|
	s_delay_alu instid0(VALU_DEP_1) | instskip(NEXT) | instid1(VALU_DEP_1)
	v_floor_f32_e32 v3, v3
	v_fma_f32 v5, 0xcf800000, v3, |v2|
	v_ashrrev_i32_e32 v2, 31, v2
	v_cvt_u32_f32_e32 v6, v3
	s_delay_alu instid0(VALU_DEP_3) | instskip(NEXT) | instid1(VALU_DEP_3)
	v_cvt_u32_f32_e32 v5, v5
	v_mov_b32_e32 v3, v2
	s_delay_alu instid0(VALU_DEP_3) | instskip(NEXT) | instid1(VALU_DEP_3)
	v_xor_b32_e32 v7, v6, v2
	v_xor_b32_e32 v6, v5, v2
	s_delay_alu instid0(VALU_DEP_1)
	v_sub_nc_u64_e32 v[2:3], v[6:7], v[2:3]
	global_store_b64 v[0:1], v[2:3], off
.LBB93_1589:
	s_and_not1_b32 vcc_lo, exec_lo, s4
	s_cbranch_vccnz .LBB93_1591
; %bb.1590:
	s_wait_xcnt 0x0
	v_lshlrev_b32_e32 v2, 16, v4
	s_delay_alu instid0(VALU_DEP_1)
	v_cvt_i32_f32_e32 v2, v2
	s_wait_loadcnt 0x0
	global_store_b32 v[0:1], v2, off
.LBB93_1591:
	s_mov_b32 s4, 0
.LBB93_1592:
	s_delay_alu instid0(SALU_CYCLE_1)
	s_and_not1_b32 vcc_lo, exec_lo, s4
	s_cbranch_vccnz .LBB93_1594
; %bb.1593:
	s_wait_xcnt 0x0
	v_lshlrev_b32_e32 v2, 16, v4
	s_delay_alu instid0(VALU_DEP_1)
	v_cvt_i32_f32_e32 v2, v2
	s_wait_loadcnt 0x0
	global_store_b16 v[0:1], v2, off
.LBB93_1594:
	s_mov_b32 s4, 0
.LBB93_1595:
	s_delay_alu instid0(SALU_CYCLE_1)
	s_and_not1_b32 vcc_lo, exec_lo, s4
	s_cbranch_vccnz .LBB93_1600
; %bb.1596:
	s_wait_xcnt 0x0
	v_lshlrev_b32_e32 v2, 16, v4
	s_sext_i32_i16 s4, s6
	s_delay_alu instid0(SALU_CYCLE_1)
	s_cmp_gt_i32 s4, 0
	s_mov_b32 s4, -1
	s_cbranch_scc0 .LBB93_1598
; %bb.1597:
	s_wait_loadcnt 0x0
	v_cvt_i32_f32_e32 v3, v2
	s_mov_b32 s4, 0
	global_store_b8 v[0:1], v3, off
.LBB93_1598:
	s_and_not1_b32 vcc_lo, exec_lo, s4
	s_cbranch_vccnz .LBB93_1600
; %bb.1599:
	v_trunc_f32_e32 v2, v2
	s_wait_loadcnt 0x0
	s_delay_alu instid0(VALU_DEP_1) | instskip(NEXT) | instid1(VALU_DEP_1)
	v_mul_f32_e64 v3, 0x2f800000, |v2|
	v_floor_f32_e32 v3, v3
	s_delay_alu instid0(VALU_DEP_1) | instskip(SKIP_1) | instid1(VALU_DEP_2)
	v_fma_f32 v3, 0xcf800000, v3, |v2|
	v_ashrrev_i32_e32 v2, 31, v2
	v_cvt_u32_f32_e32 v3, v3
	s_delay_alu instid0(VALU_DEP_1) | instskip(NEXT) | instid1(VALU_DEP_1)
	v_xor_b32_e32 v3, v3, v2
	v_sub_nc_u32_e32 v2, v3, v2
	global_store_b8 v[0:1], v2, off
.LBB93_1600:
	s_wait_xcnt 0x0
	s_or_b32 exec_lo, exec_lo, s0
	s_delay_alu instid0(SALU_CYCLE_1)
	s_and_b32 s10, s1, exec_lo
                                        ; implicit-def: $vgpr5
                                        ; implicit-def: $vgpr0
.LBB93_1601:
	s_or_saveexec_b32 s11, s33
	s_mov_b32 s0, 0
                                        ; implicit-def: $vgpr2_vgpr3
                                        ; implicit-def: $sgpr1
                                        ; implicit-def: $vgpr1
	s_xor_b32 exec_lo, exec_lo, s11
	s_cbranch_execz .LBB93_3131
; %bb.1602:
	s_wait_loadcnt 0x0
	v_cndmask_b32_e64 v1, 0, 1, s31
	s_and_not1_b32 vcc_lo, exec_lo, s31
	s_cbranch_vccnz .LBB93_1608
; %bb.1603:
	s_cmp_lg_u32 s28, 0
	s_mov_b32 s4, 0
	s_cbranch_scc0 .LBB93_1612
; %bb.1604:
	s_min_u32 s5, s29, 15
	v_dual_mov_b32 v6, 0 :: v_dual_mov_b32 v2, v0
	v_dual_mov_b32 v22, 0 :: v_dual_mov_b32 v20, 0
	s_add_co_i32 s6, s5, 1
	s_mov_b64 s[0:1], 0xffffffffffffffe8
	s_and_b32 s6, s6, 30
	s_add_nc_u64 s[0:1], s[2:3], s[0:1]
.LBB93_1605:                            ; =>This Inner Loop Header: Depth=1
	s_clause 0x1
	s_load_b128 s[12:15], s[0:1], 0x1c
	s_load_b64 s[8:9], s[0:1], 0x2c
	s_add_co_i32 s6, s6, -2
	s_delay_alu instid0(SALU_CYCLE_1) | instskip(SKIP_2) | instid1(VALU_DEP_1)
	s_cmp_lg_u32 s6, 0
	s_wait_kmcnt 0x0
	v_mul_hi_u32 v3, s13, v2
	v_add_nc_u32_e32 v3, v2, v3
	s_delay_alu instid0(VALU_DEP_1) | instskip(NEXT) | instid1(VALU_DEP_1)
	v_lshrrev_b32_e32 v3, s14, v3
	v_mul_hi_u32 v4, s8, v3
	v_mul_lo_u32 v7, v3, s12
	s_clause 0x1
	s_load_b128 s[16:19], s[0:1], 0xdc
	s_load_b64 s[12:13], s[0:1], 0xec
	s_wait_xcnt 0x0
	s_add_nc_u64 s[0:1], s[0:1], 24
	s_delay_alu instid0(VALU_DEP_1) | instskip(NEXT) | instid1(VALU_DEP_1)
	v_dual_add_nc_u32 v4, v3, v4 :: v_dual_sub_nc_u32 v7, v2, v7
	v_lshrrev_b32_e32 v2, s9, v4
	s_wait_kmcnt 0x0
	s_delay_alu instid0(VALU_DEP_2) | instskip(NEXT) | instid1(VALU_DEP_2)
	v_mad_u32 v6, v7, s16, v6
	v_mul_lo_u32 v4, v2, s15
	v_mad_u32 v8, v7, s18, v20
	v_mad_u32 v7, v7, s17, v22
	s_delay_alu instid0(VALU_DEP_3) | instskip(NEXT) | instid1(VALU_DEP_1)
	v_sub_nc_u32_e32 v3, v3, v4
	v_mad_u32 v6, v3, s19, v6
	s_delay_alu instid0(VALU_DEP_4) | instskip(NEXT) | instid1(VALU_DEP_4)
	v_mad_u32 v20, v3, s13, v8
	v_mad_u32 v22, v3, s12, v7
	s_cbranch_scc1 .LBB93_1605
; %bb.1606:
	s_bitcmp1_b32 s5, 0
	s_cselect_b32 s5, -1, 0
	s_delay_alu instid0(SALU_CYCLE_1)
	s_and_b32 vcc_lo, exec_lo, s5
	s_cbranch_vccnz .LBB93_1609
; %bb.1607:
	s_clause 0x1
	s_load_b96 s[12:14], s[0:1], 0x1c
	s_load_b96 s[16:18], s[0:1], 0xdc
	s_wait_kmcnt 0x0
	v_mul_hi_u32 v3, s13, v2
	s_delay_alu instid0(VALU_DEP_1) | instskip(NEXT) | instid1(VALU_DEP_1)
	v_add_nc_u32_e32 v3, v2, v3
	v_lshrrev_b32_e32 v3, s14, v3
	s_delay_alu instid0(VALU_DEP_1) | instskip(NEXT) | instid1(VALU_DEP_1)
	v_mul_lo_u32 v3, v3, s12
	v_sub_nc_u32_e32 v2, v2, v3
	s_delay_alu instid0(VALU_DEP_1)
	v_mad_u32 v6, v2, s16, v6
	v_mad_u32 v22, v2, s17, v22
	v_mad_u32 v20, v2, s18, v20
	s_and_not1_b32 vcc_lo, exec_lo, s4
	s_cbranch_vccz .LBB93_1610
	s_branch .LBB93_1613
.LBB93_1608:
	s_mov_b32 s4, -1
                                        ; implicit-def: $vgpr20
                                        ; implicit-def: $vgpr22
                                        ; implicit-def: $vgpr6
.LBB93_1609:
	s_delay_alu instid0(SALU_CYCLE_1)
	s_and_not1_b32 vcc_lo, exec_lo, s4
	s_cbranch_vccnz .LBB93_1613
.LBB93_1610:
	s_clause 0x1
	s_load_b96 s[4:6], s[2:3], 0x4
	s_load_b96 s[12:14], s[2:3], 0xc4
	s_cmp_lt_u32 s28, 2
	s_wait_kmcnt 0x0
	v_mul_hi_u32 v2, s5, v0
	s_delay_alu instid0(VALU_DEP_1) | instskip(NEXT) | instid1(VALU_DEP_1)
	v_add_nc_u32_e32 v2, v0, v2
	v_lshrrev_b32_e32 v2, s6, v2
	s_delay_alu instid0(VALU_DEP_1) | instskip(NEXT) | instid1(VALU_DEP_1)
	v_mul_lo_u32 v3, v2, s4
	v_sub_nc_u32_e32 v3, v0, v3
	s_delay_alu instid0(VALU_DEP_1)
	v_mul_lo_u32 v6, v3, s12
	v_mul_lo_u32 v20, v3, s14
	;; [unrolled: 1-line block ×3, first 2 shown]
	s_cbranch_scc1 .LBB93_1613
; %bb.1611:
	s_clause 0x1
	s_load_b96 s[4:6], s[2:3], 0x10
	s_load_b96 s[12:14], s[2:3], 0xd0
	s_wait_kmcnt 0x0
	v_mul_hi_u32 v3, s5, v2
	s_delay_alu instid0(VALU_DEP_1) | instskip(NEXT) | instid1(VALU_DEP_1)
	v_add_nc_u32_e32 v3, v2, v3
	v_lshrrev_b32_e32 v3, s6, v3
	s_delay_alu instid0(VALU_DEP_1) | instskip(NEXT) | instid1(VALU_DEP_1)
	v_mul_lo_u32 v3, v3, s4
	v_sub_nc_u32_e32 v2, v2, v3
	s_delay_alu instid0(VALU_DEP_1)
	v_mad_u32 v6, v2, s12, v6
	v_mad_u32 v22, v2, s13, v22
	v_mad_u32 v20, v2, s14, v20
	s_branch .LBB93_1613
.LBB93_1612:
	v_dual_mov_b32 v20, 0 :: v_dual_mov_b32 v22, 0
	v_mov_b32_e32 v6, 0
	s_and_not1_b32 vcc_lo, exec_lo, s4
	s_cbranch_vccz .LBB93_1610
.LBB93_1613:
	v_cmp_ne_u32_e32 vcc_lo, 1, v1
	v_add_nc_u32_e32 v2, 0x80, v0
	s_cbranch_vccnz .LBB93_1619
; %bb.1614:
	s_cmp_lg_u32 s28, 0
	s_mov_b32 s4, 0
	s_cbranch_scc0 .LBB93_1623
; %bb.1615:
	s_min_u32 s5, s29, 15
	v_dual_mov_b32 v4, 0 :: v_dual_mov_b32 v3, v2
	v_dual_mov_b32 v18, 0 :: v_dual_mov_b32 v16, 0
	s_add_co_i32 s6, s5, 1
	s_mov_b64 s[0:1], 0xffffffffffffffe8
	s_and_b32 s6, s6, 30
	s_add_nc_u64 s[0:1], s[2:3], s[0:1]
.LBB93_1616:                            ; =>This Inner Loop Header: Depth=1
	s_clause 0x1
	s_load_b128 s[12:15], s[0:1], 0x1c
	s_load_b64 s[8:9], s[0:1], 0x2c
	s_add_co_i32 s6, s6, -2
	s_delay_alu instid0(SALU_CYCLE_1) | instskip(SKIP_2) | instid1(VALU_DEP_1)
	s_cmp_lg_u32 s6, 0
	s_wait_kmcnt 0x0
	v_mul_hi_u32 v7, s13, v3
	v_add_nc_u32_e32 v7, v3, v7
	s_delay_alu instid0(VALU_DEP_1) | instskip(NEXT) | instid1(VALU_DEP_1)
	v_lshrrev_b32_e32 v7, s14, v7
	v_mul_hi_u32 v8, s8, v7
	v_mul_lo_u32 v9, v7, s12
	s_clause 0x1
	s_load_b128 s[16:19], s[0:1], 0xdc
	s_load_b64 s[12:13], s[0:1], 0xec
	s_wait_xcnt 0x0
	s_add_nc_u64 s[0:1], s[0:1], 24
	s_delay_alu instid0(VALU_DEP_2) | instskip(NEXT) | instid1(VALU_DEP_1)
	v_add_nc_u32_e32 v8, v7, v8
	v_dual_sub_nc_u32 v9, v3, v9 :: v_dual_lshrrev_b32 v3, s9, v8
	s_wait_kmcnt 0x0
	s_delay_alu instid0(VALU_DEP_1) | instskip(NEXT) | instid1(VALU_DEP_2)
	v_mad_u32 v4, v9, s16, v4
	v_mul_lo_u32 v8, v3, s15
	v_mad_u32 v10, v9, s18, v16
	v_mad_u32 v9, v9, s17, v18
	s_delay_alu instid0(VALU_DEP_3) | instskip(NEXT) | instid1(VALU_DEP_1)
	v_sub_nc_u32_e32 v7, v7, v8
	v_mad_u32 v4, v7, s19, v4
	s_delay_alu instid0(VALU_DEP_4) | instskip(NEXT) | instid1(VALU_DEP_4)
	v_mad_u32 v16, v7, s13, v10
	v_mad_u32 v18, v7, s12, v9
	s_cbranch_scc1 .LBB93_1616
; %bb.1617:
	s_bitcmp1_b32 s5, 0
	s_cselect_b32 s5, -1, 0
	s_delay_alu instid0(SALU_CYCLE_1)
	s_and_b32 vcc_lo, exec_lo, s5
	s_cbranch_vccnz .LBB93_1620
; %bb.1618:
	s_clause 0x1
	s_load_b96 s[12:14], s[0:1], 0x1c
	s_load_b96 s[16:18], s[0:1], 0xdc
	s_wait_kmcnt 0x0
	v_mul_hi_u32 v7, s13, v3
	s_delay_alu instid0(VALU_DEP_1) | instskip(NEXT) | instid1(VALU_DEP_1)
	v_add_nc_u32_e32 v7, v3, v7
	v_lshrrev_b32_e32 v7, s14, v7
	s_delay_alu instid0(VALU_DEP_1) | instskip(NEXT) | instid1(VALU_DEP_1)
	v_mul_lo_u32 v7, v7, s12
	v_sub_nc_u32_e32 v3, v3, v7
	s_delay_alu instid0(VALU_DEP_1)
	v_mad_u32 v4, v3, s16, v4
	v_mad_u32 v18, v3, s17, v18
	;; [unrolled: 1-line block ×3, first 2 shown]
	s_and_not1_b32 vcc_lo, exec_lo, s4
	s_cbranch_vccz .LBB93_1621
	s_branch .LBB93_1624
.LBB93_1619:
	s_mov_b32 s4, -1
                                        ; implicit-def: $vgpr16
                                        ; implicit-def: $vgpr18
                                        ; implicit-def: $vgpr4
.LBB93_1620:
	s_delay_alu instid0(SALU_CYCLE_1)
	s_and_not1_b32 vcc_lo, exec_lo, s4
	s_cbranch_vccnz .LBB93_1624
.LBB93_1621:
	s_clause 0x1
	s_load_b96 s[4:6], s[2:3], 0x4
	s_load_b96 s[12:14], s[2:3], 0xc4
	s_cmp_lt_u32 s28, 2
	s_wait_kmcnt 0x0
	v_mul_hi_u32 v3, s5, v2
	s_delay_alu instid0(VALU_DEP_1) | instskip(NEXT) | instid1(VALU_DEP_1)
	v_add_nc_u32_e32 v3, v2, v3
	v_lshrrev_b32_e32 v3, s6, v3
	s_delay_alu instid0(VALU_DEP_1) | instskip(NEXT) | instid1(VALU_DEP_1)
	v_mul_lo_u32 v4, v3, s4
	v_sub_nc_u32_e32 v2, v2, v4
	s_delay_alu instid0(VALU_DEP_1)
	v_mul_lo_u32 v4, v2, s12
	v_mul_lo_u32 v16, v2, s14
	;; [unrolled: 1-line block ×3, first 2 shown]
	s_cbranch_scc1 .LBB93_1624
; %bb.1622:
	s_clause 0x1
	s_load_b96 s[4:6], s[2:3], 0x10
	s_load_b96 s[12:14], s[2:3], 0xd0
	s_wait_kmcnt 0x0
	v_mul_hi_u32 v2, s5, v3
	s_delay_alu instid0(VALU_DEP_1) | instskip(NEXT) | instid1(VALU_DEP_1)
	v_add_nc_u32_e32 v2, v3, v2
	v_lshrrev_b32_e32 v2, s6, v2
	s_delay_alu instid0(VALU_DEP_1) | instskip(NEXT) | instid1(VALU_DEP_1)
	v_mul_lo_u32 v2, v2, s4
	v_sub_nc_u32_e32 v2, v3, v2
	s_delay_alu instid0(VALU_DEP_1)
	v_mad_u32 v4, v2, s12, v4
	v_mad_u32 v18, v2, s13, v18
	;; [unrolled: 1-line block ×3, first 2 shown]
	s_branch .LBB93_1624
.LBB93_1623:
	v_dual_mov_b32 v16, 0 :: v_dual_mov_b32 v18, 0
	v_mov_b32_e32 v4, 0
	s_and_not1_b32 vcc_lo, exec_lo, s4
	s_cbranch_vccz .LBB93_1621
.LBB93_1624:
	v_cmp_ne_u32_e32 vcc_lo, 1, v1
	v_add_nc_u32_e32 v0, 0x100, v0
	s_cbranch_vccnz .LBB93_1630
; %bb.1625:
	s_cmp_lg_u32 s28, 0
	s_mov_b32 s4, 0
	s_cbranch_scc0 .LBB93_1634
; %bb.1626:
	s_min_u32 s5, s29, 15
	v_dual_mov_b32 v2, 0 :: v_dual_mov_b32 v3, v0
	v_dual_mov_b32 v14, 0 :: v_dual_mov_b32 v12, 0
	s_add_co_i32 s6, s5, 1
	s_mov_b64 s[0:1], 0xffffffffffffffe8
	s_and_b32 s6, s6, 30
	s_add_nc_u64 s[0:1], s[2:3], s[0:1]
.LBB93_1627:                            ; =>This Inner Loop Header: Depth=1
	s_clause 0x1
	s_load_b128 s[12:15], s[0:1], 0x1c
	s_load_b64 s[8:9], s[0:1], 0x2c
	s_add_co_i32 s6, s6, -2
	s_delay_alu instid0(SALU_CYCLE_1) | instskip(SKIP_2) | instid1(VALU_DEP_1)
	s_cmp_lg_u32 s6, 0
	s_wait_kmcnt 0x0
	v_mul_hi_u32 v7, s13, v3
	v_add_nc_u32_e32 v7, v3, v7
	s_delay_alu instid0(VALU_DEP_1) | instskip(NEXT) | instid1(VALU_DEP_1)
	v_lshrrev_b32_e32 v7, s14, v7
	v_mul_hi_u32 v8, s8, v7
	v_mul_lo_u32 v9, v7, s12
	s_clause 0x1
	s_load_b128 s[16:19], s[0:1], 0xdc
	s_load_b64 s[12:13], s[0:1], 0xec
	s_wait_xcnt 0x0
	s_add_nc_u64 s[0:1], s[0:1], 24
	s_delay_alu instid0(VALU_DEP_2) | instskip(NEXT) | instid1(VALU_DEP_1)
	v_add_nc_u32_e32 v8, v7, v8
	v_dual_sub_nc_u32 v9, v3, v9 :: v_dual_lshrrev_b32 v3, s9, v8
	s_wait_kmcnt 0x0
	s_delay_alu instid0(VALU_DEP_1) | instskip(NEXT) | instid1(VALU_DEP_2)
	v_mad_u32 v2, v9, s16, v2
	v_mul_lo_u32 v8, v3, s15
	v_mad_u32 v10, v9, s18, v12
	v_mad_u32 v9, v9, s17, v14
	s_delay_alu instid0(VALU_DEP_3) | instskip(NEXT) | instid1(VALU_DEP_1)
	v_sub_nc_u32_e32 v7, v7, v8
	v_mad_u32 v2, v7, s19, v2
	s_delay_alu instid0(VALU_DEP_4) | instskip(NEXT) | instid1(VALU_DEP_4)
	v_mad_u32 v12, v7, s13, v10
	v_mad_u32 v14, v7, s12, v9
	s_cbranch_scc1 .LBB93_1627
; %bb.1628:
	s_bitcmp1_b32 s5, 0
	s_cselect_b32 s5, -1, 0
	s_delay_alu instid0(SALU_CYCLE_1)
	s_and_b32 vcc_lo, exec_lo, s5
	s_cbranch_vccnz .LBB93_1631
; %bb.1629:
	s_clause 0x1
	s_load_b96 s[12:14], s[0:1], 0x1c
	s_load_b96 s[16:18], s[0:1], 0xdc
	s_wait_kmcnt 0x0
	v_mul_hi_u32 v7, s13, v3
	s_delay_alu instid0(VALU_DEP_1) | instskip(NEXT) | instid1(VALU_DEP_1)
	v_add_nc_u32_e32 v7, v3, v7
	v_lshrrev_b32_e32 v7, s14, v7
	s_delay_alu instid0(VALU_DEP_1) | instskip(NEXT) | instid1(VALU_DEP_1)
	v_mul_lo_u32 v7, v7, s12
	v_sub_nc_u32_e32 v3, v3, v7
	s_delay_alu instid0(VALU_DEP_1)
	v_mad_u32 v2, v3, s16, v2
	v_mad_u32 v14, v3, s17, v14
	;; [unrolled: 1-line block ×3, first 2 shown]
	s_and_not1_b32 vcc_lo, exec_lo, s4
	s_cbranch_vccz .LBB93_1632
	s_branch .LBB93_1635
.LBB93_1630:
	s_mov_b32 s4, -1
                                        ; implicit-def: $vgpr12
                                        ; implicit-def: $vgpr14
                                        ; implicit-def: $vgpr2
.LBB93_1631:
	s_delay_alu instid0(SALU_CYCLE_1)
	s_and_not1_b32 vcc_lo, exec_lo, s4
	s_cbranch_vccnz .LBB93_1635
.LBB93_1632:
	s_clause 0x1
	s_load_b96 s[4:6], s[2:3], 0x4
	s_load_b96 s[12:14], s[2:3], 0xc4
	s_cmp_lt_u32 s28, 2
	s_wait_kmcnt 0x0
	v_mul_hi_u32 v2, s5, v0
	s_delay_alu instid0(VALU_DEP_1) | instskip(NEXT) | instid1(VALU_DEP_1)
	v_add_nc_u32_e32 v2, v0, v2
	v_lshrrev_b32_e32 v3, s6, v2
	s_delay_alu instid0(VALU_DEP_1) | instskip(NEXT) | instid1(VALU_DEP_1)
	v_mul_lo_u32 v2, v3, s4
	v_sub_nc_u32_e32 v0, v0, v2
	s_delay_alu instid0(VALU_DEP_1)
	v_mul_lo_u32 v2, v0, s12
	v_mul_lo_u32 v12, v0, s14
	;; [unrolled: 1-line block ×3, first 2 shown]
	s_cbranch_scc1 .LBB93_1635
; %bb.1633:
	s_clause 0x1
	s_load_b96 s[4:6], s[2:3], 0x10
	s_load_b96 s[12:14], s[2:3], 0xd0
	s_wait_kmcnt 0x0
	v_mul_hi_u32 v0, s5, v3
	s_delay_alu instid0(VALU_DEP_1) | instskip(NEXT) | instid1(VALU_DEP_1)
	v_add_nc_u32_e32 v0, v3, v0
	v_lshrrev_b32_e32 v0, s6, v0
	s_delay_alu instid0(VALU_DEP_1) | instskip(NEXT) | instid1(VALU_DEP_1)
	v_mul_lo_u32 v0, v0, s4
	v_sub_nc_u32_e32 v0, v3, v0
	s_delay_alu instid0(VALU_DEP_1)
	v_mad_u32 v2, v0, s12, v2
	v_mad_u32 v14, v0, s13, v14
	;; [unrolled: 1-line block ×3, first 2 shown]
	s_branch .LBB93_1635
.LBB93_1634:
	v_dual_mov_b32 v12, 0 :: v_dual_mov_b32 v14, 0
	v_mov_b32_e32 v2, 0
	s_and_not1_b32 vcc_lo, exec_lo, s4
	s_cbranch_vccz .LBB93_1632
.LBB93_1635:
	v_cmp_ne_u32_e32 vcc_lo, 1, v1
	s_cbranch_vccnz .LBB93_1641
; %bb.1636:
	s_cmp_lg_u32 s28, 0
	s_mov_b32 s4, 0
	s_cbranch_scc0 .LBB93_1645
; %bb.1637:
	s_min_u32 s5, s29, 15
	v_dual_mov_b32 v0, 0 :: v_dual_mov_b32 v1, v5
	v_dual_mov_b32 v10, 0 :: v_dual_mov_b32 v8, 0
	s_add_co_i32 s6, s5, 1
	s_mov_b64 s[0:1], 0xffffffffffffffe8
	s_and_b32 s6, s6, 30
	s_add_nc_u64 s[0:1], s[2:3], s[0:1]
.LBB93_1638:                            ; =>This Inner Loop Header: Depth=1
	s_clause 0x1
	s_load_b128 s[12:15], s[0:1], 0x1c
	s_load_b64 s[8:9], s[0:1], 0x2c
	s_add_co_i32 s6, s6, -2
	s_delay_alu instid0(SALU_CYCLE_1) | instskip(SKIP_2) | instid1(VALU_DEP_1)
	s_cmp_lg_u32 s6, 0
	s_wait_kmcnt 0x0
	v_mul_hi_u32 v3, s13, v1
	v_add_nc_u32_e32 v3, v1, v3
	s_delay_alu instid0(VALU_DEP_1) | instskip(NEXT) | instid1(VALU_DEP_1)
	v_lshrrev_b32_e32 v3, s14, v3
	v_mul_hi_u32 v7, s8, v3
	v_mul_lo_u32 v9, v3, s12
	s_clause 0x1
	s_load_b128 s[16:19], s[0:1], 0xdc
	s_load_b64 s[12:13], s[0:1], 0xec
	s_wait_xcnt 0x0
	s_add_nc_u64 s[0:1], s[0:1], 24
	s_delay_alu instid0(VALU_DEP_1) | instskip(NEXT) | instid1(VALU_DEP_1)
	v_dual_add_nc_u32 v7, v3, v7 :: v_dual_sub_nc_u32 v9, v1, v9
	v_lshrrev_b32_e32 v1, s9, v7
	s_wait_kmcnt 0x0
	s_delay_alu instid0(VALU_DEP_2) | instskip(NEXT) | instid1(VALU_DEP_2)
	v_mad_u32 v0, v9, s16, v0
	v_mul_lo_u32 v7, v1, s15
	v_mad_u32 v8, v9, s18, v8
	v_mad_u32 v9, v9, s17, v10
	s_delay_alu instid0(VALU_DEP_3) | instskip(NEXT) | instid1(VALU_DEP_1)
	v_sub_nc_u32_e32 v3, v3, v7
	v_mad_u32 v0, v3, s19, v0
	s_delay_alu instid0(VALU_DEP_4) | instskip(NEXT) | instid1(VALU_DEP_4)
	v_mad_u32 v8, v3, s13, v8
	v_mad_u32 v10, v3, s12, v9
	s_cbranch_scc1 .LBB93_1638
; %bb.1639:
	s_bitcmp1_b32 s5, 0
	s_cselect_b32 s5, -1, 0
	s_delay_alu instid0(SALU_CYCLE_1)
	s_and_b32 vcc_lo, exec_lo, s5
	s_cbranch_vccnz .LBB93_1642
; %bb.1640:
	s_clause 0x1
	s_load_b96 s[12:14], s[0:1], 0x1c
	s_load_b96 s[16:18], s[0:1], 0xdc
	s_wait_kmcnt 0x0
	v_mul_hi_u32 v3, s13, v1
	s_delay_alu instid0(VALU_DEP_1) | instskip(NEXT) | instid1(VALU_DEP_1)
	v_add_nc_u32_e32 v3, v1, v3
	v_lshrrev_b32_e32 v3, s14, v3
	s_delay_alu instid0(VALU_DEP_1) | instskip(NEXT) | instid1(VALU_DEP_1)
	v_mul_lo_u32 v3, v3, s12
	v_sub_nc_u32_e32 v1, v1, v3
	s_delay_alu instid0(VALU_DEP_1)
	v_mad_u32 v0, v1, s16, v0
	v_mad_u32 v10, v1, s17, v10
	v_mad_u32 v8, v1, s18, v8
	s_and_not1_b32 vcc_lo, exec_lo, s4
	s_cbranch_vccz .LBB93_1643
	s_branch .LBB93_1646
.LBB93_1641:
	s_mov_b32 s4, -1
                                        ; implicit-def: $vgpr8
                                        ; implicit-def: $vgpr10
                                        ; implicit-def: $vgpr0
.LBB93_1642:
	s_delay_alu instid0(SALU_CYCLE_1)
	s_and_not1_b32 vcc_lo, exec_lo, s4
	s_cbranch_vccnz .LBB93_1646
.LBB93_1643:
	s_clause 0x1
	s_load_b96 s[4:6], s[2:3], 0x4
	s_load_b96 s[12:14], s[2:3], 0xc4
	s_cmp_lt_u32 s28, 2
	s_wait_kmcnt 0x0
	v_mul_hi_u32 v0, s5, v5
	s_delay_alu instid0(VALU_DEP_1) | instskip(NEXT) | instid1(VALU_DEP_1)
	v_add_nc_u32_e32 v0, v5, v0
	v_lshrrev_b32_e32 v1, s6, v0
	s_delay_alu instid0(VALU_DEP_1) | instskip(NEXT) | instid1(VALU_DEP_1)
	v_mul_lo_u32 v0, v1, s4
	v_sub_nc_u32_e32 v3, v5, v0
	s_delay_alu instid0(VALU_DEP_1)
	v_mul_lo_u32 v0, v3, s12
	v_mul_lo_u32 v8, v3, s14
	;; [unrolled: 1-line block ×3, first 2 shown]
	s_cbranch_scc1 .LBB93_1646
; %bb.1644:
	s_clause 0x1
	s_load_b96 s[4:6], s[2:3], 0x10
	s_load_b96 s[12:14], s[2:3], 0xd0
	s_wait_kmcnt 0x0
	v_mul_hi_u32 v3, s5, v1
	s_delay_alu instid0(VALU_DEP_1) | instskip(NEXT) | instid1(VALU_DEP_1)
	v_add_nc_u32_e32 v3, v1, v3
	v_lshrrev_b32_e32 v3, s6, v3
	s_delay_alu instid0(VALU_DEP_1) | instskip(NEXT) | instid1(VALU_DEP_1)
	v_mul_lo_u32 v3, v3, s4
	v_sub_nc_u32_e32 v1, v1, v3
	s_delay_alu instid0(VALU_DEP_1)
	v_mad_u32 v0, v1, s12, v0
	v_mad_u32 v10, v1, s13, v10
	;; [unrolled: 1-line block ×3, first 2 shown]
	s_branch .LBB93_1646
.LBB93_1645:
	v_dual_mov_b32 v8, 0 :: v_dual_mov_b32 v10, 0
	v_mov_b32_e32 v0, 0
	s_and_not1_b32 vcc_lo, exec_lo, s4
	s_cbranch_vccz .LBB93_1643
.LBB93_1646:
	v_mov_b32_e32 v23, 0
	s_load_b128 s[4:7], s[2:3], 0x188
	global_load_u8 v1, v23, s[2:3] offset:425
	s_wait_kmcnt 0x0
	v_add_nc_u64_e32 v[22:23], s[6:7], v[22:23]
	s_wait_loadcnt 0x0
	v_and_b32_e32 v3, 0xffff, v1
	v_readfirstlane_b32 s13, v1
	s_delay_alu instid0(VALU_DEP_2)
	v_cmp_gt_i32_e32 vcc_lo, 11, v3
	s_cbranch_vccnz .LBB93_1653
; %bb.1647:
	s_and_b32 s0, 0xffff, s13
	s_mov_b32 s8, 0
	s_cmp_gt_i32 s0, 25
	s_cbranch_scc0 .LBB93_1655
; %bb.1648:
	s_cmp_gt_i32 s0, 28
	s_cbranch_scc0 .LBB93_1656
; %bb.1649:
	;; [unrolled: 3-line block ×4, first 2 shown]
	s_cmp_eq_u32 s0, 46
	s_mov_b32 s12, 0
	s_cbranch_scc0 .LBB93_1661
; %bb.1652:
	global_load_b32 v1, v[22:23], off
	s_mov_b32 s1, 0
	s_mov_b32 s9, -1
	s_branch .LBB93_1663
.LBB93_1653:
	s_mov_b32 s9, 0
	s_mov_b32 s12, s10
                                        ; implicit-def: $vgpr1
	s_cbranch_execnz .LBB93_1726
.LBB93_1654:
	s_and_not1_b32 vcc_lo, exec_lo, s9
	s_cbranch_vccz .LBB93_1771
	s_branch .LBB93_3129
.LBB93_1655:
	s_mov_b32 s9, 0
	s_mov_b32 s1, 0
                                        ; implicit-def: $vgpr1
	s_cbranch_execnz .LBB93_1691
	s_branch .LBB93_1722
.LBB93_1656:
	s_mov_b32 s12, -1
	s_mov_b32 s9, 0
	s_mov_b32 s1, 0
                                        ; implicit-def: $vgpr1
	s_branch .LBB93_1672
.LBB93_1657:
	s_mov_b32 s9, 0
	s_mov_b32 s1, 0
                                        ; implicit-def: $vgpr1
	s_cbranch_execnz .LBB93_1668
	s_branch .LBB93_1671
.LBB93_1658:
	s_mov_b32 s12, -1
	s_mov_b32 s9, 0
	s_mov_b32 s1, 0
	s_branch .LBB93_1662
.LBB93_1659:
	s_and_not1_saveexec_b32 s9, s9
	s_cbranch_execz .LBB93_1514
.LBB93_1660:
	v_add_f32_e64 v3, 0x46000000, |v5|
	s_and_not1_b32 s8, s8, exec_lo
	s_delay_alu instid0(VALU_DEP_1) | instskip(NEXT) | instid1(VALU_DEP_1)
	v_and_b32_e32 v3, 0xff, v3
	v_cmp_ne_u32_e32 vcc_lo, 0, v3
	s_and_b32 s10, vcc_lo, exec_lo
	s_delay_alu instid0(SALU_CYCLE_1)
	s_or_b32 s8, s8, s10
	s_or_b32 exec_lo, exec_lo, s9
	v_mov_b32_e32 v6, 0
	s_and_saveexec_b32 s9, s8
	s_cbranch_execnz .LBB93_1515
	s_branch .LBB93_1516
.LBB93_1661:
	s_mov_b32 s1, -1
	s_mov_b32 s9, 0
.LBB93_1662:
                                        ; implicit-def: $vgpr1
.LBB93_1663:
	s_and_b32 vcc_lo, exec_lo, s12
	s_cbranch_vccz .LBB93_1666
; %bb.1664:
	s_cmp_eq_u32 s0, 44
	s_cbranch_scc0 .LBB93_1667
; %bb.1665:
	s_wait_loadcnt 0x0
	global_load_u8 v1, v[22:23], off
	s_mov_b32 s1, 0
	s_mov_b32 s9, -1
	s_wait_loadcnt 0x0
	v_lshlrev_b32_e32 v3, 23, v1
	v_cmp_ne_u32_e32 vcc_lo, 0xff, v1
	s_delay_alu instid0(VALU_DEP_2) | instskip(SKIP_1) | instid1(VALU_DEP_2)
	v_cndmask_b32_e32 v3, 0x7f800001, v3, vcc_lo
	v_cmp_ne_u32_e32 vcc_lo, 0, v1
	v_cndmask_b32_e32 v1, 0x400000, v3, vcc_lo
	s_delay_alu instid0(VALU_DEP_1) | instskip(SKIP_1) | instid1(VALU_DEP_2)
	v_add_nc_u32_e32 v3, 0x7fff, v1
	v_cmp_o_f32_e32 vcc_lo, v1, v1
	v_lshrrev_b32_e32 v3, 16, v3
	s_delay_alu instid0(VALU_DEP_1)
	v_cndmask_b32_e32 v1, 0x7fc0, v3, vcc_lo
.LBB93_1666:
	s_branch .LBB93_1671
.LBB93_1667:
	s_mov_b32 s1, -1
                                        ; implicit-def: $vgpr1
	s_branch .LBB93_1671
.LBB93_1668:
	s_cmp_eq_u32 s0, 29
	s_cbranch_scc0 .LBB93_1670
; %bb.1669:
	global_load_b64 v[24:25], v[22:23], off
	s_mov_b32 s1, 0
	s_mov_b32 s9, -1
	s_mov_b32 s12, 0
	s_wait_loadcnt 0x0
	v_clz_i32_u32_e32 v1, v25
	s_delay_alu instid0(VALU_DEP_1) | instskip(NEXT) | instid1(VALU_DEP_1)
	v_min_u32_e32 v1, 32, v1
	v_lshlrev_b64_e32 v[24:25], v1, v[24:25]
	v_sub_nc_u32_e32 v1, 32, v1
	s_delay_alu instid0(VALU_DEP_2) | instskip(NEXT) | instid1(VALU_DEP_1)
	v_min_u32_e32 v3, 1, v24
	v_or_b32_e32 v3, v25, v3
	s_delay_alu instid0(VALU_DEP_1) | instskip(NEXT) | instid1(VALU_DEP_1)
	v_cvt_f32_u32_e32 v3, v3
	v_ldexp_f32 v1, v3, v1
	s_delay_alu instid0(VALU_DEP_1) | instskip(NEXT) | instid1(VALU_DEP_1)
	v_bfe_u32 v3, v1, 16, 1
	v_add3_u32 v1, v1, v3, 0x7fff
	s_delay_alu instid0(VALU_DEP_1)
	v_lshrrev_b32_e32 v1, 16, v1
	s_branch .LBB93_1672
.LBB93_1670:
	s_mov_b32 s1, -1
                                        ; implicit-def: $vgpr1
.LBB93_1671:
	s_mov_b32 s12, 0
.LBB93_1672:
	s_delay_alu instid0(SALU_CYCLE_1)
	s_and_b32 vcc_lo, exec_lo, s12
	s_cbranch_vccz .LBB93_1690
; %bb.1673:
	s_cmp_lt_i32 s0, 27
	s_cbranch_scc1 .LBB93_1676
; %bb.1674:
	s_cmp_gt_i32 s0, 27
	s_cbranch_scc0 .LBB93_1677
; %bb.1675:
	s_wait_loadcnt 0x0
	global_load_b32 v1, v[22:23], off
	s_mov_b32 s9, 0
	s_wait_loadcnt 0x0
	v_cvt_f32_u32_e32 v1, v1
	s_delay_alu instid0(VALU_DEP_1) | instskip(NEXT) | instid1(VALU_DEP_1)
	v_bfe_u32 v3, v1, 16, 1
	v_add3_u32 v1, v1, v3, 0x7fff
	s_delay_alu instid0(VALU_DEP_1)
	v_lshrrev_b32_e32 v1, 16, v1
	s_branch .LBB93_1678
.LBB93_1676:
	s_mov_b32 s9, -1
                                        ; implicit-def: $vgpr1
	s_branch .LBB93_1681
.LBB93_1677:
	s_mov_b32 s9, -1
                                        ; implicit-def: $vgpr1
.LBB93_1678:
	s_delay_alu instid0(SALU_CYCLE_1)
	s_and_not1_b32 vcc_lo, exec_lo, s9
	s_cbranch_vccnz .LBB93_1680
; %bb.1679:
	s_wait_loadcnt 0x0
	global_load_u16 v1, v[22:23], off
	s_wait_loadcnt 0x0
	v_cvt_f32_u32_e32 v1, v1
	s_delay_alu instid0(VALU_DEP_1) | instskip(NEXT) | instid1(VALU_DEP_1)
	v_bfe_u32 v3, v1, 16, 1
	v_add3_u32 v1, v1, v3, 0x7fff
	s_delay_alu instid0(VALU_DEP_1)
	v_lshrrev_b32_e32 v1, 16, v1
.LBB93_1680:
	s_mov_b32 s9, 0
.LBB93_1681:
	s_delay_alu instid0(SALU_CYCLE_1)
	s_and_not1_b32 vcc_lo, exec_lo, s9
	s_cbranch_vccnz .LBB93_1689
; %bb.1682:
	s_wait_loadcnt 0x0
	global_load_u8 v1, v[22:23], off
	s_mov_b32 s9, 0
	s_mov_b32 s12, exec_lo
	s_wait_loadcnt 0x0
	v_cmpx_lt_i16_e32 0x7f, v1
	s_xor_b32 s12, exec_lo, s12
	s_cbranch_execz .LBB93_1702
; %bb.1683:
	s_mov_b32 s9, -1
	s_mov_b32 s14, exec_lo
	v_cmpx_eq_u16_e32 0x80, v1
; %bb.1684:
	s_xor_b32 s9, exec_lo, -1
; %bb.1685:
	s_or_b32 exec_lo, exec_lo, s14
	s_delay_alu instid0(SALU_CYCLE_1)
	s_and_b32 s9, s9, exec_lo
	s_or_saveexec_b32 s12, s12
	v_mov_b32_e32 v3, 0x7f800001
	s_xor_b32 exec_lo, exec_lo, s12
	s_cbranch_execnz .LBB93_1703
.LBB93_1686:
	s_or_b32 exec_lo, exec_lo, s12
	s_and_saveexec_b32 s12, s9
	s_cbranch_execz .LBB93_1688
.LBB93_1687:
	v_and_b32_e32 v3, 0xffff, v1
	s_delay_alu instid0(VALU_DEP_1) | instskip(SKIP_1) | instid1(VALU_DEP_2)
	v_dual_lshlrev_b32 v1, 24, v1 :: v_dual_bitop2_b32 v5, 7, v3 bitop3:0x40
	v_bfe_u32 v11, v3, 3, 4
	v_and_b32_e32 v1, 0x80000000, v1
	s_delay_alu instid0(VALU_DEP_3) | instskip(NEXT) | instid1(VALU_DEP_3)
	v_clz_i32_u32_e32 v7, v5
	v_cmp_eq_u32_e32 vcc_lo, 0, v11
	s_delay_alu instid0(VALU_DEP_2) | instskip(NEXT) | instid1(VALU_DEP_1)
	v_min_u32_e32 v7, 32, v7
	v_subrev_nc_u32_e32 v9, 28, v7
	v_sub_nc_u32_e32 v7, 29, v7
	s_delay_alu instid0(VALU_DEP_2) | instskip(NEXT) | instid1(VALU_DEP_2)
	v_lshlrev_b32_e32 v3, v9, v3
	v_cndmask_b32_e32 v7, v11, v7, vcc_lo
	s_delay_alu instid0(VALU_DEP_2) | instskip(NEXT) | instid1(VALU_DEP_1)
	v_and_b32_e32 v3, 7, v3
	v_cndmask_b32_e32 v3, v5, v3, vcc_lo
	s_delay_alu instid0(VALU_DEP_3) | instskip(NEXT) | instid1(VALU_DEP_2)
	v_lshl_add_u32 v5, v7, 23, 0x3b800000
	v_lshlrev_b32_e32 v3, 20, v3
	s_delay_alu instid0(VALU_DEP_1)
	v_or3_b32 v3, v1, v5, v3
.LBB93_1688:
	s_or_b32 exec_lo, exec_lo, s12
	s_delay_alu instid0(VALU_DEP_1) | instskip(SKIP_1) | instid1(VALU_DEP_2)
	v_bfe_u32 v1, v3, 16, 1
	v_cmp_o_f32_e32 vcc_lo, v3, v3
	v_add3_u32 v1, v3, v1, 0x7fff
	s_delay_alu instid0(VALU_DEP_1) | instskip(NEXT) | instid1(VALU_DEP_1)
	v_lshrrev_b32_e32 v1, 16, v1
	v_cndmask_b32_e32 v1, 0x7fc0, v1, vcc_lo
.LBB93_1689:
	s_mov_b32 s9, -1
.LBB93_1690:
	s_branch .LBB93_1722
.LBB93_1691:
	s_cmp_gt_i32 s0, 22
	s_cbranch_scc0 .LBB93_1701
; %bb.1692:
	s_cmp_lt_i32 s0, 24
	s_cbranch_scc1 .LBB93_1704
; %bb.1693:
	s_cmp_gt_i32 s0, 24
	s_cbranch_scc0 .LBB93_1705
; %bb.1694:
	s_wait_loadcnt 0x0
	global_load_u8 v1, v[22:23], off
	s_mov_b32 s9, exec_lo
	s_wait_loadcnt 0x0
	v_cmpx_lt_i16_e32 0x7f, v1
	s_xor_b32 s9, exec_lo, s9
	s_cbranch_execz .LBB93_1716
; %bb.1695:
	s_mov_b32 s8, -1
	s_mov_b32 s12, exec_lo
	v_cmpx_eq_u16_e32 0x80, v1
; %bb.1696:
	s_xor_b32 s8, exec_lo, -1
; %bb.1697:
	s_or_b32 exec_lo, exec_lo, s12
	s_delay_alu instid0(SALU_CYCLE_1)
	s_and_b32 s8, s8, exec_lo
	s_or_saveexec_b32 s9, s9
	v_mov_b32_e32 v3, 0x7f800001
	s_xor_b32 exec_lo, exec_lo, s9
	s_cbranch_execnz .LBB93_1717
.LBB93_1698:
	s_or_b32 exec_lo, exec_lo, s9
	s_and_saveexec_b32 s9, s8
	s_cbranch_execz .LBB93_1700
.LBB93_1699:
	v_and_b32_e32 v3, 0xffff, v1
	s_delay_alu instid0(VALU_DEP_1) | instskip(SKIP_1) | instid1(VALU_DEP_2)
	v_dual_lshlrev_b32 v1, 24, v1 :: v_dual_bitop2_b32 v5, 3, v3 bitop3:0x40
	v_bfe_u32 v11, v3, 2, 5
	v_and_b32_e32 v1, 0x80000000, v1
	s_delay_alu instid0(VALU_DEP_3) | instskip(NEXT) | instid1(VALU_DEP_3)
	v_clz_i32_u32_e32 v7, v5
	v_cmp_eq_u32_e32 vcc_lo, 0, v11
	s_delay_alu instid0(VALU_DEP_2) | instskip(NEXT) | instid1(VALU_DEP_1)
	v_min_u32_e32 v7, 32, v7
	v_subrev_nc_u32_e32 v9, 29, v7
	v_sub_nc_u32_e32 v7, 30, v7
	s_delay_alu instid0(VALU_DEP_2) | instskip(NEXT) | instid1(VALU_DEP_2)
	v_lshlrev_b32_e32 v3, v9, v3
	v_cndmask_b32_e32 v7, v11, v7, vcc_lo
	s_delay_alu instid0(VALU_DEP_2) | instskip(NEXT) | instid1(VALU_DEP_1)
	v_and_b32_e32 v3, 3, v3
	v_cndmask_b32_e32 v3, v5, v3, vcc_lo
	s_delay_alu instid0(VALU_DEP_3) | instskip(NEXT) | instid1(VALU_DEP_2)
	v_lshl_add_u32 v5, v7, 23, 0x37800000
	v_lshlrev_b32_e32 v3, 21, v3
	s_delay_alu instid0(VALU_DEP_1)
	v_or3_b32 v3, v1, v5, v3
.LBB93_1700:
	s_or_b32 exec_lo, exec_lo, s9
	s_delay_alu instid0(VALU_DEP_1) | instskip(SKIP_2) | instid1(VALU_DEP_2)
	v_bfe_u32 v1, v3, 16, 1
	v_cmp_o_f32_e32 vcc_lo, v3, v3
	s_mov_b32 s8, 0
	v_add3_u32 v1, v3, v1, 0x7fff
	s_delay_alu instid0(VALU_DEP_1) | instskip(NEXT) | instid1(VALU_DEP_1)
	v_lshrrev_b32_e32 v1, 16, v1
	v_cndmask_b32_e32 v1, 0x7fc0, v1, vcc_lo
	s_branch .LBB93_1706
.LBB93_1701:
                                        ; implicit-def: $vgpr1
	s_mov_b32 s8, 0
	s_branch .LBB93_1712
.LBB93_1702:
	s_or_saveexec_b32 s12, s12
	v_mov_b32_e32 v3, 0x7f800001
	s_xor_b32 exec_lo, exec_lo, s12
	s_cbranch_execz .LBB93_1686
.LBB93_1703:
	v_cmp_ne_u16_e32 vcc_lo, 0, v1
	v_mov_b32_e32 v3, 0
	s_and_not1_b32 s9, s9, exec_lo
	s_and_b32 s14, vcc_lo, exec_lo
	s_delay_alu instid0(SALU_CYCLE_1)
	s_or_b32 s9, s9, s14
	s_or_b32 exec_lo, exec_lo, s12
	s_and_saveexec_b32 s12, s9
	s_cbranch_execnz .LBB93_1687
	s_branch .LBB93_1688
.LBB93_1704:
	s_mov_b32 s8, -1
                                        ; implicit-def: $vgpr1
	s_branch .LBB93_1709
.LBB93_1705:
	s_mov_b32 s8, -1
                                        ; implicit-def: $vgpr1
.LBB93_1706:
	s_delay_alu instid0(SALU_CYCLE_1)
	s_and_b32 vcc_lo, exec_lo, s8
	s_cbranch_vccz .LBB93_1708
; %bb.1707:
	s_wait_loadcnt 0x0
	global_load_u8 v1, v[22:23], off
	s_wait_loadcnt 0x0
	v_lshlrev_b32_e32 v1, 24, v1
	s_delay_alu instid0(VALU_DEP_1) | instskip(NEXT) | instid1(VALU_DEP_1)
	v_and_b32_e32 v3, 0x7f000000, v1
	v_clz_i32_u32_e32 v5, v3
	v_add_nc_u32_e32 v9, 0x1000000, v3
	v_cmp_ne_u32_e32 vcc_lo, 0, v3
	s_delay_alu instid0(VALU_DEP_3) | instskip(NEXT) | instid1(VALU_DEP_1)
	v_min_u32_e32 v5, 32, v5
	v_sub_nc_u32_e64 v5, v5, 4 clamp
	s_delay_alu instid0(VALU_DEP_1) | instskip(NEXT) | instid1(VALU_DEP_1)
	v_dual_lshlrev_b32 v7, v5, v3 :: v_dual_lshlrev_b32 v5, 23, v5
	v_lshrrev_b32_e32 v7, 4, v7
	s_delay_alu instid0(VALU_DEP_1) | instskip(SKIP_1) | instid1(VALU_DEP_2)
	v_sub_nc_u32_e32 v5, v7, v5
	v_ashrrev_i32_e32 v7, 8, v9
	v_add_nc_u32_e32 v5, 0x3c000000, v5
	s_delay_alu instid0(VALU_DEP_1) | instskip(NEXT) | instid1(VALU_DEP_1)
	v_and_or_b32 v5, 0x7f800000, v7, v5
	v_cndmask_b32_e32 v3, 0, v5, vcc_lo
	s_delay_alu instid0(VALU_DEP_1) | instskip(SKIP_1) | instid1(VALU_DEP_2)
	v_and_or_b32 v1, 0x80000000, v1, v3
	v_bfe_u32 v3, v3, 16, 1
	v_cmp_o_f32_e32 vcc_lo, v1, v1
	s_delay_alu instid0(VALU_DEP_2) | instskip(NEXT) | instid1(VALU_DEP_1)
	v_add3_u32 v3, v1, v3, 0x7fff
	v_lshrrev_b32_e32 v3, 16, v3
	s_delay_alu instid0(VALU_DEP_1)
	v_cndmask_b32_e32 v1, 0x7fc0, v3, vcc_lo
.LBB93_1708:
	s_mov_b32 s8, 0
.LBB93_1709:
	s_delay_alu instid0(SALU_CYCLE_1)
	s_and_not1_b32 vcc_lo, exec_lo, s8
	s_cbranch_vccnz .LBB93_1711
; %bb.1710:
	s_wait_loadcnt 0x0
	global_load_u8 v1, v[22:23], off
	s_wait_loadcnt 0x0
	v_lshlrev_b32_e32 v3, 25, v1
	v_lshlrev_b16 v1, 8, v1
	s_delay_alu instid0(VALU_DEP_1) | instskip(SKIP_1) | instid1(VALU_DEP_2)
	v_and_or_b32 v7, 0x7f00, v1, 0.5
	v_bfe_i32 v1, v1, 0, 16
	v_add_f32_e32 v7, -0.5, v7
	v_lshrrev_b32_e32 v5, 4, v3
	v_cmp_gt_u32_e32 vcc_lo, 0x8000000, v3
	s_delay_alu instid0(VALU_DEP_2) | instskip(NEXT) | instid1(VALU_DEP_1)
	v_or_b32_e32 v5, 0x70000000, v5
	v_mul_f32_e32 v5, 0x7800000, v5
	s_delay_alu instid0(VALU_DEP_1) | instskip(NEXT) | instid1(VALU_DEP_1)
	v_cndmask_b32_e32 v3, v5, v7, vcc_lo
	v_and_or_b32 v1, 0x80000000, v1, v3
	v_bfe_u32 v3, v3, 16, 1
	s_delay_alu instid0(VALU_DEP_2) | instskip(NEXT) | instid1(VALU_DEP_2)
	v_cmp_o_f32_e32 vcc_lo, v1, v1
	v_add3_u32 v3, v1, v3, 0x7fff
	s_delay_alu instid0(VALU_DEP_1) | instskip(NEXT) | instid1(VALU_DEP_1)
	v_lshrrev_b32_e32 v3, 16, v3
	v_cndmask_b32_e32 v1, 0x7fc0, v3, vcc_lo
.LBB93_1711:
	s_mov_b32 s9, -1
	s_mov_b32 s8, 0
	s_cbranch_execnz .LBB93_1722
.LBB93_1712:
	s_cmp_gt_i32 s0, 14
	s_cbranch_scc0 .LBB93_1715
; %bb.1713:
	s_cmp_eq_u32 s0, 15
	s_cbranch_scc0 .LBB93_1718
; %bb.1714:
	s_wait_loadcnt 0x0
	global_load_u16 v1, v[22:23], off
	s_mov_b32 s1, 0
	s_mov_b32 s9, -1
	s_branch .LBB93_1720
.LBB93_1715:
	s_mov_b32 s8, -1
	s_branch .LBB93_1719
.LBB93_1716:
	s_or_saveexec_b32 s9, s9
	v_mov_b32_e32 v3, 0x7f800001
	s_xor_b32 exec_lo, exec_lo, s9
	s_cbranch_execz .LBB93_1698
.LBB93_1717:
	v_cmp_ne_u16_e32 vcc_lo, 0, v1
	v_mov_b32_e32 v3, 0
	s_and_not1_b32 s8, s8, exec_lo
	s_and_b32 s12, vcc_lo, exec_lo
	s_delay_alu instid0(SALU_CYCLE_1)
	s_or_b32 s8, s8, s12
	s_or_b32 exec_lo, exec_lo, s9
	s_and_saveexec_b32 s9, s8
	s_cbranch_execnz .LBB93_1699
	s_branch .LBB93_1700
.LBB93_1718:
	s_mov_b32 s1, -1
.LBB93_1719:
                                        ; implicit-def: $vgpr1
.LBB93_1720:
	s_and_b32 vcc_lo, exec_lo, s8
	s_mov_b32 s8, 0
	s_cbranch_vccz .LBB93_1722
; %bb.1721:
	s_cmp_lg_u32 s0, 11
	s_mov_b32 s8, -1
	s_cselect_b32 s1, -1, 0
.LBB93_1722:
	s_delay_alu instid0(SALU_CYCLE_1)
	s_and_b32 vcc_lo, exec_lo, s1
	s_mov_b32 s12, s10
	s_cbranch_vccnz .LBB93_1783
; %bb.1723:
	s_and_not1_b32 vcc_lo, exec_lo, s8
	s_cbranch_vccnz .LBB93_1725
.LBB93_1724:
	s_wait_loadcnt 0x0
	global_load_u8 v1, v[22:23], off
	s_mov_b32 s9, -1
	s_wait_loadcnt 0x0
	v_cmp_ne_u16_e32 vcc_lo, 0, v1
	v_cndmask_b32_e64 v1, 0, 1.0, vcc_lo
	s_delay_alu instid0(VALU_DEP_1)
	v_lshrrev_b32_e32 v1, 16, v1
.LBB93_1725:
	s_branch .LBB93_1654
.LBB93_1726:
	s_and_b32 s0, 0xffff, s13
	s_delay_alu instid0(SALU_CYCLE_1)
	s_cmp_lt_i32 s0, 5
	s_cbranch_scc1 .LBB93_1731
; %bb.1727:
	s_cmp_lt_i32 s0, 8
	s_cbranch_scc1 .LBB93_1732
; %bb.1728:
	;; [unrolled: 3-line block ×3, first 2 shown]
	s_cmp_gt_i32 s0, 9
	s_cbranch_scc0 .LBB93_1734
; %bb.1730:
	global_load_b64 v[24:25], v[22:23], off
	s_mov_b32 s1, 0
	s_wait_loadcnt 0x0
	v_cvt_f32_f64_e32 v1, v[24:25]
	s_delay_alu instid0(VALU_DEP_1) | instskip(SKIP_1) | instid1(VALU_DEP_2)
	v_bfe_u32 v3, v1, 16, 1
	v_cmp_o_f32_e32 vcc_lo, v1, v1
	v_add3_u32 v3, v1, v3, 0x7fff
	s_delay_alu instid0(VALU_DEP_1) | instskip(NEXT) | instid1(VALU_DEP_1)
	v_lshrrev_b32_e32 v3, 16, v3
	v_cndmask_b32_e32 v1, 0x7fc0, v3, vcc_lo
	s_branch .LBB93_1735
.LBB93_1731:
                                        ; implicit-def: $vgpr1
	s_branch .LBB93_1752
.LBB93_1732:
                                        ; implicit-def: $vgpr1
	s_branch .LBB93_1741
.LBB93_1733:
	s_mov_b32 s1, -1
                                        ; implicit-def: $vgpr1
	s_branch .LBB93_1738
.LBB93_1734:
	s_mov_b32 s1, -1
                                        ; implicit-def: $vgpr1
.LBB93_1735:
	s_delay_alu instid0(SALU_CYCLE_1)
	s_and_not1_b32 vcc_lo, exec_lo, s1
	s_cbranch_vccnz .LBB93_1737
; %bb.1736:
	s_wait_loadcnt 0x0
	global_load_b32 v1, v[22:23], off
	s_wait_loadcnt 0x0
	v_bfe_u32 v3, v1, 16, 1
	v_cmp_o_f32_e32 vcc_lo, v1, v1
	s_delay_alu instid0(VALU_DEP_2) | instskip(NEXT) | instid1(VALU_DEP_1)
	v_add3_u32 v3, v1, v3, 0x7fff
	v_lshrrev_b32_e32 v3, 16, v3
	s_delay_alu instid0(VALU_DEP_1)
	v_cndmask_b32_e32 v1, 0x7fc0, v3, vcc_lo
.LBB93_1737:
	s_mov_b32 s1, 0
.LBB93_1738:
	s_delay_alu instid0(SALU_CYCLE_1)
	s_and_not1_b32 vcc_lo, exec_lo, s1
	s_cbranch_vccnz .LBB93_1740
; %bb.1739:
	s_wait_loadcnt 0x0
	global_load_b32 v1, v[22:23], off
	s_wait_loadcnt 0x0
	v_cvt_f32_f16_e32 v3, v1
	v_cmp_o_f16_e32 vcc_lo, v1, v1
	s_delay_alu instid0(VALU_DEP_2) | instskip(NEXT) | instid1(VALU_DEP_1)
	v_bfe_u32 v5, v3, 16, 1
	v_add3_u32 v3, v3, v5, 0x7fff
	s_delay_alu instid0(VALU_DEP_1) | instskip(NEXT) | instid1(VALU_DEP_1)
	v_lshrrev_b32_e32 v3, 16, v3
	v_cndmask_b32_e32 v1, 0x7fc0, v3, vcc_lo
.LBB93_1740:
	s_cbranch_execnz .LBB93_1751
.LBB93_1741:
	s_cmp_lt_i32 s0, 6
	s_cbranch_scc1 .LBB93_1744
; %bb.1742:
	s_cmp_gt_i32 s0, 6
	s_cbranch_scc0 .LBB93_1745
; %bb.1743:
	global_load_b64 v[24:25], v[22:23], off
	s_mov_b32 s1, 0
	s_wait_loadcnt 0x0
	v_cvt_f32_f64_e32 v1, v[24:25]
	s_delay_alu instid0(VALU_DEP_1) | instskip(SKIP_1) | instid1(VALU_DEP_2)
	v_bfe_u32 v3, v1, 16, 1
	v_cmp_o_f32_e32 vcc_lo, v1, v1
	v_add3_u32 v3, v1, v3, 0x7fff
	s_delay_alu instid0(VALU_DEP_1) | instskip(NEXT) | instid1(VALU_DEP_1)
	v_lshrrev_b32_e32 v3, 16, v3
	v_cndmask_b32_e32 v1, 0x7fc0, v3, vcc_lo
	s_branch .LBB93_1746
.LBB93_1744:
	s_mov_b32 s1, -1
                                        ; implicit-def: $vgpr1
	s_branch .LBB93_1749
.LBB93_1745:
	s_mov_b32 s1, -1
                                        ; implicit-def: $vgpr1
.LBB93_1746:
	s_delay_alu instid0(SALU_CYCLE_1)
	s_and_not1_b32 vcc_lo, exec_lo, s1
	s_cbranch_vccnz .LBB93_1748
; %bb.1747:
	s_wait_loadcnt 0x0
	global_load_b32 v1, v[22:23], off
	s_wait_loadcnt 0x0
	v_bfe_u32 v3, v1, 16, 1
	v_cmp_o_f32_e32 vcc_lo, v1, v1
	s_delay_alu instid0(VALU_DEP_2) | instskip(NEXT) | instid1(VALU_DEP_1)
	v_add3_u32 v3, v1, v3, 0x7fff
	v_lshrrev_b32_e32 v3, 16, v3
	s_delay_alu instid0(VALU_DEP_1)
	v_cndmask_b32_e32 v1, 0x7fc0, v3, vcc_lo
.LBB93_1748:
	s_mov_b32 s1, 0
.LBB93_1749:
	s_delay_alu instid0(SALU_CYCLE_1)
	s_and_not1_b32 vcc_lo, exec_lo, s1
	s_cbranch_vccnz .LBB93_1751
; %bb.1750:
	s_wait_loadcnt 0x0
	global_load_u16 v1, v[22:23], off
	s_wait_loadcnt 0x0
	v_cvt_f32_f16_e32 v3, v1
	v_cmp_o_f16_e32 vcc_lo, v1, v1
	s_delay_alu instid0(VALU_DEP_2) | instskip(NEXT) | instid1(VALU_DEP_1)
	v_bfe_u32 v5, v3, 16, 1
	v_add3_u32 v3, v3, v5, 0x7fff
	s_delay_alu instid0(VALU_DEP_1) | instskip(NEXT) | instid1(VALU_DEP_1)
	v_lshrrev_b32_e32 v3, 16, v3
	v_cndmask_b32_e32 v1, 0x7fc0, v3, vcc_lo
.LBB93_1751:
	s_cbranch_execnz .LBB93_1770
.LBB93_1752:
	s_cmp_lt_i32 s0, 2
	s_cbranch_scc1 .LBB93_1756
; %bb.1753:
	s_cmp_lt_i32 s0, 3
	s_cbranch_scc1 .LBB93_1757
; %bb.1754:
	s_cmp_gt_i32 s0, 3
	s_cbranch_scc0 .LBB93_1758
; %bb.1755:
	global_load_b64 v[24:25], v[22:23], off
	s_mov_b32 s1, 0
	s_wait_loadcnt 0x0
	v_xor_b32_e32 v1, v24, v25
	v_cls_i32_e32 v3, v25
	s_delay_alu instid0(VALU_DEP_2) | instskip(NEXT) | instid1(VALU_DEP_1)
	v_ashrrev_i32_e32 v1, 31, v1
	v_add_nc_u32_e32 v1, 32, v1
	s_delay_alu instid0(VALU_DEP_1) | instskip(NEXT) | instid1(VALU_DEP_1)
	v_add_min_u32_e64 v1, v3, -1, v1
	v_lshlrev_b64_e32 v[24:25], v1, v[24:25]
	v_sub_nc_u32_e32 v1, 32, v1
	s_delay_alu instid0(VALU_DEP_2) | instskip(NEXT) | instid1(VALU_DEP_1)
	v_min_u32_e32 v3, 1, v24
	v_or_b32_e32 v3, v25, v3
	s_delay_alu instid0(VALU_DEP_1) | instskip(NEXT) | instid1(VALU_DEP_1)
	v_cvt_f32_i32_e32 v3, v3
	v_ldexp_f32 v1, v3, v1
	s_delay_alu instid0(VALU_DEP_1) | instskip(NEXT) | instid1(VALU_DEP_1)
	v_bfe_u32 v3, v1, 16, 1
	v_add3_u32 v1, v1, v3, 0x7fff
	s_delay_alu instid0(VALU_DEP_1)
	v_lshrrev_b32_e32 v1, 16, v1
	s_branch .LBB93_1759
.LBB93_1756:
                                        ; implicit-def: $vgpr1
	s_branch .LBB93_1765
.LBB93_1757:
	s_mov_b32 s1, -1
                                        ; implicit-def: $vgpr1
	s_branch .LBB93_1762
.LBB93_1758:
	s_mov_b32 s1, -1
                                        ; implicit-def: $vgpr1
.LBB93_1759:
	s_delay_alu instid0(SALU_CYCLE_1)
	s_and_not1_b32 vcc_lo, exec_lo, s1
	s_cbranch_vccnz .LBB93_1761
; %bb.1760:
	s_wait_loadcnt 0x0
	global_load_b32 v1, v[22:23], off
	s_wait_loadcnt 0x0
	v_cvt_f32_i32_e32 v1, v1
	s_delay_alu instid0(VALU_DEP_1) | instskip(NEXT) | instid1(VALU_DEP_1)
	v_bfe_u32 v3, v1, 16, 1
	v_add3_u32 v1, v1, v3, 0x7fff
	s_delay_alu instid0(VALU_DEP_1)
	v_lshrrev_b32_e32 v1, 16, v1
.LBB93_1761:
	s_mov_b32 s1, 0
.LBB93_1762:
	s_delay_alu instid0(SALU_CYCLE_1)
	s_and_not1_b32 vcc_lo, exec_lo, s1
	s_cbranch_vccnz .LBB93_1764
; %bb.1763:
	s_wait_loadcnt 0x0
	global_load_i16 v1, v[22:23], off
	s_wait_loadcnt 0x0
	v_cvt_f32_i32_e32 v1, v1
	s_delay_alu instid0(VALU_DEP_1) | instskip(NEXT) | instid1(VALU_DEP_1)
	v_bfe_u32 v3, v1, 16, 1
	v_add3_u32 v1, v1, v3, 0x7fff
	s_delay_alu instid0(VALU_DEP_1)
	v_lshrrev_b32_e32 v1, 16, v1
.LBB93_1764:
	s_cbranch_execnz .LBB93_1770
.LBB93_1765:
	s_cmp_gt_i32 s0, 0
	s_mov_b32 s0, 0
	s_cbranch_scc0 .LBB93_1767
; %bb.1766:
	s_wait_loadcnt 0x0
	global_load_i8 v1, v[22:23], off
	s_wait_loadcnt 0x0
	v_cvt_f32_i32_e32 v1, v1
	s_delay_alu instid0(VALU_DEP_1) | instskip(NEXT) | instid1(VALU_DEP_1)
	v_bfe_u32 v3, v1, 16, 1
	v_add3_u32 v1, v1, v3, 0x7fff
	s_delay_alu instid0(VALU_DEP_1)
	v_lshrrev_b32_e32 v1, 16, v1
	s_branch .LBB93_1768
.LBB93_1767:
	s_mov_b32 s0, -1
                                        ; implicit-def: $vgpr1
.LBB93_1768:
	s_delay_alu instid0(SALU_CYCLE_1)
	s_and_not1_b32 vcc_lo, exec_lo, s0
	s_cbranch_vccnz .LBB93_1770
; %bb.1769:
	s_wait_loadcnt 0x0
	global_load_u8 v1, v[22:23], off
	s_wait_loadcnt 0x0
	v_cvt_f32_ubyte0_e32 v1, v1
	s_delay_alu instid0(VALU_DEP_1) | instskip(NEXT) | instid1(VALU_DEP_1)
	v_bfe_u32 v3, v1, 16, 1
	v_add3_u32 v1, v1, v3, 0x7fff
	s_delay_alu instid0(VALU_DEP_1)
	v_lshrrev_b32_e32 v1, 16, v1
.LBB93_1770:
.LBB93_1771:
	v_mov_b32_e32 v21, 0
	s_load_b64 s[0:1], s[2:3], 0x198
	global_load_u8 v3, v21, s[2:3] offset:426
	s_wait_kmcnt 0x0
	v_add_nc_u64_e32 v[20:21], s[0:1], v[20:21]
	s_wait_loadcnt 0x0
	v_and_b32_e32 v5, 0xffff, v3
	v_readfirstlane_b32 s14, v3
	s_delay_alu instid0(VALU_DEP_2)
	v_cmp_gt_i32_e32 vcc_lo, 11, v5
	s_cbranch_vccnz .LBB93_1778
; %bb.1772:
	s_and_b32 s8, 0xffff, s14
	s_mov_b32 s15, 0
	s_cmp_gt_i32 s8, 25
	s_cbranch_scc0 .LBB93_1780
; %bb.1773:
	s_cmp_gt_i32 s8, 28
	s_cbranch_scc0 .LBB93_1781
; %bb.1774:
	;; [unrolled: 3-line block ×4, first 2 shown]
	s_cmp_eq_u32 s8, 46
	s_mov_b32 s17, 0
	s_cbranch_scc0 .LBB93_1787
; %bb.1777:
	global_load_b32 v3, v[20:21], off
	s_mov_b32 s9, 0
	s_mov_b32 s16, -1
	s_branch .LBB93_1789
.LBB93_1778:
	s_mov_b32 s16, 0
                                        ; implicit-def: $vgpr3
	s_cbranch_execnz .LBB93_1854
.LBB93_1779:
	s_and_not1_b32 vcc_lo, exec_lo, s16
	s_cbranch_vccnz .LBB93_3129
	s_branch .LBB93_1901
.LBB93_1780:
	s_mov_b32 s16, 0
	s_mov_b32 s9, 0
                                        ; implicit-def: $vgpr3
	s_cbranch_execnz .LBB93_1818
	s_branch .LBB93_1850
.LBB93_1781:
	s_mov_b32 s17, -1
	s_mov_b32 s16, 0
	s_mov_b32 s9, 0
                                        ; implicit-def: $vgpr3
	s_branch .LBB93_1799
.LBB93_1782:
	s_mov_b32 s17, -1
	s_mov_b32 s16, 0
	s_mov_b32 s9, 0
                                        ; implicit-def: $vgpr3
	s_branch .LBB93_1794
.LBB93_1783:
	s_or_b32 s12, s10, exec_lo
	s_trap 2
	s_cbranch_execz .LBB93_1724
	s_branch .LBB93_1725
.LBB93_1784:
	s_mov_b32 s17, -1
	s_mov_b32 s16, 0
	s_mov_b32 s9, 0
	s_branch .LBB93_1788
.LBB93_1785:
	s_and_not1_saveexec_b32 s10, s10
	s_cbranch_execz .LBB93_1526
.LBB93_1786:
	v_add_f32_e64 v3, 0x42800000, |v5|
	s_and_not1_b32 s9, s9, exec_lo
	s_delay_alu instid0(VALU_DEP_1) | instskip(NEXT) | instid1(VALU_DEP_1)
	v_and_b32_e32 v3, 0xff, v3
	v_cmp_ne_u32_e32 vcc_lo, 0, v3
	s_and_b32 s11, vcc_lo, exec_lo
	s_delay_alu instid0(SALU_CYCLE_1)
	s_or_b32 s9, s9, s11
	s_or_b32 exec_lo, exec_lo, s10
	v_mov_b32_e32 v6, 0
	s_and_saveexec_b32 s10, s9
	s_cbranch_execnz .LBB93_1527
	s_branch .LBB93_1528
.LBB93_1787:
	s_mov_b32 s9, -1
	s_mov_b32 s16, 0
.LBB93_1788:
                                        ; implicit-def: $vgpr3
.LBB93_1789:
	s_and_b32 vcc_lo, exec_lo, s17
	s_cbranch_vccz .LBB93_1793
; %bb.1790:
	s_cmp_eq_u32 s8, 44
	s_cbranch_scc0 .LBB93_1792
; %bb.1791:
	s_wait_loadcnt 0x0
	global_load_u8 v3, v[20:21], off
	s_mov_b32 s9, 0
	s_mov_b32 s16, -1
	s_wait_loadcnt 0x0
	v_lshlrev_b32_e32 v5, 23, v3
	v_cmp_ne_u32_e32 vcc_lo, 0xff, v3
	s_delay_alu instid0(VALU_DEP_2) | instskip(SKIP_1) | instid1(VALU_DEP_2)
	v_cndmask_b32_e32 v5, 0x7f800001, v5, vcc_lo
	v_cmp_ne_u32_e32 vcc_lo, 0, v3
	v_cndmask_b32_e32 v3, 0x400000, v5, vcc_lo
	s_delay_alu instid0(VALU_DEP_1) | instskip(SKIP_1) | instid1(VALU_DEP_2)
	v_add_nc_u32_e32 v5, 0x7fff, v3
	v_cmp_o_f32_e32 vcc_lo, v3, v3
	v_lshrrev_b32_e32 v5, 16, v5
	s_delay_alu instid0(VALU_DEP_1)
	v_cndmask_b32_e32 v3, 0x7fc0, v5, vcc_lo
	s_branch .LBB93_1793
.LBB93_1792:
	s_mov_b32 s9, -1
                                        ; implicit-def: $vgpr3
.LBB93_1793:
	s_mov_b32 s17, 0
.LBB93_1794:
	s_delay_alu instid0(SALU_CYCLE_1)
	s_and_b32 vcc_lo, exec_lo, s17
	s_cbranch_vccz .LBB93_1798
; %bb.1795:
	s_cmp_eq_u32 s8, 29
	s_cbranch_scc0 .LBB93_1797
; %bb.1796:
	global_load_b64 v[22:23], v[20:21], off
	s_mov_b32 s9, 0
	s_mov_b32 s16, -1
	s_mov_b32 s17, 0
	s_wait_loadcnt 0x0
	v_clz_i32_u32_e32 v3, v23
	s_delay_alu instid0(VALU_DEP_1) | instskip(NEXT) | instid1(VALU_DEP_1)
	v_min_u32_e32 v3, 32, v3
	v_lshlrev_b64_e32 v[22:23], v3, v[22:23]
	v_sub_nc_u32_e32 v3, 32, v3
	s_delay_alu instid0(VALU_DEP_2) | instskip(NEXT) | instid1(VALU_DEP_1)
	v_min_u32_e32 v5, 1, v22
	v_or_b32_e32 v5, v23, v5
	s_delay_alu instid0(VALU_DEP_1) | instskip(NEXT) | instid1(VALU_DEP_1)
	v_cvt_f32_u32_e32 v5, v5
	v_ldexp_f32 v3, v5, v3
	s_delay_alu instid0(VALU_DEP_1) | instskip(NEXT) | instid1(VALU_DEP_1)
	v_bfe_u32 v5, v3, 16, 1
	v_add3_u32 v3, v3, v5, 0x7fff
	s_delay_alu instid0(VALU_DEP_1)
	v_lshrrev_b32_e32 v3, 16, v3
	s_branch .LBB93_1799
.LBB93_1797:
	s_mov_b32 s9, -1
                                        ; implicit-def: $vgpr3
.LBB93_1798:
	s_mov_b32 s17, 0
.LBB93_1799:
	s_delay_alu instid0(SALU_CYCLE_1)
	s_and_b32 vcc_lo, exec_lo, s17
	s_cbranch_vccz .LBB93_1817
; %bb.1800:
	s_cmp_lt_i32 s8, 27
	s_cbranch_scc1 .LBB93_1803
; %bb.1801:
	s_cmp_gt_i32 s8, 27
	s_cbranch_scc0 .LBB93_1804
; %bb.1802:
	s_wait_loadcnt 0x0
	global_load_b32 v3, v[20:21], off
	s_mov_b32 s16, 0
	s_wait_loadcnt 0x0
	v_cvt_f32_u32_e32 v3, v3
	s_delay_alu instid0(VALU_DEP_1) | instskip(NEXT) | instid1(VALU_DEP_1)
	v_bfe_u32 v5, v3, 16, 1
	v_add3_u32 v3, v3, v5, 0x7fff
	s_delay_alu instid0(VALU_DEP_1)
	v_lshrrev_b32_e32 v3, 16, v3
	s_branch .LBB93_1805
.LBB93_1803:
	s_mov_b32 s16, -1
                                        ; implicit-def: $vgpr3
	s_branch .LBB93_1808
.LBB93_1804:
	s_mov_b32 s16, -1
                                        ; implicit-def: $vgpr3
.LBB93_1805:
	s_delay_alu instid0(SALU_CYCLE_1)
	s_and_not1_b32 vcc_lo, exec_lo, s16
	s_cbranch_vccnz .LBB93_1807
; %bb.1806:
	s_wait_loadcnt 0x0
	global_load_u16 v3, v[20:21], off
	s_wait_loadcnt 0x0
	v_cvt_f32_u32_e32 v3, v3
	s_delay_alu instid0(VALU_DEP_1) | instskip(NEXT) | instid1(VALU_DEP_1)
	v_bfe_u32 v5, v3, 16, 1
	v_add3_u32 v3, v3, v5, 0x7fff
	s_delay_alu instid0(VALU_DEP_1)
	v_lshrrev_b32_e32 v3, 16, v3
.LBB93_1807:
	s_mov_b32 s16, 0
.LBB93_1808:
	s_delay_alu instid0(SALU_CYCLE_1)
	s_and_not1_b32 vcc_lo, exec_lo, s16
	s_cbranch_vccnz .LBB93_1816
; %bb.1809:
	s_wait_loadcnt 0x0
	global_load_u8 v3, v[20:21], off
	s_mov_b32 s16, 0
	s_mov_b32 s17, exec_lo
	s_wait_loadcnt 0x0
	v_cmpx_lt_i16_e32 0x7f, v3
	s_xor_b32 s17, exec_lo, s17
	s_cbranch_execz .LBB93_1829
; %bb.1810:
	s_mov_b32 s16, -1
	s_mov_b32 s18, exec_lo
	v_cmpx_eq_u16_e32 0x80, v3
; %bb.1811:
	s_xor_b32 s16, exec_lo, -1
; %bb.1812:
	s_or_b32 exec_lo, exec_lo, s18
	s_delay_alu instid0(SALU_CYCLE_1)
	s_and_b32 s16, s16, exec_lo
	s_or_saveexec_b32 s17, s17
	v_mov_b32_e32 v5, 0x7f800001
	s_xor_b32 exec_lo, exec_lo, s17
	s_cbranch_execnz .LBB93_1830
.LBB93_1813:
	s_or_b32 exec_lo, exec_lo, s17
	s_and_saveexec_b32 s17, s16
	s_cbranch_execz .LBB93_1815
.LBB93_1814:
	v_and_b32_e32 v5, 0xffff, v3
	s_delay_alu instid0(VALU_DEP_1) | instskip(SKIP_1) | instid1(VALU_DEP_2)
	v_dual_lshlrev_b32 v3, 24, v3 :: v_dual_bitop2_b32 v7, 7, v5 bitop3:0x40
	v_bfe_u32 v13, v5, 3, 4
	v_and_b32_e32 v3, 0x80000000, v3
	s_delay_alu instid0(VALU_DEP_3) | instskip(NEXT) | instid1(VALU_DEP_3)
	v_clz_i32_u32_e32 v9, v7
	v_cmp_eq_u32_e32 vcc_lo, 0, v13
	s_delay_alu instid0(VALU_DEP_2) | instskip(NEXT) | instid1(VALU_DEP_1)
	v_min_u32_e32 v9, 32, v9
	v_subrev_nc_u32_e32 v11, 28, v9
	v_sub_nc_u32_e32 v9, 29, v9
	s_delay_alu instid0(VALU_DEP_2) | instskip(NEXT) | instid1(VALU_DEP_2)
	v_lshlrev_b32_e32 v5, v11, v5
	v_cndmask_b32_e32 v9, v13, v9, vcc_lo
	s_delay_alu instid0(VALU_DEP_2) | instskip(NEXT) | instid1(VALU_DEP_1)
	v_and_b32_e32 v5, 7, v5
	v_cndmask_b32_e32 v5, v7, v5, vcc_lo
	s_delay_alu instid0(VALU_DEP_3) | instskip(NEXT) | instid1(VALU_DEP_2)
	v_lshl_add_u32 v7, v9, 23, 0x3b800000
	v_lshlrev_b32_e32 v5, 20, v5
	s_delay_alu instid0(VALU_DEP_1)
	v_or3_b32 v5, v3, v7, v5
.LBB93_1815:
	s_or_b32 exec_lo, exec_lo, s17
	s_delay_alu instid0(VALU_DEP_1) | instskip(SKIP_1) | instid1(VALU_DEP_2)
	v_bfe_u32 v3, v5, 16, 1
	v_cmp_o_f32_e32 vcc_lo, v5, v5
	v_add3_u32 v3, v5, v3, 0x7fff
	s_delay_alu instid0(VALU_DEP_1) | instskip(NEXT) | instid1(VALU_DEP_1)
	v_lshrrev_b32_e32 v3, 16, v3
	v_cndmask_b32_e32 v3, 0x7fc0, v3, vcc_lo
.LBB93_1816:
	s_mov_b32 s16, -1
.LBB93_1817:
	s_branch .LBB93_1850
.LBB93_1818:
	s_cmp_gt_i32 s8, 22
	s_cbranch_scc0 .LBB93_1828
; %bb.1819:
	s_cmp_lt_i32 s8, 24
	s_cbranch_scc1 .LBB93_1831
; %bb.1820:
	s_cmp_gt_i32 s8, 24
	s_cbranch_scc0 .LBB93_1832
; %bb.1821:
	s_wait_loadcnt 0x0
	global_load_u8 v3, v[20:21], off
	s_mov_b32 s16, exec_lo
	s_wait_loadcnt 0x0
	v_cmpx_lt_i16_e32 0x7f, v3
	s_xor_b32 s16, exec_lo, s16
	s_cbranch_execz .LBB93_1844
; %bb.1822:
	s_mov_b32 s15, -1
	s_mov_b32 s17, exec_lo
	v_cmpx_eq_u16_e32 0x80, v3
; %bb.1823:
	s_xor_b32 s15, exec_lo, -1
; %bb.1824:
	s_or_b32 exec_lo, exec_lo, s17
	s_delay_alu instid0(SALU_CYCLE_1)
	s_and_b32 s15, s15, exec_lo
	s_or_saveexec_b32 s16, s16
	v_mov_b32_e32 v5, 0x7f800001
	s_xor_b32 exec_lo, exec_lo, s16
	s_cbranch_execnz .LBB93_1845
.LBB93_1825:
	s_or_b32 exec_lo, exec_lo, s16
	s_and_saveexec_b32 s16, s15
	s_cbranch_execz .LBB93_1827
.LBB93_1826:
	v_and_b32_e32 v5, 0xffff, v3
	s_delay_alu instid0(VALU_DEP_1) | instskip(SKIP_1) | instid1(VALU_DEP_2)
	v_dual_lshlrev_b32 v3, 24, v3 :: v_dual_bitop2_b32 v7, 3, v5 bitop3:0x40
	v_bfe_u32 v13, v5, 2, 5
	v_and_b32_e32 v3, 0x80000000, v3
	s_delay_alu instid0(VALU_DEP_3) | instskip(NEXT) | instid1(VALU_DEP_3)
	v_clz_i32_u32_e32 v9, v7
	v_cmp_eq_u32_e32 vcc_lo, 0, v13
	s_delay_alu instid0(VALU_DEP_2) | instskip(NEXT) | instid1(VALU_DEP_1)
	v_min_u32_e32 v9, 32, v9
	v_subrev_nc_u32_e32 v11, 29, v9
	v_sub_nc_u32_e32 v9, 30, v9
	s_delay_alu instid0(VALU_DEP_2) | instskip(NEXT) | instid1(VALU_DEP_2)
	v_lshlrev_b32_e32 v5, v11, v5
	v_cndmask_b32_e32 v9, v13, v9, vcc_lo
	s_delay_alu instid0(VALU_DEP_2) | instskip(NEXT) | instid1(VALU_DEP_1)
	v_and_b32_e32 v5, 3, v5
	v_cndmask_b32_e32 v5, v7, v5, vcc_lo
	s_delay_alu instid0(VALU_DEP_3) | instskip(NEXT) | instid1(VALU_DEP_2)
	v_lshl_add_u32 v7, v9, 23, 0x37800000
	v_lshlrev_b32_e32 v5, 21, v5
	s_delay_alu instid0(VALU_DEP_1)
	v_or3_b32 v5, v3, v7, v5
.LBB93_1827:
	s_or_b32 exec_lo, exec_lo, s16
	s_delay_alu instid0(VALU_DEP_1) | instskip(SKIP_2) | instid1(VALU_DEP_2)
	v_bfe_u32 v3, v5, 16, 1
	v_cmp_o_f32_e32 vcc_lo, v5, v5
	s_mov_b32 s15, 0
	v_add3_u32 v3, v5, v3, 0x7fff
	s_delay_alu instid0(VALU_DEP_1) | instskip(NEXT) | instid1(VALU_DEP_1)
	v_lshrrev_b32_e32 v3, 16, v3
	v_cndmask_b32_e32 v3, 0x7fc0, v3, vcc_lo
	s_branch .LBB93_1833
.LBB93_1828:
	s_mov_b32 s15, -1
                                        ; implicit-def: $vgpr3
	s_branch .LBB93_1839
.LBB93_1829:
	s_or_saveexec_b32 s17, s17
	v_mov_b32_e32 v5, 0x7f800001
	s_xor_b32 exec_lo, exec_lo, s17
	s_cbranch_execz .LBB93_1813
.LBB93_1830:
	v_cmp_ne_u16_e32 vcc_lo, 0, v3
	v_mov_b32_e32 v5, 0
	s_and_not1_b32 s16, s16, exec_lo
	s_and_b32 s18, vcc_lo, exec_lo
	s_delay_alu instid0(SALU_CYCLE_1)
	s_or_b32 s16, s16, s18
	s_or_b32 exec_lo, exec_lo, s17
	s_and_saveexec_b32 s17, s16
	s_cbranch_execnz .LBB93_1814
	s_branch .LBB93_1815
.LBB93_1831:
	s_mov_b32 s15, -1
                                        ; implicit-def: $vgpr3
	s_branch .LBB93_1836
.LBB93_1832:
	s_mov_b32 s15, -1
                                        ; implicit-def: $vgpr3
.LBB93_1833:
	s_delay_alu instid0(SALU_CYCLE_1)
	s_and_b32 vcc_lo, exec_lo, s15
	s_cbranch_vccz .LBB93_1835
; %bb.1834:
	s_wait_loadcnt 0x0
	global_load_u8 v3, v[20:21], off
	s_wait_loadcnt 0x0
	v_lshlrev_b32_e32 v3, 24, v3
	s_delay_alu instid0(VALU_DEP_1) | instskip(NEXT) | instid1(VALU_DEP_1)
	v_and_b32_e32 v5, 0x7f000000, v3
	v_clz_i32_u32_e32 v7, v5
	v_add_nc_u32_e32 v11, 0x1000000, v5
	v_cmp_ne_u32_e32 vcc_lo, 0, v5
	s_delay_alu instid0(VALU_DEP_3) | instskip(NEXT) | instid1(VALU_DEP_1)
	v_min_u32_e32 v7, 32, v7
	v_sub_nc_u32_e64 v7, v7, 4 clamp
	s_delay_alu instid0(VALU_DEP_1) | instskip(NEXT) | instid1(VALU_DEP_1)
	v_dual_lshlrev_b32 v9, v7, v5 :: v_dual_lshlrev_b32 v7, 23, v7
	v_lshrrev_b32_e32 v9, 4, v9
	s_delay_alu instid0(VALU_DEP_1) | instskip(SKIP_1) | instid1(VALU_DEP_2)
	v_sub_nc_u32_e32 v7, v9, v7
	v_ashrrev_i32_e32 v9, 8, v11
	v_add_nc_u32_e32 v7, 0x3c000000, v7
	s_delay_alu instid0(VALU_DEP_1) | instskip(NEXT) | instid1(VALU_DEP_1)
	v_and_or_b32 v7, 0x7f800000, v9, v7
	v_cndmask_b32_e32 v5, 0, v7, vcc_lo
	s_delay_alu instid0(VALU_DEP_1) | instskip(SKIP_1) | instid1(VALU_DEP_2)
	v_and_or_b32 v3, 0x80000000, v3, v5
	v_bfe_u32 v5, v5, 16, 1
	v_cmp_o_f32_e32 vcc_lo, v3, v3
	s_delay_alu instid0(VALU_DEP_2) | instskip(NEXT) | instid1(VALU_DEP_1)
	v_add3_u32 v5, v3, v5, 0x7fff
	v_lshrrev_b32_e32 v5, 16, v5
	s_delay_alu instid0(VALU_DEP_1)
	v_cndmask_b32_e32 v3, 0x7fc0, v5, vcc_lo
.LBB93_1835:
	s_mov_b32 s15, 0
.LBB93_1836:
	s_delay_alu instid0(SALU_CYCLE_1)
	s_and_not1_b32 vcc_lo, exec_lo, s15
	s_cbranch_vccnz .LBB93_1838
; %bb.1837:
	s_wait_loadcnt 0x0
	global_load_u8 v3, v[20:21], off
	s_wait_loadcnt 0x0
	v_lshlrev_b32_e32 v5, 25, v3
	v_lshlrev_b16 v3, 8, v3
	s_delay_alu instid0(VALU_DEP_1) | instskip(SKIP_1) | instid1(VALU_DEP_2)
	v_and_or_b32 v9, 0x7f00, v3, 0.5
	v_bfe_i32 v3, v3, 0, 16
	v_add_f32_e32 v9, -0.5, v9
	v_lshrrev_b32_e32 v7, 4, v5
	v_cmp_gt_u32_e32 vcc_lo, 0x8000000, v5
	s_delay_alu instid0(VALU_DEP_2) | instskip(NEXT) | instid1(VALU_DEP_1)
	v_or_b32_e32 v7, 0x70000000, v7
	v_mul_f32_e32 v7, 0x7800000, v7
	s_delay_alu instid0(VALU_DEP_1) | instskip(NEXT) | instid1(VALU_DEP_1)
	v_cndmask_b32_e32 v5, v7, v9, vcc_lo
	v_and_or_b32 v3, 0x80000000, v3, v5
	v_bfe_u32 v5, v5, 16, 1
	s_delay_alu instid0(VALU_DEP_2) | instskip(NEXT) | instid1(VALU_DEP_2)
	v_cmp_o_f32_e32 vcc_lo, v3, v3
	v_add3_u32 v5, v3, v5, 0x7fff
	s_delay_alu instid0(VALU_DEP_1) | instskip(NEXT) | instid1(VALU_DEP_1)
	v_lshrrev_b32_e32 v5, 16, v5
	v_cndmask_b32_e32 v3, 0x7fc0, v5, vcc_lo
.LBB93_1838:
	s_mov_b32 s15, 0
	s_mov_b32 s16, -1
.LBB93_1839:
	s_and_not1_b32 vcc_lo, exec_lo, s15
	s_mov_b32 s15, 0
	s_cbranch_vccnz .LBB93_1850
; %bb.1840:
	s_cmp_gt_i32 s8, 14
	s_cbranch_scc0 .LBB93_1843
; %bb.1841:
	s_cmp_eq_u32 s8, 15
	s_cbranch_scc0 .LBB93_1846
; %bb.1842:
	s_wait_loadcnt 0x0
	global_load_u16 v3, v[20:21], off
	s_mov_b32 s9, 0
	s_mov_b32 s16, -1
	s_branch .LBB93_1848
.LBB93_1843:
	s_mov_b32 s15, -1
	s_branch .LBB93_1847
.LBB93_1844:
	s_or_saveexec_b32 s16, s16
	v_mov_b32_e32 v5, 0x7f800001
	s_xor_b32 exec_lo, exec_lo, s16
	s_cbranch_execz .LBB93_1825
.LBB93_1845:
	v_cmp_ne_u16_e32 vcc_lo, 0, v3
	v_mov_b32_e32 v5, 0
	s_and_not1_b32 s15, s15, exec_lo
	s_and_b32 s17, vcc_lo, exec_lo
	s_delay_alu instid0(SALU_CYCLE_1)
	s_or_b32 s15, s15, s17
	s_or_b32 exec_lo, exec_lo, s16
	s_and_saveexec_b32 s16, s15
	s_cbranch_execnz .LBB93_1826
	s_branch .LBB93_1827
.LBB93_1846:
	s_mov_b32 s9, -1
.LBB93_1847:
                                        ; implicit-def: $vgpr3
.LBB93_1848:
	s_and_b32 vcc_lo, exec_lo, s15
	s_mov_b32 s15, 0
	s_cbranch_vccz .LBB93_1850
; %bb.1849:
	s_cmp_lg_u32 s8, 11
	s_mov_b32 s15, -1
	s_cselect_b32 s9, -1, 0
.LBB93_1850:
	s_delay_alu instid0(SALU_CYCLE_1)
	s_and_b32 vcc_lo, exec_lo, s9
	s_cbranch_vccnz .LBB93_1915
; %bb.1851:
	s_and_not1_b32 vcc_lo, exec_lo, s15
	s_cbranch_vccnz .LBB93_1853
.LBB93_1852:
	s_wait_loadcnt 0x0
	global_load_u8 v3, v[20:21], off
	s_mov_b32 s16, -1
	s_wait_loadcnt 0x0
	v_cmp_ne_u16_e32 vcc_lo, 0, v3
	v_cndmask_b32_e64 v3, 0, 1.0, vcc_lo
	s_delay_alu instid0(VALU_DEP_1)
	v_lshrrev_b32_e32 v3, 16, v3
.LBB93_1853:
	s_branch .LBB93_1779
.LBB93_1854:
	s_and_b32 s8, 0xffff, s14
	s_delay_alu instid0(SALU_CYCLE_1)
	s_cmp_lt_i32 s8, 5
	s_cbranch_scc1 .LBB93_1859
; %bb.1855:
	s_cmp_lt_i32 s8, 8
	s_cbranch_scc1 .LBB93_1860
; %bb.1856:
	;; [unrolled: 3-line block ×3, first 2 shown]
	s_cmp_gt_i32 s8, 9
	s_cbranch_scc0 .LBB93_1862
; %bb.1858:
	global_load_b64 v[22:23], v[20:21], off
	s_mov_b32 s9, 0
	s_wait_loadcnt 0x0
	v_cvt_f32_f64_e32 v3, v[22:23]
	s_delay_alu instid0(VALU_DEP_1) | instskip(SKIP_1) | instid1(VALU_DEP_2)
	v_bfe_u32 v5, v3, 16, 1
	v_cmp_o_f32_e32 vcc_lo, v3, v3
	v_add3_u32 v5, v3, v5, 0x7fff
	s_delay_alu instid0(VALU_DEP_1) | instskip(NEXT) | instid1(VALU_DEP_1)
	v_lshrrev_b32_e32 v5, 16, v5
	v_cndmask_b32_e32 v3, 0x7fc0, v5, vcc_lo
	s_branch .LBB93_1863
.LBB93_1859:
                                        ; implicit-def: $vgpr3
	s_branch .LBB93_1881
.LBB93_1860:
	s_mov_b32 s9, -1
                                        ; implicit-def: $vgpr3
	s_branch .LBB93_1869
.LBB93_1861:
	s_mov_b32 s9, -1
                                        ; implicit-def: $vgpr3
	s_branch .LBB93_1866
.LBB93_1862:
	s_mov_b32 s9, -1
                                        ; implicit-def: $vgpr3
.LBB93_1863:
	s_delay_alu instid0(SALU_CYCLE_1)
	s_and_not1_b32 vcc_lo, exec_lo, s9
	s_cbranch_vccnz .LBB93_1865
; %bb.1864:
	s_wait_loadcnt 0x0
	global_load_b32 v3, v[20:21], off
	s_wait_loadcnt 0x0
	v_bfe_u32 v5, v3, 16, 1
	v_cmp_o_f32_e32 vcc_lo, v3, v3
	s_delay_alu instid0(VALU_DEP_2) | instskip(NEXT) | instid1(VALU_DEP_1)
	v_add3_u32 v5, v3, v5, 0x7fff
	v_lshrrev_b32_e32 v5, 16, v5
	s_delay_alu instid0(VALU_DEP_1)
	v_cndmask_b32_e32 v3, 0x7fc0, v5, vcc_lo
.LBB93_1865:
	s_mov_b32 s9, 0
.LBB93_1866:
	s_delay_alu instid0(SALU_CYCLE_1)
	s_and_not1_b32 vcc_lo, exec_lo, s9
	s_cbranch_vccnz .LBB93_1868
; %bb.1867:
	s_wait_loadcnt 0x0
	global_load_b32 v3, v[20:21], off
	s_wait_loadcnt 0x0
	v_cvt_f32_f16_e32 v5, v3
	v_cmp_o_f16_e32 vcc_lo, v3, v3
	s_delay_alu instid0(VALU_DEP_2) | instskip(NEXT) | instid1(VALU_DEP_1)
	v_bfe_u32 v7, v5, 16, 1
	v_add3_u32 v5, v5, v7, 0x7fff
	s_delay_alu instid0(VALU_DEP_1) | instskip(NEXT) | instid1(VALU_DEP_1)
	v_lshrrev_b32_e32 v5, 16, v5
	v_cndmask_b32_e32 v3, 0x7fc0, v5, vcc_lo
.LBB93_1868:
	s_mov_b32 s9, 0
.LBB93_1869:
	s_delay_alu instid0(SALU_CYCLE_1)
	s_and_not1_b32 vcc_lo, exec_lo, s9
	s_cbranch_vccnz .LBB93_1880
; %bb.1870:
	s_cmp_lt_i32 s8, 6
	s_cbranch_scc1 .LBB93_1873
; %bb.1871:
	s_cmp_gt_i32 s8, 6
	s_cbranch_scc0 .LBB93_1874
; %bb.1872:
	global_load_b64 v[22:23], v[20:21], off
	s_mov_b32 s9, 0
	s_wait_loadcnt 0x0
	v_cvt_f32_f64_e32 v3, v[22:23]
	s_delay_alu instid0(VALU_DEP_1) | instskip(SKIP_1) | instid1(VALU_DEP_2)
	v_bfe_u32 v5, v3, 16, 1
	v_cmp_o_f32_e32 vcc_lo, v3, v3
	v_add3_u32 v5, v3, v5, 0x7fff
	s_delay_alu instid0(VALU_DEP_1) | instskip(NEXT) | instid1(VALU_DEP_1)
	v_lshrrev_b32_e32 v5, 16, v5
	v_cndmask_b32_e32 v3, 0x7fc0, v5, vcc_lo
	s_branch .LBB93_1875
.LBB93_1873:
	s_mov_b32 s9, -1
                                        ; implicit-def: $vgpr3
	s_branch .LBB93_1878
.LBB93_1874:
	s_mov_b32 s9, -1
                                        ; implicit-def: $vgpr3
.LBB93_1875:
	s_delay_alu instid0(SALU_CYCLE_1)
	s_and_not1_b32 vcc_lo, exec_lo, s9
	s_cbranch_vccnz .LBB93_1877
; %bb.1876:
	s_wait_loadcnt 0x0
	global_load_b32 v3, v[20:21], off
	s_wait_loadcnt 0x0
	v_bfe_u32 v5, v3, 16, 1
	v_cmp_o_f32_e32 vcc_lo, v3, v3
	s_delay_alu instid0(VALU_DEP_2) | instskip(NEXT) | instid1(VALU_DEP_1)
	v_add3_u32 v5, v3, v5, 0x7fff
	v_lshrrev_b32_e32 v5, 16, v5
	s_delay_alu instid0(VALU_DEP_1)
	v_cndmask_b32_e32 v3, 0x7fc0, v5, vcc_lo
.LBB93_1877:
	s_mov_b32 s9, 0
.LBB93_1878:
	s_delay_alu instid0(SALU_CYCLE_1)
	s_and_not1_b32 vcc_lo, exec_lo, s9
	s_cbranch_vccnz .LBB93_1880
; %bb.1879:
	s_wait_loadcnt 0x0
	global_load_u16 v3, v[20:21], off
	s_wait_loadcnt 0x0
	v_cvt_f32_f16_e32 v5, v3
	v_cmp_o_f16_e32 vcc_lo, v3, v3
	s_delay_alu instid0(VALU_DEP_2) | instskip(NEXT) | instid1(VALU_DEP_1)
	v_bfe_u32 v7, v5, 16, 1
	v_add3_u32 v5, v5, v7, 0x7fff
	s_delay_alu instid0(VALU_DEP_1) | instskip(NEXT) | instid1(VALU_DEP_1)
	v_lshrrev_b32_e32 v5, 16, v5
	v_cndmask_b32_e32 v3, 0x7fc0, v5, vcc_lo
.LBB93_1880:
	s_cbranch_execnz .LBB93_1900
.LBB93_1881:
	s_cmp_lt_i32 s8, 2
	s_cbranch_scc1 .LBB93_1885
; %bb.1882:
	s_cmp_lt_i32 s8, 3
	s_cbranch_scc1 .LBB93_1886
; %bb.1883:
	s_cmp_gt_i32 s8, 3
	s_cbranch_scc0 .LBB93_1887
; %bb.1884:
	global_load_b64 v[22:23], v[20:21], off
	s_mov_b32 s9, 0
	s_wait_loadcnt 0x0
	v_xor_b32_e32 v3, v22, v23
	v_cls_i32_e32 v5, v23
	s_delay_alu instid0(VALU_DEP_2) | instskip(NEXT) | instid1(VALU_DEP_1)
	v_ashrrev_i32_e32 v3, 31, v3
	v_add_nc_u32_e32 v3, 32, v3
	s_delay_alu instid0(VALU_DEP_1) | instskip(NEXT) | instid1(VALU_DEP_1)
	v_add_min_u32_e64 v3, v5, -1, v3
	v_lshlrev_b64_e32 v[22:23], v3, v[22:23]
	v_sub_nc_u32_e32 v3, 32, v3
	s_delay_alu instid0(VALU_DEP_2) | instskip(NEXT) | instid1(VALU_DEP_1)
	v_min_u32_e32 v5, 1, v22
	v_or_b32_e32 v5, v23, v5
	s_delay_alu instid0(VALU_DEP_1) | instskip(NEXT) | instid1(VALU_DEP_1)
	v_cvt_f32_i32_e32 v5, v5
	v_ldexp_f32 v3, v5, v3
	s_delay_alu instid0(VALU_DEP_1) | instskip(NEXT) | instid1(VALU_DEP_1)
	v_bfe_u32 v5, v3, 16, 1
	v_add3_u32 v3, v3, v5, 0x7fff
	s_delay_alu instid0(VALU_DEP_1)
	v_lshrrev_b32_e32 v3, 16, v3
	s_branch .LBB93_1888
.LBB93_1885:
	s_mov_b32 s9, -1
                                        ; implicit-def: $vgpr3
	s_branch .LBB93_1894
.LBB93_1886:
	s_mov_b32 s9, -1
                                        ; implicit-def: $vgpr3
	s_branch .LBB93_1891
.LBB93_1887:
	s_mov_b32 s9, -1
                                        ; implicit-def: $vgpr3
.LBB93_1888:
	s_delay_alu instid0(SALU_CYCLE_1)
	s_and_not1_b32 vcc_lo, exec_lo, s9
	s_cbranch_vccnz .LBB93_1890
; %bb.1889:
	s_wait_loadcnt 0x0
	global_load_b32 v3, v[20:21], off
	s_wait_loadcnt 0x0
	v_cvt_f32_i32_e32 v3, v3
	s_delay_alu instid0(VALU_DEP_1) | instskip(NEXT) | instid1(VALU_DEP_1)
	v_bfe_u32 v5, v3, 16, 1
	v_add3_u32 v3, v3, v5, 0x7fff
	s_delay_alu instid0(VALU_DEP_1)
	v_lshrrev_b32_e32 v3, 16, v3
.LBB93_1890:
	s_mov_b32 s9, 0
.LBB93_1891:
	s_delay_alu instid0(SALU_CYCLE_1)
	s_and_not1_b32 vcc_lo, exec_lo, s9
	s_cbranch_vccnz .LBB93_1893
; %bb.1892:
	s_wait_loadcnt 0x0
	global_load_i16 v3, v[20:21], off
	s_wait_loadcnt 0x0
	v_cvt_f32_i32_e32 v3, v3
	s_delay_alu instid0(VALU_DEP_1) | instskip(NEXT) | instid1(VALU_DEP_1)
	v_bfe_u32 v5, v3, 16, 1
	v_add3_u32 v3, v3, v5, 0x7fff
	s_delay_alu instid0(VALU_DEP_1)
	v_lshrrev_b32_e32 v3, 16, v3
.LBB93_1893:
	s_mov_b32 s9, 0
.LBB93_1894:
	s_delay_alu instid0(SALU_CYCLE_1)
	s_and_not1_b32 vcc_lo, exec_lo, s9
	s_cbranch_vccnz .LBB93_1900
; %bb.1895:
	s_cmp_gt_i32 s8, 0
	s_mov_b32 s8, 0
	s_cbranch_scc0 .LBB93_1897
; %bb.1896:
	s_wait_loadcnt 0x0
	global_load_i8 v3, v[20:21], off
	s_wait_loadcnt 0x0
	v_cvt_f32_i32_e32 v3, v3
	s_delay_alu instid0(VALU_DEP_1) | instskip(NEXT) | instid1(VALU_DEP_1)
	v_bfe_u32 v5, v3, 16, 1
	v_add3_u32 v3, v3, v5, 0x7fff
	s_delay_alu instid0(VALU_DEP_1)
	v_lshrrev_b32_e32 v3, 16, v3
	s_branch .LBB93_1898
.LBB93_1897:
	s_mov_b32 s8, -1
                                        ; implicit-def: $vgpr3
.LBB93_1898:
	s_delay_alu instid0(SALU_CYCLE_1)
	s_and_not1_b32 vcc_lo, exec_lo, s8
	s_cbranch_vccnz .LBB93_1900
; %bb.1899:
	s_wait_loadcnt 0x0
	global_load_u8 v3, v[20:21], off
	s_wait_loadcnt 0x0
	v_cvt_f32_ubyte0_e32 v3, v3
	s_delay_alu instid0(VALU_DEP_1) | instskip(NEXT) | instid1(VALU_DEP_1)
	v_bfe_u32 v5, v3, 16, 1
	v_add3_u32 v3, v3, v5, 0x7fff
	s_delay_alu instid0(VALU_DEP_1)
	v_lshrrev_b32_e32 v3, 16, v3
.LBB93_1900:
.LBB93_1901:
	s_load_b64 s[8:9], s[2:3], 0x1a0
	s_wait_loadcnt 0x0
	s_delay_alu instid0(VALU_DEP_1) | instskip(SKIP_2) | instid1(VALU_DEP_1)
	v_dual_lshlrev_b32 v3, 16, v3 :: v_dual_lshlrev_b32 v1, 16, v1
	s_mov_b32 s15, exec_lo
	s_wait_kmcnt 0x0
	v_mul_f32_e32 v3, s8, v3
	s_delay_alu instid0(VALU_DEP_1)
	v_cmpx_nlt_f32_e32 s9, v3
	s_cbranch_execz .LBB93_1903
; %bb.1902:
	v_mul_f32_e32 v5, 0x3fb8aa3b, v3
	v_cmp_ngt_f32_e32 vcc_lo, 0xc2ce8ed0, v3
	s_delay_alu instid0(VALU_DEP_2) | instskip(SKIP_1) | instid1(VALU_DEP_2)
	v_rndne_f32_e32 v7, v5
	v_fma_f32 v9, 0x3fb8aa3b, v3, -v5
	v_sub_f32_e32 v5, v5, v7
	s_delay_alu instid0(VALU_DEP_2) | instskip(SKIP_1) | instid1(VALU_DEP_2)
	v_fmamk_f32 v9, v3, 0x32a5705f, v9
	v_cvt_i32_f32_e32 v7, v7
	v_add_f32_e32 v5, v5, v9
	s_delay_alu instid0(VALU_DEP_1) | instskip(SKIP_1) | instid1(TRANS32_DEP_1)
	v_exp_f32_e32 v5, v5
	v_nop
	v_ldexp_f32 v5, v5, v7
	s_delay_alu instid0(VALU_DEP_1) | instskip(SKIP_1) | instid1(VALU_DEP_2)
	v_cndmask_b32_e32 v5, 0, v5, vcc_lo
	v_cmp_nlt_f32_e32 vcc_lo, 0x42b17218, v3
	v_cndmask_b32_e32 v3, 0x7f800000, v5, vcc_lo
	s_delay_alu instid0(VALU_DEP_1) | instskip(NEXT) | instid1(VALU_DEP_1)
	v_dual_mul_f32 v1, v3, v1 :: v_dual_add_f32 v3, 1.0, v3
	v_div_scale_f32 v5, null, v3, v3, v1
	s_delay_alu instid0(VALU_DEP_1) | instskip(SKIP_1) | instid1(TRANS32_DEP_1)
	v_rcp_f32_e32 v7, v5
	v_nop
	v_fma_f32 v9, -v5, v7, 1.0
	s_delay_alu instid0(VALU_DEP_1) | instskip(SKIP_1) | instid1(VALU_DEP_1)
	v_fmac_f32_e32 v7, v9, v7
	v_div_scale_f32 v9, vcc_lo, v1, v3, v1
	v_mul_f32_e32 v11, v9, v7
	s_delay_alu instid0(VALU_DEP_1) | instskip(NEXT) | instid1(VALU_DEP_1)
	v_fma_f32 v13, -v5, v11, v9
	v_fmac_f32_e32 v11, v13, v7
	s_delay_alu instid0(VALU_DEP_1) | instskip(NEXT) | instid1(VALU_DEP_1)
	v_fma_f32 v5, -v5, v11, v9
	v_div_fmas_f32 v5, v5, v7, v11
	s_delay_alu instid0(VALU_DEP_1)
	v_div_fixup_f32 v1, v5, v3, v1
.LBB93_1903:
	s_or_b32 exec_lo, exec_lo, s15
	v_mov_b32_e32 v19, 0
	s_and_b32 s13, 0xffff, s13
	s_delay_alu instid0(SALU_CYCLE_1) | instskip(NEXT) | instid1(VALU_DEP_1)
	s_cmp_lt_i32 s13, 11
	v_add_nc_u64_e32 v[18:19], s[6:7], v[18:19]
	s_cbranch_scc1 .LBB93_1910
; %bb.1904:
	s_cmp_gt_i32 s13, 25
	s_mov_b32 s16, 0
	s_cbranch_scc0 .LBB93_1912
; %bb.1905:
	s_cmp_gt_i32 s13, 28
	s_cbranch_scc0 .LBB93_1913
; %bb.1906:
	s_cmp_gt_i32 s13, 43
	;; [unrolled: 3-line block ×3, first 2 shown]
	s_cbranch_scc0 .LBB93_1916
; %bb.1908:
	s_cmp_eq_u32 s13, 46
	s_mov_b32 s18, 0
	s_cbranch_scc0 .LBB93_1917
; %bb.1909:
	global_load_b32 v3, v[18:19], off
	s_mov_b32 s15, 0
	s_mov_b32 s17, -1
	s_branch .LBB93_1919
.LBB93_1910:
	s_mov_b32 s17, 0
                                        ; implicit-def: $vgpr3
	s_cbranch_execnz .LBB93_1985
.LBB93_1911:
	s_and_not1_b32 vcc_lo, exec_lo, s17
	s_cbranch_vccnz .LBB93_3129
	s_branch .LBB93_2033
.LBB93_1912:
	s_mov_b32 s18, -1
	s_mov_b32 s17, 0
	s_mov_b32 s15, 0
                                        ; implicit-def: $vgpr3
	s_branch .LBB93_1948
.LBB93_1913:
	s_mov_b32 s18, -1
	s_mov_b32 s17, 0
	s_mov_b32 s15, 0
                                        ; implicit-def: $vgpr3
	s_branch .LBB93_1929
.LBB93_1914:
	s_mov_b32 s18, -1
	s_mov_b32 s17, 0
	s_mov_b32 s15, 0
                                        ; implicit-def: $vgpr3
	s_branch .LBB93_1924
.LBB93_1915:
	s_or_b32 s12, s12, exec_lo
	s_trap 2
	s_cbranch_execz .LBB93_1852
	s_branch .LBB93_1853
.LBB93_1916:
	s_mov_b32 s18, -1
	s_mov_b32 s17, 0
	s_mov_b32 s15, 0
	s_branch .LBB93_1918
.LBB93_1917:
	s_mov_b32 s15, -1
	s_mov_b32 s17, 0
.LBB93_1918:
                                        ; implicit-def: $vgpr3
.LBB93_1919:
	s_and_b32 vcc_lo, exec_lo, s18
	s_cbranch_vccz .LBB93_1923
; %bb.1920:
	s_cmp_eq_u32 s13, 44
	s_cbranch_scc0 .LBB93_1922
; %bb.1921:
	s_wait_loadcnt 0x0
	global_load_u8 v3, v[18:19], off
	s_mov_b32 s15, 0
	s_mov_b32 s17, -1
	s_wait_loadcnt 0x0
	v_lshlrev_b32_e32 v5, 23, v3
	v_cmp_ne_u32_e32 vcc_lo, 0xff, v3
	s_delay_alu instid0(VALU_DEP_2) | instskip(SKIP_1) | instid1(VALU_DEP_2)
	v_cndmask_b32_e32 v5, 0x7f800001, v5, vcc_lo
	v_cmp_ne_u32_e32 vcc_lo, 0, v3
	v_cndmask_b32_e32 v3, 0x400000, v5, vcc_lo
	s_delay_alu instid0(VALU_DEP_1) | instskip(SKIP_1) | instid1(VALU_DEP_2)
	v_add_nc_u32_e32 v5, 0x7fff, v3
	v_cmp_o_f32_e32 vcc_lo, v3, v3
	v_lshrrev_b32_e32 v5, 16, v5
	s_delay_alu instid0(VALU_DEP_1)
	v_cndmask_b32_e32 v3, 0x7fc0, v5, vcc_lo
	s_branch .LBB93_1923
.LBB93_1922:
	s_mov_b32 s15, -1
                                        ; implicit-def: $vgpr3
.LBB93_1923:
	s_mov_b32 s18, 0
.LBB93_1924:
	s_delay_alu instid0(SALU_CYCLE_1)
	s_and_b32 vcc_lo, exec_lo, s18
	s_cbranch_vccz .LBB93_1928
; %bb.1925:
	s_cmp_eq_u32 s13, 29
	s_cbranch_scc0 .LBB93_1927
; %bb.1926:
	global_load_b64 v[20:21], v[18:19], off
	s_mov_b32 s15, 0
	s_mov_b32 s17, -1
	s_mov_b32 s18, 0
	s_wait_loadcnt 0x0
	v_clz_i32_u32_e32 v3, v21
	s_delay_alu instid0(VALU_DEP_1) | instskip(NEXT) | instid1(VALU_DEP_1)
	v_min_u32_e32 v3, 32, v3
	v_lshlrev_b64_e32 v[20:21], v3, v[20:21]
	v_sub_nc_u32_e32 v3, 32, v3
	s_delay_alu instid0(VALU_DEP_2) | instskip(NEXT) | instid1(VALU_DEP_1)
	v_min_u32_e32 v5, 1, v20
	v_or_b32_e32 v5, v21, v5
	s_delay_alu instid0(VALU_DEP_1) | instskip(NEXT) | instid1(VALU_DEP_1)
	v_cvt_f32_u32_e32 v5, v5
	v_ldexp_f32 v3, v5, v3
	s_delay_alu instid0(VALU_DEP_1) | instskip(NEXT) | instid1(VALU_DEP_1)
	v_bfe_u32 v5, v3, 16, 1
	v_add3_u32 v3, v3, v5, 0x7fff
	s_delay_alu instid0(VALU_DEP_1)
	v_lshrrev_b32_e32 v3, 16, v3
	s_branch .LBB93_1929
.LBB93_1927:
	s_mov_b32 s15, -1
                                        ; implicit-def: $vgpr3
.LBB93_1928:
	s_mov_b32 s18, 0
.LBB93_1929:
	s_delay_alu instid0(SALU_CYCLE_1)
	s_and_b32 vcc_lo, exec_lo, s18
	s_cbranch_vccz .LBB93_1947
; %bb.1930:
	s_cmp_lt_i32 s13, 27
	s_cbranch_scc1 .LBB93_1933
; %bb.1931:
	s_cmp_gt_i32 s13, 27
	s_cbranch_scc0 .LBB93_1934
; %bb.1932:
	s_wait_loadcnt 0x0
	global_load_b32 v3, v[18:19], off
	s_mov_b32 s17, 0
	s_wait_loadcnt 0x0
	v_cvt_f32_u32_e32 v3, v3
	s_delay_alu instid0(VALU_DEP_1) | instskip(NEXT) | instid1(VALU_DEP_1)
	v_bfe_u32 v5, v3, 16, 1
	v_add3_u32 v3, v3, v5, 0x7fff
	s_delay_alu instid0(VALU_DEP_1)
	v_lshrrev_b32_e32 v3, 16, v3
	s_branch .LBB93_1935
.LBB93_1933:
	s_mov_b32 s17, -1
                                        ; implicit-def: $vgpr3
	s_branch .LBB93_1938
.LBB93_1934:
	s_mov_b32 s17, -1
                                        ; implicit-def: $vgpr3
.LBB93_1935:
	s_delay_alu instid0(SALU_CYCLE_1)
	s_and_not1_b32 vcc_lo, exec_lo, s17
	s_cbranch_vccnz .LBB93_1937
; %bb.1936:
	s_wait_loadcnt 0x0
	global_load_u16 v3, v[18:19], off
	s_wait_loadcnt 0x0
	v_cvt_f32_u32_e32 v3, v3
	s_delay_alu instid0(VALU_DEP_1) | instskip(NEXT) | instid1(VALU_DEP_1)
	v_bfe_u32 v5, v3, 16, 1
	v_add3_u32 v3, v3, v5, 0x7fff
	s_delay_alu instid0(VALU_DEP_1)
	v_lshrrev_b32_e32 v3, 16, v3
.LBB93_1937:
	s_mov_b32 s17, 0
.LBB93_1938:
	s_delay_alu instid0(SALU_CYCLE_1)
	s_and_not1_b32 vcc_lo, exec_lo, s17
	s_cbranch_vccnz .LBB93_1946
; %bb.1939:
	s_wait_loadcnt 0x0
	global_load_u8 v3, v[18:19], off
	s_mov_b32 s17, 0
	s_mov_b32 s18, exec_lo
	s_wait_loadcnt 0x0
	v_cmpx_lt_i16_e32 0x7f, v3
	s_xor_b32 s18, exec_lo, s18
	s_cbranch_execz .LBB93_1960
; %bb.1940:
	s_mov_b32 s17, -1
	s_mov_b32 s19, exec_lo
	v_cmpx_eq_u16_e32 0x80, v3
; %bb.1941:
	s_xor_b32 s17, exec_lo, -1
; %bb.1942:
	s_or_b32 exec_lo, exec_lo, s19
	s_delay_alu instid0(SALU_CYCLE_1)
	s_and_b32 s17, s17, exec_lo
	s_or_saveexec_b32 s18, s18
	v_mov_b32_e32 v5, 0x7f800001
	s_xor_b32 exec_lo, exec_lo, s18
	s_cbranch_execnz .LBB93_1961
.LBB93_1943:
	s_or_b32 exec_lo, exec_lo, s18
	s_and_saveexec_b32 s18, s17
	s_cbranch_execz .LBB93_1945
.LBB93_1944:
	v_and_b32_e32 v5, 0xffff, v3
	s_delay_alu instid0(VALU_DEP_1) | instskip(SKIP_1) | instid1(VALU_DEP_2)
	v_dual_lshlrev_b32 v3, 24, v3 :: v_dual_bitop2_b32 v7, 7, v5 bitop3:0x40
	v_bfe_u32 v13, v5, 3, 4
	v_and_b32_e32 v3, 0x80000000, v3
	s_delay_alu instid0(VALU_DEP_3) | instskip(NEXT) | instid1(VALU_DEP_3)
	v_clz_i32_u32_e32 v9, v7
	v_cmp_eq_u32_e32 vcc_lo, 0, v13
	s_delay_alu instid0(VALU_DEP_2) | instskip(NEXT) | instid1(VALU_DEP_1)
	v_min_u32_e32 v9, 32, v9
	v_subrev_nc_u32_e32 v11, 28, v9
	v_sub_nc_u32_e32 v9, 29, v9
	s_delay_alu instid0(VALU_DEP_2) | instskip(NEXT) | instid1(VALU_DEP_2)
	v_lshlrev_b32_e32 v5, v11, v5
	v_cndmask_b32_e32 v9, v13, v9, vcc_lo
	s_delay_alu instid0(VALU_DEP_2) | instskip(NEXT) | instid1(VALU_DEP_1)
	v_and_b32_e32 v5, 7, v5
	v_cndmask_b32_e32 v5, v7, v5, vcc_lo
	s_delay_alu instid0(VALU_DEP_3) | instskip(NEXT) | instid1(VALU_DEP_2)
	v_lshl_add_u32 v7, v9, 23, 0x3b800000
	v_lshlrev_b32_e32 v5, 20, v5
	s_delay_alu instid0(VALU_DEP_1)
	v_or3_b32 v5, v3, v7, v5
.LBB93_1945:
	s_or_b32 exec_lo, exec_lo, s18
	s_delay_alu instid0(VALU_DEP_1) | instskip(SKIP_1) | instid1(VALU_DEP_2)
	v_bfe_u32 v3, v5, 16, 1
	v_cmp_o_f32_e32 vcc_lo, v5, v5
	v_add3_u32 v3, v5, v3, 0x7fff
	s_delay_alu instid0(VALU_DEP_1) | instskip(NEXT) | instid1(VALU_DEP_1)
	v_lshrrev_b32_e32 v3, 16, v3
	v_cndmask_b32_e32 v3, 0x7fc0, v3, vcc_lo
.LBB93_1946:
	s_mov_b32 s17, -1
.LBB93_1947:
	s_mov_b32 s18, 0
.LBB93_1948:
	s_delay_alu instid0(SALU_CYCLE_1)
	s_and_b32 vcc_lo, exec_lo, s18
	s_cbranch_vccz .LBB93_1981
; %bb.1949:
	s_cmp_gt_i32 s13, 22
	s_cbranch_scc0 .LBB93_1959
; %bb.1950:
	s_cmp_lt_i32 s13, 24
	s_cbranch_scc1 .LBB93_1962
; %bb.1951:
	s_cmp_gt_i32 s13, 24
	s_cbranch_scc0 .LBB93_1963
; %bb.1952:
	s_wait_loadcnt 0x0
	global_load_u8 v3, v[18:19], off
	s_mov_b32 s17, exec_lo
	s_wait_loadcnt 0x0
	v_cmpx_lt_i16_e32 0x7f, v3
	s_xor_b32 s17, exec_lo, s17
	s_cbranch_execz .LBB93_1975
; %bb.1953:
	s_mov_b32 s16, -1
	s_mov_b32 s18, exec_lo
	v_cmpx_eq_u16_e32 0x80, v3
; %bb.1954:
	s_xor_b32 s16, exec_lo, -1
; %bb.1955:
	s_or_b32 exec_lo, exec_lo, s18
	s_delay_alu instid0(SALU_CYCLE_1)
	s_and_b32 s16, s16, exec_lo
	s_or_saveexec_b32 s17, s17
	v_mov_b32_e32 v5, 0x7f800001
	s_xor_b32 exec_lo, exec_lo, s17
	s_cbranch_execnz .LBB93_1976
.LBB93_1956:
	s_or_b32 exec_lo, exec_lo, s17
	s_and_saveexec_b32 s17, s16
	s_cbranch_execz .LBB93_1958
.LBB93_1957:
	v_and_b32_e32 v5, 0xffff, v3
	s_delay_alu instid0(VALU_DEP_1) | instskip(SKIP_1) | instid1(VALU_DEP_2)
	v_dual_lshlrev_b32 v3, 24, v3 :: v_dual_bitop2_b32 v7, 3, v5 bitop3:0x40
	v_bfe_u32 v13, v5, 2, 5
	v_and_b32_e32 v3, 0x80000000, v3
	s_delay_alu instid0(VALU_DEP_3) | instskip(NEXT) | instid1(VALU_DEP_3)
	v_clz_i32_u32_e32 v9, v7
	v_cmp_eq_u32_e32 vcc_lo, 0, v13
	s_delay_alu instid0(VALU_DEP_2) | instskip(NEXT) | instid1(VALU_DEP_1)
	v_min_u32_e32 v9, 32, v9
	v_subrev_nc_u32_e32 v11, 29, v9
	v_sub_nc_u32_e32 v9, 30, v9
	s_delay_alu instid0(VALU_DEP_2) | instskip(NEXT) | instid1(VALU_DEP_2)
	v_lshlrev_b32_e32 v5, v11, v5
	v_cndmask_b32_e32 v9, v13, v9, vcc_lo
	s_delay_alu instid0(VALU_DEP_2) | instskip(NEXT) | instid1(VALU_DEP_1)
	v_and_b32_e32 v5, 3, v5
	v_cndmask_b32_e32 v5, v7, v5, vcc_lo
	s_delay_alu instid0(VALU_DEP_3) | instskip(NEXT) | instid1(VALU_DEP_2)
	v_lshl_add_u32 v7, v9, 23, 0x37800000
	v_lshlrev_b32_e32 v5, 21, v5
	s_delay_alu instid0(VALU_DEP_1)
	v_or3_b32 v5, v3, v7, v5
.LBB93_1958:
	s_or_b32 exec_lo, exec_lo, s17
	s_delay_alu instid0(VALU_DEP_1) | instskip(SKIP_2) | instid1(VALU_DEP_2)
	v_bfe_u32 v3, v5, 16, 1
	v_cmp_o_f32_e32 vcc_lo, v5, v5
	s_mov_b32 s16, 0
	v_add3_u32 v3, v5, v3, 0x7fff
	s_delay_alu instid0(VALU_DEP_1) | instskip(NEXT) | instid1(VALU_DEP_1)
	v_lshrrev_b32_e32 v3, 16, v3
	v_cndmask_b32_e32 v3, 0x7fc0, v3, vcc_lo
	s_branch .LBB93_1964
.LBB93_1959:
	s_mov_b32 s16, -1
                                        ; implicit-def: $vgpr3
	s_branch .LBB93_1970
.LBB93_1960:
	s_or_saveexec_b32 s18, s18
	v_mov_b32_e32 v5, 0x7f800001
	s_xor_b32 exec_lo, exec_lo, s18
	s_cbranch_execz .LBB93_1943
.LBB93_1961:
	v_cmp_ne_u16_e32 vcc_lo, 0, v3
	v_mov_b32_e32 v5, 0
	s_and_not1_b32 s17, s17, exec_lo
	s_and_b32 s19, vcc_lo, exec_lo
	s_delay_alu instid0(SALU_CYCLE_1)
	s_or_b32 s17, s17, s19
	s_or_b32 exec_lo, exec_lo, s18
	s_and_saveexec_b32 s18, s17
	s_cbranch_execnz .LBB93_1944
	s_branch .LBB93_1945
.LBB93_1962:
	s_mov_b32 s16, -1
                                        ; implicit-def: $vgpr3
	s_branch .LBB93_1967
.LBB93_1963:
	s_mov_b32 s16, -1
                                        ; implicit-def: $vgpr3
.LBB93_1964:
	s_delay_alu instid0(SALU_CYCLE_1)
	s_and_b32 vcc_lo, exec_lo, s16
	s_cbranch_vccz .LBB93_1966
; %bb.1965:
	s_wait_loadcnt 0x0
	global_load_u8 v3, v[18:19], off
	s_wait_loadcnt 0x0
	v_lshlrev_b32_e32 v3, 24, v3
	s_delay_alu instid0(VALU_DEP_1) | instskip(NEXT) | instid1(VALU_DEP_1)
	v_and_b32_e32 v5, 0x7f000000, v3
	v_clz_i32_u32_e32 v7, v5
	v_add_nc_u32_e32 v11, 0x1000000, v5
	v_cmp_ne_u32_e32 vcc_lo, 0, v5
	s_delay_alu instid0(VALU_DEP_3) | instskip(NEXT) | instid1(VALU_DEP_1)
	v_min_u32_e32 v7, 32, v7
	v_sub_nc_u32_e64 v7, v7, 4 clamp
	s_delay_alu instid0(VALU_DEP_1) | instskip(NEXT) | instid1(VALU_DEP_1)
	v_dual_lshlrev_b32 v9, v7, v5 :: v_dual_lshlrev_b32 v7, 23, v7
	v_lshrrev_b32_e32 v9, 4, v9
	s_delay_alu instid0(VALU_DEP_1) | instskip(SKIP_1) | instid1(VALU_DEP_2)
	v_sub_nc_u32_e32 v7, v9, v7
	v_ashrrev_i32_e32 v9, 8, v11
	v_add_nc_u32_e32 v7, 0x3c000000, v7
	s_delay_alu instid0(VALU_DEP_1) | instskip(NEXT) | instid1(VALU_DEP_1)
	v_and_or_b32 v7, 0x7f800000, v9, v7
	v_cndmask_b32_e32 v5, 0, v7, vcc_lo
	s_delay_alu instid0(VALU_DEP_1) | instskip(SKIP_1) | instid1(VALU_DEP_2)
	v_and_or_b32 v3, 0x80000000, v3, v5
	v_bfe_u32 v5, v5, 16, 1
	v_cmp_o_f32_e32 vcc_lo, v3, v3
	s_delay_alu instid0(VALU_DEP_2) | instskip(NEXT) | instid1(VALU_DEP_1)
	v_add3_u32 v5, v3, v5, 0x7fff
	v_lshrrev_b32_e32 v5, 16, v5
	s_delay_alu instid0(VALU_DEP_1)
	v_cndmask_b32_e32 v3, 0x7fc0, v5, vcc_lo
.LBB93_1966:
	s_mov_b32 s16, 0
.LBB93_1967:
	s_delay_alu instid0(SALU_CYCLE_1)
	s_and_not1_b32 vcc_lo, exec_lo, s16
	s_cbranch_vccnz .LBB93_1969
; %bb.1968:
	s_wait_loadcnt 0x0
	global_load_u8 v3, v[18:19], off
	s_wait_loadcnt 0x0
	v_lshlrev_b32_e32 v5, 25, v3
	v_lshlrev_b16 v3, 8, v3
	s_delay_alu instid0(VALU_DEP_1) | instskip(SKIP_1) | instid1(VALU_DEP_2)
	v_and_or_b32 v9, 0x7f00, v3, 0.5
	v_bfe_i32 v3, v3, 0, 16
	v_add_f32_e32 v9, -0.5, v9
	v_lshrrev_b32_e32 v7, 4, v5
	v_cmp_gt_u32_e32 vcc_lo, 0x8000000, v5
	s_delay_alu instid0(VALU_DEP_2) | instskip(NEXT) | instid1(VALU_DEP_1)
	v_or_b32_e32 v7, 0x70000000, v7
	v_mul_f32_e32 v7, 0x7800000, v7
	s_delay_alu instid0(VALU_DEP_1) | instskip(NEXT) | instid1(VALU_DEP_1)
	v_cndmask_b32_e32 v5, v7, v9, vcc_lo
	v_and_or_b32 v3, 0x80000000, v3, v5
	v_bfe_u32 v5, v5, 16, 1
	s_delay_alu instid0(VALU_DEP_2) | instskip(NEXT) | instid1(VALU_DEP_2)
	v_cmp_o_f32_e32 vcc_lo, v3, v3
	v_add3_u32 v5, v3, v5, 0x7fff
	s_delay_alu instid0(VALU_DEP_1) | instskip(NEXT) | instid1(VALU_DEP_1)
	v_lshrrev_b32_e32 v5, 16, v5
	v_cndmask_b32_e32 v3, 0x7fc0, v5, vcc_lo
.LBB93_1969:
	s_mov_b32 s16, 0
	s_mov_b32 s17, -1
.LBB93_1970:
	s_and_not1_b32 vcc_lo, exec_lo, s16
	s_mov_b32 s16, 0
	s_cbranch_vccnz .LBB93_1981
; %bb.1971:
	s_cmp_gt_i32 s13, 14
	s_cbranch_scc0 .LBB93_1974
; %bb.1972:
	s_cmp_eq_u32 s13, 15
	s_cbranch_scc0 .LBB93_1977
; %bb.1973:
	s_wait_loadcnt 0x0
	global_load_u16 v3, v[18:19], off
	s_mov_b32 s15, 0
	s_mov_b32 s17, -1
	s_branch .LBB93_1979
.LBB93_1974:
	s_mov_b32 s16, -1
	s_branch .LBB93_1978
.LBB93_1975:
	s_or_saveexec_b32 s17, s17
	v_mov_b32_e32 v5, 0x7f800001
	s_xor_b32 exec_lo, exec_lo, s17
	s_cbranch_execz .LBB93_1956
.LBB93_1976:
	v_cmp_ne_u16_e32 vcc_lo, 0, v3
	v_mov_b32_e32 v5, 0
	s_and_not1_b32 s16, s16, exec_lo
	s_and_b32 s18, vcc_lo, exec_lo
	s_delay_alu instid0(SALU_CYCLE_1)
	s_or_b32 s16, s16, s18
	s_or_b32 exec_lo, exec_lo, s17
	s_and_saveexec_b32 s17, s16
	s_cbranch_execnz .LBB93_1957
	s_branch .LBB93_1958
.LBB93_1977:
	s_mov_b32 s15, -1
.LBB93_1978:
                                        ; implicit-def: $vgpr3
.LBB93_1979:
	s_and_b32 vcc_lo, exec_lo, s16
	s_mov_b32 s16, 0
	s_cbranch_vccz .LBB93_1981
; %bb.1980:
	s_cmp_lg_u32 s13, 11
	s_mov_b32 s16, -1
	s_cselect_b32 s15, -1, 0
.LBB93_1981:
	s_delay_alu instid0(SALU_CYCLE_1)
	s_and_b32 vcc_lo, exec_lo, s15
	s_cbranch_vccnz .LBB93_2044
; %bb.1982:
	s_and_not1_b32 vcc_lo, exec_lo, s16
	s_cbranch_vccnz .LBB93_1984
.LBB93_1983:
	s_wait_loadcnt 0x0
	global_load_u8 v3, v[18:19], off
	s_mov_b32 s17, -1
	s_wait_loadcnt 0x0
	v_cmp_ne_u16_e32 vcc_lo, 0, v3
	v_cndmask_b32_e64 v3, 0, 1.0, vcc_lo
	s_delay_alu instid0(VALU_DEP_1)
	v_lshrrev_b32_e32 v3, 16, v3
.LBB93_1984:
	s_branch .LBB93_1911
.LBB93_1985:
	s_cmp_lt_i32 s13, 5
	s_cbranch_scc1 .LBB93_1990
; %bb.1986:
	s_cmp_lt_i32 s13, 8
	s_cbranch_scc1 .LBB93_1991
; %bb.1987:
	;; [unrolled: 3-line block ×3, first 2 shown]
	s_cmp_gt_i32 s13, 9
	s_cbranch_scc0 .LBB93_1993
; %bb.1989:
	global_load_b64 v[20:21], v[18:19], off
	s_mov_b32 s15, 0
	s_wait_loadcnt 0x0
	v_cvt_f32_f64_e32 v3, v[20:21]
	s_delay_alu instid0(VALU_DEP_1) | instskip(SKIP_1) | instid1(VALU_DEP_2)
	v_bfe_u32 v5, v3, 16, 1
	v_cmp_o_f32_e32 vcc_lo, v3, v3
	v_add3_u32 v5, v3, v5, 0x7fff
	s_delay_alu instid0(VALU_DEP_1) | instskip(NEXT) | instid1(VALU_DEP_1)
	v_lshrrev_b32_e32 v5, 16, v5
	v_cndmask_b32_e32 v3, 0x7fc0, v5, vcc_lo
	s_branch .LBB93_1994
.LBB93_1990:
	s_mov_b32 s15, -1
                                        ; implicit-def: $vgpr3
	s_branch .LBB93_2012
.LBB93_1991:
	s_mov_b32 s15, -1
                                        ; implicit-def: $vgpr3
	s_branch .LBB93_2000
.LBB93_1992:
	s_mov_b32 s15, -1
                                        ; implicit-def: $vgpr3
	s_branch .LBB93_1997
.LBB93_1993:
	s_mov_b32 s15, -1
                                        ; implicit-def: $vgpr3
.LBB93_1994:
	s_delay_alu instid0(SALU_CYCLE_1)
	s_and_not1_b32 vcc_lo, exec_lo, s15
	s_cbranch_vccnz .LBB93_1996
; %bb.1995:
	s_wait_loadcnt 0x0
	global_load_b32 v3, v[18:19], off
	s_wait_loadcnt 0x0
	v_bfe_u32 v5, v3, 16, 1
	v_cmp_o_f32_e32 vcc_lo, v3, v3
	s_delay_alu instid0(VALU_DEP_2) | instskip(NEXT) | instid1(VALU_DEP_1)
	v_add3_u32 v5, v3, v5, 0x7fff
	v_lshrrev_b32_e32 v5, 16, v5
	s_delay_alu instid0(VALU_DEP_1)
	v_cndmask_b32_e32 v3, 0x7fc0, v5, vcc_lo
.LBB93_1996:
	s_mov_b32 s15, 0
.LBB93_1997:
	s_delay_alu instid0(SALU_CYCLE_1)
	s_and_not1_b32 vcc_lo, exec_lo, s15
	s_cbranch_vccnz .LBB93_1999
; %bb.1998:
	s_wait_loadcnt 0x0
	global_load_b32 v3, v[18:19], off
	s_wait_loadcnt 0x0
	v_cvt_f32_f16_e32 v5, v3
	v_cmp_o_f16_e32 vcc_lo, v3, v3
	s_delay_alu instid0(VALU_DEP_2) | instskip(NEXT) | instid1(VALU_DEP_1)
	v_bfe_u32 v7, v5, 16, 1
	v_add3_u32 v5, v5, v7, 0x7fff
	s_delay_alu instid0(VALU_DEP_1) | instskip(NEXT) | instid1(VALU_DEP_1)
	v_lshrrev_b32_e32 v5, 16, v5
	v_cndmask_b32_e32 v3, 0x7fc0, v5, vcc_lo
.LBB93_1999:
	s_mov_b32 s15, 0
.LBB93_2000:
	s_delay_alu instid0(SALU_CYCLE_1)
	s_and_not1_b32 vcc_lo, exec_lo, s15
	s_cbranch_vccnz .LBB93_2011
; %bb.2001:
	s_cmp_lt_i32 s13, 6
	s_cbranch_scc1 .LBB93_2004
; %bb.2002:
	s_cmp_gt_i32 s13, 6
	s_cbranch_scc0 .LBB93_2005
; %bb.2003:
	global_load_b64 v[20:21], v[18:19], off
	s_mov_b32 s15, 0
	s_wait_loadcnt 0x0
	v_cvt_f32_f64_e32 v3, v[20:21]
	s_delay_alu instid0(VALU_DEP_1) | instskip(SKIP_1) | instid1(VALU_DEP_2)
	v_bfe_u32 v5, v3, 16, 1
	v_cmp_o_f32_e32 vcc_lo, v3, v3
	v_add3_u32 v5, v3, v5, 0x7fff
	s_delay_alu instid0(VALU_DEP_1) | instskip(NEXT) | instid1(VALU_DEP_1)
	v_lshrrev_b32_e32 v5, 16, v5
	v_cndmask_b32_e32 v3, 0x7fc0, v5, vcc_lo
	s_branch .LBB93_2006
.LBB93_2004:
	s_mov_b32 s15, -1
                                        ; implicit-def: $vgpr3
	s_branch .LBB93_2009
.LBB93_2005:
	s_mov_b32 s15, -1
                                        ; implicit-def: $vgpr3
.LBB93_2006:
	s_delay_alu instid0(SALU_CYCLE_1)
	s_and_not1_b32 vcc_lo, exec_lo, s15
	s_cbranch_vccnz .LBB93_2008
; %bb.2007:
	s_wait_loadcnt 0x0
	global_load_b32 v3, v[18:19], off
	s_wait_loadcnt 0x0
	v_bfe_u32 v5, v3, 16, 1
	v_cmp_o_f32_e32 vcc_lo, v3, v3
	s_delay_alu instid0(VALU_DEP_2) | instskip(NEXT) | instid1(VALU_DEP_1)
	v_add3_u32 v5, v3, v5, 0x7fff
	v_lshrrev_b32_e32 v5, 16, v5
	s_delay_alu instid0(VALU_DEP_1)
	v_cndmask_b32_e32 v3, 0x7fc0, v5, vcc_lo
.LBB93_2008:
	s_mov_b32 s15, 0
.LBB93_2009:
	s_delay_alu instid0(SALU_CYCLE_1)
	s_and_not1_b32 vcc_lo, exec_lo, s15
	s_cbranch_vccnz .LBB93_2011
; %bb.2010:
	s_wait_loadcnt 0x0
	global_load_u16 v3, v[18:19], off
	s_wait_loadcnt 0x0
	v_cvt_f32_f16_e32 v5, v3
	v_cmp_o_f16_e32 vcc_lo, v3, v3
	s_delay_alu instid0(VALU_DEP_2) | instskip(NEXT) | instid1(VALU_DEP_1)
	v_bfe_u32 v7, v5, 16, 1
	v_add3_u32 v5, v5, v7, 0x7fff
	s_delay_alu instid0(VALU_DEP_1) | instskip(NEXT) | instid1(VALU_DEP_1)
	v_lshrrev_b32_e32 v5, 16, v5
	v_cndmask_b32_e32 v3, 0x7fc0, v5, vcc_lo
.LBB93_2011:
	s_mov_b32 s15, 0
.LBB93_2012:
	s_delay_alu instid0(SALU_CYCLE_1)
	s_and_not1_b32 vcc_lo, exec_lo, s15
	s_cbranch_vccnz .LBB93_2032
; %bb.2013:
	s_cmp_lt_i32 s13, 2
	s_cbranch_scc1 .LBB93_2017
; %bb.2014:
	s_cmp_lt_i32 s13, 3
	s_cbranch_scc1 .LBB93_2018
; %bb.2015:
	s_cmp_gt_i32 s13, 3
	s_cbranch_scc0 .LBB93_2019
; %bb.2016:
	global_load_b64 v[20:21], v[18:19], off
	s_mov_b32 s15, 0
	s_wait_loadcnt 0x0
	v_xor_b32_e32 v3, v20, v21
	v_cls_i32_e32 v5, v21
	s_delay_alu instid0(VALU_DEP_2) | instskip(NEXT) | instid1(VALU_DEP_1)
	v_ashrrev_i32_e32 v3, 31, v3
	v_add_nc_u32_e32 v3, 32, v3
	s_delay_alu instid0(VALU_DEP_1) | instskip(NEXT) | instid1(VALU_DEP_1)
	v_add_min_u32_e64 v3, v5, -1, v3
	v_lshlrev_b64_e32 v[20:21], v3, v[20:21]
	v_sub_nc_u32_e32 v3, 32, v3
	s_delay_alu instid0(VALU_DEP_2) | instskip(NEXT) | instid1(VALU_DEP_1)
	v_min_u32_e32 v5, 1, v20
	v_or_b32_e32 v5, v21, v5
	s_delay_alu instid0(VALU_DEP_1) | instskip(NEXT) | instid1(VALU_DEP_1)
	v_cvt_f32_i32_e32 v5, v5
	v_ldexp_f32 v3, v5, v3
	s_delay_alu instid0(VALU_DEP_1) | instskip(NEXT) | instid1(VALU_DEP_1)
	v_bfe_u32 v5, v3, 16, 1
	v_add3_u32 v3, v3, v5, 0x7fff
	s_delay_alu instid0(VALU_DEP_1)
	v_lshrrev_b32_e32 v3, 16, v3
	s_branch .LBB93_2020
.LBB93_2017:
	s_mov_b32 s15, -1
                                        ; implicit-def: $vgpr3
	s_branch .LBB93_2026
.LBB93_2018:
	s_mov_b32 s15, -1
                                        ; implicit-def: $vgpr3
	s_branch .LBB93_2023
.LBB93_2019:
	s_mov_b32 s15, -1
                                        ; implicit-def: $vgpr3
.LBB93_2020:
	s_delay_alu instid0(SALU_CYCLE_1)
	s_and_not1_b32 vcc_lo, exec_lo, s15
	s_cbranch_vccnz .LBB93_2022
; %bb.2021:
	s_wait_loadcnt 0x0
	global_load_b32 v3, v[18:19], off
	s_wait_loadcnt 0x0
	v_cvt_f32_i32_e32 v3, v3
	s_delay_alu instid0(VALU_DEP_1) | instskip(NEXT) | instid1(VALU_DEP_1)
	v_bfe_u32 v5, v3, 16, 1
	v_add3_u32 v3, v3, v5, 0x7fff
	s_delay_alu instid0(VALU_DEP_1)
	v_lshrrev_b32_e32 v3, 16, v3
.LBB93_2022:
	s_mov_b32 s15, 0
.LBB93_2023:
	s_delay_alu instid0(SALU_CYCLE_1)
	s_and_not1_b32 vcc_lo, exec_lo, s15
	s_cbranch_vccnz .LBB93_2025
; %bb.2024:
	s_wait_loadcnt 0x0
	global_load_i16 v3, v[18:19], off
	s_wait_loadcnt 0x0
	v_cvt_f32_i32_e32 v3, v3
	s_delay_alu instid0(VALU_DEP_1) | instskip(NEXT) | instid1(VALU_DEP_1)
	v_bfe_u32 v5, v3, 16, 1
	v_add3_u32 v3, v3, v5, 0x7fff
	s_delay_alu instid0(VALU_DEP_1)
	v_lshrrev_b32_e32 v3, 16, v3
.LBB93_2025:
	s_mov_b32 s15, 0
.LBB93_2026:
	s_delay_alu instid0(SALU_CYCLE_1)
	s_and_not1_b32 vcc_lo, exec_lo, s15
	s_cbranch_vccnz .LBB93_2032
; %bb.2027:
	s_cmp_gt_i32 s13, 0
	s_mov_b32 s15, 0
	s_cbranch_scc0 .LBB93_2029
; %bb.2028:
	s_wait_loadcnt 0x0
	global_load_i8 v3, v[18:19], off
	s_wait_loadcnt 0x0
	v_cvt_f32_i32_e32 v3, v3
	s_delay_alu instid0(VALU_DEP_1) | instskip(NEXT) | instid1(VALU_DEP_1)
	v_bfe_u32 v5, v3, 16, 1
	v_add3_u32 v3, v3, v5, 0x7fff
	s_delay_alu instid0(VALU_DEP_1)
	v_lshrrev_b32_e32 v3, 16, v3
	s_branch .LBB93_2030
.LBB93_2029:
	s_mov_b32 s15, -1
                                        ; implicit-def: $vgpr3
.LBB93_2030:
	s_delay_alu instid0(SALU_CYCLE_1)
	s_and_not1_b32 vcc_lo, exec_lo, s15
	s_cbranch_vccnz .LBB93_2032
; %bb.2031:
	s_wait_loadcnt 0x0
	global_load_u8 v3, v[18:19], off
	s_wait_loadcnt 0x0
	v_cvt_f32_ubyte0_e32 v3, v3
	s_delay_alu instid0(VALU_DEP_1) | instskip(NEXT) | instid1(VALU_DEP_1)
	v_bfe_u32 v5, v3, 16, 1
	v_add3_u32 v3, v3, v5, 0x7fff
	s_delay_alu instid0(VALU_DEP_1)
	v_lshrrev_b32_e32 v3, 16, v3
.LBB93_2032:
.LBB93_2033:
	v_mov_b32_e32 v17, 0
	s_and_b32 s14, 0xffff, s14
	s_delay_alu instid0(SALU_CYCLE_1) | instskip(NEXT) | instid1(VALU_DEP_1)
	s_cmp_lt_i32 s14, 11
	v_add_nc_u64_e32 v[16:17], s[0:1], v[16:17]
	s_cbranch_scc1 .LBB93_2040
; %bb.2034:
	s_cmp_gt_i32 s14, 25
	s_mov_b32 s16, 0
	s_cbranch_scc0 .LBB93_2041
; %bb.2035:
	s_cmp_gt_i32 s14, 28
	s_cbranch_scc0 .LBB93_2042
; %bb.2036:
	s_cmp_gt_i32 s14, 43
	s_cbranch_scc0 .LBB93_2043
; %bb.2037:
	s_cmp_gt_i32 s14, 45
	s_cbranch_scc0 .LBB93_2045
; %bb.2038:
	s_cmp_eq_u32 s14, 46
	s_mov_b32 s18, 0
	s_cbranch_scc0 .LBB93_2046
; %bb.2039:
	global_load_b32 v5, v[16:17], off
	s_mov_b32 s15, 0
	s_mov_b32 s17, -1
	s_branch .LBB93_2048
.LBB93_2040:
	s_mov_b32 s15, -1
	s_mov_b32 s17, 0
                                        ; implicit-def: $vgpr5
	s_branch .LBB93_2114
.LBB93_2041:
	s_mov_b32 s18, -1
	s_mov_b32 s17, 0
	s_mov_b32 s15, 0
                                        ; implicit-def: $vgpr5
	s_branch .LBB93_2077
.LBB93_2042:
	s_mov_b32 s18, -1
	s_mov_b32 s17, 0
	s_mov_b32 s15, 0
                                        ; implicit-def: $vgpr5
	s_branch .LBB93_2058
.LBB93_2043:
	s_mov_b32 s18, -1
	s_mov_b32 s17, 0
	s_mov_b32 s15, 0
                                        ; implicit-def: $vgpr5
	s_branch .LBB93_2053
.LBB93_2044:
	s_or_b32 s12, s12, exec_lo
	s_trap 2
	s_cbranch_execz .LBB93_1983
	s_branch .LBB93_1984
.LBB93_2045:
	s_mov_b32 s18, -1
	s_mov_b32 s17, 0
	s_mov_b32 s15, 0
	s_branch .LBB93_2047
.LBB93_2046:
	s_mov_b32 s15, -1
	s_mov_b32 s17, 0
.LBB93_2047:
                                        ; implicit-def: $vgpr5
.LBB93_2048:
	s_and_b32 vcc_lo, exec_lo, s18
	s_cbranch_vccz .LBB93_2052
; %bb.2049:
	s_cmp_eq_u32 s14, 44
	s_cbranch_scc0 .LBB93_2051
; %bb.2050:
	s_wait_loadcnt 0x0
	global_load_u8 v5, v[16:17], off
	s_mov_b32 s15, 0
	s_mov_b32 s17, -1
	s_wait_loadcnt 0x0
	v_lshlrev_b32_e32 v7, 23, v5
	v_cmp_ne_u32_e32 vcc_lo, 0xff, v5
	s_delay_alu instid0(VALU_DEP_2) | instskip(SKIP_1) | instid1(VALU_DEP_2)
	v_cndmask_b32_e32 v7, 0x7f800001, v7, vcc_lo
	v_cmp_ne_u32_e32 vcc_lo, 0, v5
	v_cndmask_b32_e32 v5, 0x400000, v7, vcc_lo
	s_delay_alu instid0(VALU_DEP_1) | instskip(SKIP_1) | instid1(VALU_DEP_2)
	v_add_nc_u32_e32 v7, 0x7fff, v5
	v_cmp_o_f32_e32 vcc_lo, v5, v5
	v_lshrrev_b32_e32 v7, 16, v7
	s_delay_alu instid0(VALU_DEP_1)
	v_cndmask_b32_e32 v5, 0x7fc0, v7, vcc_lo
	s_branch .LBB93_2052
.LBB93_2051:
	s_mov_b32 s15, -1
                                        ; implicit-def: $vgpr5
.LBB93_2052:
	s_mov_b32 s18, 0
.LBB93_2053:
	s_delay_alu instid0(SALU_CYCLE_1)
	s_and_b32 vcc_lo, exec_lo, s18
	s_cbranch_vccz .LBB93_2057
; %bb.2054:
	s_cmp_eq_u32 s14, 29
	s_cbranch_scc0 .LBB93_2056
; %bb.2055:
	global_load_b64 v[18:19], v[16:17], off
	s_mov_b32 s15, 0
	s_mov_b32 s17, -1
	s_mov_b32 s18, 0
	s_wait_loadcnt 0x0
	v_clz_i32_u32_e32 v5, v19
	s_delay_alu instid0(VALU_DEP_1) | instskip(NEXT) | instid1(VALU_DEP_1)
	v_min_u32_e32 v5, 32, v5
	v_lshlrev_b64_e32 v[18:19], v5, v[18:19]
	v_sub_nc_u32_e32 v5, 32, v5
	s_delay_alu instid0(VALU_DEP_2) | instskip(NEXT) | instid1(VALU_DEP_1)
	v_min_u32_e32 v7, 1, v18
	v_or_b32_e32 v7, v19, v7
	s_delay_alu instid0(VALU_DEP_1) | instskip(NEXT) | instid1(VALU_DEP_1)
	v_cvt_f32_u32_e32 v7, v7
	v_ldexp_f32 v5, v7, v5
	s_delay_alu instid0(VALU_DEP_1) | instskip(NEXT) | instid1(VALU_DEP_1)
	v_bfe_u32 v7, v5, 16, 1
	v_add3_u32 v5, v5, v7, 0x7fff
	s_delay_alu instid0(VALU_DEP_1)
	v_lshrrev_b32_e32 v5, 16, v5
	s_branch .LBB93_2058
.LBB93_2056:
	s_mov_b32 s15, -1
                                        ; implicit-def: $vgpr5
.LBB93_2057:
	s_mov_b32 s18, 0
.LBB93_2058:
	s_delay_alu instid0(SALU_CYCLE_1)
	s_and_b32 vcc_lo, exec_lo, s18
	s_cbranch_vccz .LBB93_2076
; %bb.2059:
	s_cmp_lt_i32 s14, 27
	s_cbranch_scc1 .LBB93_2062
; %bb.2060:
	s_cmp_gt_i32 s14, 27
	s_cbranch_scc0 .LBB93_2063
; %bb.2061:
	s_wait_loadcnt 0x0
	global_load_b32 v5, v[16:17], off
	s_mov_b32 s17, 0
	s_wait_loadcnt 0x0
	v_cvt_f32_u32_e32 v5, v5
	s_delay_alu instid0(VALU_DEP_1) | instskip(NEXT) | instid1(VALU_DEP_1)
	v_bfe_u32 v7, v5, 16, 1
	v_add3_u32 v5, v5, v7, 0x7fff
	s_delay_alu instid0(VALU_DEP_1)
	v_lshrrev_b32_e32 v5, 16, v5
	s_branch .LBB93_2064
.LBB93_2062:
	s_mov_b32 s17, -1
                                        ; implicit-def: $vgpr5
	s_branch .LBB93_2067
.LBB93_2063:
	s_mov_b32 s17, -1
                                        ; implicit-def: $vgpr5
.LBB93_2064:
	s_delay_alu instid0(SALU_CYCLE_1)
	s_and_not1_b32 vcc_lo, exec_lo, s17
	s_cbranch_vccnz .LBB93_2066
; %bb.2065:
	s_wait_loadcnt 0x0
	global_load_u16 v5, v[16:17], off
	s_wait_loadcnt 0x0
	v_cvt_f32_u32_e32 v5, v5
	s_delay_alu instid0(VALU_DEP_1) | instskip(NEXT) | instid1(VALU_DEP_1)
	v_bfe_u32 v7, v5, 16, 1
	v_add3_u32 v5, v5, v7, 0x7fff
	s_delay_alu instid0(VALU_DEP_1)
	v_lshrrev_b32_e32 v5, 16, v5
.LBB93_2066:
	s_mov_b32 s17, 0
.LBB93_2067:
	s_delay_alu instid0(SALU_CYCLE_1)
	s_and_not1_b32 vcc_lo, exec_lo, s17
	s_cbranch_vccnz .LBB93_2075
; %bb.2068:
	s_wait_loadcnt 0x0
	global_load_u8 v5, v[16:17], off
	s_mov_b32 s17, 0
	s_mov_b32 s18, exec_lo
	s_wait_loadcnt 0x0
	v_cmpx_lt_i16_e32 0x7f, v5
	s_xor_b32 s18, exec_lo, s18
	s_cbranch_execz .LBB93_2089
; %bb.2069:
	s_mov_b32 s17, -1
	s_mov_b32 s19, exec_lo
	v_cmpx_eq_u16_e32 0x80, v5
; %bb.2070:
	s_xor_b32 s17, exec_lo, -1
; %bb.2071:
	s_or_b32 exec_lo, exec_lo, s19
	s_delay_alu instid0(SALU_CYCLE_1)
	s_and_b32 s17, s17, exec_lo
	s_or_saveexec_b32 s18, s18
	v_mov_b32_e32 v7, 0x7f800001
	s_xor_b32 exec_lo, exec_lo, s18
	s_cbranch_execnz .LBB93_2090
.LBB93_2072:
	s_or_b32 exec_lo, exec_lo, s18
	s_and_saveexec_b32 s18, s17
	s_cbranch_execz .LBB93_2074
.LBB93_2073:
	v_and_b32_e32 v7, 0xffff, v5
	s_delay_alu instid0(VALU_DEP_1) | instskip(SKIP_1) | instid1(VALU_DEP_2)
	v_dual_lshlrev_b32 v5, 24, v5 :: v_dual_bitop2_b32 v9, 7, v7 bitop3:0x40
	v_bfe_u32 v15, v7, 3, 4
	v_and_b32_e32 v5, 0x80000000, v5
	s_delay_alu instid0(VALU_DEP_3) | instskip(NEXT) | instid1(VALU_DEP_3)
	v_clz_i32_u32_e32 v11, v9
	v_cmp_eq_u32_e32 vcc_lo, 0, v15
	s_delay_alu instid0(VALU_DEP_2) | instskip(NEXT) | instid1(VALU_DEP_1)
	v_min_u32_e32 v11, 32, v11
	v_subrev_nc_u32_e32 v13, 28, v11
	v_sub_nc_u32_e32 v11, 29, v11
	s_delay_alu instid0(VALU_DEP_2) | instskip(NEXT) | instid1(VALU_DEP_2)
	v_lshlrev_b32_e32 v7, v13, v7
	v_cndmask_b32_e32 v11, v15, v11, vcc_lo
	s_delay_alu instid0(VALU_DEP_2) | instskip(NEXT) | instid1(VALU_DEP_1)
	v_and_b32_e32 v7, 7, v7
	v_cndmask_b32_e32 v7, v9, v7, vcc_lo
	s_delay_alu instid0(VALU_DEP_3) | instskip(NEXT) | instid1(VALU_DEP_2)
	v_lshl_add_u32 v9, v11, 23, 0x3b800000
	v_lshlrev_b32_e32 v7, 20, v7
	s_delay_alu instid0(VALU_DEP_1)
	v_or3_b32 v7, v5, v9, v7
.LBB93_2074:
	s_or_b32 exec_lo, exec_lo, s18
	s_delay_alu instid0(VALU_DEP_1) | instskip(SKIP_1) | instid1(VALU_DEP_2)
	v_bfe_u32 v5, v7, 16, 1
	v_cmp_o_f32_e32 vcc_lo, v7, v7
	v_add3_u32 v5, v7, v5, 0x7fff
	s_delay_alu instid0(VALU_DEP_1) | instskip(NEXT) | instid1(VALU_DEP_1)
	v_lshrrev_b32_e32 v5, 16, v5
	v_cndmask_b32_e32 v5, 0x7fc0, v5, vcc_lo
.LBB93_2075:
	s_mov_b32 s17, -1
.LBB93_2076:
	s_mov_b32 s18, 0
.LBB93_2077:
	s_delay_alu instid0(SALU_CYCLE_1)
	s_and_b32 vcc_lo, exec_lo, s18
	s_cbranch_vccz .LBB93_2110
; %bb.2078:
	s_cmp_gt_i32 s14, 22
	s_cbranch_scc0 .LBB93_2088
; %bb.2079:
	s_cmp_lt_i32 s14, 24
	s_cbranch_scc1 .LBB93_2091
; %bb.2080:
	s_cmp_gt_i32 s14, 24
	s_cbranch_scc0 .LBB93_2092
; %bb.2081:
	s_wait_loadcnt 0x0
	global_load_u8 v5, v[16:17], off
	s_mov_b32 s17, exec_lo
	s_wait_loadcnt 0x0
	v_cmpx_lt_i16_e32 0x7f, v5
	s_xor_b32 s17, exec_lo, s17
	s_cbranch_execz .LBB93_2104
; %bb.2082:
	s_mov_b32 s16, -1
	s_mov_b32 s18, exec_lo
	v_cmpx_eq_u16_e32 0x80, v5
; %bb.2083:
	s_xor_b32 s16, exec_lo, -1
; %bb.2084:
	s_or_b32 exec_lo, exec_lo, s18
	s_delay_alu instid0(SALU_CYCLE_1)
	s_and_b32 s16, s16, exec_lo
	s_or_saveexec_b32 s17, s17
	v_mov_b32_e32 v7, 0x7f800001
	s_xor_b32 exec_lo, exec_lo, s17
	s_cbranch_execnz .LBB93_2105
.LBB93_2085:
	s_or_b32 exec_lo, exec_lo, s17
	s_and_saveexec_b32 s17, s16
	s_cbranch_execz .LBB93_2087
.LBB93_2086:
	v_and_b32_e32 v7, 0xffff, v5
	s_delay_alu instid0(VALU_DEP_1) | instskip(SKIP_1) | instid1(VALU_DEP_2)
	v_dual_lshlrev_b32 v5, 24, v5 :: v_dual_bitop2_b32 v9, 3, v7 bitop3:0x40
	v_bfe_u32 v15, v7, 2, 5
	v_and_b32_e32 v5, 0x80000000, v5
	s_delay_alu instid0(VALU_DEP_3) | instskip(NEXT) | instid1(VALU_DEP_3)
	v_clz_i32_u32_e32 v11, v9
	v_cmp_eq_u32_e32 vcc_lo, 0, v15
	s_delay_alu instid0(VALU_DEP_2) | instskip(NEXT) | instid1(VALU_DEP_1)
	v_min_u32_e32 v11, 32, v11
	v_subrev_nc_u32_e32 v13, 29, v11
	v_sub_nc_u32_e32 v11, 30, v11
	s_delay_alu instid0(VALU_DEP_2) | instskip(NEXT) | instid1(VALU_DEP_2)
	v_lshlrev_b32_e32 v7, v13, v7
	v_cndmask_b32_e32 v11, v15, v11, vcc_lo
	s_delay_alu instid0(VALU_DEP_2) | instskip(NEXT) | instid1(VALU_DEP_1)
	v_and_b32_e32 v7, 3, v7
	v_cndmask_b32_e32 v7, v9, v7, vcc_lo
	s_delay_alu instid0(VALU_DEP_3) | instskip(NEXT) | instid1(VALU_DEP_2)
	v_lshl_add_u32 v9, v11, 23, 0x37800000
	v_lshlrev_b32_e32 v7, 21, v7
	s_delay_alu instid0(VALU_DEP_1)
	v_or3_b32 v7, v5, v9, v7
.LBB93_2087:
	s_or_b32 exec_lo, exec_lo, s17
	s_delay_alu instid0(VALU_DEP_1) | instskip(SKIP_2) | instid1(VALU_DEP_2)
	v_bfe_u32 v5, v7, 16, 1
	v_cmp_o_f32_e32 vcc_lo, v7, v7
	s_mov_b32 s16, 0
	v_add3_u32 v5, v7, v5, 0x7fff
	s_delay_alu instid0(VALU_DEP_1) | instskip(NEXT) | instid1(VALU_DEP_1)
	v_lshrrev_b32_e32 v5, 16, v5
	v_cndmask_b32_e32 v5, 0x7fc0, v5, vcc_lo
	s_branch .LBB93_2093
.LBB93_2088:
	s_mov_b32 s16, -1
                                        ; implicit-def: $vgpr5
	s_branch .LBB93_2099
.LBB93_2089:
	s_or_saveexec_b32 s18, s18
	v_mov_b32_e32 v7, 0x7f800001
	s_xor_b32 exec_lo, exec_lo, s18
	s_cbranch_execz .LBB93_2072
.LBB93_2090:
	v_cmp_ne_u16_e32 vcc_lo, 0, v5
	v_mov_b32_e32 v7, 0
	s_and_not1_b32 s17, s17, exec_lo
	s_and_b32 s19, vcc_lo, exec_lo
	s_delay_alu instid0(SALU_CYCLE_1)
	s_or_b32 s17, s17, s19
	s_or_b32 exec_lo, exec_lo, s18
	s_and_saveexec_b32 s18, s17
	s_cbranch_execnz .LBB93_2073
	s_branch .LBB93_2074
.LBB93_2091:
	s_mov_b32 s16, -1
                                        ; implicit-def: $vgpr5
	s_branch .LBB93_2096
.LBB93_2092:
	s_mov_b32 s16, -1
                                        ; implicit-def: $vgpr5
.LBB93_2093:
	s_delay_alu instid0(SALU_CYCLE_1)
	s_and_b32 vcc_lo, exec_lo, s16
	s_cbranch_vccz .LBB93_2095
; %bb.2094:
	s_wait_loadcnt 0x0
	global_load_u8 v5, v[16:17], off
	s_wait_loadcnt 0x0
	v_lshlrev_b32_e32 v5, 24, v5
	s_delay_alu instid0(VALU_DEP_1) | instskip(NEXT) | instid1(VALU_DEP_1)
	v_and_b32_e32 v7, 0x7f000000, v5
	v_clz_i32_u32_e32 v9, v7
	v_add_nc_u32_e32 v13, 0x1000000, v7
	v_cmp_ne_u32_e32 vcc_lo, 0, v7
	s_delay_alu instid0(VALU_DEP_3) | instskip(NEXT) | instid1(VALU_DEP_1)
	v_min_u32_e32 v9, 32, v9
	v_sub_nc_u32_e64 v9, v9, 4 clamp
	s_delay_alu instid0(VALU_DEP_1) | instskip(NEXT) | instid1(VALU_DEP_1)
	v_dual_lshlrev_b32 v11, v9, v7 :: v_dual_lshlrev_b32 v9, 23, v9
	v_lshrrev_b32_e32 v11, 4, v11
	s_delay_alu instid0(VALU_DEP_1) | instskip(SKIP_1) | instid1(VALU_DEP_2)
	v_sub_nc_u32_e32 v9, v11, v9
	v_ashrrev_i32_e32 v11, 8, v13
	v_add_nc_u32_e32 v9, 0x3c000000, v9
	s_delay_alu instid0(VALU_DEP_1) | instskip(NEXT) | instid1(VALU_DEP_1)
	v_and_or_b32 v9, 0x7f800000, v11, v9
	v_cndmask_b32_e32 v7, 0, v9, vcc_lo
	s_delay_alu instid0(VALU_DEP_1) | instskip(SKIP_1) | instid1(VALU_DEP_2)
	v_and_or_b32 v5, 0x80000000, v5, v7
	v_bfe_u32 v7, v7, 16, 1
	v_cmp_o_f32_e32 vcc_lo, v5, v5
	s_delay_alu instid0(VALU_DEP_2) | instskip(NEXT) | instid1(VALU_DEP_1)
	v_add3_u32 v7, v5, v7, 0x7fff
	v_lshrrev_b32_e32 v7, 16, v7
	s_delay_alu instid0(VALU_DEP_1)
	v_cndmask_b32_e32 v5, 0x7fc0, v7, vcc_lo
.LBB93_2095:
	s_mov_b32 s16, 0
.LBB93_2096:
	s_delay_alu instid0(SALU_CYCLE_1)
	s_and_not1_b32 vcc_lo, exec_lo, s16
	s_cbranch_vccnz .LBB93_2098
; %bb.2097:
	s_wait_loadcnt 0x0
	global_load_u8 v5, v[16:17], off
	s_wait_loadcnt 0x0
	v_lshlrev_b32_e32 v7, 25, v5
	v_lshlrev_b16 v5, 8, v5
	s_delay_alu instid0(VALU_DEP_1) | instskip(SKIP_1) | instid1(VALU_DEP_2)
	v_and_or_b32 v11, 0x7f00, v5, 0.5
	v_bfe_i32 v5, v5, 0, 16
	v_add_f32_e32 v11, -0.5, v11
	v_lshrrev_b32_e32 v9, 4, v7
	v_cmp_gt_u32_e32 vcc_lo, 0x8000000, v7
	s_delay_alu instid0(VALU_DEP_2) | instskip(NEXT) | instid1(VALU_DEP_1)
	v_or_b32_e32 v9, 0x70000000, v9
	v_mul_f32_e32 v9, 0x7800000, v9
	s_delay_alu instid0(VALU_DEP_1) | instskip(NEXT) | instid1(VALU_DEP_1)
	v_cndmask_b32_e32 v7, v9, v11, vcc_lo
	v_and_or_b32 v5, 0x80000000, v5, v7
	v_bfe_u32 v7, v7, 16, 1
	s_delay_alu instid0(VALU_DEP_2) | instskip(NEXT) | instid1(VALU_DEP_2)
	v_cmp_o_f32_e32 vcc_lo, v5, v5
	v_add3_u32 v7, v5, v7, 0x7fff
	s_delay_alu instid0(VALU_DEP_1) | instskip(NEXT) | instid1(VALU_DEP_1)
	v_lshrrev_b32_e32 v7, 16, v7
	v_cndmask_b32_e32 v5, 0x7fc0, v7, vcc_lo
.LBB93_2098:
	s_mov_b32 s16, 0
	s_mov_b32 s17, -1
.LBB93_2099:
	s_and_not1_b32 vcc_lo, exec_lo, s16
	s_mov_b32 s16, 0
	s_cbranch_vccnz .LBB93_2110
; %bb.2100:
	s_cmp_gt_i32 s14, 14
	s_cbranch_scc0 .LBB93_2103
; %bb.2101:
	s_cmp_eq_u32 s14, 15
	s_cbranch_scc0 .LBB93_2106
; %bb.2102:
	s_wait_loadcnt 0x0
	global_load_u16 v5, v[16:17], off
	s_mov_b32 s15, 0
	s_mov_b32 s17, -1
	s_branch .LBB93_2108
.LBB93_2103:
	s_mov_b32 s16, -1
	s_branch .LBB93_2107
.LBB93_2104:
	s_or_saveexec_b32 s17, s17
	v_mov_b32_e32 v7, 0x7f800001
	s_xor_b32 exec_lo, exec_lo, s17
	s_cbranch_execz .LBB93_2085
.LBB93_2105:
	v_cmp_ne_u16_e32 vcc_lo, 0, v5
	v_mov_b32_e32 v7, 0
	s_and_not1_b32 s16, s16, exec_lo
	s_and_b32 s18, vcc_lo, exec_lo
	s_delay_alu instid0(SALU_CYCLE_1)
	s_or_b32 s16, s16, s18
	s_or_b32 exec_lo, exec_lo, s17
	s_and_saveexec_b32 s17, s16
	s_cbranch_execnz .LBB93_2086
	s_branch .LBB93_2087
.LBB93_2106:
	s_mov_b32 s15, -1
.LBB93_2107:
                                        ; implicit-def: $vgpr5
.LBB93_2108:
	s_and_b32 vcc_lo, exec_lo, s16
	s_mov_b32 s16, 0
	s_cbranch_vccz .LBB93_2110
; %bb.2109:
	s_cmp_lg_u32 s14, 11
	s_mov_b32 s16, -1
	s_cselect_b32 s15, -1, 0
.LBB93_2110:
	s_delay_alu instid0(SALU_CYCLE_1)
	s_and_b32 vcc_lo, exec_lo, s15
	s_cbranch_vccnz .LBB93_2177
; %bb.2111:
	s_and_not1_b32 vcc_lo, exec_lo, s16
	s_cbranch_vccnz .LBB93_2113
.LBB93_2112:
	s_wait_loadcnt 0x0
	global_load_u8 v5, v[16:17], off
	s_mov_b32 s17, -1
	s_wait_loadcnt 0x0
	v_cmp_ne_u16_e32 vcc_lo, 0, v5
	v_cndmask_b32_e64 v5, 0, 1.0, vcc_lo
	s_delay_alu instid0(VALU_DEP_1)
	v_lshrrev_b32_e32 v5, 16, v5
.LBB93_2113:
	s_mov_b32 s15, 0
.LBB93_2114:
	s_delay_alu instid0(SALU_CYCLE_1)
	s_and_b32 vcc_lo, exec_lo, s15
	s_cbranch_vccz .LBB93_2163
; %bb.2115:
	s_cmp_lt_i32 s14, 5
	s_cbranch_scc1 .LBB93_2120
; %bb.2116:
	s_cmp_lt_i32 s14, 8
	s_cbranch_scc1 .LBB93_2121
	;; [unrolled: 3-line block ×3, first 2 shown]
; %bb.2118:
	s_cmp_gt_i32 s14, 9
	s_cbranch_scc0 .LBB93_2123
; %bb.2119:
	global_load_b64 v[18:19], v[16:17], off
	s_mov_b32 s15, 0
	s_wait_loadcnt 0x0
	v_cvt_f32_f64_e32 v5, v[18:19]
	s_delay_alu instid0(VALU_DEP_1) | instskip(SKIP_1) | instid1(VALU_DEP_2)
	v_bfe_u32 v7, v5, 16, 1
	v_cmp_o_f32_e32 vcc_lo, v5, v5
	v_add3_u32 v7, v5, v7, 0x7fff
	s_delay_alu instid0(VALU_DEP_1) | instskip(NEXT) | instid1(VALU_DEP_1)
	v_lshrrev_b32_e32 v7, 16, v7
	v_cndmask_b32_e32 v5, 0x7fc0, v7, vcc_lo
	s_branch .LBB93_2124
.LBB93_2120:
	s_mov_b32 s15, -1
                                        ; implicit-def: $vgpr5
	s_branch .LBB93_2142
.LBB93_2121:
	s_mov_b32 s15, -1
                                        ; implicit-def: $vgpr5
	s_branch .LBB93_2130
.LBB93_2122:
	s_mov_b32 s15, -1
                                        ; implicit-def: $vgpr5
	s_branch .LBB93_2127
.LBB93_2123:
	s_mov_b32 s15, -1
                                        ; implicit-def: $vgpr5
.LBB93_2124:
	s_delay_alu instid0(SALU_CYCLE_1)
	s_and_not1_b32 vcc_lo, exec_lo, s15
	s_cbranch_vccnz .LBB93_2126
; %bb.2125:
	s_wait_loadcnt 0x0
	global_load_b32 v5, v[16:17], off
	s_wait_loadcnt 0x0
	v_bfe_u32 v7, v5, 16, 1
	v_cmp_o_f32_e32 vcc_lo, v5, v5
	s_delay_alu instid0(VALU_DEP_2) | instskip(NEXT) | instid1(VALU_DEP_1)
	v_add3_u32 v7, v5, v7, 0x7fff
	v_lshrrev_b32_e32 v7, 16, v7
	s_delay_alu instid0(VALU_DEP_1)
	v_cndmask_b32_e32 v5, 0x7fc0, v7, vcc_lo
.LBB93_2126:
	s_mov_b32 s15, 0
.LBB93_2127:
	s_delay_alu instid0(SALU_CYCLE_1)
	s_and_not1_b32 vcc_lo, exec_lo, s15
	s_cbranch_vccnz .LBB93_2129
; %bb.2128:
	s_wait_loadcnt 0x0
	global_load_b32 v5, v[16:17], off
	s_wait_loadcnt 0x0
	v_cvt_f32_f16_e32 v7, v5
	v_cmp_o_f16_e32 vcc_lo, v5, v5
	s_delay_alu instid0(VALU_DEP_2) | instskip(NEXT) | instid1(VALU_DEP_1)
	v_bfe_u32 v9, v7, 16, 1
	v_add3_u32 v7, v7, v9, 0x7fff
	s_delay_alu instid0(VALU_DEP_1) | instskip(NEXT) | instid1(VALU_DEP_1)
	v_lshrrev_b32_e32 v7, 16, v7
	v_cndmask_b32_e32 v5, 0x7fc0, v7, vcc_lo
.LBB93_2129:
	s_mov_b32 s15, 0
.LBB93_2130:
	s_delay_alu instid0(SALU_CYCLE_1)
	s_and_not1_b32 vcc_lo, exec_lo, s15
	s_cbranch_vccnz .LBB93_2141
; %bb.2131:
	s_cmp_lt_i32 s14, 6
	s_cbranch_scc1 .LBB93_2134
; %bb.2132:
	s_cmp_gt_i32 s14, 6
	s_cbranch_scc0 .LBB93_2135
; %bb.2133:
	global_load_b64 v[18:19], v[16:17], off
	s_mov_b32 s15, 0
	s_wait_loadcnt 0x0
	v_cvt_f32_f64_e32 v5, v[18:19]
	s_delay_alu instid0(VALU_DEP_1) | instskip(SKIP_1) | instid1(VALU_DEP_2)
	v_bfe_u32 v7, v5, 16, 1
	v_cmp_o_f32_e32 vcc_lo, v5, v5
	v_add3_u32 v7, v5, v7, 0x7fff
	s_delay_alu instid0(VALU_DEP_1) | instskip(NEXT) | instid1(VALU_DEP_1)
	v_lshrrev_b32_e32 v7, 16, v7
	v_cndmask_b32_e32 v5, 0x7fc0, v7, vcc_lo
	s_branch .LBB93_2136
.LBB93_2134:
	s_mov_b32 s15, -1
                                        ; implicit-def: $vgpr5
	s_branch .LBB93_2139
.LBB93_2135:
	s_mov_b32 s15, -1
                                        ; implicit-def: $vgpr5
.LBB93_2136:
	s_delay_alu instid0(SALU_CYCLE_1)
	s_and_not1_b32 vcc_lo, exec_lo, s15
	s_cbranch_vccnz .LBB93_2138
; %bb.2137:
	s_wait_loadcnt 0x0
	global_load_b32 v5, v[16:17], off
	s_wait_loadcnt 0x0
	v_bfe_u32 v7, v5, 16, 1
	v_cmp_o_f32_e32 vcc_lo, v5, v5
	s_delay_alu instid0(VALU_DEP_2) | instskip(NEXT) | instid1(VALU_DEP_1)
	v_add3_u32 v7, v5, v7, 0x7fff
	v_lshrrev_b32_e32 v7, 16, v7
	s_delay_alu instid0(VALU_DEP_1)
	v_cndmask_b32_e32 v5, 0x7fc0, v7, vcc_lo
.LBB93_2138:
	s_mov_b32 s15, 0
.LBB93_2139:
	s_delay_alu instid0(SALU_CYCLE_1)
	s_and_not1_b32 vcc_lo, exec_lo, s15
	s_cbranch_vccnz .LBB93_2141
; %bb.2140:
	s_wait_loadcnt 0x0
	global_load_u16 v5, v[16:17], off
	s_wait_loadcnt 0x0
	v_cvt_f32_f16_e32 v7, v5
	v_cmp_o_f16_e32 vcc_lo, v5, v5
	s_delay_alu instid0(VALU_DEP_2) | instskip(NEXT) | instid1(VALU_DEP_1)
	v_bfe_u32 v9, v7, 16, 1
	v_add3_u32 v7, v7, v9, 0x7fff
	s_delay_alu instid0(VALU_DEP_1) | instskip(NEXT) | instid1(VALU_DEP_1)
	v_lshrrev_b32_e32 v7, 16, v7
	v_cndmask_b32_e32 v5, 0x7fc0, v7, vcc_lo
.LBB93_2141:
	s_mov_b32 s15, 0
.LBB93_2142:
	s_delay_alu instid0(SALU_CYCLE_1)
	s_and_not1_b32 vcc_lo, exec_lo, s15
	s_cbranch_vccnz .LBB93_2162
; %bb.2143:
	s_cmp_lt_i32 s14, 2
	s_cbranch_scc1 .LBB93_2147
; %bb.2144:
	s_cmp_lt_i32 s14, 3
	s_cbranch_scc1 .LBB93_2148
; %bb.2145:
	s_cmp_gt_i32 s14, 3
	s_cbranch_scc0 .LBB93_2149
; %bb.2146:
	global_load_b64 v[18:19], v[16:17], off
	s_mov_b32 s15, 0
	s_wait_loadcnt 0x0
	v_xor_b32_e32 v5, v18, v19
	v_cls_i32_e32 v7, v19
	s_delay_alu instid0(VALU_DEP_2) | instskip(NEXT) | instid1(VALU_DEP_1)
	v_ashrrev_i32_e32 v5, 31, v5
	v_add_nc_u32_e32 v5, 32, v5
	s_delay_alu instid0(VALU_DEP_1) | instskip(NEXT) | instid1(VALU_DEP_1)
	v_add_min_u32_e64 v5, v7, -1, v5
	v_lshlrev_b64_e32 v[18:19], v5, v[18:19]
	v_sub_nc_u32_e32 v5, 32, v5
	s_delay_alu instid0(VALU_DEP_2) | instskip(NEXT) | instid1(VALU_DEP_1)
	v_min_u32_e32 v7, 1, v18
	v_or_b32_e32 v7, v19, v7
	s_delay_alu instid0(VALU_DEP_1) | instskip(NEXT) | instid1(VALU_DEP_1)
	v_cvt_f32_i32_e32 v7, v7
	v_ldexp_f32 v5, v7, v5
	s_delay_alu instid0(VALU_DEP_1) | instskip(NEXT) | instid1(VALU_DEP_1)
	v_bfe_u32 v7, v5, 16, 1
	v_add3_u32 v5, v5, v7, 0x7fff
	s_delay_alu instid0(VALU_DEP_1)
	v_lshrrev_b32_e32 v5, 16, v5
	s_branch .LBB93_2150
.LBB93_2147:
	s_mov_b32 s15, -1
                                        ; implicit-def: $vgpr5
	s_branch .LBB93_2156
.LBB93_2148:
	s_mov_b32 s15, -1
                                        ; implicit-def: $vgpr5
	s_branch .LBB93_2153
.LBB93_2149:
	s_mov_b32 s15, -1
                                        ; implicit-def: $vgpr5
.LBB93_2150:
	s_delay_alu instid0(SALU_CYCLE_1)
	s_and_not1_b32 vcc_lo, exec_lo, s15
	s_cbranch_vccnz .LBB93_2152
; %bb.2151:
	s_wait_loadcnt 0x0
	global_load_b32 v5, v[16:17], off
	s_wait_loadcnt 0x0
	v_cvt_f32_i32_e32 v5, v5
	s_delay_alu instid0(VALU_DEP_1) | instskip(NEXT) | instid1(VALU_DEP_1)
	v_bfe_u32 v7, v5, 16, 1
	v_add3_u32 v5, v5, v7, 0x7fff
	s_delay_alu instid0(VALU_DEP_1)
	v_lshrrev_b32_e32 v5, 16, v5
.LBB93_2152:
	s_mov_b32 s15, 0
.LBB93_2153:
	s_delay_alu instid0(SALU_CYCLE_1)
	s_and_not1_b32 vcc_lo, exec_lo, s15
	s_cbranch_vccnz .LBB93_2155
; %bb.2154:
	s_wait_loadcnt 0x0
	global_load_i16 v5, v[16:17], off
	s_wait_loadcnt 0x0
	v_cvt_f32_i32_e32 v5, v5
	s_delay_alu instid0(VALU_DEP_1) | instskip(NEXT) | instid1(VALU_DEP_1)
	v_bfe_u32 v7, v5, 16, 1
	v_add3_u32 v5, v5, v7, 0x7fff
	s_delay_alu instid0(VALU_DEP_1)
	v_lshrrev_b32_e32 v5, 16, v5
.LBB93_2155:
	s_mov_b32 s15, 0
.LBB93_2156:
	s_delay_alu instid0(SALU_CYCLE_1)
	s_and_not1_b32 vcc_lo, exec_lo, s15
	s_cbranch_vccnz .LBB93_2162
; %bb.2157:
	s_cmp_gt_i32 s14, 0
	s_mov_b32 s15, 0
	s_cbranch_scc0 .LBB93_2159
; %bb.2158:
	s_wait_loadcnt 0x0
	global_load_i8 v5, v[16:17], off
	s_wait_loadcnt 0x0
	v_cvt_f32_i32_e32 v5, v5
	s_delay_alu instid0(VALU_DEP_1) | instskip(NEXT) | instid1(VALU_DEP_1)
	v_bfe_u32 v7, v5, 16, 1
	v_add3_u32 v5, v5, v7, 0x7fff
	s_delay_alu instid0(VALU_DEP_1)
	v_lshrrev_b32_e32 v5, 16, v5
	s_branch .LBB93_2160
.LBB93_2159:
	s_mov_b32 s15, -1
                                        ; implicit-def: $vgpr5
.LBB93_2160:
	s_delay_alu instid0(SALU_CYCLE_1)
	s_and_not1_b32 vcc_lo, exec_lo, s15
	s_cbranch_vccnz .LBB93_2162
; %bb.2161:
	s_wait_loadcnt 0x0
	global_load_u8 v5, v[16:17], off
	s_wait_loadcnt 0x0
	v_cvt_f32_ubyte0_e32 v5, v5
	s_delay_alu instid0(VALU_DEP_1) | instskip(NEXT) | instid1(VALU_DEP_1)
	v_bfe_u32 v7, v5, 16, 1
	v_add3_u32 v5, v5, v7, 0x7fff
	s_delay_alu instid0(VALU_DEP_1)
	v_lshrrev_b32_e32 v5, 16, v5
.LBB93_2162:
	s_mov_b32 s17, -1
.LBB93_2163:
	s_delay_alu instid0(SALU_CYCLE_1)
	s_and_not1_b32 vcc_lo, exec_lo, s17
	s_cbranch_vccnz .LBB93_3129
; %bb.2164:
	s_wait_loadcnt 0x0
	v_dual_lshlrev_b32 v5, 16, v5 :: v_dual_lshlrev_b32 v3, 16, v3
	s_mov_b32 s15, exec_lo
	s_delay_alu instid0(VALU_DEP_1) | instskip(SKIP_1) | instid1(VALU_DEP_1)
	v_mul_f32_e32 v5, s8, v5
	s_wait_xcnt 0x0
	v_cmpx_nlt_f32_e32 s9, v5
	s_cbranch_execz .LBB93_2166
; %bb.2165:
	v_mul_f32_e32 v7, 0x3fb8aa3b, v5
	v_cmp_ngt_f32_e32 vcc_lo, 0xc2ce8ed0, v5
	s_delay_alu instid0(VALU_DEP_2) | instskip(SKIP_1) | instid1(VALU_DEP_2)
	v_rndne_f32_e32 v9, v7
	v_fma_f32 v11, 0x3fb8aa3b, v5, -v7
	v_sub_f32_e32 v7, v7, v9
	s_delay_alu instid0(VALU_DEP_2) | instskip(SKIP_1) | instid1(VALU_DEP_2)
	v_fmamk_f32 v11, v5, 0x32a5705f, v11
	v_cvt_i32_f32_e32 v9, v9
	v_add_f32_e32 v7, v7, v11
	s_delay_alu instid0(VALU_DEP_1) | instskip(SKIP_1) | instid1(TRANS32_DEP_1)
	v_exp_f32_e32 v7, v7
	v_nop
	v_ldexp_f32 v7, v7, v9
	s_delay_alu instid0(VALU_DEP_1) | instskip(SKIP_1) | instid1(VALU_DEP_2)
	v_cndmask_b32_e32 v7, 0, v7, vcc_lo
	v_cmp_nlt_f32_e32 vcc_lo, 0x42b17218, v5
	v_cndmask_b32_e32 v5, 0x7f800000, v7, vcc_lo
	s_delay_alu instid0(VALU_DEP_1) | instskip(NEXT) | instid1(VALU_DEP_1)
	v_dual_mul_f32 v3, v5, v3 :: v_dual_add_f32 v5, 1.0, v5
	v_div_scale_f32 v7, null, v5, v5, v3
	s_delay_alu instid0(VALU_DEP_1) | instskip(SKIP_1) | instid1(TRANS32_DEP_1)
	v_rcp_f32_e32 v9, v7
	v_nop
	v_fma_f32 v11, -v7, v9, 1.0
	s_delay_alu instid0(VALU_DEP_1) | instskip(SKIP_1) | instid1(VALU_DEP_1)
	v_fmac_f32_e32 v9, v11, v9
	v_div_scale_f32 v11, vcc_lo, v3, v5, v3
	v_mul_f32_e32 v13, v11, v9
	s_delay_alu instid0(VALU_DEP_1) | instskip(NEXT) | instid1(VALU_DEP_1)
	v_fma_f32 v15, -v7, v13, v11
	v_fmac_f32_e32 v13, v15, v9
	s_delay_alu instid0(VALU_DEP_1) | instskip(NEXT) | instid1(VALU_DEP_1)
	v_fma_f32 v7, -v7, v13, v11
	v_div_fmas_f32 v7, v7, v9, v13
	s_delay_alu instid0(VALU_DEP_1)
	v_div_fixup_f32 v3, v7, v5, v3
.LBB93_2166:
	s_or_b32 exec_lo, exec_lo, s15
	v_mov_b32_e32 v15, 0
	s_cmp_lt_i32 s13, 11
	s_delay_alu instid0(VALU_DEP_1)
	v_add_nc_u64_e32 v[14:15], s[6:7], v[14:15]
	s_cbranch_scc1 .LBB93_2173
; %bb.2167:
	s_cmp_gt_i32 s13, 25
	s_mov_b32 s16, 0
	s_cbranch_scc0 .LBB93_2174
; %bb.2168:
	s_cmp_gt_i32 s13, 28
	s_cbranch_scc0 .LBB93_2175
; %bb.2169:
	s_cmp_gt_i32 s13, 43
	;; [unrolled: 3-line block ×3, first 2 shown]
	s_cbranch_scc0 .LBB93_2178
; %bb.2171:
	s_cmp_eq_u32 s13, 46
	s_mov_b32 s18, 0
	s_cbranch_scc0 .LBB93_2179
; %bb.2172:
	global_load_b32 v5, v[14:15], off
	s_mov_b32 s15, 0
	s_mov_b32 s17, -1
	s_branch .LBB93_2181
.LBB93_2173:
	s_mov_b32 s15, -1
	s_mov_b32 s17, 0
                                        ; implicit-def: $vgpr5
	s_branch .LBB93_2247
.LBB93_2174:
	s_mov_b32 s18, -1
	s_mov_b32 s17, 0
	s_mov_b32 s15, 0
                                        ; implicit-def: $vgpr5
	s_branch .LBB93_2210
.LBB93_2175:
	s_mov_b32 s18, -1
	s_mov_b32 s17, 0
	s_mov_b32 s15, 0
                                        ; implicit-def: $vgpr5
	s_branch .LBB93_2191
.LBB93_2176:
	s_mov_b32 s18, -1
	s_mov_b32 s17, 0
	s_mov_b32 s15, 0
                                        ; implicit-def: $vgpr5
	s_branch .LBB93_2186
.LBB93_2177:
	s_or_b32 s12, s12, exec_lo
	s_trap 2
	s_cbranch_execz .LBB93_2112
	s_branch .LBB93_2113
.LBB93_2178:
	s_mov_b32 s18, -1
	s_mov_b32 s17, 0
	s_mov_b32 s15, 0
	s_branch .LBB93_2180
.LBB93_2179:
	s_mov_b32 s15, -1
	s_mov_b32 s17, 0
.LBB93_2180:
                                        ; implicit-def: $vgpr5
.LBB93_2181:
	s_and_b32 vcc_lo, exec_lo, s18
	s_cbranch_vccz .LBB93_2185
; %bb.2182:
	s_cmp_eq_u32 s13, 44
	s_cbranch_scc0 .LBB93_2184
; %bb.2183:
	s_wait_loadcnt 0x0
	global_load_u8 v5, v[14:15], off
	s_mov_b32 s15, 0
	s_mov_b32 s17, -1
	s_wait_loadcnt 0x0
	v_lshlrev_b32_e32 v7, 23, v5
	v_cmp_ne_u32_e32 vcc_lo, 0xff, v5
	s_delay_alu instid0(VALU_DEP_2) | instskip(SKIP_1) | instid1(VALU_DEP_2)
	v_cndmask_b32_e32 v7, 0x7f800001, v7, vcc_lo
	v_cmp_ne_u32_e32 vcc_lo, 0, v5
	v_cndmask_b32_e32 v5, 0x400000, v7, vcc_lo
	s_delay_alu instid0(VALU_DEP_1) | instskip(SKIP_1) | instid1(VALU_DEP_2)
	v_add_nc_u32_e32 v7, 0x7fff, v5
	v_cmp_o_f32_e32 vcc_lo, v5, v5
	v_lshrrev_b32_e32 v7, 16, v7
	s_delay_alu instid0(VALU_DEP_1)
	v_cndmask_b32_e32 v5, 0x7fc0, v7, vcc_lo
	s_branch .LBB93_2185
.LBB93_2184:
	s_mov_b32 s15, -1
                                        ; implicit-def: $vgpr5
.LBB93_2185:
	s_mov_b32 s18, 0
.LBB93_2186:
	s_delay_alu instid0(SALU_CYCLE_1)
	s_and_b32 vcc_lo, exec_lo, s18
	s_cbranch_vccz .LBB93_2190
; %bb.2187:
	s_cmp_eq_u32 s13, 29
	s_cbranch_scc0 .LBB93_2189
; %bb.2188:
	global_load_b64 v[16:17], v[14:15], off
	s_mov_b32 s15, 0
	s_mov_b32 s17, -1
	s_mov_b32 s18, 0
	s_wait_loadcnt 0x0
	v_clz_i32_u32_e32 v5, v17
	s_delay_alu instid0(VALU_DEP_1) | instskip(NEXT) | instid1(VALU_DEP_1)
	v_min_u32_e32 v5, 32, v5
	v_lshlrev_b64_e32 v[16:17], v5, v[16:17]
	v_sub_nc_u32_e32 v5, 32, v5
	s_delay_alu instid0(VALU_DEP_2) | instskip(NEXT) | instid1(VALU_DEP_1)
	v_min_u32_e32 v7, 1, v16
	v_or_b32_e32 v7, v17, v7
	s_delay_alu instid0(VALU_DEP_1) | instskip(NEXT) | instid1(VALU_DEP_1)
	v_cvt_f32_u32_e32 v7, v7
	v_ldexp_f32 v5, v7, v5
	s_delay_alu instid0(VALU_DEP_1) | instskip(NEXT) | instid1(VALU_DEP_1)
	v_bfe_u32 v7, v5, 16, 1
	v_add3_u32 v5, v5, v7, 0x7fff
	s_delay_alu instid0(VALU_DEP_1)
	v_lshrrev_b32_e32 v5, 16, v5
	s_branch .LBB93_2191
.LBB93_2189:
	s_mov_b32 s15, -1
                                        ; implicit-def: $vgpr5
.LBB93_2190:
	s_mov_b32 s18, 0
.LBB93_2191:
	s_delay_alu instid0(SALU_CYCLE_1)
	s_and_b32 vcc_lo, exec_lo, s18
	s_cbranch_vccz .LBB93_2209
; %bb.2192:
	s_cmp_lt_i32 s13, 27
	s_cbranch_scc1 .LBB93_2195
; %bb.2193:
	s_cmp_gt_i32 s13, 27
	s_cbranch_scc0 .LBB93_2196
; %bb.2194:
	s_wait_loadcnt 0x0
	global_load_b32 v5, v[14:15], off
	s_mov_b32 s17, 0
	s_wait_loadcnt 0x0
	v_cvt_f32_u32_e32 v5, v5
	s_delay_alu instid0(VALU_DEP_1) | instskip(NEXT) | instid1(VALU_DEP_1)
	v_bfe_u32 v7, v5, 16, 1
	v_add3_u32 v5, v5, v7, 0x7fff
	s_delay_alu instid0(VALU_DEP_1)
	v_lshrrev_b32_e32 v5, 16, v5
	s_branch .LBB93_2197
.LBB93_2195:
	s_mov_b32 s17, -1
                                        ; implicit-def: $vgpr5
	s_branch .LBB93_2200
.LBB93_2196:
	s_mov_b32 s17, -1
                                        ; implicit-def: $vgpr5
.LBB93_2197:
	s_delay_alu instid0(SALU_CYCLE_1)
	s_and_not1_b32 vcc_lo, exec_lo, s17
	s_cbranch_vccnz .LBB93_2199
; %bb.2198:
	s_wait_loadcnt 0x0
	global_load_u16 v5, v[14:15], off
	s_wait_loadcnt 0x0
	v_cvt_f32_u32_e32 v5, v5
	s_delay_alu instid0(VALU_DEP_1) | instskip(NEXT) | instid1(VALU_DEP_1)
	v_bfe_u32 v7, v5, 16, 1
	v_add3_u32 v5, v5, v7, 0x7fff
	s_delay_alu instid0(VALU_DEP_1)
	v_lshrrev_b32_e32 v5, 16, v5
.LBB93_2199:
	s_mov_b32 s17, 0
.LBB93_2200:
	s_delay_alu instid0(SALU_CYCLE_1)
	s_and_not1_b32 vcc_lo, exec_lo, s17
	s_cbranch_vccnz .LBB93_2208
; %bb.2201:
	s_wait_loadcnt 0x0
	global_load_u8 v5, v[14:15], off
	s_mov_b32 s17, 0
	s_mov_b32 s18, exec_lo
	s_wait_loadcnt 0x0
	v_cmpx_lt_i16_e32 0x7f, v5
	s_xor_b32 s18, exec_lo, s18
	s_cbranch_execz .LBB93_2222
; %bb.2202:
	s_mov_b32 s17, -1
	s_mov_b32 s19, exec_lo
	v_cmpx_eq_u16_e32 0x80, v5
; %bb.2203:
	s_xor_b32 s17, exec_lo, -1
; %bb.2204:
	s_or_b32 exec_lo, exec_lo, s19
	s_delay_alu instid0(SALU_CYCLE_1)
	s_and_b32 s17, s17, exec_lo
	s_or_saveexec_b32 s18, s18
	v_mov_b32_e32 v7, 0x7f800001
	s_xor_b32 exec_lo, exec_lo, s18
	s_cbranch_execnz .LBB93_2223
.LBB93_2205:
	s_or_b32 exec_lo, exec_lo, s18
	s_and_saveexec_b32 s18, s17
	s_cbranch_execz .LBB93_2207
.LBB93_2206:
	v_and_b32_e32 v7, 0xffff, v5
	s_delay_alu instid0(VALU_DEP_1) | instskip(SKIP_1) | instid1(VALU_DEP_2)
	v_dual_lshlrev_b32 v5, 24, v5 :: v_dual_bitop2_b32 v9, 7, v7 bitop3:0x40
	v_bfe_u32 v16, v7, 3, 4
	v_and_b32_e32 v5, 0x80000000, v5
	s_delay_alu instid0(VALU_DEP_3) | instskip(NEXT) | instid1(VALU_DEP_3)
	v_clz_i32_u32_e32 v11, v9
	v_cmp_eq_u32_e32 vcc_lo, 0, v16
	s_delay_alu instid0(VALU_DEP_2) | instskip(NEXT) | instid1(VALU_DEP_1)
	v_min_u32_e32 v11, 32, v11
	v_subrev_nc_u32_e32 v13, 28, v11
	v_sub_nc_u32_e32 v11, 29, v11
	s_delay_alu instid0(VALU_DEP_2) | instskip(NEXT) | instid1(VALU_DEP_2)
	v_lshlrev_b32_e32 v7, v13, v7
	v_cndmask_b32_e32 v11, v16, v11, vcc_lo
	s_delay_alu instid0(VALU_DEP_2) | instskip(NEXT) | instid1(VALU_DEP_1)
	v_and_b32_e32 v7, 7, v7
	v_cndmask_b32_e32 v7, v9, v7, vcc_lo
	s_delay_alu instid0(VALU_DEP_3) | instskip(NEXT) | instid1(VALU_DEP_2)
	v_lshl_add_u32 v9, v11, 23, 0x3b800000
	v_lshlrev_b32_e32 v7, 20, v7
	s_delay_alu instid0(VALU_DEP_1)
	v_or3_b32 v7, v5, v9, v7
.LBB93_2207:
	s_or_b32 exec_lo, exec_lo, s18
	s_delay_alu instid0(VALU_DEP_1) | instskip(SKIP_1) | instid1(VALU_DEP_2)
	v_bfe_u32 v5, v7, 16, 1
	v_cmp_o_f32_e32 vcc_lo, v7, v7
	v_add3_u32 v5, v7, v5, 0x7fff
	s_delay_alu instid0(VALU_DEP_1) | instskip(NEXT) | instid1(VALU_DEP_1)
	v_lshrrev_b32_e32 v5, 16, v5
	v_cndmask_b32_e32 v5, 0x7fc0, v5, vcc_lo
.LBB93_2208:
	s_mov_b32 s17, -1
.LBB93_2209:
	s_mov_b32 s18, 0
.LBB93_2210:
	s_delay_alu instid0(SALU_CYCLE_1)
	s_and_b32 vcc_lo, exec_lo, s18
	s_cbranch_vccz .LBB93_2243
; %bb.2211:
	s_cmp_gt_i32 s13, 22
	s_cbranch_scc0 .LBB93_2221
; %bb.2212:
	s_cmp_lt_i32 s13, 24
	s_cbranch_scc1 .LBB93_2224
; %bb.2213:
	s_cmp_gt_i32 s13, 24
	s_cbranch_scc0 .LBB93_2225
; %bb.2214:
	s_wait_loadcnt 0x0
	global_load_u8 v5, v[14:15], off
	s_mov_b32 s17, exec_lo
	s_wait_loadcnt 0x0
	v_cmpx_lt_i16_e32 0x7f, v5
	s_xor_b32 s17, exec_lo, s17
	s_cbranch_execz .LBB93_2237
; %bb.2215:
	s_mov_b32 s16, -1
	s_mov_b32 s18, exec_lo
	v_cmpx_eq_u16_e32 0x80, v5
; %bb.2216:
	s_xor_b32 s16, exec_lo, -1
; %bb.2217:
	s_or_b32 exec_lo, exec_lo, s18
	s_delay_alu instid0(SALU_CYCLE_1)
	s_and_b32 s16, s16, exec_lo
	s_or_saveexec_b32 s17, s17
	v_mov_b32_e32 v7, 0x7f800001
	s_xor_b32 exec_lo, exec_lo, s17
	s_cbranch_execnz .LBB93_2238
.LBB93_2218:
	s_or_b32 exec_lo, exec_lo, s17
	s_and_saveexec_b32 s17, s16
	s_cbranch_execz .LBB93_2220
.LBB93_2219:
	v_and_b32_e32 v7, 0xffff, v5
	s_delay_alu instid0(VALU_DEP_1) | instskip(SKIP_1) | instid1(VALU_DEP_2)
	v_dual_lshlrev_b32 v5, 24, v5 :: v_dual_bitop2_b32 v9, 3, v7 bitop3:0x40
	v_bfe_u32 v16, v7, 2, 5
	v_and_b32_e32 v5, 0x80000000, v5
	s_delay_alu instid0(VALU_DEP_3) | instskip(NEXT) | instid1(VALU_DEP_3)
	v_clz_i32_u32_e32 v11, v9
	v_cmp_eq_u32_e32 vcc_lo, 0, v16
	s_delay_alu instid0(VALU_DEP_2) | instskip(NEXT) | instid1(VALU_DEP_1)
	v_min_u32_e32 v11, 32, v11
	v_subrev_nc_u32_e32 v13, 29, v11
	v_sub_nc_u32_e32 v11, 30, v11
	s_delay_alu instid0(VALU_DEP_2) | instskip(NEXT) | instid1(VALU_DEP_2)
	v_lshlrev_b32_e32 v7, v13, v7
	v_cndmask_b32_e32 v11, v16, v11, vcc_lo
	s_delay_alu instid0(VALU_DEP_2) | instskip(NEXT) | instid1(VALU_DEP_1)
	v_and_b32_e32 v7, 3, v7
	v_cndmask_b32_e32 v7, v9, v7, vcc_lo
	s_delay_alu instid0(VALU_DEP_3) | instskip(NEXT) | instid1(VALU_DEP_2)
	v_lshl_add_u32 v9, v11, 23, 0x37800000
	v_lshlrev_b32_e32 v7, 21, v7
	s_delay_alu instid0(VALU_DEP_1)
	v_or3_b32 v7, v5, v9, v7
.LBB93_2220:
	s_or_b32 exec_lo, exec_lo, s17
	s_delay_alu instid0(VALU_DEP_1) | instskip(SKIP_2) | instid1(VALU_DEP_2)
	v_bfe_u32 v5, v7, 16, 1
	v_cmp_o_f32_e32 vcc_lo, v7, v7
	s_mov_b32 s16, 0
	v_add3_u32 v5, v7, v5, 0x7fff
	s_delay_alu instid0(VALU_DEP_1) | instskip(NEXT) | instid1(VALU_DEP_1)
	v_lshrrev_b32_e32 v5, 16, v5
	v_cndmask_b32_e32 v5, 0x7fc0, v5, vcc_lo
	s_branch .LBB93_2226
.LBB93_2221:
	s_mov_b32 s16, -1
                                        ; implicit-def: $vgpr5
	s_branch .LBB93_2232
.LBB93_2222:
	s_or_saveexec_b32 s18, s18
	v_mov_b32_e32 v7, 0x7f800001
	s_xor_b32 exec_lo, exec_lo, s18
	s_cbranch_execz .LBB93_2205
.LBB93_2223:
	v_cmp_ne_u16_e32 vcc_lo, 0, v5
	v_mov_b32_e32 v7, 0
	s_and_not1_b32 s17, s17, exec_lo
	s_and_b32 s19, vcc_lo, exec_lo
	s_delay_alu instid0(SALU_CYCLE_1)
	s_or_b32 s17, s17, s19
	s_or_b32 exec_lo, exec_lo, s18
	s_and_saveexec_b32 s18, s17
	s_cbranch_execnz .LBB93_2206
	s_branch .LBB93_2207
.LBB93_2224:
	s_mov_b32 s16, -1
                                        ; implicit-def: $vgpr5
	s_branch .LBB93_2229
.LBB93_2225:
	s_mov_b32 s16, -1
                                        ; implicit-def: $vgpr5
.LBB93_2226:
	s_delay_alu instid0(SALU_CYCLE_1)
	s_and_b32 vcc_lo, exec_lo, s16
	s_cbranch_vccz .LBB93_2228
; %bb.2227:
	s_wait_loadcnt 0x0
	global_load_u8 v5, v[14:15], off
	s_wait_loadcnt 0x0
	v_lshlrev_b32_e32 v5, 24, v5
	s_delay_alu instid0(VALU_DEP_1) | instskip(NEXT) | instid1(VALU_DEP_1)
	v_and_b32_e32 v7, 0x7f000000, v5
	v_clz_i32_u32_e32 v9, v7
	v_add_nc_u32_e32 v13, 0x1000000, v7
	v_cmp_ne_u32_e32 vcc_lo, 0, v7
	s_delay_alu instid0(VALU_DEP_3) | instskip(NEXT) | instid1(VALU_DEP_1)
	v_min_u32_e32 v9, 32, v9
	v_sub_nc_u32_e64 v9, v9, 4 clamp
	s_delay_alu instid0(VALU_DEP_1) | instskip(NEXT) | instid1(VALU_DEP_1)
	v_dual_lshlrev_b32 v11, v9, v7 :: v_dual_lshlrev_b32 v9, 23, v9
	v_lshrrev_b32_e32 v11, 4, v11
	s_delay_alu instid0(VALU_DEP_1) | instskip(SKIP_1) | instid1(VALU_DEP_2)
	v_sub_nc_u32_e32 v9, v11, v9
	v_ashrrev_i32_e32 v11, 8, v13
	v_add_nc_u32_e32 v9, 0x3c000000, v9
	s_delay_alu instid0(VALU_DEP_1) | instskip(NEXT) | instid1(VALU_DEP_1)
	v_and_or_b32 v9, 0x7f800000, v11, v9
	v_cndmask_b32_e32 v7, 0, v9, vcc_lo
	s_delay_alu instid0(VALU_DEP_1) | instskip(SKIP_1) | instid1(VALU_DEP_2)
	v_and_or_b32 v5, 0x80000000, v5, v7
	v_bfe_u32 v7, v7, 16, 1
	v_cmp_o_f32_e32 vcc_lo, v5, v5
	s_delay_alu instid0(VALU_DEP_2) | instskip(NEXT) | instid1(VALU_DEP_1)
	v_add3_u32 v7, v5, v7, 0x7fff
	v_lshrrev_b32_e32 v7, 16, v7
	s_delay_alu instid0(VALU_DEP_1)
	v_cndmask_b32_e32 v5, 0x7fc0, v7, vcc_lo
.LBB93_2228:
	s_mov_b32 s16, 0
.LBB93_2229:
	s_delay_alu instid0(SALU_CYCLE_1)
	s_and_not1_b32 vcc_lo, exec_lo, s16
	s_cbranch_vccnz .LBB93_2231
; %bb.2230:
	s_wait_loadcnt 0x0
	global_load_u8 v5, v[14:15], off
	s_wait_loadcnt 0x0
	v_lshlrev_b32_e32 v7, 25, v5
	v_lshlrev_b16 v5, 8, v5
	s_delay_alu instid0(VALU_DEP_1) | instskip(SKIP_1) | instid1(VALU_DEP_2)
	v_and_or_b32 v11, 0x7f00, v5, 0.5
	v_bfe_i32 v5, v5, 0, 16
	v_add_f32_e32 v11, -0.5, v11
	v_lshrrev_b32_e32 v9, 4, v7
	v_cmp_gt_u32_e32 vcc_lo, 0x8000000, v7
	s_delay_alu instid0(VALU_DEP_2) | instskip(NEXT) | instid1(VALU_DEP_1)
	v_or_b32_e32 v9, 0x70000000, v9
	v_mul_f32_e32 v9, 0x7800000, v9
	s_delay_alu instid0(VALU_DEP_1) | instskip(NEXT) | instid1(VALU_DEP_1)
	v_cndmask_b32_e32 v7, v9, v11, vcc_lo
	v_and_or_b32 v5, 0x80000000, v5, v7
	v_bfe_u32 v7, v7, 16, 1
	s_delay_alu instid0(VALU_DEP_2) | instskip(NEXT) | instid1(VALU_DEP_2)
	v_cmp_o_f32_e32 vcc_lo, v5, v5
	v_add3_u32 v7, v5, v7, 0x7fff
	s_delay_alu instid0(VALU_DEP_1) | instskip(NEXT) | instid1(VALU_DEP_1)
	v_lshrrev_b32_e32 v7, 16, v7
	v_cndmask_b32_e32 v5, 0x7fc0, v7, vcc_lo
.LBB93_2231:
	s_mov_b32 s16, 0
	s_mov_b32 s17, -1
.LBB93_2232:
	s_and_not1_b32 vcc_lo, exec_lo, s16
	s_mov_b32 s16, 0
	s_cbranch_vccnz .LBB93_2243
; %bb.2233:
	s_cmp_gt_i32 s13, 14
	s_cbranch_scc0 .LBB93_2236
; %bb.2234:
	s_cmp_eq_u32 s13, 15
	s_cbranch_scc0 .LBB93_2239
; %bb.2235:
	s_wait_loadcnt 0x0
	global_load_u16 v5, v[14:15], off
	s_mov_b32 s15, 0
	s_mov_b32 s17, -1
	s_branch .LBB93_2241
.LBB93_2236:
	s_mov_b32 s16, -1
	s_branch .LBB93_2240
.LBB93_2237:
	s_or_saveexec_b32 s17, s17
	v_mov_b32_e32 v7, 0x7f800001
	s_xor_b32 exec_lo, exec_lo, s17
	s_cbranch_execz .LBB93_2218
.LBB93_2238:
	v_cmp_ne_u16_e32 vcc_lo, 0, v5
	v_mov_b32_e32 v7, 0
	s_and_not1_b32 s16, s16, exec_lo
	s_and_b32 s18, vcc_lo, exec_lo
	s_delay_alu instid0(SALU_CYCLE_1)
	s_or_b32 s16, s16, s18
	s_or_b32 exec_lo, exec_lo, s17
	s_and_saveexec_b32 s17, s16
	s_cbranch_execnz .LBB93_2219
	s_branch .LBB93_2220
.LBB93_2239:
	s_mov_b32 s15, -1
.LBB93_2240:
                                        ; implicit-def: $vgpr5
.LBB93_2241:
	s_and_b32 vcc_lo, exec_lo, s16
	s_mov_b32 s16, 0
	s_cbranch_vccz .LBB93_2243
; %bb.2242:
	s_cmp_lg_u32 s13, 11
	s_mov_b32 s16, -1
	s_cselect_b32 s15, -1, 0
.LBB93_2243:
	s_delay_alu instid0(SALU_CYCLE_1)
	s_and_b32 vcc_lo, exec_lo, s15
	s_cbranch_vccnz .LBB93_2308
; %bb.2244:
	s_and_not1_b32 vcc_lo, exec_lo, s16
	s_cbranch_vccnz .LBB93_2246
.LBB93_2245:
	s_wait_loadcnt 0x0
	global_load_u8 v5, v[14:15], off
	s_mov_b32 s17, -1
	s_wait_loadcnt 0x0
	v_cmp_ne_u16_e32 vcc_lo, 0, v5
	v_cndmask_b32_e64 v5, 0, 1.0, vcc_lo
	s_delay_alu instid0(VALU_DEP_1)
	v_lshrrev_b32_e32 v5, 16, v5
.LBB93_2246:
	s_mov_b32 s15, 0
.LBB93_2247:
	s_delay_alu instid0(SALU_CYCLE_1)
	s_and_b32 vcc_lo, exec_lo, s15
	s_cbranch_vccz .LBB93_2296
; %bb.2248:
	s_cmp_lt_i32 s13, 5
	s_cbranch_scc1 .LBB93_2253
; %bb.2249:
	s_cmp_lt_i32 s13, 8
	s_cbranch_scc1 .LBB93_2254
	;; [unrolled: 3-line block ×3, first 2 shown]
; %bb.2251:
	s_cmp_gt_i32 s13, 9
	s_cbranch_scc0 .LBB93_2256
; %bb.2252:
	global_load_b64 v[16:17], v[14:15], off
	s_mov_b32 s15, 0
	s_wait_loadcnt 0x0
	v_cvt_f32_f64_e32 v5, v[16:17]
	s_delay_alu instid0(VALU_DEP_1) | instskip(SKIP_1) | instid1(VALU_DEP_2)
	v_bfe_u32 v7, v5, 16, 1
	v_cmp_o_f32_e32 vcc_lo, v5, v5
	v_add3_u32 v7, v5, v7, 0x7fff
	s_delay_alu instid0(VALU_DEP_1) | instskip(NEXT) | instid1(VALU_DEP_1)
	v_lshrrev_b32_e32 v7, 16, v7
	v_cndmask_b32_e32 v5, 0x7fc0, v7, vcc_lo
	s_branch .LBB93_2257
.LBB93_2253:
	s_mov_b32 s15, -1
                                        ; implicit-def: $vgpr5
	s_branch .LBB93_2275
.LBB93_2254:
	s_mov_b32 s15, -1
                                        ; implicit-def: $vgpr5
	s_branch .LBB93_2263
.LBB93_2255:
	s_mov_b32 s15, -1
                                        ; implicit-def: $vgpr5
	s_branch .LBB93_2260
.LBB93_2256:
	s_mov_b32 s15, -1
                                        ; implicit-def: $vgpr5
.LBB93_2257:
	s_delay_alu instid0(SALU_CYCLE_1)
	s_and_not1_b32 vcc_lo, exec_lo, s15
	s_cbranch_vccnz .LBB93_2259
; %bb.2258:
	s_wait_loadcnt 0x0
	global_load_b32 v5, v[14:15], off
	s_wait_loadcnt 0x0
	v_bfe_u32 v7, v5, 16, 1
	v_cmp_o_f32_e32 vcc_lo, v5, v5
	s_delay_alu instid0(VALU_DEP_2) | instskip(NEXT) | instid1(VALU_DEP_1)
	v_add3_u32 v7, v5, v7, 0x7fff
	v_lshrrev_b32_e32 v7, 16, v7
	s_delay_alu instid0(VALU_DEP_1)
	v_cndmask_b32_e32 v5, 0x7fc0, v7, vcc_lo
.LBB93_2259:
	s_mov_b32 s15, 0
.LBB93_2260:
	s_delay_alu instid0(SALU_CYCLE_1)
	s_and_not1_b32 vcc_lo, exec_lo, s15
	s_cbranch_vccnz .LBB93_2262
; %bb.2261:
	s_wait_loadcnt 0x0
	global_load_b32 v5, v[14:15], off
	s_wait_loadcnt 0x0
	v_cvt_f32_f16_e32 v7, v5
	v_cmp_o_f16_e32 vcc_lo, v5, v5
	s_delay_alu instid0(VALU_DEP_2) | instskip(NEXT) | instid1(VALU_DEP_1)
	v_bfe_u32 v9, v7, 16, 1
	v_add3_u32 v7, v7, v9, 0x7fff
	s_delay_alu instid0(VALU_DEP_1) | instskip(NEXT) | instid1(VALU_DEP_1)
	v_lshrrev_b32_e32 v7, 16, v7
	v_cndmask_b32_e32 v5, 0x7fc0, v7, vcc_lo
.LBB93_2262:
	s_mov_b32 s15, 0
.LBB93_2263:
	s_delay_alu instid0(SALU_CYCLE_1)
	s_and_not1_b32 vcc_lo, exec_lo, s15
	s_cbranch_vccnz .LBB93_2274
; %bb.2264:
	s_cmp_lt_i32 s13, 6
	s_cbranch_scc1 .LBB93_2267
; %bb.2265:
	s_cmp_gt_i32 s13, 6
	s_cbranch_scc0 .LBB93_2268
; %bb.2266:
	global_load_b64 v[16:17], v[14:15], off
	s_mov_b32 s15, 0
	s_wait_loadcnt 0x0
	v_cvt_f32_f64_e32 v5, v[16:17]
	s_delay_alu instid0(VALU_DEP_1) | instskip(SKIP_1) | instid1(VALU_DEP_2)
	v_bfe_u32 v7, v5, 16, 1
	v_cmp_o_f32_e32 vcc_lo, v5, v5
	v_add3_u32 v7, v5, v7, 0x7fff
	s_delay_alu instid0(VALU_DEP_1) | instskip(NEXT) | instid1(VALU_DEP_1)
	v_lshrrev_b32_e32 v7, 16, v7
	v_cndmask_b32_e32 v5, 0x7fc0, v7, vcc_lo
	s_branch .LBB93_2269
.LBB93_2267:
	s_mov_b32 s15, -1
                                        ; implicit-def: $vgpr5
	s_branch .LBB93_2272
.LBB93_2268:
	s_mov_b32 s15, -1
                                        ; implicit-def: $vgpr5
.LBB93_2269:
	s_delay_alu instid0(SALU_CYCLE_1)
	s_and_not1_b32 vcc_lo, exec_lo, s15
	s_cbranch_vccnz .LBB93_2271
; %bb.2270:
	s_wait_loadcnt 0x0
	global_load_b32 v5, v[14:15], off
	s_wait_loadcnt 0x0
	v_bfe_u32 v7, v5, 16, 1
	v_cmp_o_f32_e32 vcc_lo, v5, v5
	s_delay_alu instid0(VALU_DEP_2) | instskip(NEXT) | instid1(VALU_DEP_1)
	v_add3_u32 v7, v5, v7, 0x7fff
	v_lshrrev_b32_e32 v7, 16, v7
	s_delay_alu instid0(VALU_DEP_1)
	v_cndmask_b32_e32 v5, 0x7fc0, v7, vcc_lo
.LBB93_2271:
	s_mov_b32 s15, 0
.LBB93_2272:
	s_delay_alu instid0(SALU_CYCLE_1)
	s_and_not1_b32 vcc_lo, exec_lo, s15
	s_cbranch_vccnz .LBB93_2274
; %bb.2273:
	s_wait_loadcnt 0x0
	global_load_u16 v5, v[14:15], off
	s_wait_loadcnt 0x0
	v_cvt_f32_f16_e32 v7, v5
	v_cmp_o_f16_e32 vcc_lo, v5, v5
	s_delay_alu instid0(VALU_DEP_2) | instskip(NEXT) | instid1(VALU_DEP_1)
	v_bfe_u32 v9, v7, 16, 1
	v_add3_u32 v7, v7, v9, 0x7fff
	s_delay_alu instid0(VALU_DEP_1) | instskip(NEXT) | instid1(VALU_DEP_1)
	v_lshrrev_b32_e32 v7, 16, v7
	v_cndmask_b32_e32 v5, 0x7fc0, v7, vcc_lo
.LBB93_2274:
	s_mov_b32 s15, 0
.LBB93_2275:
	s_delay_alu instid0(SALU_CYCLE_1)
	s_and_not1_b32 vcc_lo, exec_lo, s15
	s_cbranch_vccnz .LBB93_2295
; %bb.2276:
	s_cmp_lt_i32 s13, 2
	s_cbranch_scc1 .LBB93_2280
; %bb.2277:
	s_cmp_lt_i32 s13, 3
	s_cbranch_scc1 .LBB93_2281
; %bb.2278:
	s_cmp_gt_i32 s13, 3
	s_cbranch_scc0 .LBB93_2282
; %bb.2279:
	global_load_b64 v[16:17], v[14:15], off
	s_mov_b32 s15, 0
	s_wait_loadcnt 0x0
	v_xor_b32_e32 v5, v16, v17
	v_cls_i32_e32 v7, v17
	s_delay_alu instid0(VALU_DEP_2) | instskip(NEXT) | instid1(VALU_DEP_1)
	v_ashrrev_i32_e32 v5, 31, v5
	v_add_nc_u32_e32 v5, 32, v5
	s_delay_alu instid0(VALU_DEP_1) | instskip(NEXT) | instid1(VALU_DEP_1)
	v_add_min_u32_e64 v5, v7, -1, v5
	v_lshlrev_b64_e32 v[16:17], v5, v[16:17]
	v_sub_nc_u32_e32 v5, 32, v5
	s_delay_alu instid0(VALU_DEP_2) | instskip(NEXT) | instid1(VALU_DEP_1)
	v_min_u32_e32 v7, 1, v16
	v_or_b32_e32 v7, v17, v7
	s_delay_alu instid0(VALU_DEP_1) | instskip(NEXT) | instid1(VALU_DEP_1)
	v_cvt_f32_i32_e32 v7, v7
	v_ldexp_f32 v5, v7, v5
	s_delay_alu instid0(VALU_DEP_1) | instskip(NEXT) | instid1(VALU_DEP_1)
	v_bfe_u32 v7, v5, 16, 1
	v_add3_u32 v5, v5, v7, 0x7fff
	s_delay_alu instid0(VALU_DEP_1)
	v_lshrrev_b32_e32 v5, 16, v5
	s_branch .LBB93_2283
.LBB93_2280:
	s_mov_b32 s15, -1
                                        ; implicit-def: $vgpr5
	s_branch .LBB93_2289
.LBB93_2281:
	s_mov_b32 s15, -1
                                        ; implicit-def: $vgpr5
	s_branch .LBB93_2286
.LBB93_2282:
	s_mov_b32 s15, -1
                                        ; implicit-def: $vgpr5
.LBB93_2283:
	s_delay_alu instid0(SALU_CYCLE_1)
	s_and_not1_b32 vcc_lo, exec_lo, s15
	s_cbranch_vccnz .LBB93_2285
; %bb.2284:
	s_wait_loadcnt 0x0
	global_load_b32 v5, v[14:15], off
	s_wait_loadcnt 0x0
	v_cvt_f32_i32_e32 v5, v5
	s_delay_alu instid0(VALU_DEP_1) | instskip(NEXT) | instid1(VALU_DEP_1)
	v_bfe_u32 v7, v5, 16, 1
	v_add3_u32 v5, v5, v7, 0x7fff
	s_delay_alu instid0(VALU_DEP_1)
	v_lshrrev_b32_e32 v5, 16, v5
.LBB93_2285:
	s_mov_b32 s15, 0
.LBB93_2286:
	s_delay_alu instid0(SALU_CYCLE_1)
	s_and_not1_b32 vcc_lo, exec_lo, s15
	s_cbranch_vccnz .LBB93_2288
; %bb.2287:
	s_wait_loadcnt 0x0
	global_load_i16 v5, v[14:15], off
	s_wait_loadcnt 0x0
	v_cvt_f32_i32_e32 v5, v5
	s_delay_alu instid0(VALU_DEP_1) | instskip(NEXT) | instid1(VALU_DEP_1)
	v_bfe_u32 v7, v5, 16, 1
	v_add3_u32 v5, v5, v7, 0x7fff
	s_delay_alu instid0(VALU_DEP_1)
	v_lshrrev_b32_e32 v5, 16, v5
.LBB93_2288:
	s_mov_b32 s15, 0
.LBB93_2289:
	s_delay_alu instid0(SALU_CYCLE_1)
	s_and_not1_b32 vcc_lo, exec_lo, s15
	s_cbranch_vccnz .LBB93_2295
; %bb.2290:
	s_cmp_gt_i32 s13, 0
	s_mov_b32 s15, 0
	s_cbranch_scc0 .LBB93_2292
; %bb.2291:
	s_wait_loadcnt 0x0
	global_load_i8 v5, v[14:15], off
	s_wait_loadcnt 0x0
	v_cvt_f32_i32_e32 v5, v5
	s_delay_alu instid0(VALU_DEP_1) | instskip(NEXT) | instid1(VALU_DEP_1)
	v_bfe_u32 v7, v5, 16, 1
	v_add3_u32 v5, v5, v7, 0x7fff
	s_delay_alu instid0(VALU_DEP_1)
	v_lshrrev_b32_e32 v5, 16, v5
	s_branch .LBB93_2293
.LBB93_2292:
	s_mov_b32 s15, -1
                                        ; implicit-def: $vgpr5
.LBB93_2293:
	s_delay_alu instid0(SALU_CYCLE_1)
	s_and_not1_b32 vcc_lo, exec_lo, s15
	s_cbranch_vccnz .LBB93_2295
; %bb.2294:
	s_wait_loadcnt 0x0
	global_load_u8 v5, v[14:15], off
	s_wait_loadcnt 0x0
	v_cvt_f32_ubyte0_e32 v5, v5
	s_delay_alu instid0(VALU_DEP_1) | instskip(NEXT) | instid1(VALU_DEP_1)
	v_bfe_u32 v7, v5, 16, 1
	v_add3_u32 v5, v5, v7, 0x7fff
	s_delay_alu instid0(VALU_DEP_1)
	v_lshrrev_b32_e32 v5, 16, v5
.LBB93_2295:
	s_mov_b32 s17, -1
.LBB93_2296:
	s_delay_alu instid0(SALU_CYCLE_1)
	s_and_not1_b32 vcc_lo, exec_lo, s17
	s_cbranch_vccnz .LBB93_3129
; %bb.2297:
	v_mov_b32_e32 v13, 0
	s_cmp_lt_i32 s14, 11
	s_delay_alu instid0(VALU_DEP_1)
	v_add_nc_u64_e32 v[12:13], s[0:1], v[12:13]
	s_cbranch_scc1 .LBB93_2304
; %bb.2298:
	s_cmp_gt_i32 s14, 25
	s_mov_b32 s16, 0
	s_cbranch_scc0 .LBB93_2305
; %bb.2299:
	s_cmp_gt_i32 s14, 28
	s_cbranch_scc0 .LBB93_2306
; %bb.2300:
	s_cmp_gt_i32 s14, 43
	;; [unrolled: 3-line block ×3, first 2 shown]
	s_cbranch_scc0 .LBB93_2309
; %bb.2302:
	s_cmp_eq_u32 s14, 46
	s_mov_b32 s18, 0
	s_cbranch_scc0 .LBB93_2312
; %bb.2303:
	global_load_b32 v7, v[12:13], off
	s_mov_b32 s15, 0
	s_mov_b32 s17, -1
	s_branch .LBB93_2314
.LBB93_2304:
	s_mov_b32 s15, -1
	s_mov_b32 s17, 0
                                        ; implicit-def: $vgpr7
	s_branch .LBB93_2380
.LBB93_2305:
	s_mov_b32 s18, -1
	s_mov_b32 s17, 0
	s_mov_b32 s15, 0
                                        ; implicit-def: $vgpr7
	s_branch .LBB93_2343
.LBB93_2306:
	s_mov_b32 s18, -1
	s_mov_b32 s17, 0
	s_mov_b32 s15, 0
                                        ; implicit-def: $vgpr7
	s_branch .LBB93_2324
.LBB93_2307:
	s_mov_b32 s18, -1
	s_mov_b32 s17, 0
	s_mov_b32 s15, 0
                                        ; implicit-def: $vgpr7
	s_branch .LBB93_2319
.LBB93_2308:
	s_or_b32 s12, s12, exec_lo
	s_trap 2
	s_cbranch_execz .LBB93_2245
	s_branch .LBB93_2246
.LBB93_2309:
	s_mov_b32 s18, -1
	s_mov_b32 s17, 0
	s_mov_b32 s15, 0
	s_branch .LBB93_2313
.LBB93_2310:
	s_and_not1_saveexec_b32 s53, s53
	s_cbranch_execz .LBB93_1127
.LBB93_2311:
	v_add_f32_e64 v5, 0x42800000, |v6|
	s_and_not1_b32 s52, s52, exec_lo
	s_delay_alu instid0(VALU_DEP_1) | instskip(NEXT) | instid1(VALU_DEP_1)
	v_and_b32_e32 v5, 0xff, v5
	v_cmp_ne_u32_e32 vcc_lo, 0, v5
	s_and_b32 s54, vcc_lo, exec_lo
	s_delay_alu instid0(SALU_CYCLE_1)
	s_or_b32 s52, s52, s54
	s_or_b32 exec_lo, exec_lo, s53
	v_mov_b32_e32 v7, 0
	s_and_saveexec_b32 s53, s52
	s_cbranch_execnz .LBB93_1128
	s_branch .LBB93_1129
.LBB93_2312:
	s_mov_b32 s15, -1
	s_mov_b32 s17, 0
.LBB93_2313:
                                        ; implicit-def: $vgpr7
.LBB93_2314:
	s_and_b32 vcc_lo, exec_lo, s18
	s_cbranch_vccz .LBB93_2318
; %bb.2315:
	s_cmp_eq_u32 s14, 44
	s_cbranch_scc0 .LBB93_2317
; %bb.2316:
	s_wait_loadcnt 0x0
	global_load_u8 v7, v[12:13], off
	s_mov_b32 s15, 0
	s_mov_b32 s17, -1
	s_wait_loadcnt 0x0
	v_lshlrev_b32_e32 v9, 23, v7
	v_cmp_ne_u32_e32 vcc_lo, 0xff, v7
	s_delay_alu instid0(VALU_DEP_2) | instskip(SKIP_1) | instid1(VALU_DEP_2)
	v_cndmask_b32_e32 v9, 0x7f800001, v9, vcc_lo
	v_cmp_ne_u32_e32 vcc_lo, 0, v7
	v_cndmask_b32_e32 v7, 0x400000, v9, vcc_lo
	s_delay_alu instid0(VALU_DEP_1) | instskip(SKIP_1) | instid1(VALU_DEP_2)
	v_add_nc_u32_e32 v9, 0x7fff, v7
	v_cmp_o_f32_e32 vcc_lo, v7, v7
	v_lshrrev_b32_e32 v9, 16, v9
	s_delay_alu instid0(VALU_DEP_1)
	v_cndmask_b32_e32 v7, 0x7fc0, v9, vcc_lo
	s_branch .LBB93_2318
.LBB93_2317:
	s_mov_b32 s15, -1
                                        ; implicit-def: $vgpr7
.LBB93_2318:
	s_mov_b32 s18, 0
.LBB93_2319:
	s_delay_alu instid0(SALU_CYCLE_1)
	s_and_b32 vcc_lo, exec_lo, s18
	s_cbranch_vccz .LBB93_2323
; %bb.2320:
	s_cmp_eq_u32 s14, 29
	s_cbranch_scc0 .LBB93_2322
; %bb.2321:
	global_load_b64 v[14:15], v[12:13], off
	s_mov_b32 s15, 0
	s_mov_b32 s17, -1
	s_mov_b32 s18, 0
	s_wait_loadcnt 0x0
	v_clz_i32_u32_e32 v7, v15
	s_delay_alu instid0(VALU_DEP_1) | instskip(NEXT) | instid1(VALU_DEP_1)
	v_min_u32_e32 v7, 32, v7
	v_lshlrev_b64_e32 v[14:15], v7, v[14:15]
	v_sub_nc_u32_e32 v7, 32, v7
	s_delay_alu instid0(VALU_DEP_2) | instskip(NEXT) | instid1(VALU_DEP_1)
	v_min_u32_e32 v9, 1, v14
	v_or_b32_e32 v9, v15, v9
	s_delay_alu instid0(VALU_DEP_1) | instskip(NEXT) | instid1(VALU_DEP_1)
	v_cvt_f32_u32_e32 v9, v9
	v_ldexp_f32 v7, v9, v7
	s_delay_alu instid0(VALU_DEP_1) | instskip(NEXT) | instid1(VALU_DEP_1)
	v_bfe_u32 v9, v7, 16, 1
	v_add3_u32 v7, v7, v9, 0x7fff
	s_delay_alu instid0(VALU_DEP_1)
	v_lshrrev_b32_e32 v7, 16, v7
	s_branch .LBB93_2324
.LBB93_2322:
	s_mov_b32 s15, -1
                                        ; implicit-def: $vgpr7
.LBB93_2323:
	s_mov_b32 s18, 0
.LBB93_2324:
	s_delay_alu instid0(SALU_CYCLE_1)
	s_and_b32 vcc_lo, exec_lo, s18
	s_cbranch_vccz .LBB93_2342
; %bb.2325:
	s_cmp_lt_i32 s14, 27
	s_cbranch_scc1 .LBB93_2328
; %bb.2326:
	s_cmp_gt_i32 s14, 27
	s_cbranch_scc0 .LBB93_2329
; %bb.2327:
	s_wait_loadcnt 0x0
	global_load_b32 v7, v[12:13], off
	s_mov_b32 s17, 0
	s_wait_loadcnt 0x0
	v_cvt_f32_u32_e32 v7, v7
	s_delay_alu instid0(VALU_DEP_1) | instskip(NEXT) | instid1(VALU_DEP_1)
	v_bfe_u32 v9, v7, 16, 1
	v_add3_u32 v7, v7, v9, 0x7fff
	s_delay_alu instid0(VALU_DEP_1)
	v_lshrrev_b32_e32 v7, 16, v7
	s_branch .LBB93_2330
.LBB93_2328:
	s_mov_b32 s17, -1
                                        ; implicit-def: $vgpr7
	s_branch .LBB93_2333
.LBB93_2329:
	s_mov_b32 s17, -1
                                        ; implicit-def: $vgpr7
.LBB93_2330:
	s_delay_alu instid0(SALU_CYCLE_1)
	s_and_not1_b32 vcc_lo, exec_lo, s17
	s_cbranch_vccnz .LBB93_2332
; %bb.2331:
	s_wait_loadcnt 0x0
	global_load_u16 v7, v[12:13], off
	s_wait_loadcnt 0x0
	v_cvt_f32_u32_e32 v7, v7
	s_delay_alu instid0(VALU_DEP_1) | instskip(NEXT) | instid1(VALU_DEP_1)
	v_bfe_u32 v9, v7, 16, 1
	v_add3_u32 v7, v7, v9, 0x7fff
	s_delay_alu instid0(VALU_DEP_1)
	v_lshrrev_b32_e32 v7, 16, v7
.LBB93_2332:
	s_mov_b32 s17, 0
.LBB93_2333:
	s_delay_alu instid0(SALU_CYCLE_1)
	s_and_not1_b32 vcc_lo, exec_lo, s17
	s_cbranch_vccnz .LBB93_2341
; %bb.2334:
	s_wait_loadcnt 0x0
	global_load_u8 v7, v[12:13], off
	s_mov_b32 s17, 0
	s_mov_b32 s18, exec_lo
	s_wait_loadcnt 0x0
	v_cmpx_lt_i16_e32 0x7f, v7
	s_xor_b32 s18, exec_lo, s18
	s_cbranch_execz .LBB93_2355
; %bb.2335:
	s_mov_b32 s17, -1
	s_mov_b32 s19, exec_lo
	v_cmpx_eq_u16_e32 0x80, v7
; %bb.2336:
	s_xor_b32 s17, exec_lo, -1
; %bb.2337:
	s_or_b32 exec_lo, exec_lo, s19
	s_delay_alu instid0(SALU_CYCLE_1)
	s_and_b32 s17, s17, exec_lo
	s_or_saveexec_b32 s18, s18
	v_mov_b32_e32 v9, 0x7f800001
	s_xor_b32 exec_lo, exec_lo, s18
	s_cbranch_execnz .LBB93_2356
.LBB93_2338:
	s_or_b32 exec_lo, exec_lo, s18
	s_and_saveexec_b32 s18, s17
	s_cbranch_execz .LBB93_2340
.LBB93_2339:
	v_and_b32_e32 v9, 0xffff, v7
	s_delay_alu instid0(VALU_DEP_1) | instskip(SKIP_1) | instid1(VALU_DEP_2)
	v_and_b32_e32 v11, 7, v9
	v_bfe_u32 v16, v9, 3, 4
	v_clz_i32_u32_e32 v14, v11
	s_delay_alu instid0(VALU_DEP_2) | instskip(NEXT) | instid1(VALU_DEP_2)
	v_cmp_eq_u32_e32 vcc_lo, 0, v16
	v_min_u32_e32 v14, 32, v14
	s_delay_alu instid0(VALU_DEP_1) | instskip(NEXT) | instid1(VALU_DEP_1)
	v_subrev_nc_u32_e32 v15, 28, v14
	v_dual_lshlrev_b32 v9, v15, v9 :: v_dual_sub_nc_u32 v14, 29, v14
	s_delay_alu instid0(VALU_DEP_1) | instskip(NEXT) | instid1(VALU_DEP_1)
	v_dual_lshlrev_b32 v7, 24, v7 :: v_dual_bitop2_b32 v9, 7, v9 bitop3:0x40
	v_dual_cndmask_b32 v14, v16, v14 :: v_dual_cndmask_b32 v9, v11, v9
	s_delay_alu instid0(VALU_DEP_2) | instskip(NEXT) | instid1(VALU_DEP_2)
	v_and_b32_e32 v7, 0x80000000, v7
	v_lshl_add_u32 v11, v14, 23, 0x3b800000
	s_delay_alu instid0(VALU_DEP_3) | instskip(NEXT) | instid1(VALU_DEP_1)
	v_lshlrev_b32_e32 v9, 20, v9
	v_or3_b32 v9, v7, v11, v9
.LBB93_2340:
	s_or_b32 exec_lo, exec_lo, s18
	s_delay_alu instid0(VALU_DEP_1) | instskip(SKIP_1) | instid1(VALU_DEP_2)
	v_bfe_u32 v7, v9, 16, 1
	v_cmp_o_f32_e32 vcc_lo, v9, v9
	v_add3_u32 v7, v9, v7, 0x7fff
	s_delay_alu instid0(VALU_DEP_1) | instskip(NEXT) | instid1(VALU_DEP_1)
	v_lshrrev_b32_e32 v7, 16, v7
	v_cndmask_b32_e32 v7, 0x7fc0, v7, vcc_lo
.LBB93_2341:
	s_mov_b32 s17, -1
.LBB93_2342:
	s_mov_b32 s18, 0
.LBB93_2343:
	s_delay_alu instid0(SALU_CYCLE_1)
	s_and_b32 vcc_lo, exec_lo, s18
	s_cbranch_vccz .LBB93_2376
; %bb.2344:
	s_cmp_gt_i32 s14, 22
	s_cbranch_scc0 .LBB93_2354
; %bb.2345:
	s_cmp_lt_i32 s14, 24
	s_cbranch_scc1 .LBB93_2357
; %bb.2346:
	s_cmp_gt_i32 s14, 24
	s_cbranch_scc0 .LBB93_2358
; %bb.2347:
	s_wait_loadcnt 0x0
	global_load_u8 v7, v[12:13], off
	s_mov_b32 s17, exec_lo
	s_wait_loadcnt 0x0
	v_cmpx_lt_i16_e32 0x7f, v7
	s_xor_b32 s17, exec_lo, s17
	s_cbranch_execz .LBB93_2370
; %bb.2348:
	s_mov_b32 s16, -1
	s_mov_b32 s18, exec_lo
	v_cmpx_eq_u16_e32 0x80, v7
; %bb.2349:
	s_xor_b32 s16, exec_lo, -1
; %bb.2350:
	s_or_b32 exec_lo, exec_lo, s18
	s_delay_alu instid0(SALU_CYCLE_1)
	s_and_b32 s16, s16, exec_lo
	s_or_saveexec_b32 s17, s17
	v_mov_b32_e32 v9, 0x7f800001
	s_xor_b32 exec_lo, exec_lo, s17
	s_cbranch_execnz .LBB93_2371
.LBB93_2351:
	s_or_b32 exec_lo, exec_lo, s17
	s_and_saveexec_b32 s17, s16
	s_cbranch_execz .LBB93_2353
.LBB93_2352:
	v_and_b32_e32 v9, 0xffff, v7
	s_delay_alu instid0(VALU_DEP_1) | instskip(SKIP_1) | instid1(VALU_DEP_2)
	v_and_b32_e32 v11, 3, v9
	v_bfe_u32 v16, v9, 2, 5
	v_clz_i32_u32_e32 v14, v11
	s_delay_alu instid0(VALU_DEP_2) | instskip(NEXT) | instid1(VALU_DEP_2)
	v_cmp_eq_u32_e32 vcc_lo, 0, v16
	v_min_u32_e32 v14, 32, v14
	s_delay_alu instid0(VALU_DEP_1) | instskip(NEXT) | instid1(VALU_DEP_1)
	v_subrev_nc_u32_e32 v15, 29, v14
	v_dual_lshlrev_b32 v9, v15, v9 :: v_dual_sub_nc_u32 v14, 30, v14
	s_delay_alu instid0(VALU_DEP_1) | instskip(NEXT) | instid1(VALU_DEP_1)
	v_dual_lshlrev_b32 v7, 24, v7 :: v_dual_bitop2_b32 v9, 3, v9 bitop3:0x40
	v_dual_cndmask_b32 v14, v16, v14 :: v_dual_cndmask_b32 v9, v11, v9
	s_delay_alu instid0(VALU_DEP_2) | instskip(NEXT) | instid1(VALU_DEP_2)
	v_and_b32_e32 v7, 0x80000000, v7
	v_lshl_add_u32 v11, v14, 23, 0x37800000
	s_delay_alu instid0(VALU_DEP_3) | instskip(NEXT) | instid1(VALU_DEP_1)
	v_lshlrev_b32_e32 v9, 21, v9
	v_or3_b32 v9, v7, v11, v9
.LBB93_2353:
	s_or_b32 exec_lo, exec_lo, s17
	s_delay_alu instid0(VALU_DEP_1) | instskip(SKIP_2) | instid1(VALU_DEP_2)
	v_bfe_u32 v7, v9, 16, 1
	v_cmp_o_f32_e32 vcc_lo, v9, v9
	s_mov_b32 s16, 0
	v_add3_u32 v7, v9, v7, 0x7fff
	s_delay_alu instid0(VALU_DEP_1) | instskip(NEXT) | instid1(VALU_DEP_1)
	v_lshrrev_b32_e32 v7, 16, v7
	v_cndmask_b32_e32 v7, 0x7fc0, v7, vcc_lo
	s_branch .LBB93_2359
.LBB93_2354:
	s_mov_b32 s16, -1
                                        ; implicit-def: $vgpr7
	s_branch .LBB93_2365
.LBB93_2355:
	s_or_saveexec_b32 s18, s18
	v_mov_b32_e32 v9, 0x7f800001
	s_xor_b32 exec_lo, exec_lo, s18
	s_cbranch_execz .LBB93_2338
.LBB93_2356:
	v_cmp_ne_u16_e32 vcc_lo, 0, v7
	v_mov_b32_e32 v9, 0
	s_and_not1_b32 s17, s17, exec_lo
	s_and_b32 s19, vcc_lo, exec_lo
	s_delay_alu instid0(SALU_CYCLE_1)
	s_or_b32 s17, s17, s19
	s_or_b32 exec_lo, exec_lo, s18
	s_and_saveexec_b32 s18, s17
	s_cbranch_execnz .LBB93_2339
	s_branch .LBB93_2340
.LBB93_2357:
	s_mov_b32 s16, -1
                                        ; implicit-def: $vgpr7
	s_branch .LBB93_2362
.LBB93_2358:
	s_mov_b32 s16, -1
                                        ; implicit-def: $vgpr7
.LBB93_2359:
	s_delay_alu instid0(SALU_CYCLE_1)
	s_and_b32 vcc_lo, exec_lo, s16
	s_cbranch_vccz .LBB93_2361
; %bb.2360:
	s_wait_loadcnt 0x0
	global_load_u8 v7, v[12:13], off
	s_wait_loadcnt 0x0
	v_lshlrev_b32_e32 v7, 24, v7
	s_delay_alu instid0(VALU_DEP_1) | instskip(NEXT) | instid1(VALU_DEP_1)
	v_and_b32_e32 v9, 0x7f000000, v7
	v_clz_i32_u32_e32 v11, v9
	s_wait_xcnt 0x1
	v_add_nc_u32_e32 v15, 0x1000000, v9
	v_cmp_ne_u32_e32 vcc_lo, 0, v9
	s_delay_alu instid0(VALU_DEP_3) | instskip(NEXT) | instid1(VALU_DEP_1)
	v_min_u32_e32 v11, 32, v11
	v_sub_nc_u32_e64 v11, v11, 4 clamp
	s_delay_alu instid0(VALU_DEP_1) | instskip(NEXT) | instid1(VALU_DEP_1)
	v_dual_lshlrev_b32 v14, v11, v9 :: v_dual_lshlrev_b32 v11, 23, v11
	v_lshrrev_b32_e32 v14, 4, v14
	s_delay_alu instid0(VALU_DEP_1) | instskip(SKIP_1) | instid1(VALU_DEP_2)
	v_sub_nc_u32_e32 v11, v14, v11
	v_ashrrev_i32_e32 v14, 8, v15
	v_add_nc_u32_e32 v11, 0x3c000000, v11
	s_delay_alu instid0(VALU_DEP_1) | instskip(NEXT) | instid1(VALU_DEP_1)
	v_and_or_b32 v11, 0x7f800000, v14, v11
	v_cndmask_b32_e32 v9, 0, v11, vcc_lo
	s_delay_alu instid0(VALU_DEP_1) | instskip(SKIP_1) | instid1(VALU_DEP_2)
	v_and_or_b32 v7, 0x80000000, v7, v9
	v_bfe_u32 v9, v9, 16, 1
	v_cmp_o_f32_e32 vcc_lo, v7, v7
	s_delay_alu instid0(VALU_DEP_2) | instskip(NEXT) | instid1(VALU_DEP_1)
	v_add3_u32 v9, v7, v9, 0x7fff
	v_lshrrev_b32_e32 v9, 16, v9
	s_delay_alu instid0(VALU_DEP_1)
	v_cndmask_b32_e32 v7, 0x7fc0, v9, vcc_lo
.LBB93_2361:
	s_mov_b32 s16, 0
.LBB93_2362:
	s_delay_alu instid0(SALU_CYCLE_1)
	s_and_not1_b32 vcc_lo, exec_lo, s16
	s_cbranch_vccnz .LBB93_2364
; %bb.2363:
	s_wait_loadcnt 0x0
	global_load_u8 v7, v[12:13], off
	s_wait_loadcnt 0x0
	v_lshlrev_b32_e32 v9, 25, v7
	v_lshlrev_b16 v7, 8, v7
	s_wait_xcnt 0x1
	s_delay_alu instid0(VALU_DEP_1) | instskip(SKIP_1) | instid1(VALU_DEP_2)
	v_and_or_b32 v14, 0x7f00, v7, 0.5
	v_bfe_i32 v7, v7, 0, 16
	v_dual_add_f32 v14, -0.5, v14 :: v_dual_lshrrev_b32 v11, 4, v9
	v_cmp_gt_u32_e32 vcc_lo, 0x8000000, v9
	s_delay_alu instid0(VALU_DEP_2) | instskip(NEXT) | instid1(VALU_DEP_1)
	v_or_b32_e32 v11, 0x70000000, v11
	v_mul_f32_e32 v11, 0x7800000, v11
	s_delay_alu instid0(VALU_DEP_1) | instskip(NEXT) | instid1(VALU_DEP_1)
	v_cndmask_b32_e32 v9, v11, v14, vcc_lo
	v_and_or_b32 v7, 0x80000000, v7, v9
	v_bfe_u32 v9, v9, 16, 1
	s_delay_alu instid0(VALU_DEP_2) | instskip(NEXT) | instid1(VALU_DEP_2)
	v_cmp_o_f32_e32 vcc_lo, v7, v7
	v_add3_u32 v9, v7, v9, 0x7fff
	s_delay_alu instid0(VALU_DEP_1) | instskip(NEXT) | instid1(VALU_DEP_1)
	v_lshrrev_b32_e32 v9, 16, v9
	v_cndmask_b32_e32 v7, 0x7fc0, v9, vcc_lo
.LBB93_2364:
	s_mov_b32 s16, 0
	s_mov_b32 s17, -1
.LBB93_2365:
	s_and_not1_b32 vcc_lo, exec_lo, s16
	s_mov_b32 s16, 0
	s_cbranch_vccnz .LBB93_2376
; %bb.2366:
	s_cmp_gt_i32 s14, 14
	s_cbranch_scc0 .LBB93_2369
; %bb.2367:
	s_cmp_eq_u32 s14, 15
	s_cbranch_scc0 .LBB93_2372
; %bb.2368:
	s_wait_loadcnt 0x0
	global_load_u16 v7, v[12:13], off
	s_mov_b32 s15, 0
	s_mov_b32 s17, -1
	s_branch .LBB93_2374
.LBB93_2369:
	s_mov_b32 s16, -1
	s_branch .LBB93_2373
.LBB93_2370:
	s_or_saveexec_b32 s17, s17
	v_mov_b32_e32 v9, 0x7f800001
	s_xor_b32 exec_lo, exec_lo, s17
	s_cbranch_execz .LBB93_2351
.LBB93_2371:
	v_cmp_ne_u16_e32 vcc_lo, 0, v7
	v_mov_b32_e32 v9, 0
	s_and_not1_b32 s16, s16, exec_lo
	s_and_b32 s18, vcc_lo, exec_lo
	s_delay_alu instid0(SALU_CYCLE_1)
	s_or_b32 s16, s16, s18
	s_or_b32 exec_lo, exec_lo, s17
	s_and_saveexec_b32 s17, s16
	s_cbranch_execnz .LBB93_2352
	s_branch .LBB93_2353
.LBB93_2372:
	s_mov_b32 s15, -1
.LBB93_2373:
                                        ; implicit-def: $vgpr7
.LBB93_2374:
	s_and_b32 vcc_lo, exec_lo, s16
	s_mov_b32 s16, 0
	s_cbranch_vccz .LBB93_2376
; %bb.2375:
	s_cmp_lg_u32 s14, 11
	s_mov_b32 s16, -1
	s_cselect_b32 s15, -1, 0
.LBB93_2376:
	s_delay_alu instid0(SALU_CYCLE_1)
	s_and_b32 vcc_lo, exec_lo, s15
	s_cbranch_vccnz .LBB93_2443
; %bb.2377:
	s_and_not1_b32 vcc_lo, exec_lo, s16
	s_cbranch_vccnz .LBB93_2379
.LBB93_2378:
	s_wait_loadcnt 0x0
	global_load_u8 v7, v[12:13], off
	s_mov_b32 s17, -1
	s_wait_loadcnt 0x0
	v_cmp_ne_u16_e32 vcc_lo, 0, v7
	v_cndmask_b32_e64 v7, 0, 1.0, vcc_lo
	s_delay_alu instid0(VALU_DEP_1)
	v_lshrrev_b32_e32 v7, 16, v7
.LBB93_2379:
	s_mov_b32 s15, 0
.LBB93_2380:
	s_delay_alu instid0(SALU_CYCLE_1)
	s_and_b32 vcc_lo, exec_lo, s15
	s_cbranch_vccz .LBB93_2429
; %bb.2381:
	s_cmp_lt_i32 s14, 5
	s_cbranch_scc1 .LBB93_2386
; %bb.2382:
	s_cmp_lt_i32 s14, 8
	s_cbranch_scc1 .LBB93_2387
	;; [unrolled: 3-line block ×3, first 2 shown]
; %bb.2384:
	s_cmp_gt_i32 s14, 9
	s_cbranch_scc0 .LBB93_2389
; %bb.2385:
	global_load_b64 v[14:15], v[12:13], off
	s_mov_b32 s15, 0
	s_wait_loadcnt 0x0
	v_cvt_f32_f64_e32 v7, v[14:15]
	s_delay_alu instid0(VALU_DEP_1) | instskip(SKIP_1) | instid1(VALU_DEP_2)
	v_bfe_u32 v9, v7, 16, 1
	v_cmp_o_f32_e32 vcc_lo, v7, v7
	v_add3_u32 v9, v7, v9, 0x7fff
	s_delay_alu instid0(VALU_DEP_1) | instskip(NEXT) | instid1(VALU_DEP_1)
	v_lshrrev_b32_e32 v9, 16, v9
	v_cndmask_b32_e32 v7, 0x7fc0, v9, vcc_lo
	s_branch .LBB93_2390
.LBB93_2386:
	s_mov_b32 s15, -1
                                        ; implicit-def: $vgpr7
	s_branch .LBB93_2408
.LBB93_2387:
	s_mov_b32 s15, -1
                                        ; implicit-def: $vgpr7
	s_branch .LBB93_2396
.LBB93_2388:
	s_mov_b32 s15, -1
                                        ; implicit-def: $vgpr7
	s_branch .LBB93_2393
.LBB93_2389:
	s_mov_b32 s15, -1
                                        ; implicit-def: $vgpr7
.LBB93_2390:
	s_delay_alu instid0(SALU_CYCLE_1)
	s_and_not1_b32 vcc_lo, exec_lo, s15
	s_cbranch_vccnz .LBB93_2392
; %bb.2391:
	s_wait_loadcnt 0x0
	global_load_b32 v7, v[12:13], off
	s_wait_loadcnt 0x0
	v_bfe_u32 v9, v7, 16, 1
	v_cmp_o_f32_e32 vcc_lo, v7, v7
	s_delay_alu instid0(VALU_DEP_2) | instskip(NEXT) | instid1(VALU_DEP_1)
	v_add3_u32 v9, v7, v9, 0x7fff
	v_lshrrev_b32_e32 v9, 16, v9
	s_delay_alu instid0(VALU_DEP_1)
	v_cndmask_b32_e32 v7, 0x7fc0, v9, vcc_lo
.LBB93_2392:
	s_mov_b32 s15, 0
.LBB93_2393:
	s_delay_alu instid0(SALU_CYCLE_1)
	s_and_not1_b32 vcc_lo, exec_lo, s15
	s_cbranch_vccnz .LBB93_2395
; %bb.2394:
	s_wait_loadcnt 0x0
	global_load_b32 v7, v[12:13], off
	s_wait_loadcnt 0x0
	v_cvt_f32_f16_e32 v9, v7
	v_cmp_o_f16_e32 vcc_lo, v7, v7
	s_delay_alu instid0(VALU_DEP_2) | instskip(NEXT) | instid1(VALU_DEP_1)
	v_bfe_u32 v11, v9, 16, 1
	v_add3_u32 v9, v9, v11, 0x7fff
	s_delay_alu instid0(VALU_DEP_1) | instskip(NEXT) | instid1(VALU_DEP_1)
	v_lshrrev_b32_e32 v9, 16, v9
	v_cndmask_b32_e32 v7, 0x7fc0, v9, vcc_lo
.LBB93_2395:
	s_mov_b32 s15, 0
.LBB93_2396:
	s_delay_alu instid0(SALU_CYCLE_1)
	s_and_not1_b32 vcc_lo, exec_lo, s15
	s_cbranch_vccnz .LBB93_2407
; %bb.2397:
	s_cmp_lt_i32 s14, 6
	s_cbranch_scc1 .LBB93_2400
; %bb.2398:
	s_cmp_gt_i32 s14, 6
	s_cbranch_scc0 .LBB93_2401
; %bb.2399:
	global_load_b64 v[14:15], v[12:13], off
	s_mov_b32 s15, 0
	s_wait_loadcnt 0x0
	v_cvt_f32_f64_e32 v7, v[14:15]
	s_delay_alu instid0(VALU_DEP_1) | instskip(SKIP_1) | instid1(VALU_DEP_2)
	v_bfe_u32 v9, v7, 16, 1
	v_cmp_o_f32_e32 vcc_lo, v7, v7
	v_add3_u32 v9, v7, v9, 0x7fff
	s_delay_alu instid0(VALU_DEP_1) | instskip(NEXT) | instid1(VALU_DEP_1)
	v_lshrrev_b32_e32 v9, 16, v9
	v_cndmask_b32_e32 v7, 0x7fc0, v9, vcc_lo
	s_branch .LBB93_2402
.LBB93_2400:
	s_mov_b32 s15, -1
                                        ; implicit-def: $vgpr7
	s_branch .LBB93_2405
.LBB93_2401:
	s_mov_b32 s15, -1
                                        ; implicit-def: $vgpr7
.LBB93_2402:
	s_delay_alu instid0(SALU_CYCLE_1)
	s_and_not1_b32 vcc_lo, exec_lo, s15
	s_cbranch_vccnz .LBB93_2404
; %bb.2403:
	s_wait_loadcnt 0x0
	global_load_b32 v7, v[12:13], off
	s_wait_loadcnt 0x0
	v_bfe_u32 v9, v7, 16, 1
	v_cmp_o_f32_e32 vcc_lo, v7, v7
	s_delay_alu instid0(VALU_DEP_2) | instskip(NEXT) | instid1(VALU_DEP_1)
	v_add3_u32 v9, v7, v9, 0x7fff
	v_lshrrev_b32_e32 v9, 16, v9
	s_delay_alu instid0(VALU_DEP_1)
	v_cndmask_b32_e32 v7, 0x7fc0, v9, vcc_lo
.LBB93_2404:
	s_mov_b32 s15, 0
.LBB93_2405:
	s_delay_alu instid0(SALU_CYCLE_1)
	s_and_not1_b32 vcc_lo, exec_lo, s15
	s_cbranch_vccnz .LBB93_2407
; %bb.2406:
	s_wait_loadcnt 0x0
	global_load_u16 v7, v[12:13], off
	s_wait_loadcnt 0x0
	v_cvt_f32_f16_e32 v9, v7
	v_cmp_o_f16_e32 vcc_lo, v7, v7
	s_delay_alu instid0(VALU_DEP_2) | instskip(NEXT) | instid1(VALU_DEP_1)
	v_bfe_u32 v11, v9, 16, 1
	v_add3_u32 v9, v9, v11, 0x7fff
	s_delay_alu instid0(VALU_DEP_1) | instskip(NEXT) | instid1(VALU_DEP_1)
	v_lshrrev_b32_e32 v9, 16, v9
	v_cndmask_b32_e32 v7, 0x7fc0, v9, vcc_lo
.LBB93_2407:
	s_mov_b32 s15, 0
.LBB93_2408:
	s_delay_alu instid0(SALU_CYCLE_1)
	s_and_not1_b32 vcc_lo, exec_lo, s15
	s_cbranch_vccnz .LBB93_2428
; %bb.2409:
	s_cmp_lt_i32 s14, 2
	s_cbranch_scc1 .LBB93_2413
; %bb.2410:
	s_cmp_lt_i32 s14, 3
	s_cbranch_scc1 .LBB93_2414
; %bb.2411:
	s_cmp_gt_i32 s14, 3
	s_cbranch_scc0 .LBB93_2415
; %bb.2412:
	global_load_b64 v[14:15], v[12:13], off
	s_mov_b32 s15, 0
	s_wait_loadcnt 0x0
	v_xor_b32_e32 v7, v14, v15
	v_cls_i32_e32 v9, v15
	s_delay_alu instid0(VALU_DEP_2) | instskip(NEXT) | instid1(VALU_DEP_1)
	v_ashrrev_i32_e32 v7, 31, v7
	v_add_nc_u32_e32 v7, 32, v7
	s_delay_alu instid0(VALU_DEP_1) | instskip(NEXT) | instid1(VALU_DEP_1)
	v_add_min_u32_e64 v7, v9, -1, v7
	v_lshlrev_b64_e32 v[14:15], v7, v[14:15]
	v_sub_nc_u32_e32 v7, 32, v7
	s_delay_alu instid0(VALU_DEP_2) | instskip(NEXT) | instid1(VALU_DEP_1)
	v_min_u32_e32 v9, 1, v14
	v_or_b32_e32 v9, v15, v9
	s_delay_alu instid0(VALU_DEP_1) | instskip(NEXT) | instid1(VALU_DEP_1)
	v_cvt_f32_i32_e32 v9, v9
	v_ldexp_f32 v7, v9, v7
	s_delay_alu instid0(VALU_DEP_1) | instskip(NEXT) | instid1(VALU_DEP_1)
	v_bfe_u32 v9, v7, 16, 1
	v_add3_u32 v7, v7, v9, 0x7fff
	s_delay_alu instid0(VALU_DEP_1)
	v_lshrrev_b32_e32 v7, 16, v7
	s_branch .LBB93_2416
.LBB93_2413:
	s_mov_b32 s15, -1
                                        ; implicit-def: $vgpr7
	s_branch .LBB93_2422
.LBB93_2414:
	s_mov_b32 s15, -1
                                        ; implicit-def: $vgpr7
	s_branch .LBB93_2419
.LBB93_2415:
	s_mov_b32 s15, -1
                                        ; implicit-def: $vgpr7
.LBB93_2416:
	s_delay_alu instid0(SALU_CYCLE_1)
	s_and_not1_b32 vcc_lo, exec_lo, s15
	s_cbranch_vccnz .LBB93_2418
; %bb.2417:
	s_wait_loadcnt 0x0
	global_load_b32 v7, v[12:13], off
	s_wait_loadcnt 0x0
	v_cvt_f32_i32_e32 v7, v7
	s_delay_alu instid0(VALU_DEP_1) | instskip(NEXT) | instid1(VALU_DEP_1)
	v_bfe_u32 v9, v7, 16, 1
	v_add3_u32 v7, v7, v9, 0x7fff
	s_delay_alu instid0(VALU_DEP_1)
	v_lshrrev_b32_e32 v7, 16, v7
.LBB93_2418:
	s_mov_b32 s15, 0
.LBB93_2419:
	s_delay_alu instid0(SALU_CYCLE_1)
	s_and_not1_b32 vcc_lo, exec_lo, s15
	s_cbranch_vccnz .LBB93_2421
; %bb.2420:
	s_wait_loadcnt 0x0
	global_load_i16 v7, v[12:13], off
	s_wait_loadcnt 0x0
	v_cvt_f32_i32_e32 v7, v7
	s_delay_alu instid0(VALU_DEP_1) | instskip(NEXT) | instid1(VALU_DEP_1)
	v_bfe_u32 v9, v7, 16, 1
	v_add3_u32 v7, v7, v9, 0x7fff
	s_delay_alu instid0(VALU_DEP_1)
	v_lshrrev_b32_e32 v7, 16, v7
.LBB93_2421:
	s_mov_b32 s15, 0
.LBB93_2422:
	s_delay_alu instid0(SALU_CYCLE_1)
	s_and_not1_b32 vcc_lo, exec_lo, s15
	s_cbranch_vccnz .LBB93_2428
; %bb.2423:
	s_cmp_gt_i32 s14, 0
	s_mov_b32 s15, 0
	s_cbranch_scc0 .LBB93_2425
; %bb.2424:
	s_wait_loadcnt 0x0
	global_load_i8 v7, v[12:13], off
	s_wait_loadcnt 0x0
	v_cvt_f32_i32_e32 v7, v7
	s_delay_alu instid0(VALU_DEP_1) | instskip(NEXT) | instid1(VALU_DEP_1)
	v_bfe_u32 v9, v7, 16, 1
	v_add3_u32 v7, v7, v9, 0x7fff
	s_delay_alu instid0(VALU_DEP_1)
	v_lshrrev_b32_e32 v7, 16, v7
	s_branch .LBB93_2426
.LBB93_2425:
	s_mov_b32 s15, -1
                                        ; implicit-def: $vgpr7
.LBB93_2426:
	s_delay_alu instid0(SALU_CYCLE_1)
	s_and_not1_b32 vcc_lo, exec_lo, s15
	s_cbranch_vccnz .LBB93_2428
; %bb.2427:
	s_wait_loadcnt 0x0
	global_load_u8 v7, v[12:13], off
	s_wait_loadcnt 0x0
	v_cvt_f32_ubyte0_e32 v7, v7
	s_delay_alu instid0(VALU_DEP_1) | instskip(NEXT) | instid1(VALU_DEP_1)
	v_bfe_u32 v9, v7, 16, 1
	v_add3_u32 v7, v7, v9, 0x7fff
	s_delay_alu instid0(VALU_DEP_1)
	v_lshrrev_b32_e32 v7, 16, v7
.LBB93_2428:
	s_mov_b32 s17, -1
.LBB93_2429:
	s_delay_alu instid0(SALU_CYCLE_1)
	s_and_not1_b32 vcc_lo, exec_lo, s17
	s_cbranch_vccnz .LBB93_3129
; %bb.2430:
	s_wait_loadcnt 0x0
	v_dual_lshlrev_b32 v7, 16, v7 :: v_dual_lshlrev_b32 v12, 16, v5
	s_mov_b32 s15, exec_lo
	s_delay_alu instid0(VALU_DEP_1) | instskip(NEXT) | instid1(VALU_DEP_1)
	v_mul_f32_e32 v7, s8, v7
	v_cmpx_nlt_f32_e32 s9, v7
	s_cbranch_execz .LBB93_2432
; %bb.2431:
	v_mul_f32_e32 v5, 0x3fb8aa3b, v7
	v_cmp_ngt_f32_e32 vcc_lo, 0xc2ce8ed0, v7
	s_delay_alu instid0(VALU_DEP_2) | instskip(SKIP_1) | instid1(VALU_DEP_2)
	v_rndne_f32_e32 v9, v5
	v_fma_f32 v11, 0x3fb8aa3b, v7, -v5
	v_sub_f32_e32 v5, v5, v9
	s_delay_alu instid0(VALU_DEP_2) | instskip(SKIP_1) | instid1(VALU_DEP_2)
	v_fmamk_f32 v11, v7, 0x32a5705f, v11
	v_cvt_i32_f32_e32 v9, v9
	v_add_f32_e32 v5, v5, v11
	s_delay_alu instid0(VALU_DEP_1) | instskip(SKIP_1) | instid1(TRANS32_DEP_1)
	v_exp_f32_e32 v5, v5
	v_nop
	v_ldexp_f32 v5, v5, v9
	s_delay_alu instid0(VALU_DEP_1) | instskip(SKIP_1) | instid1(VALU_DEP_2)
	v_cndmask_b32_e32 v5, 0, v5, vcc_lo
	v_cmp_nlt_f32_e32 vcc_lo, 0x42b17218, v7
	v_cndmask_b32_e32 v5, 0x7f800000, v5, vcc_lo
	s_delay_alu instid0(VALU_DEP_1) | instskip(NEXT) | instid1(VALU_DEP_1)
	v_dual_mul_f32 v7, v5, v12 :: v_dual_add_f32 v5, 1.0, v5
	v_div_scale_f32 v9, null, v5, v5, v7
	s_delay_alu instid0(VALU_DEP_1) | instskip(SKIP_1) | instid1(TRANS32_DEP_1)
	v_rcp_f32_e32 v11, v9
	v_nop
	v_fma_f32 v12, -v9, v11, 1.0
	s_delay_alu instid0(VALU_DEP_1) | instskip(SKIP_1) | instid1(VALU_DEP_1)
	v_fmac_f32_e32 v11, v12, v11
	v_div_scale_f32 v12, vcc_lo, v7, v5, v7
	v_mul_f32_e32 v13, v12, v11
	s_delay_alu instid0(VALU_DEP_1) | instskip(NEXT) | instid1(VALU_DEP_1)
	v_fma_f32 v14, -v9, v13, v12
	v_fmac_f32_e32 v13, v14, v11
	s_delay_alu instid0(VALU_DEP_1) | instskip(NEXT) | instid1(VALU_DEP_1)
	v_fma_f32 v9, -v9, v13, v12
	v_div_fmas_f32 v9, v9, v11, v13
	s_delay_alu instid0(VALU_DEP_1)
	v_div_fixup_f32 v12, v9, v5, v7
.LBB93_2432:
	s_or_b32 exec_lo, exec_lo, s15
	v_mov_b32_e32 v11, 0
	s_cmp_lt_i32 s13, 11
	s_delay_alu instid0(VALU_DEP_1)
	v_add_nc_u64_e32 v[10:11], s[6:7], v[10:11]
	s_cbranch_scc1 .LBB93_2439
; %bb.2433:
	s_cmp_gt_i32 s13, 25
	s_mov_b32 s7, 0
	s_cbranch_scc0 .LBB93_2440
; %bb.2434:
	s_cmp_gt_i32 s13, 28
	s_cbranch_scc0 .LBB93_2441
; %bb.2435:
	s_cmp_gt_i32 s13, 43
	;; [unrolled: 3-line block ×3, first 2 shown]
	s_cbranch_scc0 .LBB93_2444
; %bb.2437:
	s_cmp_eq_u32 s13, 46
	s_mov_b32 s16, 0
	s_cbranch_scc0 .LBB93_2445
; %bb.2438:
	global_load_b32 v5, v[10:11], off
	s_mov_b32 s6, 0
	s_mov_b32 s15, -1
	s_branch .LBB93_2447
.LBB93_2439:
	s_mov_b32 s6, -1
	s_mov_b32 s15, 0
                                        ; implicit-def: $vgpr5
	s_branch .LBB93_2513
.LBB93_2440:
	s_mov_b32 s16, -1
	s_mov_b32 s15, 0
	s_mov_b32 s6, 0
                                        ; implicit-def: $vgpr5
	s_branch .LBB93_2476
.LBB93_2441:
	s_mov_b32 s16, -1
	s_mov_b32 s15, 0
	s_mov_b32 s6, 0
                                        ; implicit-def: $vgpr5
	s_branch .LBB93_2457
.LBB93_2442:
	s_mov_b32 s16, -1
	s_mov_b32 s15, 0
	s_mov_b32 s6, 0
                                        ; implicit-def: $vgpr5
	s_branch .LBB93_2452
.LBB93_2443:
	s_or_b32 s12, s12, exec_lo
	s_trap 2
	s_cbranch_execz .LBB93_2378
	s_branch .LBB93_2379
.LBB93_2444:
	s_mov_b32 s16, -1
	s_mov_b32 s15, 0
	s_mov_b32 s6, 0
	s_branch .LBB93_2446
.LBB93_2445:
	s_mov_b32 s6, -1
	s_mov_b32 s15, 0
.LBB93_2446:
                                        ; implicit-def: $vgpr5
.LBB93_2447:
	s_and_b32 vcc_lo, exec_lo, s16
	s_cbranch_vccz .LBB93_2451
; %bb.2448:
	s_cmp_eq_u32 s13, 44
	s_cbranch_scc0 .LBB93_2450
; %bb.2449:
	s_wait_loadcnt 0x0
	global_load_u8 v5, v[10:11], off
	s_mov_b32 s6, 0
	s_mov_b32 s15, -1
	s_wait_loadcnt 0x0
	v_lshlrev_b32_e32 v7, 23, v5
	v_cmp_ne_u32_e32 vcc_lo, 0xff, v5
	s_delay_alu instid0(VALU_DEP_2) | instskip(SKIP_1) | instid1(VALU_DEP_2)
	v_cndmask_b32_e32 v7, 0x7f800001, v7, vcc_lo
	v_cmp_ne_u32_e32 vcc_lo, 0, v5
	v_cndmask_b32_e32 v5, 0x400000, v7, vcc_lo
	s_delay_alu instid0(VALU_DEP_1) | instskip(SKIP_1) | instid1(VALU_DEP_2)
	v_add_nc_u32_e32 v7, 0x7fff, v5
	v_cmp_o_f32_e32 vcc_lo, v5, v5
	v_lshrrev_b32_e32 v7, 16, v7
	s_delay_alu instid0(VALU_DEP_1)
	v_cndmask_b32_e32 v5, 0x7fc0, v7, vcc_lo
	s_branch .LBB93_2451
.LBB93_2450:
	s_mov_b32 s6, -1
                                        ; implicit-def: $vgpr5
.LBB93_2451:
	s_mov_b32 s16, 0
.LBB93_2452:
	s_delay_alu instid0(SALU_CYCLE_1)
	s_and_b32 vcc_lo, exec_lo, s16
	s_cbranch_vccz .LBB93_2456
; %bb.2453:
	s_cmp_eq_u32 s13, 29
	s_cbranch_scc0 .LBB93_2455
; %bb.2454:
	global_load_b64 v[14:15], v[10:11], off
	s_mov_b32 s6, 0
	s_mov_b32 s15, -1
	s_mov_b32 s16, 0
	s_wait_loadcnt 0x0
	v_clz_i32_u32_e32 v5, v15
	s_delay_alu instid0(VALU_DEP_1) | instskip(NEXT) | instid1(VALU_DEP_1)
	v_min_u32_e32 v5, 32, v5
	v_lshlrev_b64_e32 v[14:15], v5, v[14:15]
	v_sub_nc_u32_e32 v5, 32, v5
	s_delay_alu instid0(VALU_DEP_2) | instskip(NEXT) | instid1(VALU_DEP_1)
	v_min_u32_e32 v7, 1, v14
	v_or_b32_e32 v7, v15, v7
	s_delay_alu instid0(VALU_DEP_1) | instskip(NEXT) | instid1(VALU_DEP_1)
	v_cvt_f32_u32_e32 v7, v7
	v_ldexp_f32 v5, v7, v5
	s_delay_alu instid0(VALU_DEP_1) | instskip(NEXT) | instid1(VALU_DEP_1)
	v_bfe_u32 v7, v5, 16, 1
	v_add3_u32 v5, v5, v7, 0x7fff
	s_delay_alu instid0(VALU_DEP_1)
	v_lshrrev_b32_e32 v5, 16, v5
	s_branch .LBB93_2457
.LBB93_2455:
	s_mov_b32 s6, -1
                                        ; implicit-def: $vgpr5
.LBB93_2456:
	s_mov_b32 s16, 0
.LBB93_2457:
	s_delay_alu instid0(SALU_CYCLE_1)
	s_and_b32 vcc_lo, exec_lo, s16
	s_cbranch_vccz .LBB93_2475
; %bb.2458:
	s_cmp_lt_i32 s13, 27
	s_cbranch_scc1 .LBB93_2461
; %bb.2459:
	s_cmp_gt_i32 s13, 27
	s_cbranch_scc0 .LBB93_2462
; %bb.2460:
	s_wait_loadcnt 0x0
	global_load_b32 v5, v[10:11], off
	s_mov_b32 s15, 0
	s_wait_loadcnt 0x0
	v_cvt_f32_u32_e32 v5, v5
	s_delay_alu instid0(VALU_DEP_1) | instskip(NEXT) | instid1(VALU_DEP_1)
	v_bfe_u32 v7, v5, 16, 1
	v_add3_u32 v5, v5, v7, 0x7fff
	s_delay_alu instid0(VALU_DEP_1)
	v_lshrrev_b32_e32 v5, 16, v5
	s_branch .LBB93_2463
.LBB93_2461:
	s_mov_b32 s15, -1
                                        ; implicit-def: $vgpr5
	s_branch .LBB93_2466
.LBB93_2462:
	s_mov_b32 s15, -1
                                        ; implicit-def: $vgpr5
.LBB93_2463:
	s_delay_alu instid0(SALU_CYCLE_1)
	s_and_not1_b32 vcc_lo, exec_lo, s15
	s_cbranch_vccnz .LBB93_2465
; %bb.2464:
	s_wait_loadcnt 0x0
	global_load_u16 v5, v[10:11], off
	s_wait_loadcnt 0x0
	v_cvt_f32_u32_e32 v5, v5
	s_delay_alu instid0(VALU_DEP_1) | instskip(NEXT) | instid1(VALU_DEP_1)
	v_bfe_u32 v7, v5, 16, 1
	v_add3_u32 v5, v5, v7, 0x7fff
	s_delay_alu instid0(VALU_DEP_1)
	v_lshrrev_b32_e32 v5, 16, v5
.LBB93_2465:
	s_mov_b32 s15, 0
.LBB93_2466:
	s_delay_alu instid0(SALU_CYCLE_1)
	s_and_not1_b32 vcc_lo, exec_lo, s15
	s_cbranch_vccnz .LBB93_2474
; %bb.2467:
	s_wait_loadcnt 0x0
	global_load_u8 v5, v[10:11], off
	s_mov_b32 s15, 0
	s_mov_b32 s16, exec_lo
	s_wait_loadcnt 0x0
	v_cmpx_lt_i16_e32 0x7f, v5
	s_xor_b32 s16, exec_lo, s16
	s_cbranch_execz .LBB93_2488
; %bb.2468:
	s_mov_b32 s15, -1
	s_mov_b32 s17, exec_lo
	v_cmpx_eq_u16_e32 0x80, v5
; %bb.2469:
	s_xor_b32 s15, exec_lo, -1
; %bb.2470:
	s_or_b32 exec_lo, exec_lo, s17
	s_delay_alu instid0(SALU_CYCLE_1)
	s_and_b32 s15, s15, exec_lo
	s_or_saveexec_b32 s16, s16
	v_mov_b32_e32 v7, 0x7f800001
	s_xor_b32 exec_lo, exec_lo, s16
	s_cbranch_execnz .LBB93_2489
.LBB93_2471:
	s_or_b32 exec_lo, exec_lo, s16
	s_and_saveexec_b32 s16, s15
	s_cbranch_execz .LBB93_2473
.LBB93_2472:
	v_and_b32_e32 v7, 0xffff, v5
	s_delay_alu instid0(VALU_DEP_1) | instskip(SKIP_1) | instid1(VALU_DEP_2)
	v_and_b32_e32 v9, 7, v7
	v_bfe_u32 v15, v7, 3, 4
	v_clz_i32_u32_e32 v13, v9
	s_delay_alu instid0(VALU_DEP_2) | instskip(NEXT) | instid1(VALU_DEP_2)
	v_cmp_eq_u32_e32 vcc_lo, 0, v15
	v_min_u32_e32 v13, 32, v13
	s_delay_alu instid0(VALU_DEP_1) | instskip(NEXT) | instid1(VALU_DEP_1)
	v_subrev_nc_u32_e32 v14, 28, v13
	v_dual_lshlrev_b32 v7, v14, v7 :: v_dual_sub_nc_u32 v13, 29, v13
	s_delay_alu instid0(VALU_DEP_1) | instskip(NEXT) | instid1(VALU_DEP_1)
	v_dual_lshlrev_b32 v5, 24, v5 :: v_dual_bitop2_b32 v7, 7, v7 bitop3:0x40
	v_dual_cndmask_b32 v7, v9, v7, vcc_lo :: v_dual_cndmask_b32 v13, v15, v13, vcc_lo
	s_delay_alu instid0(VALU_DEP_2) | instskip(NEXT) | instid1(VALU_DEP_2)
	v_and_b32_e32 v5, 0x80000000, v5
	v_lshlrev_b32_e32 v7, 20, v7
	s_delay_alu instid0(VALU_DEP_3) | instskip(NEXT) | instid1(VALU_DEP_1)
	v_lshl_add_u32 v9, v13, 23, 0x3b800000
	v_or3_b32 v7, v5, v9, v7
.LBB93_2473:
	s_or_b32 exec_lo, exec_lo, s16
	s_delay_alu instid0(VALU_DEP_1) | instskip(SKIP_1) | instid1(VALU_DEP_2)
	v_bfe_u32 v5, v7, 16, 1
	v_cmp_o_f32_e32 vcc_lo, v7, v7
	v_add3_u32 v5, v7, v5, 0x7fff
	s_delay_alu instid0(VALU_DEP_1) | instskip(NEXT) | instid1(VALU_DEP_1)
	v_lshrrev_b32_e32 v5, 16, v5
	v_cndmask_b32_e32 v5, 0x7fc0, v5, vcc_lo
.LBB93_2474:
	s_mov_b32 s15, -1
.LBB93_2475:
	s_mov_b32 s16, 0
.LBB93_2476:
	s_delay_alu instid0(SALU_CYCLE_1)
	s_and_b32 vcc_lo, exec_lo, s16
	s_cbranch_vccz .LBB93_2509
; %bb.2477:
	s_cmp_gt_i32 s13, 22
	s_cbranch_scc0 .LBB93_2487
; %bb.2478:
	s_cmp_lt_i32 s13, 24
	s_cbranch_scc1 .LBB93_2490
; %bb.2479:
	s_cmp_gt_i32 s13, 24
	s_cbranch_scc0 .LBB93_2491
; %bb.2480:
	s_wait_loadcnt 0x0
	global_load_u8 v5, v[10:11], off
	s_mov_b32 s15, exec_lo
	s_wait_loadcnt 0x0
	v_cmpx_lt_i16_e32 0x7f, v5
	s_xor_b32 s15, exec_lo, s15
	s_cbranch_execz .LBB93_2503
; %bb.2481:
	s_mov_b32 s7, -1
	s_mov_b32 s16, exec_lo
	v_cmpx_eq_u16_e32 0x80, v5
; %bb.2482:
	s_xor_b32 s7, exec_lo, -1
; %bb.2483:
	s_or_b32 exec_lo, exec_lo, s16
	s_delay_alu instid0(SALU_CYCLE_1)
	s_and_b32 s7, s7, exec_lo
	s_or_saveexec_b32 s15, s15
	v_mov_b32_e32 v7, 0x7f800001
	s_xor_b32 exec_lo, exec_lo, s15
	s_cbranch_execnz .LBB93_2504
.LBB93_2484:
	s_or_b32 exec_lo, exec_lo, s15
	s_and_saveexec_b32 s15, s7
	s_cbranch_execz .LBB93_2486
.LBB93_2485:
	v_and_b32_e32 v7, 0xffff, v5
	s_delay_alu instid0(VALU_DEP_1) | instskip(SKIP_1) | instid1(VALU_DEP_2)
	v_and_b32_e32 v9, 3, v7
	v_bfe_u32 v15, v7, 2, 5
	v_clz_i32_u32_e32 v13, v9
	s_delay_alu instid0(VALU_DEP_2) | instskip(NEXT) | instid1(VALU_DEP_2)
	v_cmp_eq_u32_e32 vcc_lo, 0, v15
	v_min_u32_e32 v13, 32, v13
	s_delay_alu instid0(VALU_DEP_1) | instskip(NEXT) | instid1(VALU_DEP_1)
	v_subrev_nc_u32_e32 v14, 29, v13
	v_dual_lshlrev_b32 v7, v14, v7 :: v_dual_sub_nc_u32 v13, 30, v13
	s_delay_alu instid0(VALU_DEP_1) | instskip(NEXT) | instid1(VALU_DEP_1)
	v_dual_lshlrev_b32 v5, 24, v5 :: v_dual_bitop2_b32 v7, 3, v7 bitop3:0x40
	v_dual_cndmask_b32 v7, v9, v7, vcc_lo :: v_dual_cndmask_b32 v13, v15, v13, vcc_lo
	s_delay_alu instid0(VALU_DEP_2) | instskip(NEXT) | instid1(VALU_DEP_2)
	v_and_b32_e32 v5, 0x80000000, v5
	v_lshlrev_b32_e32 v7, 21, v7
	s_delay_alu instid0(VALU_DEP_3) | instskip(NEXT) | instid1(VALU_DEP_1)
	v_lshl_add_u32 v9, v13, 23, 0x37800000
	v_or3_b32 v7, v5, v9, v7
.LBB93_2486:
	s_or_b32 exec_lo, exec_lo, s15
	s_delay_alu instid0(VALU_DEP_1) | instskip(SKIP_2) | instid1(VALU_DEP_2)
	v_bfe_u32 v5, v7, 16, 1
	v_cmp_o_f32_e32 vcc_lo, v7, v7
	s_mov_b32 s7, 0
	v_add3_u32 v5, v7, v5, 0x7fff
	s_delay_alu instid0(VALU_DEP_1) | instskip(NEXT) | instid1(VALU_DEP_1)
	v_lshrrev_b32_e32 v5, 16, v5
	v_cndmask_b32_e32 v5, 0x7fc0, v5, vcc_lo
	s_branch .LBB93_2492
.LBB93_2487:
	s_mov_b32 s7, -1
                                        ; implicit-def: $vgpr5
	s_branch .LBB93_2498
.LBB93_2488:
	s_or_saveexec_b32 s16, s16
	v_mov_b32_e32 v7, 0x7f800001
	s_xor_b32 exec_lo, exec_lo, s16
	s_cbranch_execz .LBB93_2471
.LBB93_2489:
	v_cmp_ne_u16_e32 vcc_lo, 0, v5
	v_mov_b32_e32 v7, 0
	s_and_not1_b32 s15, s15, exec_lo
	s_and_b32 s17, vcc_lo, exec_lo
	s_delay_alu instid0(SALU_CYCLE_1)
	s_or_b32 s15, s15, s17
	s_or_b32 exec_lo, exec_lo, s16
	s_and_saveexec_b32 s16, s15
	s_cbranch_execnz .LBB93_2472
	s_branch .LBB93_2473
.LBB93_2490:
	s_mov_b32 s7, -1
                                        ; implicit-def: $vgpr5
	s_branch .LBB93_2495
.LBB93_2491:
	s_mov_b32 s7, -1
                                        ; implicit-def: $vgpr5
.LBB93_2492:
	s_delay_alu instid0(SALU_CYCLE_1)
	s_and_b32 vcc_lo, exec_lo, s7
	s_cbranch_vccz .LBB93_2494
; %bb.2493:
	s_wait_loadcnt 0x0
	global_load_u8 v5, v[10:11], off
	s_wait_loadcnt 0x0
	v_lshlrev_b32_e32 v5, 24, v5
	s_delay_alu instid0(VALU_DEP_1) | instskip(NEXT) | instid1(VALU_DEP_1)
	v_and_b32_e32 v7, 0x7f000000, v5
	v_clz_i32_u32_e32 v9, v7
	v_cmp_ne_u32_e32 vcc_lo, 0, v7
	v_add_nc_u32_e32 v14, 0x1000000, v7
	s_delay_alu instid0(VALU_DEP_3) | instskip(NEXT) | instid1(VALU_DEP_1)
	v_min_u32_e32 v9, 32, v9
	v_sub_nc_u32_e64 v9, v9, 4 clamp
	s_delay_alu instid0(VALU_DEP_1) | instskip(NEXT) | instid1(VALU_DEP_1)
	v_dual_lshlrev_b32 v13, v9, v7 :: v_dual_lshlrev_b32 v9, 23, v9
	v_lshrrev_b32_e32 v13, 4, v13
	s_delay_alu instid0(VALU_DEP_1) | instskip(NEXT) | instid1(VALU_DEP_1)
	v_dual_sub_nc_u32 v9, v13, v9 :: v_dual_ashrrev_i32 v13, 8, v14
	v_add_nc_u32_e32 v9, 0x3c000000, v9
	s_delay_alu instid0(VALU_DEP_1) | instskip(NEXT) | instid1(VALU_DEP_1)
	v_and_or_b32 v9, 0x7f800000, v13, v9
	v_cndmask_b32_e32 v7, 0, v9, vcc_lo
	s_delay_alu instid0(VALU_DEP_1) | instskip(SKIP_1) | instid1(VALU_DEP_2)
	v_and_or_b32 v5, 0x80000000, v5, v7
	v_bfe_u32 v7, v7, 16, 1
	v_cmp_o_f32_e32 vcc_lo, v5, v5
	s_delay_alu instid0(VALU_DEP_2) | instskip(NEXT) | instid1(VALU_DEP_1)
	v_add3_u32 v7, v5, v7, 0x7fff
	v_lshrrev_b32_e32 v7, 16, v7
	s_delay_alu instid0(VALU_DEP_1)
	v_cndmask_b32_e32 v5, 0x7fc0, v7, vcc_lo
.LBB93_2494:
	s_mov_b32 s7, 0
.LBB93_2495:
	s_delay_alu instid0(SALU_CYCLE_1)
	s_and_not1_b32 vcc_lo, exec_lo, s7
	s_cbranch_vccnz .LBB93_2497
; %bb.2496:
	s_wait_loadcnt 0x0
	global_load_u8 v5, v[10:11], off
	s_wait_loadcnt 0x0
	v_lshlrev_b32_e32 v7, 25, v5
	v_lshlrev_b16 v5, 8, v5
	s_delay_alu instid0(VALU_DEP_2) | instskip(NEXT) | instid1(VALU_DEP_2)
	v_cmp_gt_u32_e32 vcc_lo, 0x8000000, v7
	v_and_or_b32 v13, 0x7f00, v5, 0.5
	v_lshrrev_b32_e32 v9, 4, v7
	v_bfe_i32 v5, v5, 0, 16
	s_delay_alu instid0(VALU_DEP_3) | instskip(NEXT) | instid1(VALU_DEP_3)
	v_add_f32_e32 v13, -0.5, v13
	v_or_b32_e32 v9, 0x70000000, v9
	s_delay_alu instid0(VALU_DEP_1) | instskip(NEXT) | instid1(VALU_DEP_1)
	v_mul_f32_e32 v9, 0x7800000, v9
	v_cndmask_b32_e32 v7, v9, v13, vcc_lo
	s_delay_alu instid0(VALU_DEP_1) | instskip(SKIP_1) | instid1(VALU_DEP_2)
	v_and_or_b32 v5, 0x80000000, v5, v7
	v_bfe_u32 v7, v7, 16, 1
	v_cmp_o_f32_e32 vcc_lo, v5, v5
	s_delay_alu instid0(VALU_DEP_2) | instskip(NEXT) | instid1(VALU_DEP_1)
	v_add3_u32 v7, v5, v7, 0x7fff
	v_lshrrev_b32_e32 v7, 16, v7
	s_delay_alu instid0(VALU_DEP_1)
	v_cndmask_b32_e32 v5, 0x7fc0, v7, vcc_lo
.LBB93_2497:
	s_mov_b32 s7, 0
	s_mov_b32 s15, -1
.LBB93_2498:
	s_and_not1_b32 vcc_lo, exec_lo, s7
	s_mov_b32 s7, 0
	s_cbranch_vccnz .LBB93_2509
; %bb.2499:
	s_cmp_gt_i32 s13, 14
	s_cbranch_scc0 .LBB93_2502
; %bb.2500:
	s_cmp_eq_u32 s13, 15
	s_cbranch_scc0 .LBB93_2505
; %bb.2501:
	s_wait_loadcnt 0x0
	global_load_u16 v5, v[10:11], off
	s_mov_b32 s6, 0
	s_mov_b32 s15, -1
	s_branch .LBB93_2507
.LBB93_2502:
	s_mov_b32 s7, -1
	s_branch .LBB93_2506
.LBB93_2503:
	s_or_saveexec_b32 s15, s15
	v_mov_b32_e32 v7, 0x7f800001
	s_xor_b32 exec_lo, exec_lo, s15
	s_cbranch_execz .LBB93_2484
.LBB93_2504:
	v_cmp_ne_u16_e32 vcc_lo, 0, v5
	v_mov_b32_e32 v7, 0
	s_and_not1_b32 s7, s7, exec_lo
	s_and_b32 s16, vcc_lo, exec_lo
	s_delay_alu instid0(SALU_CYCLE_1)
	s_or_b32 s7, s7, s16
	s_or_b32 exec_lo, exec_lo, s15
	s_and_saveexec_b32 s15, s7
	s_cbranch_execnz .LBB93_2485
	s_branch .LBB93_2486
.LBB93_2505:
	s_mov_b32 s6, -1
.LBB93_2506:
                                        ; implicit-def: $vgpr5
.LBB93_2507:
	s_and_b32 vcc_lo, exec_lo, s7
	s_mov_b32 s7, 0
	s_cbranch_vccz .LBB93_2509
; %bb.2508:
	s_cmp_lg_u32 s13, 11
	s_mov_b32 s7, -1
	s_cselect_b32 s6, -1, 0
.LBB93_2509:
	s_delay_alu instid0(SALU_CYCLE_1)
	s_and_b32 vcc_lo, exec_lo, s6
	s_cbranch_vccnz .LBB93_2574
; %bb.2510:
	s_and_not1_b32 vcc_lo, exec_lo, s7
	s_cbranch_vccnz .LBB93_2512
.LBB93_2511:
	s_wait_loadcnt 0x0
	global_load_u8 v5, v[10:11], off
	s_mov_b32 s15, -1
	s_wait_loadcnt 0x0
	v_cmp_ne_u16_e32 vcc_lo, 0, v5
	v_cndmask_b32_e64 v5, 0, 1.0, vcc_lo
	s_delay_alu instid0(VALU_DEP_1)
	v_lshrrev_b32_e32 v5, 16, v5
.LBB93_2512:
	s_mov_b32 s6, 0
.LBB93_2513:
	s_delay_alu instid0(SALU_CYCLE_1)
	s_and_b32 vcc_lo, exec_lo, s6
	s_cbranch_vccz .LBB93_2562
; %bb.2514:
	s_cmp_lt_i32 s13, 5
	s_cbranch_scc1 .LBB93_2519
; %bb.2515:
	s_cmp_lt_i32 s13, 8
	s_cbranch_scc1 .LBB93_2520
	;; [unrolled: 3-line block ×3, first 2 shown]
; %bb.2517:
	s_cmp_gt_i32 s13, 9
	s_cbranch_scc0 .LBB93_2522
; %bb.2518:
	global_load_b64 v[14:15], v[10:11], off
	s_mov_b32 s6, 0
	s_wait_loadcnt 0x0
	v_cvt_f32_f64_e32 v5, v[14:15]
	s_delay_alu instid0(VALU_DEP_1) | instskip(SKIP_1) | instid1(VALU_DEP_2)
	v_bfe_u32 v7, v5, 16, 1
	v_cmp_o_f32_e32 vcc_lo, v5, v5
	v_add3_u32 v7, v5, v7, 0x7fff
	s_delay_alu instid0(VALU_DEP_1) | instskip(NEXT) | instid1(VALU_DEP_1)
	v_lshrrev_b32_e32 v7, 16, v7
	v_cndmask_b32_e32 v5, 0x7fc0, v7, vcc_lo
	s_branch .LBB93_2523
.LBB93_2519:
	s_mov_b32 s6, -1
                                        ; implicit-def: $vgpr5
	s_branch .LBB93_2541
.LBB93_2520:
	s_mov_b32 s6, -1
                                        ; implicit-def: $vgpr5
	s_branch .LBB93_2529
.LBB93_2521:
	s_mov_b32 s6, -1
                                        ; implicit-def: $vgpr5
	s_branch .LBB93_2526
.LBB93_2522:
	s_mov_b32 s6, -1
                                        ; implicit-def: $vgpr5
.LBB93_2523:
	s_delay_alu instid0(SALU_CYCLE_1)
	s_and_not1_b32 vcc_lo, exec_lo, s6
	s_cbranch_vccnz .LBB93_2525
; %bb.2524:
	s_wait_loadcnt 0x0
	global_load_b32 v5, v[10:11], off
	s_wait_loadcnt 0x0
	v_bfe_u32 v7, v5, 16, 1
	v_cmp_o_f32_e32 vcc_lo, v5, v5
	s_delay_alu instid0(VALU_DEP_2) | instskip(NEXT) | instid1(VALU_DEP_1)
	v_add3_u32 v7, v5, v7, 0x7fff
	v_lshrrev_b32_e32 v7, 16, v7
	s_delay_alu instid0(VALU_DEP_1)
	v_cndmask_b32_e32 v5, 0x7fc0, v7, vcc_lo
.LBB93_2525:
	s_mov_b32 s6, 0
.LBB93_2526:
	s_delay_alu instid0(SALU_CYCLE_1)
	s_and_not1_b32 vcc_lo, exec_lo, s6
	s_cbranch_vccnz .LBB93_2528
; %bb.2527:
	s_wait_loadcnt 0x0
	global_load_b32 v5, v[10:11], off
	s_wait_loadcnt 0x0
	v_cvt_f32_f16_e32 v7, v5
	v_cmp_o_f16_e32 vcc_lo, v5, v5
	s_delay_alu instid0(VALU_DEP_2) | instskip(NEXT) | instid1(VALU_DEP_1)
	v_bfe_u32 v9, v7, 16, 1
	v_add3_u32 v7, v7, v9, 0x7fff
	s_delay_alu instid0(VALU_DEP_1) | instskip(NEXT) | instid1(VALU_DEP_1)
	v_lshrrev_b32_e32 v7, 16, v7
	v_cndmask_b32_e32 v5, 0x7fc0, v7, vcc_lo
.LBB93_2528:
	s_mov_b32 s6, 0
.LBB93_2529:
	s_delay_alu instid0(SALU_CYCLE_1)
	s_and_not1_b32 vcc_lo, exec_lo, s6
	s_cbranch_vccnz .LBB93_2540
; %bb.2530:
	s_cmp_lt_i32 s13, 6
	s_cbranch_scc1 .LBB93_2533
; %bb.2531:
	s_cmp_gt_i32 s13, 6
	s_cbranch_scc0 .LBB93_2534
; %bb.2532:
	global_load_b64 v[14:15], v[10:11], off
	s_mov_b32 s6, 0
	s_wait_loadcnt 0x0
	v_cvt_f32_f64_e32 v5, v[14:15]
	s_delay_alu instid0(VALU_DEP_1) | instskip(SKIP_1) | instid1(VALU_DEP_2)
	v_bfe_u32 v7, v5, 16, 1
	v_cmp_o_f32_e32 vcc_lo, v5, v5
	v_add3_u32 v7, v5, v7, 0x7fff
	s_delay_alu instid0(VALU_DEP_1) | instskip(NEXT) | instid1(VALU_DEP_1)
	v_lshrrev_b32_e32 v7, 16, v7
	v_cndmask_b32_e32 v5, 0x7fc0, v7, vcc_lo
	s_branch .LBB93_2535
.LBB93_2533:
	s_mov_b32 s6, -1
                                        ; implicit-def: $vgpr5
	s_branch .LBB93_2538
.LBB93_2534:
	s_mov_b32 s6, -1
                                        ; implicit-def: $vgpr5
.LBB93_2535:
	s_delay_alu instid0(SALU_CYCLE_1)
	s_and_not1_b32 vcc_lo, exec_lo, s6
	s_cbranch_vccnz .LBB93_2537
; %bb.2536:
	s_wait_loadcnt 0x0
	global_load_b32 v5, v[10:11], off
	s_wait_loadcnt 0x0
	v_bfe_u32 v7, v5, 16, 1
	v_cmp_o_f32_e32 vcc_lo, v5, v5
	s_delay_alu instid0(VALU_DEP_2) | instskip(NEXT) | instid1(VALU_DEP_1)
	v_add3_u32 v7, v5, v7, 0x7fff
	v_lshrrev_b32_e32 v7, 16, v7
	s_delay_alu instid0(VALU_DEP_1)
	v_cndmask_b32_e32 v5, 0x7fc0, v7, vcc_lo
.LBB93_2537:
	s_mov_b32 s6, 0
.LBB93_2538:
	s_delay_alu instid0(SALU_CYCLE_1)
	s_and_not1_b32 vcc_lo, exec_lo, s6
	s_cbranch_vccnz .LBB93_2540
; %bb.2539:
	s_wait_loadcnt 0x0
	global_load_u16 v5, v[10:11], off
	s_wait_loadcnt 0x0
	v_cvt_f32_f16_e32 v7, v5
	v_cmp_o_f16_e32 vcc_lo, v5, v5
	s_delay_alu instid0(VALU_DEP_2) | instskip(NEXT) | instid1(VALU_DEP_1)
	v_bfe_u32 v9, v7, 16, 1
	v_add3_u32 v7, v7, v9, 0x7fff
	s_delay_alu instid0(VALU_DEP_1) | instskip(NEXT) | instid1(VALU_DEP_1)
	v_lshrrev_b32_e32 v7, 16, v7
	v_cndmask_b32_e32 v5, 0x7fc0, v7, vcc_lo
.LBB93_2540:
	s_mov_b32 s6, 0
.LBB93_2541:
	s_delay_alu instid0(SALU_CYCLE_1)
	s_and_not1_b32 vcc_lo, exec_lo, s6
	s_cbranch_vccnz .LBB93_2561
; %bb.2542:
	s_cmp_lt_i32 s13, 2
	s_cbranch_scc1 .LBB93_2546
; %bb.2543:
	s_cmp_lt_i32 s13, 3
	s_cbranch_scc1 .LBB93_2547
; %bb.2544:
	s_cmp_gt_i32 s13, 3
	s_cbranch_scc0 .LBB93_2548
; %bb.2545:
	global_load_b64 v[14:15], v[10:11], off
	s_mov_b32 s6, 0
	s_wait_loadcnt 0x0
	v_xor_b32_e32 v5, v14, v15
	v_cls_i32_e32 v7, v15
	s_delay_alu instid0(VALU_DEP_2) | instskip(NEXT) | instid1(VALU_DEP_1)
	v_ashrrev_i32_e32 v5, 31, v5
	v_add_nc_u32_e32 v5, 32, v5
	s_delay_alu instid0(VALU_DEP_1) | instskip(NEXT) | instid1(VALU_DEP_1)
	v_add_min_u32_e64 v5, v7, -1, v5
	v_lshlrev_b64_e32 v[14:15], v5, v[14:15]
	v_sub_nc_u32_e32 v5, 32, v5
	s_delay_alu instid0(VALU_DEP_2) | instskip(NEXT) | instid1(VALU_DEP_1)
	v_min_u32_e32 v7, 1, v14
	v_or_b32_e32 v7, v15, v7
	s_delay_alu instid0(VALU_DEP_1) | instskip(NEXT) | instid1(VALU_DEP_1)
	v_cvt_f32_i32_e32 v7, v7
	v_ldexp_f32 v5, v7, v5
	s_delay_alu instid0(VALU_DEP_1) | instskip(NEXT) | instid1(VALU_DEP_1)
	v_bfe_u32 v7, v5, 16, 1
	v_add3_u32 v5, v5, v7, 0x7fff
	s_delay_alu instid0(VALU_DEP_1)
	v_lshrrev_b32_e32 v5, 16, v5
	s_branch .LBB93_2549
.LBB93_2546:
	s_mov_b32 s6, -1
                                        ; implicit-def: $vgpr5
	s_branch .LBB93_2555
.LBB93_2547:
	s_mov_b32 s6, -1
                                        ; implicit-def: $vgpr5
	s_branch .LBB93_2552
.LBB93_2548:
	s_mov_b32 s6, -1
                                        ; implicit-def: $vgpr5
.LBB93_2549:
	s_delay_alu instid0(SALU_CYCLE_1)
	s_and_not1_b32 vcc_lo, exec_lo, s6
	s_cbranch_vccnz .LBB93_2551
; %bb.2550:
	s_wait_loadcnt 0x0
	global_load_b32 v5, v[10:11], off
	s_wait_loadcnt 0x0
	v_cvt_f32_i32_e32 v5, v5
	s_delay_alu instid0(VALU_DEP_1) | instskip(NEXT) | instid1(VALU_DEP_1)
	v_bfe_u32 v7, v5, 16, 1
	v_add3_u32 v5, v5, v7, 0x7fff
	s_delay_alu instid0(VALU_DEP_1)
	v_lshrrev_b32_e32 v5, 16, v5
.LBB93_2551:
	s_mov_b32 s6, 0
.LBB93_2552:
	s_delay_alu instid0(SALU_CYCLE_1)
	s_and_not1_b32 vcc_lo, exec_lo, s6
	s_cbranch_vccnz .LBB93_2554
; %bb.2553:
	s_wait_loadcnt 0x0
	global_load_i16 v5, v[10:11], off
	s_wait_loadcnt 0x0
	v_cvt_f32_i32_e32 v5, v5
	s_delay_alu instid0(VALU_DEP_1) | instskip(NEXT) | instid1(VALU_DEP_1)
	v_bfe_u32 v7, v5, 16, 1
	v_add3_u32 v5, v5, v7, 0x7fff
	s_delay_alu instid0(VALU_DEP_1)
	v_lshrrev_b32_e32 v5, 16, v5
.LBB93_2554:
	s_mov_b32 s6, 0
.LBB93_2555:
	s_delay_alu instid0(SALU_CYCLE_1)
	s_and_not1_b32 vcc_lo, exec_lo, s6
	s_cbranch_vccnz .LBB93_2561
; %bb.2556:
	s_cmp_gt_i32 s13, 0
	s_mov_b32 s6, 0
	s_cbranch_scc0 .LBB93_2558
; %bb.2557:
	s_wait_loadcnt 0x0
	global_load_i8 v5, v[10:11], off
	s_wait_loadcnt 0x0
	v_cvt_f32_i32_e32 v5, v5
	s_delay_alu instid0(VALU_DEP_1) | instskip(NEXT) | instid1(VALU_DEP_1)
	v_bfe_u32 v7, v5, 16, 1
	v_add3_u32 v5, v5, v7, 0x7fff
	s_delay_alu instid0(VALU_DEP_1)
	v_lshrrev_b32_e32 v5, 16, v5
	s_branch .LBB93_2559
.LBB93_2558:
	s_mov_b32 s6, -1
                                        ; implicit-def: $vgpr5
.LBB93_2559:
	s_delay_alu instid0(SALU_CYCLE_1)
	s_and_not1_b32 vcc_lo, exec_lo, s6
	s_cbranch_vccnz .LBB93_2561
; %bb.2560:
	s_wait_loadcnt 0x0
	global_load_u8 v5, v[10:11], off
	s_wait_loadcnt 0x0
	v_cvt_f32_ubyte0_e32 v5, v5
	s_delay_alu instid0(VALU_DEP_1) | instskip(NEXT) | instid1(VALU_DEP_1)
	v_bfe_u32 v7, v5, 16, 1
	v_add3_u32 v5, v5, v7, 0x7fff
	s_delay_alu instid0(VALU_DEP_1)
	v_lshrrev_b32_e32 v5, 16, v5
.LBB93_2561:
	s_mov_b32 s15, -1
.LBB93_2562:
	s_delay_alu instid0(SALU_CYCLE_1)
	s_and_not1_b32 vcc_lo, exec_lo, s15
	s_cbranch_vccnz .LBB93_3129
; %bb.2563:
	v_mov_b32_e32 v9, 0
	s_cmp_lt_i32 s14, 11
	s_delay_alu instid0(VALU_DEP_1)
	v_add_nc_u64_e32 v[8:9], s[0:1], v[8:9]
	s_cbranch_scc1 .LBB93_2570
; %bb.2564:
	s_cmp_gt_i32 s14, 25
	s_mov_b32 s1, 0
	s_cbranch_scc0 .LBB93_2571
; %bb.2565:
	s_cmp_gt_i32 s14, 28
	s_cbranch_scc0 .LBB93_2572
; %bb.2566:
	s_cmp_gt_i32 s14, 43
	;; [unrolled: 3-line block ×3, first 2 shown]
	s_cbranch_scc0 .LBB93_2575
; %bb.2568:
	s_cmp_eq_u32 s14, 46
	s_mov_b32 s7, 0
	s_cbranch_scc0 .LBB93_2576
; %bb.2569:
	global_load_b32 v7, v[8:9], off
	s_mov_b32 s0, 0
	s_mov_b32 s6, -1
	s_branch .LBB93_2578
.LBB93_2570:
	s_mov_b32 s0, -1
	s_mov_b32 s6, 0
                                        ; implicit-def: $vgpr7
	s_branch .LBB93_2644
.LBB93_2571:
	s_mov_b32 s7, -1
	s_mov_b32 s6, 0
	s_mov_b32 s0, 0
                                        ; implicit-def: $vgpr7
	s_branch .LBB93_2607
.LBB93_2572:
	s_mov_b32 s7, -1
	s_mov_b32 s6, 0
	s_mov_b32 s0, 0
                                        ; implicit-def: $vgpr7
	s_branch .LBB93_2588
.LBB93_2573:
	s_mov_b32 s7, -1
	s_mov_b32 s6, 0
	s_mov_b32 s0, 0
                                        ; implicit-def: $vgpr7
	s_branch .LBB93_2583
.LBB93_2574:
	s_or_b32 s12, s12, exec_lo
	s_trap 2
	s_cbranch_execz .LBB93_2511
	s_branch .LBB93_2512
.LBB93_2575:
	s_mov_b32 s7, -1
	s_mov_b32 s6, 0
	s_mov_b32 s0, 0
	s_branch .LBB93_2577
.LBB93_2576:
	s_mov_b32 s0, -1
	s_mov_b32 s6, 0
.LBB93_2577:
                                        ; implicit-def: $vgpr7
.LBB93_2578:
	s_and_b32 vcc_lo, exec_lo, s7
	s_cbranch_vccz .LBB93_2582
; %bb.2579:
	s_cmp_eq_u32 s14, 44
	s_cbranch_scc0 .LBB93_2581
; %bb.2580:
	s_wait_loadcnt 0x0
	global_load_u8 v7, v[8:9], off
	s_mov_b32 s0, 0
	s_mov_b32 s6, -1
	s_wait_loadcnt 0x0
	s_wait_xcnt 0x1
	v_lshlrev_b32_e32 v10, 23, v7
	v_cmp_ne_u32_e32 vcc_lo, 0xff, v7
	s_delay_alu instid0(VALU_DEP_2) | instskip(SKIP_1) | instid1(VALU_DEP_2)
	v_cndmask_b32_e32 v10, 0x7f800001, v10, vcc_lo
	v_cmp_ne_u32_e32 vcc_lo, 0, v7
	v_cndmask_b32_e32 v7, 0x400000, v10, vcc_lo
	s_delay_alu instid0(VALU_DEP_1) | instskip(NEXT) | instid1(VALU_DEP_1)
	v_add_nc_u32_e32 v10, 0x7fff, v7
	v_lshrrev_b32_e32 v10, 16, v10
	v_cmp_o_f32_e32 vcc_lo, v7, v7
	s_delay_alu instid0(VALU_DEP_2)
	v_cndmask_b32_e32 v7, 0x7fc0, v10, vcc_lo
	s_branch .LBB93_2582
.LBB93_2581:
	s_mov_b32 s0, -1
                                        ; implicit-def: $vgpr7
.LBB93_2582:
	s_mov_b32 s7, 0
.LBB93_2583:
	s_delay_alu instid0(SALU_CYCLE_1)
	s_and_b32 vcc_lo, exec_lo, s7
	s_cbranch_vccz .LBB93_2587
; %bb.2584:
	s_cmp_eq_u32 s14, 29
	s_cbranch_scc0 .LBB93_2586
; %bb.2585:
	global_load_b64 v[10:11], v[8:9], off
	s_mov_b32 s0, 0
	s_mov_b32 s6, -1
	s_mov_b32 s7, 0
	s_wait_loadcnt 0x0
	v_clz_i32_u32_e32 v7, v11
	s_delay_alu instid0(VALU_DEP_1) | instskip(NEXT) | instid1(VALU_DEP_1)
	v_min_u32_e32 v7, 32, v7
	v_lshlrev_b64_e32 v[10:11], v7, v[10:11]
	v_sub_nc_u32_e32 v7, 32, v7
	s_delay_alu instid0(VALU_DEP_2) | instskip(NEXT) | instid1(VALU_DEP_1)
	v_min_u32_e32 v10, 1, v10
	v_or_b32_e32 v10, v11, v10
	s_delay_alu instid0(VALU_DEP_1) | instskip(NEXT) | instid1(VALU_DEP_1)
	v_cvt_f32_u32_e32 v10, v10
	v_ldexp_f32 v7, v10, v7
	s_delay_alu instid0(VALU_DEP_1) | instskip(NEXT) | instid1(VALU_DEP_1)
	v_bfe_u32 v10, v7, 16, 1
	v_add3_u32 v7, v7, v10, 0x7fff
	s_delay_alu instid0(VALU_DEP_1)
	v_lshrrev_b32_e32 v7, 16, v7
	s_branch .LBB93_2588
.LBB93_2586:
	s_mov_b32 s0, -1
                                        ; implicit-def: $vgpr7
.LBB93_2587:
	s_mov_b32 s7, 0
.LBB93_2588:
	s_delay_alu instid0(SALU_CYCLE_1)
	s_and_b32 vcc_lo, exec_lo, s7
	s_cbranch_vccz .LBB93_2606
; %bb.2589:
	s_cmp_lt_i32 s14, 27
	s_cbranch_scc1 .LBB93_2592
; %bb.2590:
	s_cmp_gt_i32 s14, 27
	s_cbranch_scc0 .LBB93_2593
; %bb.2591:
	s_wait_loadcnt 0x0
	global_load_b32 v7, v[8:9], off
	s_mov_b32 s6, 0
	s_wait_loadcnt 0x0
	v_cvt_f32_u32_e32 v7, v7
	s_wait_xcnt 0x1
	s_delay_alu instid0(VALU_DEP_1) | instskip(NEXT) | instid1(VALU_DEP_1)
	v_bfe_u32 v10, v7, 16, 1
	v_add3_u32 v7, v7, v10, 0x7fff
	s_delay_alu instid0(VALU_DEP_1)
	v_lshrrev_b32_e32 v7, 16, v7
	s_branch .LBB93_2594
.LBB93_2592:
	s_mov_b32 s6, -1
                                        ; implicit-def: $vgpr7
	s_branch .LBB93_2597
.LBB93_2593:
	s_mov_b32 s6, -1
                                        ; implicit-def: $vgpr7
.LBB93_2594:
	s_delay_alu instid0(SALU_CYCLE_1)
	s_and_not1_b32 vcc_lo, exec_lo, s6
	s_cbranch_vccnz .LBB93_2596
; %bb.2595:
	s_wait_loadcnt 0x0
	global_load_u16 v7, v[8:9], off
	s_wait_loadcnt 0x0
	v_cvt_f32_u32_e32 v7, v7
	s_wait_xcnt 0x1
	s_delay_alu instid0(VALU_DEP_1) | instskip(NEXT) | instid1(VALU_DEP_1)
	v_bfe_u32 v10, v7, 16, 1
	v_add3_u32 v7, v7, v10, 0x7fff
	s_delay_alu instid0(VALU_DEP_1)
	v_lshrrev_b32_e32 v7, 16, v7
.LBB93_2596:
	s_mov_b32 s6, 0
.LBB93_2597:
	s_delay_alu instid0(SALU_CYCLE_1)
	s_and_not1_b32 vcc_lo, exec_lo, s6
	s_cbranch_vccnz .LBB93_2605
; %bb.2598:
	s_wait_loadcnt 0x0
	global_load_u8 v7, v[8:9], off
	s_mov_b32 s6, 0
	s_mov_b32 s7, exec_lo
	s_wait_loadcnt 0x0
	v_cmpx_lt_i16_e32 0x7f, v7
	s_xor_b32 s7, exec_lo, s7
	s_cbranch_execz .LBB93_2619
; %bb.2599:
	s_mov_b32 s6, -1
	s_mov_b32 s13, exec_lo
	v_cmpx_eq_u16_e32 0x80, v7
; %bb.2600:
	s_xor_b32 s6, exec_lo, -1
; %bb.2601:
	s_or_b32 exec_lo, exec_lo, s13
	s_delay_alu instid0(SALU_CYCLE_1)
	s_and_b32 s6, s6, exec_lo
	s_or_saveexec_b32 s7, s7
	v_mov_b32_e32 v10, 0x7f800001
	s_xor_b32 exec_lo, exec_lo, s7
	s_cbranch_execnz .LBB93_2620
.LBB93_2602:
	s_or_b32 exec_lo, exec_lo, s7
	s_and_saveexec_b32 s7, s6
	s_cbranch_execz .LBB93_2604
.LBB93_2603:
	v_and_b32_e32 v10, 0xffff, v7
	s_delay_alu instid0(VALU_DEP_1) | instskip(SKIP_1) | instid1(VALU_DEP_2)
	v_and_b32_e32 v11, 7, v10
	v_bfe_u32 v15, v10, 3, 4
	v_clz_i32_u32_e32 v13, v11
	s_delay_alu instid0(VALU_DEP_2) | instskip(NEXT) | instid1(VALU_DEP_2)
	v_cmp_eq_u32_e32 vcc_lo, 0, v15
	v_min_u32_e32 v13, 32, v13
	s_delay_alu instid0(VALU_DEP_1) | instskip(NEXT) | instid1(VALU_DEP_1)
	v_subrev_nc_u32_e32 v14, 28, v13
	v_dual_lshlrev_b32 v10, v14, v10 :: v_dual_sub_nc_u32 v13, 29, v13
	s_delay_alu instid0(VALU_DEP_1) | instskip(NEXT) | instid1(VALU_DEP_2)
	v_dual_lshlrev_b32 v7, 24, v7 :: v_dual_bitop2_b32 v10, 7, v10 bitop3:0x40
	v_cndmask_b32_e32 v13, v15, v13, vcc_lo
	s_delay_alu instid0(VALU_DEP_2) | instskip(NEXT) | instid1(VALU_DEP_3)
	v_cndmask_b32_e32 v10, v11, v10, vcc_lo
	v_and_b32_e32 v7, 0x80000000, v7
	s_delay_alu instid0(VALU_DEP_3) | instskip(NEXT) | instid1(VALU_DEP_3)
	v_lshl_add_u32 v11, v13, 23, 0x3b800000
	v_lshlrev_b32_e32 v10, 20, v10
	s_delay_alu instid0(VALU_DEP_1)
	v_or3_b32 v10, v7, v11, v10
.LBB93_2604:
	s_or_b32 exec_lo, exec_lo, s7
	s_delay_alu instid0(VALU_DEP_1) | instskip(SKIP_1) | instid1(VALU_DEP_2)
	v_bfe_u32 v7, v10, 16, 1
	v_cmp_o_f32_e32 vcc_lo, v10, v10
	v_add3_u32 v7, v10, v7, 0x7fff
	s_delay_alu instid0(VALU_DEP_1) | instskip(NEXT) | instid1(VALU_DEP_1)
	v_lshrrev_b32_e32 v7, 16, v7
	v_cndmask_b32_e32 v7, 0x7fc0, v7, vcc_lo
.LBB93_2605:
	s_mov_b32 s6, -1
.LBB93_2606:
	s_mov_b32 s7, 0
.LBB93_2607:
	s_delay_alu instid0(SALU_CYCLE_1)
	s_and_b32 vcc_lo, exec_lo, s7
	s_cbranch_vccz .LBB93_2640
; %bb.2608:
	s_cmp_gt_i32 s14, 22
	s_cbranch_scc0 .LBB93_2618
; %bb.2609:
	s_cmp_lt_i32 s14, 24
	s_cbranch_scc1 .LBB93_2621
; %bb.2610:
	s_cmp_gt_i32 s14, 24
	s_cbranch_scc0 .LBB93_2622
; %bb.2611:
	s_wait_loadcnt 0x0
	global_load_u8 v7, v[8:9], off
	s_mov_b32 s6, exec_lo
	s_wait_loadcnt 0x0
	v_cmpx_lt_i16_e32 0x7f, v7
	s_xor_b32 s6, exec_lo, s6
	s_cbranch_execz .LBB93_2634
; %bb.2612:
	s_mov_b32 s1, -1
	s_mov_b32 s7, exec_lo
	v_cmpx_eq_u16_e32 0x80, v7
; %bb.2613:
	s_xor_b32 s1, exec_lo, -1
; %bb.2614:
	s_or_b32 exec_lo, exec_lo, s7
	s_delay_alu instid0(SALU_CYCLE_1)
	s_and_b32 s1, s1, exec_lo
	s_or_saveexec_b32 s6, s6
	v_mov_b32_e32 v10, 0x7f800001
	s_xor_b32 exec_lo, exec_lo, s6
	s_cbranch_execnz .LBB93_2635
.LBB93_2615:
	s_or_b32 exec_lo, exec_lo, s6
	s_and_saveexec_b32 s6, s1
	s_cbranch_execz .LBB93_2617
.LBB93_2616:
	v_and_b32_e32 v10, 0xffff, v7
	s_delay_alu instid0(VALU_DEP_1) | instskip(SKIP_1) | instid1(VALU_DEP_2)
	v_and_b32_e32 v11, 3, v10
	v_bfe_u32 v15, v10, 2, 5
	v_clz_i32_u32_e32 v13, v11
	s_delay_alu instid0(VALU_DEP_2) | instskip(NEXT) | instid1(VALU_DEP_2)
	v_cmp_eq_u32_e32 vcc_lo, 0, v15
	v_min_u32_e32 v13, 32, v13
	s_delay_alu instid0(VALU_DEP_1) | instskip(NEXT) | instid1(VALU_DEP_1)
	v_subrev_nc_u32_e32 v14, 29, v13
	v_dual_lshlrev_b32 v10, v14, v10 :: v_dual_sub_nc_u32 v13, 30, v13
	s_delay_alu instid0(VALU_DEP_1) | instskip(NEXT) | instid1(VALU_DEP_2)
	v_dual_lshlrev_b32 v7, 24, v7 :: v_dual_bitop2_b32 v10, 3, v10 bitop3:0x40
	v_cndmask_b32_e32 v13, v15, v13, vcc_lo
	s_delay_alu instid0(VALU_DEP_2) | instskip(NEXT) | instid1(VALU_DEP_3)
	v_cndmask_b32_e32 v10, v11, v10, vcc_lo
	v_and_b32_e32 v7, 0x80000000, v7
	s_delay_alu instid0(VALU_DEP_3) | instskip(NEXT) | instid1(VALU_DEP_3)
	v_lshl_add_u32 v11, v13, 23, 0x37800000
	v_lshlrev_b32_e32 v10, 21, v10
	s_delay_alu instid0(VALU_DEP_1)
	v_or3_b32 v10, v7, v11, v10
.LBB93_2617:
	s_or_b32 exec_lo, exec_lo, s6
	s_delay_alu instid0(VALU_DEP_1) | instskip(SKIP_2) | instid1(VALU_DEP_2)
	v_bfe_u32 v7, v10, 16, 1
	v_cmp_o_f32_e32 vcc_lo, v10, v10
	s_mov_b32 s1, 0
	v_add3_u32 v7, v10, v7, 0x7fff
	s_delay_alu instid0(VALU_DEP_1) | instskip(NEXT) | instid1(VALU_DEP_1)
	v_lshrrev_b32_e32 v7, 16, v7
	v_cndmask_b32_e32 v7, 0x7fc0, v7, vcc_lo
	s_branch .LBB93_2623
.LBB93_2618:
	s_mov_b32 s1, -1
                                        ; implicit-def: $vgpr7
	s_branch .LBB93_2629
.LBB93_2619:
	s_or_saveexec_b32 s7, s7
	v_mov_b32_e32 v10, 0x7f800001
	s_xor_b32 exec_lo, exec_lo, s7
	s_cbranch_execz .LBB93_2602
.LBB93_2620:
	v_cmp_ne_u16_e32 vcc_lo, 0, v7
	v_mov_b32_e32 v10, 0
	s_and_not1_b32 s6, s6, exec_lo
	s_and_b32 s13, vcc_lo, exec_lo
	s_delay_alu instid0(SALU_CYCLE_1)
	s_or_b32 s6, s6, s13
	s_or_b32 exec_lo, exec_lo, s7
	s_and_saveexec_b32 s7, s6
	s_cbranch_execnz .LBB93_2603
	s_branch .LBB93_2604
.LBB93_2621:
	s_mov_b32 s1, -1
                                        ; implicit-def: $vgpr7
	s_branch .LBB93_2626
.LBB93_2622:
	s_mov_b32 s1, -1
                                        ; implicit-def: $vgpr7
.LBB93_2623:
	s_delay_alu instid0(SALU_CYCLE_1)
	s_and_b32 vcc_lo, exec_lo, s1
	s_cbranch_vccz .LBB93_2625
; %bb.2624:
	s_wait_loadcnt 0x0
	global_load_u8 v7, v[8:9], off
	s_wait_loadcnt 0x0
	v_lshlrev_b32_e32 v7, 24, v7
	s_wait_xcnt 0x1
	s_delay_alu instid0(VALU_DEP_1) | instskip(NEXT) | instid1(VALU_DEP_1)
	v_and_b32_e32 v10, 0x7f000000, v7
	v_clz_i32_u32_e32 v11, v10
	v_add_nc_u32_e32 v14, 0x1000000, v10
	v_cmp_ne_u32_e32 vcc_lo, 0, v10
	s_delay_alu instid0(VALU_DEP_3) | instskip(NEXT) | instid1(VALU_DEP_1)
	v_min_u32_e32 v11, 32, v11
	v_sub_nc_u32_e64 v11, v11, 4 clamp
	s_delay_alu instid0(VALU_DEP_1) | instskip(NEXT) | instid1(VALU_DEP_1)
	v_dual_lshlrev_b32 v13, v11, v10 :: v_dual_lshlrev_b32 v11, 23, v11
	v_lshrrev_b32_e32 v13, 4, v13
	s_delay_alu instid0(VALU_DEP_1) | instskip(NEXT) | instid1(VALU_DEP_1)
	v_dual_sub_nc_u32 v11, v13, v11 :: v_dual_ashrrev_i32 v13, 8, v14
	v_add_nc_u32_e32 v11, 0x3c000000, v11
	s_delay_alu instid0(VALU_DEP_1) | instskip(NEXT) | instid1(VALU_DEP_1)
	v_and_or_b32 v11, 0x7f800000, v13, v11
	v_cndmask_b32_e32 v10, 0, v11, vcc_lo
	s_delay_alu instid0(VALU_DEP_1) | instskip(SKIP_1) | instid1(VALU_DEP_2)
	v_and_or_b32 v7, 0x80000000, v7, v10
	v_bfe_u32 v10, v10, 16, 1
	v_cmp_o_f32_e32 vcc_lo, v7, v7
	s_delay_alu instid0(VALU_DEP_2) | instskip(NEXT) | instid1(VALU_DEP_1)
	v_add3_u32 v10, v7, v10, 0x7fff
	v_lshrrev_b32_e32 v10, 16, v10
	s_delay_alu instid0(VALU_DEP_1)
	v_cndmask_b32_e32 v7, 0x7fc0, v10, vcc_lo
.LBB93_2625:
	s_mov_b32 s1, 0
.LBB93_2626:
	s_delay_alu instid0(SALU_CYCLE_1)
	s_and_not1_b32 vcc_lo, exec_lo, s1
	s_cbranch_vccnz .LBB93_2628
; %bb.2627:
	s_wait_loadcnt 0x0
	global_load_u8 v7, v[8:9], off
	s_wait_loadcnt 0x0
	s_wait_xcnt 0x1
	v_lshlrev_b32_e32 v10, 25, v7
	v_lshlrev_b16 v7, 8, v7
	s_delay_alu instid0(VALU_DEP_1) | instskip(SKIP_1) | instid1(VALU_DEP_2)
	v_and_or_b32 v13, 0x7f00, v7, 0.5
	v_bfe_i32 v7, v7, 0, 16
	v_dual_add_f32 v13, -0.5, v13 :: v_dual_lshrrev_b32 v11, 4, v10
	v_cmp_gt_u32_e32 vcc_lo, 0x8000000, v10
	s_delay_alu instid0(VALU_DEP_2) | instskip(NEXT) | instid1(VALU_DEP_1)
	v_or_b32_e32 v11, 0x70000000, v11
	v_mul_f32_e32 v11, 0x7800000, v11
	s_delay_alu instid0(VALU_DEP_1) | instskip(NEXT) | instid1(VALU_DEP_1)
	v_cndmask_b32_e32 v10, v11, v13, vcc_lo
	v_and_or_b32 v7, 0x80000000, v7, v10
	v_bfe_u32 v10, v10, 16, 1
	s_delay_alu instid0(VALU_DEP_2) | instskip(NEXT) | instid1(VALU_DEP_2)
	v_cmp_o_f32_e32 vcc_lo, v7, v7
	v_add3_u32 v10, v7, v10, 0x7fff
	s_delay_alu instid0(VALU_DEP_1) | instskip(NEXT) | instid1(VALU_DEP_1)
	v_lshrrev_b32_e32 v10, 16, v10
	v_cndmask_b32_e32 v7, 0x7fc0, v10, vcc_lo
.LBB93_2628:
	s_mov_b32 s1, 0
	s_mov_b32 s6, -1
.LBB93_2629:
	s_and_not1_b32 vcc_lo, exec_lo, s1
	s_mov_b32 s1, 0
	s_cbranch_vccnz .LBB93_2640
; %bb.2630:
	s_cmp_gt_i32 s14, 14
	s_cbranch_scc0 .LBB93_2633
; %bb.2631:
	s_cmp_eq_u32 s14, 15
	s_cbranch_scc0 .LBB93_2636
; %bb.2632:
	s_wait_loadcnt 0x0
	global_load_u16 v7, v[8:9], off
	s_mov_b32 s0, 0
	s_mov_b32 s6, -1
	s_branch .LBB93_2638
.LBB93_2633:
	s_mov_b32 s1, -1
	s_branch .LBB93_2637
.LBB93_2634:
	s_or_saveexec_b32 s6, s6
	v_mov_b32_e32 v10, 0x7f800001
	s_xor_b32 exec_lo, exec_lo, s6
	s_cbranch_execz .LBB93_2615
.LBB93_2635:
	v_cmp_ne_u16_e32 vcc_lo, 0, v7
	v_mov_b32_e32 v10, 0
	s_and_not1_b32 s1, s1, exec_lo
	s_and_b32 s7, vcc_lo, exec_lo
	s_delay_alu instid0(SALU_CYCLE_1)
	s_or_b32 s1, s1, s7
	s_or_b32 exec_lo, exec_lo, s6
	s_and_saveexec_b32 s6, s1
	s_cbranch_execnz .LBB93_2616
	s_branch .LBB93_2617
.LBB93_2636:
	s_mov_b32 s0, -1
.LBB93_2637:
                                        ; implicit-def: $vgpr7
.LBB93_2638:
	s_and_b32 vcc_lo, exec_lo, s1
	s_mov_b32 s1, 0
	s_cbranch_vccz .LBB93_2640
; %bb.2639:
	s_cmp_lg_u32 s14, 11
	s_mov_b32 s1, -1
	s_cselect_b32 s0, -1, 0
.LBB93_2640:
	s_delay_alu instid0(SALU_CYCLE_1)
	s_and_b32 vcc_lo, exec_lo, s0
	s_cbranch_vccnz .LBB93_3175
; %bb.2641:
	s_and_not1_b32 vcc_lo, exec_lo, s1
	s_cbranch_vccnz .LBB93_2643
.LBB93_2642:
	s_wait_loadcnt 0x0
	global_load_u8 v7, v[8:9], off
	s_mov_b32 s6, -1
	s_wait_loadcnt 0x0
	v_cmp_ne_u16_e32 vcc_lo, 0, v7
	v_cndmask_b32_e64 v7, 0, 1.0, vcc_lo
	s_delay_alu instid0(VALU_DEP_1)
	v_lshrrev_b32_e32 v7, 16, v7
.LBB93_2643:
	s_mov_b32 s0, 0
.LBB93_2644:
	s_delay_alu instid0(SALU_CYCLE_1)
	s_and_b32 vcc_lo, exec_lo, s0
	s_cbranch_vccz .LBB93_2693
; %bb.2645:
	s_cmp_lt_i32 s14, 5
	s_cbranch_scc1 .LBB93_2650
; %bb.2646:
	s_cmp_lt_i32 s14, 8
	s_cbranch_scc1 .LBB93_2651
	;; [unrolled: 3-line block ×3, first 2 shown]
; %bb.2648:
	s_cmp_gt_i32 s14, 9
	s_cbranch_scc0 .LBB93_2653
; %bb.2649:
	global_load_b64 v[10:11], v[8:9], off
	s_mov_b32 s0, 0
	s_wait_loadcnt 0x0
	v_cvt_f32_f64_e32 v7, v[10:11]
	s_delay_alu instid0(VALU_DEP_1) | instskip(SKIP_1) | instid1(VALU_DEP_2)
	v_bfe_u32 v10, v7, 16, 1
	v_cmp_o_f32_e32 vcc_lo, v7, v7
	v_add3_u32 v10, v7, v10, 0x7fff
	s_delay_alu instid0(VALU_DEP_1) | instskip(NEXT) | instid1(VALU_DEP_1)
	v_lshrrev_b32_e32 v10, 16, v10
	v_cndmask_b32_e32 v7, 0x7fc0, v10, vcc_lo
	s_branch .LBB93_2654
.LBB93_2650:
	s_mov_b32 s0, -1
                                        ; implicit-def: $vgpr7
	s_branch .LBB93_2672
.LBB93_2651:
	s_mov_b32 s0, -1
                                        ; implicit-def: $vgpr7
	s_branch .LBB93_2660
.LBB93_2652:
	s_mov_b32 s0, -1
                                        ; implicit-def: $vgpr7
	s_branch .LBB93_2657
.LBB93_2653:
	s_mov_b32 s0, -1
                                        ; implicit-def: $vgpr7
.LBB93_2654:
	s_delay_alu instid0(SALU_CYCLE_1)
	s_and_not1_b32 vcc_lo, exec_lo, s0
	s_cbranch_vccnz .LBB93_2656
; %bb.2655:
	s_wait_loadcnt 0x0
	global_load_b32 v7, v[8:9], off
	s_wait_loadcnt 0x0
	s_wait_xcnt 0x1
	v_bfe_u32 v10, v7, 16, 1
	v_cmp_o_f32_e32 vcc_lo, v7, v7
	s_delay_alu instid0(VALU_DEP_2) | instskip(NEXT) | instid1(VALU_DEP_1)
	v_add3_u32 v10, v7, v10, 0x7fff
	v_lshrrev_b32_e32 v10, 16, v10
	s_delay_alu instid0(VALU_DEP_1)
	v_cndmask_b32_e32 v7, 0x7fc0, v10, vcc_lo
.LBB93_2656:
	s_mov_b32 s0, 0
.LBB93_2657:
	s_delay_alu instid0(SALU_CYCLE_1)
	s_and_not1_b32 vcc_lo, exec_lo, s0
	s_cbranch_vccnz .LBB93_2659
; %bb.2658:
	s_wait_loadcnt 0x0
	global_load_b32 v7, v[8:9], off
	s_wait_loadcnt 0x0
	s_wait_xcnt 0x1
	v_cvt_f32_f16_e32 v10, v7
	v_cmp_o_f16_e32 vcc_lo, v7, v7
	s_delay_alu instid0(VALU_DEP_2) | instskip(NEXT) | instid1(VALU_DEP_1)
	v_bfe_u32 v11, v10, 16, 1
	v_add3_u32 v10, v10, v11, 0x7fff
	s_delay_alu instid0(VALU_DEP_1) | instskip(NEXT) | instid1(VALU_DEP_1)
	v_lshrrev_b32_e32 v10, 16, v10
	v_cndmask_b32_e32 v7, 0x7fc0, v10, vcc_lo
.LBB93_2659:
	s_mov_b32 s0, 0
.LBB93_2660:
	s_delay_alu instid0(SALU_CYCLE_1)
	s_and_not1_b32 vcc_lo, exec_lo, s0
	s_cbranch_vccnz .LBB93_2671
; %bb.2661:
	s_cmp_lt_i32 s14, 6
	s_cbranch_scc1 .LBB93_2664
; %bb.2662:
	s_cmp_gt_i32 s14, 6
	s_cbranch_scc0 .LBB93_2665
; %bb.2663:
	global_load_b64 v[10:11], v[8:9], off
	s_mov_b32 s0, 0
	s_wait_loadcnt 0x0
	v_cvt_f32_f64_e32 v7, v[10:11]
	s_delay_alu instid0(VALU_DEP_1) | instskip(SKIP_1) | instid1(VALU_DEP_2)
	v_bfe_u32 v10, v7, 16, 1
	v_cmp_o_f32_e32 vcc_lo, v7, v7
	v_add3_u32 v10, v7, v10, 0x7fff
	s_delay_alu instid0(VALU_DEP_1) | instskip(NEXT) | instid1(VALU_DEP_1)
	v_lshrrev_b32_e32 v10, 16, v10
	v_cndmask_b32_e32 v7, 0x7fc0, v10, vcc_lo
	s_branch .LBB93_2666
.LBB93_2664:
	s_mov_b32 s0, -1
                                        ; implicit-def: $vgpr7
	s_branch .LBB93_2669
.LBB93_2665:
	s_mov_b32 s0, -1
                                        ; implicit-def: $vgpr7
.LBB93_2666:
	s_delay_alu instid0(SALU_CYCLE_1)
	s_and_not1_b32 vcc_lo, exec_lo, s0
	s_cbranch_vccnz .LBB93_2668
; %bb.2667:
	s_wait_loadcnt 0x0
	global_load_b32 v7, v[8:9], off
	s_wait_loadcnt 0x0
	s_wait_xcnt 0x1
	v_bfe_u32 v10, v7, 16, 1
	v_cmp_o_f32_e32 vcc_lo, v7, v7
	s_delay_alu instid0(VALU_DEP_2) | instskip(NEXT) | instid1(VALU_DEP_1)
	v_add3_u32 v10, v7, v10, 0x7fff
	v_lshrrev_b32_e32 v10, 16, v10
	s_delay_alu instid0(VALU_DEP_1)
	v_cndmask_b32_e32 v7, 0x7fc0, v10, vcc_lo
.LBB93_2668:
	s_mov_b32 s0, 0
.LBB93_2669:
	s_delay_alu instid0(SALU_CYCLE_1)
	s_and_not1_b32 vcc_lo, exec_lo, s0
	s_cbranch_vccnz .LBB93_2671
; %bb.2670:
	s_wait_loadcnt 0x0
	global_load_u16 v7, v[8:9], off
	s_wait_loadcnt 0x0
	s_wait_xcnt 0x1
	v_cvt_f32_f16_e32 v10, v7
	v_cmp_o_f16_e32 vcc_lo, v7, v7
	s_delay_alu instid0(VALU_DEP_2) | instskip(NEXT) | instid1(VALU_DEP_1)
	v_bfe_u32 v11, v10, 16, 1
	v_add3_u32 v10, v10, v11, 0x7fff
	s_delay_alu instid0(VALU_DEP_1) | instskip(NEXT) | instid1(VALU_DEP_1)
	v_lshrrev_b32_e32 v10, 16, v10
	v_cndmask_b32_e32 v7, 0x7fc0, v10, vcc_lo
.LBB93_2671:
	s_mov_b32 s0, 0
.LBB93_2672:
	s_delay_alu instid0(SALU_CYCLE_1)
	s_and_not1_b32 vcc_lo, exec_lo, s0
	s_cbranch_vccnz .LBB93_2692
; %bb.2673:
	s_cmp_lt_i32 s14, 2
	s_cbranch_scc1 .LBB93_2677
; %bb.2674:
	s_cmp_lt_i32 s14, 3
	s_cbranch_scc1 .LBB93_2678
; %bb.2675:
	s_cmp_gt_i32 s14, 3
	s_cbranch_scc0 .LBB93_2679
; %bb.2676:
	global_load_b64 v[10:11], v[8:9], off
	s_mov_b32 s0, 0
	s_wait_loadcnt 0x0
	v_xor_b32_e32 v7, v10, v11
	v_cls_i32_e32 v13, v11
	s_delay_alu instid0(VALU_DEP_2) | instskip(NEXT) | instid1(VALU_DEP_1)
	v_ashrrev_i32_e32 v7, 31, v7
	v_add_nc_u32_e32 v7, 32, v7
	s_delay_alu instid0(VALU_DEP_1) | instskip(NEXT) | instid1(VALU_DEP_1)
	v_add_min_u32_e64 v7, v13, -1, v7
	v_lshlrev_b64_e32 v[10:11], v7, v[10:11]
	v_sub_nc_u32_e32 v7, 32, v7
	s_delay_alu instid0(VALU_DEP_2) | instskip(NEXT) | instid1(VALU_DEP_1)
	v_min_u32_e32 v10, 1, v10
	v_or_b32_e32 v10, v11, v10
	s_delay_alu instid0(VALU_DEP_1) | instskip(NEXT) | instid1(VALU_DEP_1)
	v_cvt_f32_i32_e32 v10, v10
	v_ldexp_f32 v7, v10, v7
	s_delay_alu instid0(VALU_DEP_1) | instskip(NEXT) | instid1(VALU_DEP_1)
	v_bfe_u32 v10, v7, 16, 1
	v_add3_u32 v7, v7, v10, 0x7fff
	s_delay_alu instid0(VALU_DEP_1)
	v_lshrrev_b32_e32 v7, 16, v7
	s_branch .LBB93_2680
.LBB93_2677:
	s_mov_b32 s0, -1
                                        ; implicit-def: $vgpr7
	s_branch .LBB93_2686
.LBB93_2678:
	s_mov_b32 s0, -1
                                        ; implicit-def: $vgpr7
	s_branch .LBB93_2683
.LBB93_2679:
	s_mov_b32 s0, -1
                                        ; implicit-def: $vgpr7
.LBB93_2680:
	s_delay_alu instid0(SALU_CYCLE_1)
	s_and_not1_b32 vcc_lo, exec_lo, s0
	s_cbranch_vccnz .LBB93_2682
; %bb.2681:
	s_wait_loadcnt 0x0
	global_load_b32 v7, v[8:9], off
	s_wait_loadcnt 0x0
	v_cvt_f32_i32_e32 v7, v7
	s_wait_xcnt 0x1
	s_delay_alu instid0(VALU_DEP_1) | instskip(NEXT) | instid1(VALU_DEP_1)
	v_bfe_u32 v10, v7, 16, 1
	v_add3_u32 v7, v7, v10, 0x7fff
	s_delay_alu instid0(VALU_DEP_1)
	v_lshrrev_b32_e32 v7, 16, v7
.LBB93_2682:
	s_mov_b32 s0, 0
.LBB93_2683:
	s_delay_alu instid0(SALU_CYCLE_1)
	s_and_not1_b32 vcc_lo, exec_lo, s0
	s_cbranch_vccnz .LBB93_2685
; %bb.2684:
	s_wait_loadcnt 0x0
	global_load_i16 v7, v[8:9], off
	s_wait_loadcnt 0x0
	v_cvt_f32_i32_e32 v7, v7
	s_wait_xcnt 0x1
	s_delay_alu instid0(VALU_DEP_1) | instskip(NEXT) | instid1(VALU_DEP_1)
	v_bfe_u32 v10, v7, 16, 1
	v_add3_u32 v7, v7, v10, 0x7fff
	s_delay_alu instid0(VALU_DEP_1)
	v_lshrrev_b32_e32 v7, 16, v7
.LBB93_2685:
	s_mov_b32 s0, 0
.LBB93_2686:
	s_delay_alu instid0(SALU_CYCLE_1)
	s_and_not1_b32 vcc_lo, exec_lo, s0
	s_cbranch_vccnz .LBB93_2692
; %bb.2687:
	s_cmp_gt_i32 s14, 0
	s_mov_b32 s0, 0
	s_cbranch_scc0 .LBB93_2689
; %bb.2688:
	s_wait_loadcnt 0x0
	global_load_i8 v7, v[8:9], off
	s_wait_loadcnt 0x0
	v_cvt_f32_i32_e32 v7, v7
	s_wait_xcnt 0x1
	s_delay_alu instid0(VALU_DEP_1) | instskip(NEXT) | instid1(VALU_DEP_1)
	v_bfe_u32 v10, v7, 16, 1
	v_add3_u32 v7, v7, v10, 0x7fff
	s_delay_alu instid0(VALU_DEP_1)
	v_lshrrev_b32_e32 v7, 16, v7
	s_branch .LBB93_2690
.LBB93_2689:
	s_mov_b32 s0, -1
                                        ; implicit-def: $vgpr7
.LBB93_2690:
	s_delay_alu instid0(SALU_CYCLE_1)
	s_and_not1_b32 vcc_lo, exec_lo, s0
	s_cbranch_vccnz .LBB93_2692
; %bb.2691:
	s_wait_loadcnt 0x0
	global_load_u8 v7, v[8:9], off
	s_wait_loadcnt 0x0
	v_cvt_f32_ubyte0_e32 v7, v7
	s_wait_xcnt 0x0
	s_delay_alu instid0(VALU_DEP_1) | instskip(NEXT) | instid1(VALU_DEP_1)
	v_bfe_u32 v8, v7, 16, 1
	v_add3_u32 v7, v7, v8, 0x7fff
	s_delay_alu instid0(VALU_DEP_1)
	v_lshrrev_b32_e32 v7, 16, v7
.LBB93_2692:
	s_mov_b32 s6, -1
.LBB93_2693:
	s_delay_alu instid0(SALU_CYCLE_1)
	s_and_not1_b32 vcc_lo, exec_lo, s6
	s_cbranch_vccnz .LBB93_3129
; %bb.2694:
	s_wait_loadcnt 0x0
	v_dual_lshlrev_b32 v7, 16, v7 :: v_dual_lshlrev_b32 v8, 16, v5
	s_mov_b32 s0, exec_lo
	s_delay_alu instid0(VALU_DEP_1) | instskip(NEXT) | instid1(VALU_DEP_1)
	v_mul_f32_e32 v7, s8, v7
	v_cmpx_nlt_f32_e32 s9, v7
	s_cbranch_execz .LBB93_2696
; %bb.2695:
	v_mul_f32_e32 v5, 0x3fb8aa3b, v7
	v_cmp_ngt_f32_e32 vcc_lo, 0xc2ce8ed0, v7
	s_delay_alu instid0(VALU_DEP_2) | instskip(SKIP_1) | instid1(VALU_DEP_1)
	v_rndne_f32_e32 v9, v5
	v_fma_f32 v10, 0x3fb8aa3b, v7, -v5
	v_dual_sub_f32 v5, v5, v9 :: v_dual_fmamk_f32 v10, v7, 0x32a5705f, v10
	v_cvt_i32_f32_e32 v9, v9
	s_delay_alu instid0(VALU_DEP_2) | instskip(NEXT) | instid1(VALU_DEP_1)
	v_add_f32_e32 v5, v5, v10
	v_exp_f32_e32 v5, v5
	v_nop
	s_delay_alu instid0(TRANS32_DEP_1) | instskip(NEXT) | instid1(VALU_DEP_1)
	v_ldexp_f32 v5, v5, v9
	v_cndmask_b32_e32 v5, 0, v5, vcc_lo
	v_cmp_nlt_f32_e32 vcc_lo, 0x42b17218, v7
	s_delay_alu instid0(VALU_DEP_2) | instskip(NEXT) | instid1(VALU_DEP_1)
	v_cndmask_b32_e32 v5, 0x7f800000, v5, vcc_lo
	v_dual_mul_f32 v7, v5, v8 :: v_dual_add_f32 v5, 1.0, v5
	s_delay_alu instid0(VALU_DEP_1) | instskip(NEXT) | instid1(VALU_DEP_1)
	v_div_scale_f32 v8, null, v5, v5, v7
	v_rcp_f32_e32 v9, v8
	v_nop
	s_delay_alu instid0(TRANS32_DEP_1) | instskip(NEXT) | instid1(VALU_DEP_1)
	v_fma_f32 v10, -v8, v9, 1.0
	v_fmac_f32_e32 v9, v10, v9
	v_div_scale_f32 v10, vcc_lo, v7, v5, v7
	s_delay_alu instid0(VALU_DEP_1) | instskip(NEXT) | instid1(VALU_DEP_1)
	v_mul_f32_e32 v11, v10, v9
	v_fma_f32 v13, -v8, v11, v10
	s_delay_alu instid0(VALU_DEP_1) | instskip(NEXT) | instid1(VALU_DEP_1)
	v_fmac_f32_e32 v11, v13, v9
	v_fma_f32 v8, -v8, v11, v10
	s_delay_alu instid0(VALU_DEP_1) | instskip(NEXT) | instid1(VALU_DEP_1)
	v_div_fmas_f32 v8, v8, v9, v11
	v_div_fixup_f32 v8, v8, v5, v7
.LBB93_2696:
	s_or_b32 exec_lo, exec_lo, s0
	s_load_b32 s0, s[2:3], 0x1a8
	v_bfe_u32 v5, v1, 16, 1
	v_cmp_o_f32_e32 vcc_lo, v1, v1
	s_delay_alu instid0(VALU_DEP_2) | instskip(NEXT) | instid1(VALU_DEP_1)
	v_add3_u32 v5, v1, v5, 0x7fff
	v_dual_mov_b32 v7, 0 :: v_dual_lshrrev_b32 v5, 16, v5
	s_delay_alu instid0(VALU_DEP_1) | instskip(NEXT) | instid1(VALU_DEP_2)
	v_add_nc_u64_e32 v[6:7], s[4:5], v[6:7]
	v_cndmask_b32_e32 v1, 0x7fc0, v5, vcc_lo
	s_wait_kmcnt 0x0
	s_and_b32 s1, s0, 0xff
	s_delay_alu instid0(SALU_CYCLE_1)
	s_cmp_lt_i32 s1, 11
	s_cbranch_scc1 .LBB93_2774
; %bb.2697:
	s_and_b32 s2, 0xffff, s1
	s_mov_b32 s7, -1
	s_mov_b32 s3, 0
	s_cmp_gt_i32 s2, 25
	s_mov_b32 s6, 0
	s_mov_b32 s0, 0
	s_cbranch_scc0 .LBB93_2730
; %bb.2698:
	s_cmp_gt_i32 s2, 28
	s_cbranch_scc0 .LBB93_2713
; %bb.2699:
	s_cmp_gt_i32 s2, 43
	;; [unrolled: 3-line block ×3, first 2 shown]
	s_cbranch_scc0 .LBB93_2703
; %bb.2701:
	s_mov_b32 s0, -1
	s_mov_b32 s7, 0
	s_cmp_eq_u32 s2, 46
	s_cbranch_scc0 .LBB93_2703
; %bb.2702:
	v_and_b32_e32 v5, 0xffff, v1
	s_mov_b32 s0, 0
	s_mov_b32 s6, -1
	global_store_b32 v[6:7], v5, off
.LBB93_2703:
	s_and_b32 vcc_lo, exec_lo, s7
	s_cbranch_vccz .LBB93_2708
; %bb.2704:
	s_cmp_eq_u32 s2, 44
	s_mov_b32 s0, -1
	s_cbranch_scc0 .LBB93_2708
; %bb.2705:
	s_wait_xcnt 0x0
	v_and_b32_e32 v5, 0xffff, v1
	v_mov_b32_e32 v9, 0xff
	s_mov_b32 s6, exec_lo
	s_delay_alu instid0(VALU_DEP_2) | instskip(NEXT) | instid1(VALU_DEP_1)
	v_bfe_u32 v10, v5, 7, 8
	v_cmpx_ne_u32_e32 0xff, v10
	s_cbranch_execz .LBB93_2707
; %bb.2706:
	v_dual_lshlrev_b32 v9, 16, v5 :: v_dual_bitop2_b32 v11, 64, v5 bitop3:0x40
	v_lshrrev_b32_e32 v5, 7, v5
	s_delay_alu instid0(VALU_DEP_2) | instskip(NEXT) | instid1(VALU_DEP_3)
	v_and_or_b32 v9, 0x3f0000, v9, v10
	v_cmp_ne_u32_e32 vcc_lo, 0, v11
	s_delay_alu instid0(VALU_DEP_2) | instskip(SKIP_1) | instid1(SALU_CYCLE_1)
	v_cmp_ne_u32_e64 s0, 0, v9
	s_and_b32 s0, vcc_lo, s0
	v_cndmask_b32_e64 v9, 0, 1, s0
	s_delay_alu instid0(VALU_DEP_1)
	v_add_nc_u32_e32 v9, v5, v9
.LBB93_2707:
	s_or_b32 exec_lo, exec_lo, s6
	s_mov_b32 s0, 0
	s_mov_b32 s6, -1
	global_store_b8 v[6:7], v9, off
.LBB93_2708:
	s_mov_b32 s7, 0
.LBB93_2709:
	s_delay_alu instid0(SALU_CYCLE_1)
	s_and_b32 vcc_lo, exec_lo, s7
	s_cbranch_vccz .LBB93_2712
; %bb.2710:
	s_cmp_eq_u32 s2, 29
	s_mov_b32 s0, -1
	s_cbranch_scc0 .LBB93_2712
; %bb.2711:
	s_wait_xcnt 0x0
	v_lshlrev_b32_e32 v5, 16, v1
	s_mov_b32 s0, 0
	s_mov_b32 s6, -1
	s_delay_alu instid0(VALU_DEP_1) | instskip(NEXT) | instid1(VALU_DEP_1)
	v_trunc_f32_e32 v5, v5
	v_mul_f32_e32 v9, 0x2f800000, v5
	s_delay_alu instid0(VALU_DEP_1) | instskip(NEXT) | instid1(VALU_DEP_1)
	v_floor_f32_e32 v9, v9
	v_fmamk_f32 v5, v9, 0xcf800000, v5
	v_cvt_u32_f32_e32 v11, v9
	s_delay_alu instid0(VALU_DEP_2)
	v_cvt_u32_f32_e32 v10, v5
	global_store_b64 v[6:7], v[10:11], off
.LBB93_2712:
	s_mov_b32 s7, 0
.LBB93_2713:
	s_delay_alu instid0(SALU_CYCLE_1)
	s_and_b32 vcc_lo, exec_lo, s7
	s_cbranch_vccz .LBB93_2729
; %bb.2714:
	s_cmp_lt_i32 s2, 27
	s_mov_b32 s6, -1
	s_cbranch_scc1 .LBB93_2720
; %bb.2715:
	s_cmp_gt_i32 s2, 27
	s_cbranch_scc0 .LBB93_2717
; %bb.2716:
	s_wait_xcnt 0x0
	v_lshlrev_b32_e32 v5, 16, v1
	s_mov_b32 s6, 0
	s_delay_alu instid0(VALU_DEP_1)
	v_cvt_u32_f32_e32 v5, v5
	global_store_b32 v[6:7], v5, off
.LBB93_2717:
	s_and_not1_b32 vcc_lo, exec_lo, s6
	s_cbranch_vccnz .LBB93_2719
; %bb.2718:
	s_wait_xcnt 0x0
	v_lshlrev_b32_e32 v5, 16, v1
	s_delay_alu instid0(VALU_DEP_1)
	v_cvt_u32_f32_e32 v5, v5
	global_store_b16 v[6:7], v5, off
.LBB93_2719:
	s_mov_b32 s6, 0
.LBB93_2720:
	s_delay_alu instid0(SALU_CYCLE_1)
	s_and_not1_b32 vcc_lo, exec_lo, s6
	s_cbranch_vccnz .LBB93_2728
; %bb.2721:
	s_wait_xcnt 0x0
	v_dual_mov_b32 v11, 0x80 :: v_dual_lshlrev_b32 v10, 16, v1
	s_mov_b32 s6, exec_lo
	s_delay_alu instid0(VALU_DEP_1) | instskip(NEXT) | instid1(VALU_DEP_1)
	v_and_b32_e32 v9, 0x7fffffff, v10
	v_cmpx_gt_u32_e32 0x43800000, v9
	s_cbranch_execz .LBB93_2727
; %bb.2722:
	v_and_b32_e32 v5, 0xffff, v1
	v_cmp_lt_u32_e32 vcc_lo, 0x3bffffff, v9
	s_mov_b32 s7, 0
                                        ; implicit-def: $vgpr9
	s_and_saveexec_b32 s8, vcc_lo
	s_delay_alu instid0(SALU_CYCLE_1)
	s_xor_b32 s8, exec_lo, s8
	s_cbranch_execz .LBB93_3176
; %bb.2723:
	v_bfe_u32 v9, v5, 4, 1
	s_mov_b32 s7, exec_lo
	s_delay_alu instid0(VALU_DEP_1) | instskip(NEXT) | instid1(VALU_DEP_1)
	v_add3_u32 v9, v10, v9, 0x487ffff
                                        ; implicit-def: $vgpr10
	v_lshrrev_b32_e32 v9, 20, v9
	s_and_not1_saveexec_b32 s8, s8
	s_cbranch_execnz .LBB93_3177
.LBB93_2724:
	s_or_b32 exec_lo, exec_lo, s8
	v_mov_b32_e32 v11, 0
	s_and_saveexec_b32 s8, s7
.LBB93_2725:
	v_lshrrev_b32_e32 v5, 8, v5
	s_delay_alu instid0(VALU_DEP_1)
	v_and_or_b32 v11, 0x80, v5, v9
.LBB93_2726:
	s_or_b32 exec_lo, exec_lo, s8
.LBB93_2727:
	s_delay_alu instid0(SALU_CYCLE_1)
	s_or_b32 exec_lo, exec_lo, s6
	global_store_b8 v[6:7], v11, off
.LBB93_2728:
	s_mov_b32 s6, -1
.LBB93_2729:
	s_mov_b32 s7, 0
.LBB93_2730:
	s_delay_alu instid0(SALU_CYCLE_1)
	s_and_b32 vcc_lo, exec_lo, s7
	s_cbranch_vccz .LBB93_2770
; %bb.2731:
	s_cmp_gt_i32 s2, 22
	s_mov_b32 s3, -1
	s_cbranch_scc0 .LBB93_2763
; %bb.2732:
	s_cmp_lt_i32 s2, 24
	s_cbranch_scc1 .LBB93_2752
; %bb.2733:
	s_cmp_gt_i32 s2, 24
	s_cbranch_scc0 .LBB93_2741
; %bb.2734:
	s_wait_xcnt 0x0
	v_dual_mov_b32 v11, 0x80 :: v_dual_lshlrev_b32 v10, 16, v1
	s_mov_b32 s3, exec_lo
	s_delay_alu instid0(VALU_DEP_1) | instskip(NEXT) | instid1(VALU_DEP_1)
	v_and_b32_e32 v9, 0x7fffffff, v10
	v_cmpx_gt_u32_e32 0x47800000, v9
	s_cbranch_execz .LBB93_2740
; %bb.2735:
	v_and_b32_e32 v5, 0xffff, v1
	v_cmp_lt_u32_e32 vcc_lo, 0x37ffffff, v9
	s_mov_b32 s6, 0
                                        ; implicit-def: $vgpr9
	s_and_saveexec_b32 s7, vcc_lo
	s_delay_alu instid0(SALU_CYCLE_1)
	s_xor_b32 s7, exec_lo, s7
	s_cbranch_execz .LBB93_3179
; %bb.2736:
	v_bfe_u32 v9, v5, 5, 1
	s_mov_b32 s6, exec_lo
	s_delay_alu instid0(VALU_DEP_1) | instskip(NEXT) | instid1(VALU_DEP_1)
	v_add3_u32 v9, v10, v9, 0x88fffff
                                        ; implicit-def: $vgpr10
	v_lshrrev_b32_e32 v9, 21, v9
	s_and_not1_saveexec_b32 s7, s7
	s_cbranch_execnz .LBB93_3180
.LBB93_2737:
	s_or_b32 exec_lo, exec_lo, s7
	v_mov_b32_e32 v11, 0
	s_and_saveexec_b32 s7, s6
.LBB93_2738:
	v_lshrrev_b32_e32 v5, 8, v5
	s_delay_alu instid0(VALU_DEP_1)
	v_and_or_b32 v11, 0x80, v5, v9
.LBB93_2739:
	s_or_b32 exec_lo, exec_lo, s7
.LBB93_2740:
	s_delay_alu instid0(SALU_CYCLE_1)
	s_or_b32 exec_lo, exec_lo, s3
	s_mov_b32 s3, 0
	global_store_b8 v[6:7], v11, off
.LBB93_2741:
	s_and_b32 vcc_lo, exec_lo, s3
	s_cbranch_vccz .LBB93_2751
; %bb.2742:
	s_wait_xcnt 0x0
	v_lshlrev_b32_e32 v10, 16, v1
	v_and_b32_e32 v5, 0xffff, v1
	s_mov_b32 s3, exec_lo
                                        ; implicit-def: $vgpr9
	s_delay_alu instid0(VALU_DEP_2) | instskip(NEXT) | instid1(VALU_DEP_1)
	v_and_b32_e32 v11, 0x7fffffff, v10
	v_cmpx_gt_u32_e32 0x43f00000, v11
	s_xor_b32 s3, exec_lo, s3
	s_cbranch_execz .LBB93_2748
; %bb.2743:
	s_mov_b32 s6, exec_lo
                                        ; implicit-def: $vgpr9
	v_cmpx_lt_u32_e32 0x3c7fffff, v11
	s_xor_b32 s6, exec_lo, s6
; %bb.2744:
	v_bfe_u32 v9, v5, 4, 1
	s_delay_alu instid0(VALU_DEP_1) | instskip(NEXT) | instid1(VALU_DEP_1)
	v_add3_u32 v9, v10, v9, 0x407ffff
	v_and_b32_e32 v10, 0xff00000, v9
	v_lshrrev_b32_e32 v9, 20, v9
	s_delay_alu instid0(VALU_DEP_2) | instskip(NEXT) | instid1(VALU_DEP_2)
	v_cmp_ne_u32_e32 vcc_lo, 0x7f00000, v10
                                        ; implicit-def: $vgpr10
	v_cndmask_b32_e32 v9, 0x7e, v9, vcc_lo
; %bb.2745:
	s_and_not1_saveexec_b32 s6, s6
; %bb.2746:
	v_add_f32_e64 v9, 0x46800000, |v10|
; %bb.2747:
	s_or_b32 exec_lo, exec_lo, s6
                                        ; implicit-def: $vgpr11
.LBB93_2748:
	s_and_not1_saveexec_b32 s3, s3
; %bb.2749:
	v_mov_b32_e32 v9, 0x7f
	v_cmp_lt_u32_e32 vcc_lo, 0x7f800000, v11
	s_delay_alu instid0(VALU_DEP_2)
	v_cndmask_b32_e32 v9, 0x7e, v9, vcc_lo
; %bb.2750:
	s_or_b32 exec_lo, exec_lo, s3
	v_lshrrev_b32_e32 v5, 8, v5
	s_delay_alu instid0(VALU_DEP_1)
	v_and_or_b32 v5, 0x80, v5, v9
	global_store_b8 v[6:7], v5, off
.LBB93_2751:
	s_mov_b32 s3, 0
.LBB93_2752:
	s_delay_alu instid0(SALU_CYCLE_1)
	s_and_not1_b32 vcc_lo, exec_lo, s3
	s_cbranch_vccnz .LBB93_2762
; %bb.2753:
	s_wait_xcnt 0x0
	v_lshlrev_b32_e32 v10, 16, v1
	v_and_b32_e32 v5, 0xffff, v1
	s_mov_b32 s3, exec_lo
                                        ; implicit-def: $vgpr9
	s_delay_alu instid0(VALU_DEP_2) | instskip(NEXT) | instid1(VALU_DEP_1)
	v_and_b32_e32 v11, 0x7fffffff, v10
	v_cmpx_gt_u32_e32 0x47800000, v11
	s_xor_b32 s3, exec_lo, s3
	s_cbranch_execz .LBB93_2759
; %bb.2754:
	s_mov_b32 s6, exec_lo
                                        ; implicit-def: $vgpr9
	v_cmpx_lt_u32_e32 0x387fffff, v11
	s_xor_b32 s6, exec_lo, s6
; %bb.2755:
	v_bfe_u32 v9, v5, 5, 1
	s_delay_alu instid0(VALU_DEP_1) | instskip(NEXT) | instid1(VALU_DEP_1)
	v_add3_u32 v9, v10, v9, 0x80fffff
                                        ; implicit-def: $vgpr10
	v_lshrrev_b32_e32 v9, 21, v9
; %bb.2756:
	s_and_not1_saveexec_b32 s6, s6
; %bb.2757:
	v_add_f32_e64 v9, 0x43000000, |v10|
; %bb.2758:
	s_or_b32 exec_lo, exec_lo, s6
                                        ; implicit-def: $vgpr11
.LBB93_2759:
	s_and_not1_saveexec_b32 s3, s3
; %bb.2760:
	v_mov_b32_e32 v9, 0x7f
	v_cmp_lt_u32_e32 vcc_lo, 0x7f800000, v11
	s_delay_alu instid0(VALU_DEP_2)
	v_cndmask_b32_e32 v9, 0x7c, v9, vcc_lo
; %bb.2761:
	s_or_b32 exec_lo, exec_lo, s3
	v_lshrrev_b32_e32 v5, 8, v5
	s_delay_alu instid0(VALU_DEP_1)
	v_and_or_b32 v5, 0x80, v5, v9
	global_store_b8 v[6:7], v5, off
.LBB93_2762:
	s_mov_b32 s3, 0
	s_mov_b32 s6, -1
.LBB93_2763:
	s_and_not1_b32 vcc_lo, exec_lo, s3
	s_mov_b32 s3, 0
	s_cbranch_vccnz .LBB93_2770
; %bb.2764:
	s_cmp_gt_i32 s2, 14
	s_mov_b32 s3, -1
	s_cbranch_scc0 .LBB93_2768
; %bb.2765:
	s_cmp_eq_u32 s2, 15
	s_mov_b32 s0, -1
	s_cbranch_scc0 .LBB93_2767
; %bb.2766:
	s_mov_b32 s0, 0
	s_mov_b32 s6, -1
	global_store_b16 v[6:7], v1, off
.LBB93_2767:
	s_mov_b32 s3, 0
.LBB93_2768:
	s_delay_alu instid0(SALU_CYCLE_1)
	s_and_b32 vcc_lo, exec_lo, s3
	s_mov_b32 s3, 0
	s_cbranch_vccz .LBB93_2770
; %bb.2769:
	s_cmp_lg_u32 s2, 11
	s_mov_b32 s3, -1
	s_cselect_b32 s0, -1, 0
.LBB93_2770:
	s_delay_alu instid0(SALU_CYCLE_1)
	s_and_b32 vcc_lo, exec_lo, s0
	s_cbranch_vccnz .LBB93_3178
; %bb.2771:
	s_and_not1_b32 vcc_lo, exec_lo, s3
	s_cbranch_vccnz .LBB93_2773
.LBB93_2772:
	s_wait_xcnt 0x0
	v_and_b32_e32 v5, 0x7fff, v1
	s_mov_b32 s6, -1
	s_delay_alu instid0(VALU_DEP_1)
	v_cmp_ne_u16_e32 vcc_lo, 0, v5
	v_cndmask_b32_e64 v5, 0, 1, vcc_lo
	global_store_b8 v[6:7], v5, off
.LBB93_2773:
	s_mov_b32 s0, 0
	s_branch .LBB93_2775
.LBB93_2774:
	s_mov_b32 s0, -1
	s_mov_b32 s6, 0
.LBB93_2775:
	s_and_b32 vcc_lo, exec_lo, s0
	s_cbranch_vccz .LBB93_2814
; %bb.2776:
	s_and_b32 s0, 0xffff, s1
	s_mov_b32 s2, -1
	s_cmp_lt_i32 s0, 5
	s_cbranch_scc1 .LBB93_2797
; %bb.2777:
	s_cmp_lt_i32 s0, 8
	s_cbranch_scc1 .LBB93_2787
; %bb.2778:
	;; [unrolled: 3-line block ×3, first 2 shown]
	s_cmp_gt_i32 s0, 9
	s_cbranch_scc0 .LBB93_2781
; %bb.2780:
	s_wait_xcnt 0x0
	v_dual_mov_b32 v16, 0 :: v_dual_lshlrev_b32 v5, 16, v1
	s_mov_b32 s2, 0
	s_delay_alu instid0(VALU_DEP_1) | instskip(NEXT) | instid1(VALU_DEP_2)
	v_cvt_f64_f32_e32 v[14:15], v5
	v_mov_b32_e32 v17, v16
	global_store_b128 v[6:7], v[14:17], off
.LBB93_2781:
	s_and_not1_b32 vcc_lo, exec_lo, s2
	s_cbranch_vccnz .LBB93_2783
; %bb.2782:
	s_wait_xcnt 0x0
	v_dual_mov_b32 v11, 0 :: v_dual_lshlrev_b32 v10, 16, v1
	global_store_b64 v[6:7], v[10:11], off
.LBB93_2783:
	s_mov_b32 s2, 0
.LBB93_2784:
	s_delay_alu instid0(SALU_CYCLE_1)
	s_and_not1_b32 vcc_lo, exec_lo, s2
	s_cbranch_vccnz .LBB93_2786
; %bb.2785:
	s_wait_xcnt 0x0
	v_lshlrev_b32_e32 v5, 16, v1
	s_delay_alu instid0(VALU_DEP_1) | instskip(NEXT) | instid1(VALU_DEP_1)
	v_cvt_f16_f32_e32 v5, v5
	v_and_b32_e32 v5, 0xffff, v5
	global_store_b32 v[6:7], v5, off
.LBB93_2786:
	s_mov_b32 s2, 0
.LBB93_2787:
	s_delay_alu instid0(SALU_CYCLE_1)
	s_and_not1_b32 vcc_lo, exec_lo, s2
	s_cbranch_vccnz .LBB93_2796
; %bb.2788:
	s_cmp_lt_i32 s0, 6
	s_mov_b32 s2, -1
	s_cbranch_scc1 .LBB93_2794
; %bb.2789:
	s_cmp_gt_i32 s0, 6
	s_cbranch_scc0 .LBB93_2791
; %bb.2790:
	s_wait_xcnt 0x0
	v_lshlrev_b32_e32 v5, 16, v1
	s_mov_b32 s2, 0
	s_delay_alu instid0(VALU_DEP_1)
	v_cvt_f64_f32_e32 v[10:11], v5
	global_store_b64 v[6:7], v[10:11], off
.LBB93_2791:
	s_and_not1_b32 vcc_lo, exec_lo, s2
	s_cbranch_vccnz .LBB93_2793
; %bb.2792:
	s_wait_xcnt 0x0
	v_lshlrev_b32_e32 v5, 16, v1
	global_store_b32 v[6:7], v5, off
.LBB93_2793:
	s_mov_b32 s2, 0
.LBB93_2794:
	s_delay_alu instid0(SALU_CYCLE_1)
	s_and_not1_b32 vcc_lo, exec_lo, s2
	s_cbranch_vccnz .LBB93_2796
; %bb.2795:
	s_wait_xcnt 0x0
	v_lshlrev_b32_e32 v5, 16, v1
	s_delay_alu instid0(VALU_DEP_1)
	v_cvt_f16_f32_e32 v5, v5
	global_store_b16 v[6:7], v5, off
.LBB93_2796:
	s_mov_b32 s2, 0
.LBB93_2797:
	s_delay_alu instid0(SALU_CYCLE_1)
	s_and_not1_b32 vcc_lo, exec_lo, s2
	s_cbranch_vccnz .LBB93_2813
; %bb.2798:
	s_cmp_lt_i32 s0, 2
	s_mov_b32 s2, -1
	s_cbranch_scc1 .LBB93_2808
; %bb.2799:
	s_cmp_lt_i32 s0, 3
	s_cbranch_scc1 .LBB93_2805
; %bb.2800:
	s_cmp_gt_i32 s0, 3
	s_cbranch_scc0 .LBB93_2802
; %bb.2801:
	s_wait_xcnt 0x0
	v_lshlrev_b32_e32 v5, 16, v1
	s_mov_b32 s2, 0
	s_delay_alu instid0(VALU_DEP_1) | instskip(NEXT) | instid1(VALU_DEP_1)
	v_trunc_f32_e32 v5, v5
	v_mul_f32_e64 v9, 0x2f800000, |v5|
	v_ashrrev_i32_e32 v10, 31, v5
	s_delay_alu instid0(VALU_DEP_2) | instskip(NEXT) | instid1(VALU_DEP_1)
	v_floor_f32_e32 v9, v9
	v_fma_f32 v11, 0xcf800000, v9, |v5|
	v_cvt_u32_f32_e32 v5, v9
	s_delay_alu instid0(VALU_DEP_2) | instskip(NEXT) | instid1(VALU_DEP_2)
	v_cvt_u32_f32_e32 v9, v11
	v_dual_mov_b32 v11, v10 :: v_dual_bitop2_b32 v15, v5, v10 bitop3:0x14
	s_delay_alu instid0(VALU_DEP_2) | instskip(NEXT) | instid1(VALU_DEP_1)
	v_xor_b32_e32 v14, v9, v10
	v_sub_nc_u64_e32 v[10:11], v[14:15], v[10:11]
	global_store_b64 v[6:7], v[10:11], off
.LBB93_2802:
	s_and_not1_b32 vcc_lo, exec_lo, s2
	s_cbranch_vccnz .LBB93_2804
; %bb.2803:
	s_wait_xcnt 0x0
	v_lshlrev_b32_e32 v5, 16, v1
	s_delay_alu instid0(VALU_DEP_1)
	v_cvt_i32_f32_e32 v5, v5
	global_store_b32 v[6:7], v5, off
.LBB93_2804:
	s_mov_b32 s2, 0
.LBB93_2805:
	s_delay_alu instid0(SALU_CYCLE_1)
	s_and_not1_b32 vcc_lo, exec_lo, s2
	s_cbranch_vccnz .LBB93_2807
; %bb.2806:
	s_wait_xcnt 0x0
	v_lshlrev_b32_e32 v5, 16, v1
	s_delay_alu instid0(VALU_DEP_1)
	v_cvt_i32_f32_e32 v5, v5
	global_store_b16 v[6:7], v5, off
.LBB93_2807:
	s_mov_b32 s2, 0
.LBB93_2808:
	s_delay_alu instid0(SALU_CYCLE_1)
	s_and_not1_b32 vcc_lo, exec_lo, s2
	s_cbranch_vccnz .LBB93_2813
; %bb.2809:
	s_wait_xcnt 0x0
	v_lshlrev_b32_e32 v1, 16, v1
	s_cmp_gt_i32 s0, 0
	s_mov_b32 s0, -1
	s_cbranch_scc0 .LBB93_2811
; %bb.2810:
	s_delay_alu instid0(VALU_DEP_1)
	v_cvt_i32_f32_e32 v5, v1
	s_mov_b32 s0, 0
	global_store_b8 v[6:7], v5, off
.LBB93_2811:
	s_and_not1_b32 vcc_lo, exec_lo, s0
	s_cbranch_vccnz .LBB93_2813
; %bb.2812:
	v_trunc_f32_e32 v1, v1
	s_wait_xcnt 0x0
	s_delay_alu instid0(VALU_DEP_1) | instskip(NEXT) | instid1(VALU_DEP_1)
	v_mul_f32_e64 v5, 0x2f800000, |v1|
	v_floor_f32_e32 v5, v5
	s_delay_alu instid0(VALU_DEP_1) | instskip(SKIP_1) | instid1(VALU_DEP_2)
	v_fma_f32 v5, 0xcf800000, v5, |v1|
	v_ashrrev_i32_e32 v1, 31, v1
	v_cvt_u32_f32_e32 v5, v5
	s_delay_alu instid0(VALU_DEP_1) | instskip(NEXT) | instid1(VALU_DEP_1)
	v_xor_b32_e32 v5, v5, v1
	v_sub_nc_u32_e32 v1, v5, v1
	global_store_b8 v[6:7], v1, off
.LBB93_2813:
	s_mov_b32 s6, -1
.LBB93_2814:
	s_delay_alu instid0(SALU_CYCLE_1)
	s_and_not1_b32 vcc_lo, exec_lo, s6
	s_cbranch_vccnz .LBB93_3129
; %bb.2815:
	s_wait_xcnt 0x0
	v_bfe_u32 v1, v3, 16, 1
	v_cmp_o_f32_e32 vcc_lo, v3, v3
	s_and_b32 s2, 0xffff, s1
	s_delay_alu instid0(SALU_CYCLE_1) | instskip(NEXT) | instid1(VALU_DEP_2)
	s_cmp_lt_i32 s2, 11
	v_add3_u32 v1, v3, v1, 0x7fff
	s_delay_alu instid0(VALU_DEP_1) | instskip(NEXT) | instid1(VALU_DEP_1)
	v_dual_mov_b32 v5, 0 :: v_dual_lshrrev_b32 v1, 16, v1
	v_add_nc_u64_e32 v[4:5], s[4:5], v[4:5]
	s_delay_alu instid0(VALU_DEP_2)
	v_cndmask_b32_e32 v1, 0x7fc0, v1, vcc_lo
	s_cbranch_scc1 .LBB93_2893
; %bb.2816:
	s_mov_b32 s7, -1
	s_mov_b32 s3, 0
	s_cmp_gt_i32 s2, 25
	s_mov_b32 s6, 0
	s_mov_b32 s0, 0
	s_cbranch_scc0 .LBB93_2849
; %bb.2817:
	s_cmp_gt_i32 s2, 28
	s_cbranch_scc0 .LBB93_2832
; %bb.2818:
	s_cmp_gt_i32 s2, 43
	;; [unrolled: 3-line block ×3, first 2 shown]
	s_cbranch_scc0 .LBB93_2822
; %bb.2820:
	s_mov_b32 s0, -1
	s_mov_b32 s7, 0
	s_cmp_eq_u32 s2, 46
	s_cbranch_scc0 .LBB93_2822
; %bb.2821:
	v_and_b32_e32 v3, 0xffff, v1
	s_mov_b32 s0, 0
	s_mov_b32 s6, -1
	global_store_b32 v[4:5], v3, off
.LBB93_2822:
	s_and_b32 vcc_lo, exec_lo, s7
	s_cbranch_vccz .LBB93_2827
; %bb.2823:
	s_cmp_eq_u32 s2, 44
	s_mov_b32 s0, -1
	s_cbranch_scc0 .LBB93_2827
; %bb.2824:
	s_wait_xcnt 0x0
	v_and_b32_e32 v3, 0xffff, v1
	v_mov_b32_e32 v6, 0xff
	s_mov_b32 s6, exec_lo
	s_delay_alu instid0(VALU_DEP_2) | instskip(NEXT) | instid1(VALU_DEP_1)
	v_bfe_u32 v7, v3, 7, 8
	v_cmpx_ne_u32_e32 0xff, v7
	s_cbranch_execz .LBB93_2826
; %bb.2825:
	v_dual_lshlrev_b32 v6, 16, v3 :: v_dual_bitop2_b32 v9, 64, v3 bitop3:0x40
	v_lshrrev_b32_e32 v3, 7, v3
	s_delay_alu instid0(VALU_DEP_2) | instskip(NEXT) | instid1(VALU_DEP_3)
	v_and_or_b32 v6, 0x3f0000, v6, v7
	v_cmp_ne_u32_e32 vcc_lo, 0, v9
	s_delay_alu instid0(VALU_DEP_2) | instskip(SKIP_1) | instid1(SALU_CYCLE_1)
	v_cmp_ne_u32_e64 s0, 0, v6
	s_and_b32 s0, vcc_lo, s0
	v_cndmask_b32_e64 v6, 0, 1, s0
	s_delay_alu instid0(VALU_DEP_1)
	v_add_nc_u32_e32 v6, v3, v6
.LBB93_2826:
	s_or_b32 exec_lo, exec_lo, s6
	s_mov_b32 s0, 0
	s_mov_b32 s6, -1
	global_store_b8 v[4:5], v6, off
.LBB93_2827:
	s_mov_b32 s7, 0
.LBB93_2828:
	s_delay_alu instid0(SALU_CYCLE_1)
	s_and_b32 vcc_lo, exec_lo, s7
	s_cbranch_vccz .LBB93_2831
; %bb.2829:
	s_cmp_eq_u32 s2, 29
	s_mov_b32 s0, -1
	s_cbranch_scc0 .LBB93_2831
; %bb.2830:
	s_wait_xcnt 0x0
	v_lshlrev_b32_e32 v3, 16, v1
	s_mov_b32 s0, 0
	s_mov_b32 s6, -1
	s_delay_alu instid0(VALU_DEP_1) | instskip(NEXT) | instid1(VALU_DEP_1)
	v_trunc_f32_e32 v3, v3
	v_mul_f32_e32 v6, 0x2f800000, v3
	s_delay_alu instid0(VALU_DEP_1) | instskip(NEXT) | instid1(VALU_DEP_1)
	v_floor_f32_e32 v6, v6
	v_fmamk_f32 v3, v6, 0xcf800000, v3
	v_cvt_u32_f32_e32 v7, v6
	s_delay_alu instid0(VALU_DEP_2)
	v_cvt_u32_f32_e32 v6, v3
	global_store_b64 v[4:5], v[6:7], off
.LBB93_2831:
	s_mov_b32 s7, 0
.LBB93_2832:
	s_delay_alu instid0(SALU_CYCLE_1)
	s_and_b32 vcc_lo, exec_lo, s7
	s_cbranch_vccz .LBB93_2848
; %bb.2833:
	s_cmp_lt_i32 s2, 27
	s_mov_b32 s6, -1
	s_cbranch_scc1 .LBB93_2839
; %bb.2834:
	s_cmp_gt_i32 s2, 27
	s_cbranch_scc0 .LBB93_2836
; %bb.2835:
	s_wait_xcnt 0x0
	v_lshlrev_b32_e32 v3, 16, v1
	s_mov_b32 s6, 0
	s_delay_alu instid0(VALU_DEP_1)
	v_cvt_u32_f32_e32 v3, v3
	global_store_b32 v[4:5], v3, off
.LBB93_2836:
	s_and_not1_b32 vcc_lo, exec_lo, s6
	s_cbranch_vccnz .LBB93_2838
; %bb.2837:
	s_wait_xcnt 0x0
	v_lshlrev_b32_e32 v3, 16, v1
	s_delay_alu instid0(VALU_DEP_1)
	v_cvt_u32_f32_e32 v3, v3
	global_store_b16 v[4:5], v3, off
.LBB93_2838:
	s_mov_b32 s6, 0
.LBB93_2839:
	s_delay_alu instid0(SALU_CYCLE_1)
	s_and_not1_b32 vcc_lo, exec_lo, s6
	s_cbranch_vccnz .LBB93_2847
; %bb.2840:
	s_wait_xcnt 0x0
	v_lshlrev_b32_e32 v7, 16, v1
	v_mov_b32_e32 v9, 0x80
	s_mov_b32 s6, exec_lo
	s_delay_alu instid0(VALU_DEP_2) | instskip(NEXT) | instid1(VALU_DEP_1)
	v_and_b32_e32 v6, 0x7fffffff, v7
	v_cmpx_gt_u32_e32 0x43800000, v6
	s_cbranch_execz .LBB93_2846
; %bb.2841:
	v_and_b32_e32 v3, 0xffff, v1
	v_cmp_lt_u32_e32 vcc_lo, 0x3bffffff, v6
	s_mov_b32 s7, 0
                                        ; implicit-def: $vgpr6
	s_and_saveexec_b32 s8, vcc_lo
	s_delay_alu instid0(SALU_CYCLE_1)
	s_xor_b32 s8, exec_lo, s8
	s_cbranch_execz .LBB93_3181
; %bb.2842:
	v_bfe_u32 v6, v3, 4, 1
	s_mov_b32 s7, exec_lo
	s_delay_alu instid0(VALU_DEP_1) | instskip(NEXT) | instid1(VALU_DEP_1)
	v_add3_u32 v6, v7, v6, 0x487ffff
                                        ; implicit-def: $vgpr7
	v_lshrrev_b32_e32 v6, 20, v6
	s_and_not1_saveexec_b32 s8, s8
	s_cbranch_execnz .LBB93_3182
.LBB93_2843:
	s_or_b32 exec_lo, exec_lo, s8
	v_mov_b32_e32 v9, 0
	s_and_saveexec_b32 s8, s7
.LBB93_2844:
	v_lshrrev_b32_e32 v3, 8, v3
	s_delay_alu instid0(VALU_DEP_1)
	v_and_or_b32 v9, 0x80, v3, v6
.LBB93_2845:
	s_or_b32 exec_lo, exec_lo, s8
.LBB93_2846:
	s_delay_alu instid0(SALU_CYCLE_1)
	s_or_b32 exec_lo, exec_lo, s6
	global_store_b8 v[4:5], v9, off
.LBB93_2847:
	s_mov_b32 s6, -1
.LBB93_2848:
	s_mov_b32 s7, 0
.LBB93_2849:
	s_delay_alu instid0(SALU_CYCLE_1)
	s_and_b32 vcc_lo, exec_lo, s7
	s_cbranch_vccz .LBB93_2889
; %bb.2850:
	s_cmp_gt_i32 s2, 22
	s_mov_b32 s3, -1
	s_cbranch_scc0 .LBB93_2882
; %bb.2851:
	s_cmp_lt_i32 s2, 24
	s_cbranch_scc1 .LBB93_2871
; %bb.2852:
	s_cmp_gt_i32 s2, 24
	s_cbranch_scc0 .LBB93_2860
; %bb.2853:
	s_wait_xcnt 0x0
	v_lshlrev_b32_e32 v7, 16, v1
	v_mov_b32_e32 v9, 0x80
	s_mov_b32 s3, exec_lo
	s_delay_alu instid0(VALU_DEP_2) | instskip(NEXT) | instid1(VALU_DEP_1)
	v_and_b32_e32 v6, 0x7fffffff, v7
	v_cmpx_gt_u32_e32 0x47800000, v6
	s_cbranch_execz .LBB93_2859
; %bb.2854:
	v_and_b32_e32 v3, 0xffff, v1
	v_cmp_lt_u32_e32 vcc_lo, 0x37ffffff, v6
	s_mov_b32 s6, 0
                                        ; implicit-def: $vgpr6
	s_and_saveexec_b32 s7, vcc_lo
	s_delay_alu instid0(SALU_CYCLE_1)
	s_xor_b32 s7, exec_lo, s7
	s_cbranch_execz .LBB93_3184
; %bb.2855:
	v_bfe_u32 v6, v3, 5, 1
	s_mov_b32 s6, exec_lo
	s_delay_alu instid0(VALU_DEP_1) | instskip(NEXT) | instid1(VALU_DEP_1)
	v_add3_u32 v6, v7, v6, 0x88fffff
                                        ; implicit-def: $vgpr7
	v_lshrrev_b32_e32 v6, 21, v6
	s_and_not1_saveexec_b32 s7, s7
	s_cbranch_execnz .LBB93_3185
.LBB93_2856:
	s_or_b32 exec_lo, exec_lo, s7
	v_mov_b32_e32 v9, 0
	s_and_saveexec_b32 s7, s6
.LBB93_2857:
	v_lshrrev_b32_e32 v3, 8, v3
	s_delay_alu instid0(VALU_DEP_1)
	v_and_or_b32 v9, 0x80, v3, v6
.LBB93_2858:
	s_or_b32 exec_lo, exec_lo, s7
.LBB93_2859:
	s_delay_alu instid0(SALU_CYCLE_1)
	s_or_b32 exec_lo, exec_lo, s3
	s_mov_b32 s3, 0
	global_store_b8 v[4:5], v9, off
.LBB93_2860:
	s_and_b32 vcc_lo, exec_lo, s3
	s_cbranch_vccz .LBB93_2870
; %bb.2861:
	s_wait_xcnt 0x0
	v_lshlrev_b32_e32 v7, 16, v1
	v_and_b32_e32 v3, 0xffff, v1
	s_mov_b32 s3, exec_lo
                                        ; implicit-def: $vgpr6
	s_delay_alu instid0(VALU_DEP_2) | instskip(NEXT) | instid1(VALU_DEP_1)
	v_and_b32_e32 v9, 0x7fffffff, v7
	v_cmpx_gt_u32_e32 0x43f00000, v9
	s_xor_b32 s3, exec_lo, s3
	s_cbranch_execz .LBB93_2867
; %bb.2862:
	s_mov_b32 s6, exec_lo
                                        ; implicit-def: $vgpr6
	v_cmpx_lt_u32_e32 0x3c7fffff, v9
	s_xor_b32 s6, exec_lo, s6
; %bb.2863:
	v_bfe_u32 v6, v3, 4, 1
	s_delay_alu instid0(VALU_DEP_1) | instskip(NEXT) | instid1(VALU_DEP_1)
	v_add3_u32 v6, v7, v6, 0x407ffff
	v_and_b32_e32 v7, 0xff00000, v6
	v_lshrrev_b32_e32 v6, 20, v6
	s_delay_alu instid0(VALU_DEP_2) | instskip(NEXT) | instid1(VALU_DEP_2)
	v_cmp_ne_u32_e32 vcc_lo, 0x7f00000, v7
                                        ; implicit-def: $vgpr7
	v_cndmask_b32_e32 v6, 0x7e, v6, vcc_lo
; %bb.2864:
	s_and_not1_saveexec_b32 s6, s6
; %bb.2865:
	v_add_f32_e64 v6, 0x46800000, |v7|
; %bb.2866:
	s_or_b32 exec_lo, exec_lo, s6
                                        ; implicit-def: $vgpr9
.LBB93_2867:
	s_and_not1_saveexec_b32 s3, s3
; %bb.2868:
	v_mov_b32_e32 v6, 0x7f
	v_cmp_lt_u32_e32 vcc_lo, 0x7f800000, v9
	s_delay_alu instid0(VALU_DEP_2)
	v_cndmask_b32_e32 v6, 0x7e, v6, vcc_lo
; %bb.2869:
	s_or_b32 exec_lo, exec_lo, s3
	v_lshrrev_b32_e32 v3, 8, v3
	s_delay_alu instid0(VALU_DEP_1)
	v_and_or_b32 v3, 0x80, v3, v6
	global_store_b8 v[4:5], v3, off
.LBB93_2870:
	s_mov_b32 s3, 0
.LBB93_2871:
	s_delay_alu instid0(SALU_CYCLE_1)
	s_and_not1_b32 vcc_lo, exec_lo, s3
	s_cbranch_vccnz .LBB93_2881
; %bb.2872:
	s_wait_xcnt 0x0
	v_lshlrev_b32_e32 v7, 16, v1
	v_and_b32_e32 v3, 0xffff, v1
	s_mov_b32 s3, exec_lo
                                        ; implicit-def: $vgpr6
	s_delay_alu instid0(VALU_DEP_2) | instskip(NEXT) | instid1(VALU_DEP_1)
	v_and_b32_e32 v9, 0x7fffffff, v7
	v_cmpx_gt_u32_e32 0x47800000, v9
	s_xor_b32 s3, exec_lo, s3
	s_cbranch_execz .LBB93_2878
; %bb.2873:
	s_mov_b32 s6, exec_lo
                                        ; implicit-def: $vgpr6
	v_cmpx_lt_u32_e32 0x387fffff, v9
	s_xor_b32 s6, exec_lo, s6
; %bb.2874:
	v_bfe_u32 v6, v3, 5, 1
	s_delay_alu instid0(VALU_DEP_1) | instskip(NEXT) | instid1(VALU_DEP_1)
	v_add3_u32 v6, v7, v6, 0x80fffff
                                        ; implicit-def: $vgpr7
	v_lshrrev_b32_e32 v6, 21, v6
; %bb.2875:
	s_and_not1_saveexec_b32 s6, s6
; %bb.2876:
	v_add_f32_e64 v6, 0x43000000, |v7|
; %bb.2877:
	s_or_b32 exec_lo, exec_lo, s6
                                        ; implicit-def: $vgpr9
.LBB93_2878:
	s_and_not1_saveexec_b32 s3, s3
; %bb.2879:
	v_mov_b32_e32 v6, 0x7f
	v_cmp_lt_u32_e32 vcc_lo, 0x7f800000, v9
	s_delay_alu instid0(VALU_DEP_2)
	v_cndmask_b32_e32 v6, 0x7c, v6, vcc_lo
; %bb.2880:
	s_or_b32 exec_lo, exec_lo, s3
	v_lshrrev_b32_e32 v3, 8, v3
	s_delay_alu instid0(VALU_DEP_1)
	v_and_or_b32 v3, 0x80, v3, v6
	global_store_b8 v[4:5], v3, off
.LBB93_2881:
	s_mov_b32 s3, 0
	s_mov_b32 s6, -1
.LBB93_2882:
	s_and_not1_b32 vcc_lo, exec_lo, s3
	s_mov_b32 s3, 0
	s_cbranch_vccnz .LBB93_2889
; %bb.2883:
	s_cmp_gt_i32 s2, 14
	s_mov_b32 s3, -1
	s_cbranch_scc0 .LBB93_2887
; %bb.2884:
	s_cmp_eq_u32 s2, 15
	s_mov_b32 s0, -1
	s_cbranch_scc0 .LBB93_2886
; %bb.2885:
	s_mov_b32 s0, 0
	s_mov_b32 s6, -1
	global_store_b16 v[4:5], v1, off
.LBB93_2886:
	s_mov_b32 s3, 0
.LBB93_2887:
	s_delay_alu instid0(SALU_CYCLE_1)
	s_and_b32 vcc_lo, exec_lo, s3
	s_mov_b32 s3, 0
	s_cbranch_vccz .LBB93_2889
; %bb.2888:
	s_cmp_lg_u32 s2, 11
	s_mov_b32 s3, -1
	s_cselect_b32 s0, -1, 0
.LBB93_2889:
	s_delay_alu instid0(SALU_CYCLE_1)
	s_and_b32 vcc_lo, exec_lo, s0
	s_cbranch_vccnz .LBB93_3183
; %bb.2890:
	s_and_not1_b32 vcc_lo, exec_lo, s3
	s_cbranch_vccnz .LBB93_2892
.LBB93_2891:
	s_wait_xcnt 0x0
	v_and_b32_e32 v3, 0x7fff, v1
	s_mov_b32 s6, -1
	s_delay_alu instid0(VALU_DEP_1)
	v_cmp_ne_u16_e32 vcc_lo, 0, v3
	v_cndmask_b32_e64 v3, 0, 1, vcc_lo
	global_store_b8 v[4:5], v3, off
.LBB93_2892:
	s_mov_b32 s0, 0
	s_branch .LBB93_2894
.LBB93_2893:
	s_mov_b32 s0, -1
	s_mov_b32 s6, 0
.LBB93_2894:
	s_and_b32 vcc_lo, exec_lo, s0
	s_cbranch_vccz .LBB93_2933
; %bb.2895:
	s_cmp_lt_i32 s2, 5
	s_mov_b32 s0, -1
	s_cbranch_scc1 .LBB93_2916
; %bb.2896:
	s_cmp_lt_i32 s2, 8
	s_cbranch_scc1 .LBB93_2906
; %bb.2897:
	s_cmp_lt_i32 s2, 9
	s_cbranch_scc1 .LBB93_2903
; %bb.2898:
	s_cmp_gt_i32 s2, 9
	s_cbranch_scc0 .LBB93_2900
; %bb.2899:
	s_wait_xcnt 0x0
	v_dual_mov_b32 v16, 0 :: v_dual_lshlrev_b32 v3, 16, v1
	s_mov_b32 s0, 0
	s_delay_alu instid0(VALU_DEP_1) | instskip(NEXT) | instid1(VALU_DEP_2)
	v_cvt_f64_f32_e32 v[14:15], v3
	v_mov_b32_e32 v17, v16
	global_store_b128 v[4:5], v[14:17], off
.LBB93_2900:
	s_and_not1_b32 vcc_lo, exec_lo, s0
	s_cbranch_vccnz .LBB93_2902
; %bb.2901:
	s_wait_xcnt 0x0
	v_dual_mov_b32 v7, 0 :: v_dual_lshlrev_b32 v6, 16, v1
	global_store_b64 v[4:5], v[6:7], off
.LBB93_2902:
	s_mov_b32 s0, 0
.LBB93_2903:
	s_delay_alu instid0(SALU_CYCLE_1)
	s_and_not1_b32 vcc_lo, exec_lo, s0
	s_cbranch_vccnz .LBB93_2905
; %bb.2904:
	s_wait_xcnt 0x0
	v_lshlrev_b32_e32 v3, 16, v1
	s_delay_alu instid0(VALU_DEP_1) | instskip(NEXT) | instid1(VALU_DEP_1)
	v_cvt_f16_f32_e32 v3, v3
	v_and_b32_e32 v3, 0xffff, v3
	global_store_b32 v[4:5], v3, off
.LBB93_2905:
	s_mov_b32 s0, 0
.LBB93_2906:
	s_delay_alu instid0(SALU_CYCLE_1)
	s_and_not1_b32 vcc_lo, exec_lo, s0
	s_cbranch_vccnz .LBB93_2915
; %bb.2907:
	s_cmp_lt_i32 s2, 6
	s_mov_b32 s0, -1
	s_cbranch_scc1 .LBB93_2913
; %bb.2908:
	s_cmp_gt_i32 s2, 6
	s_cbranch_scc0 .LBB93_2910
; %bb.2909:
	s_wait_xcnt 0x0
	v_lshlrev_b32_e32 v3, 16, v1
	s_mov_b32 s0, 0
	s_delay_alu instid0(VALU_DEP_1)
	v_cvt_f64_f32_e32 v[6:7], v3
	global_store_b64 v[4:5], v[6:7], off
.LBB93_2910:
	s_and_not1_b32 vcc_lo, exec_lo, s0
	s_cbranch_vccnz .LBB93_2912
; %bb.2911:
	s_wait_xcnt 0x0
	v_lshlrev_b32_e32 v3, 16, v1
	global_store_b32 v[4:5], v3, off
.LBB93_2912:
	s_mov_b32 s0, 0
.LBB93_2913:
	s_delay_alu instid0(SALU_CYCLE_1)
	s_and_not1_b32 vcc_lo, exec_lo, s0
	s_cbranch_vccnz .LBB93_2915
; %bb.2914:
	s_wait_xcnt 0x0
	v_lshlrev_b32_e32 v3, 16, v1
	s_delay_alu instid0(VALU_DEP_1)
	v_cvt_f16_f32_e32 v3, v3
	global_store_b16 v[4:5], v3, off
.LBB93_2915:
	s_mov_b32 s0, 0
.LBB93_2916:
	s_delay_alu instid0(SALU_CYCLE_1)
	s_and_not1_b32 vcc_lo, exec_lo, s0
	s_cbranch_vccnz .LBB93_2932
; %bb.2917:
	s_cmp_lt_i32 s2, 2
	s_mov_b32 s0, -1
	s_cbranch_scc1 .LBB93_2927
; %bb.2918:
	s_cmp_lt_i32 s2, 3
	s_cbranch_scc1 .LBB93_2924
; %bb.2919:
	s_cmp_gt_i32 s2, 3
	s_cbranch_scc0 .LBB93_2921
; %bb.2920:
	s_wait_xcnt 0x0
	v_lshlrev_b32_e32 v3, 16, v1
	s_mov_b32 s0, 0
	s_delay_alu instid0(VALU_DEP_1) | instskip(NEXT) | instid1(VALU_DEP_1)
	v_trunc_f32_e32 v3, v3
	v_mul_f32_e64 v6, 0x2f800000, |v3|
	s_delay_alu instid0(VALU_DEP_1) | instskip(SKIP_1) | instid1(VALU_DEP_2)
	v_floor_f32_e32 v7, v6
	v_ashrrev_i32_e32 v6, 31, v3
	v_fma_f32 v9, 0xcf800000, v7, |v3|
	v_cvt_u32_f32_e32 v3, v7
	s_delay_alu instid0(VALU_DEP_3) | instskip(NEXT) | instid1(VALU_DEP_3)
	v_mov_b32_e32 v7, v6
	v_cvt_u32_f32_e32 v9, v9
	s_delay_alu instid0(VALU_DEP_3) | instskip(NEXT) | instid1(VALU_DEP_2)
	v_xor_b32_e32 v11, v3, v6
	v_xor_b32_e32 v10, v9, v6
	s_delay_alu instid0(VALU_DEP_1)
	v_sub_nc_u64_e32 v[6:7], v[10:11], v[6:7]
	global_store_b64 v[4:5], v[6:7], off
.LBB93_2921:
	s_and_not1_b32 vcc_lo, exec_lo, s0
	s_cbranch_vccnz .LBB93_2923
; %bb.2922:
	s_wait_xcnt 0x0
	v_lshlrev_b32_e32 v3, 16, v1
	s_delay_alu instid0(VALU_DEP_1)
	v_cvt_i32_f32_e32 v3, v3
	global_store_b32 v[4:5], v3, off
.LBB93_2923:
	s_mov_b32 s0, 0
.LBB93_2924:
	s_delay_alu instid0(SALU_CYCLE_1)
	s_and_not1_b32 vcc_lo, exec_lo, s0
	s_cbranch_vccnz .LBB93_2926
; %bb.2925:
	s_wait_xcnt 0x0
	v_lshlrev_b32_e32 v3, 16, v1
	s_delay_alu instid0(VALU_DEP_1)
	v_cvt_i32_f32_e32 v3, v3
	global_store_b16 v[4:5], v3, off
.LBB93_2926:
	s_mov_b32 s0, 0
.LBB93_2927:
	s_delay_alu instid0(SALU_CYCLE_1)
	s_and_not1_b32 vcc_lo, exec_lo, s0
	s_cbranch_vccnz .LBB93_2932
; %bb.2928:
	s_wait_xcnt 0x0
	v_lshlrev_b32_e32 v1, 16, v1
	s_cmp_gt_i32 s2, 0
	s_mov_b32 s0, -1
	s_cbranch_scc0 .LBB93_2930
; %bb.2929:
	s_delay_alu instid0(VALU_DEP_1)
	v_cvt_i32_f32_e32 v3, v1
	s_mov_b32 s0, 0
	global_store_b8 v[4:5], v3, off
.LBB93_2930:
	s_and_not1_b32 vcc_lo, exec_lo, s0
	s_cbranch_vccnz .LBB93_2932
; %bb.2931:
	v_trunc_f32_e32 v1, v1
	s_wait_xcnt 0x0
	s_delay_alu instid0(VALU_DEP_1) | instskip(NEXT) | instid1(VALU_DEP_1)
	v_mul_f32_e64 v3, 0x2f800000, |v1|
	v_floor_f32_e32 v3, v3
	s_delay_alu instid0(VALU_DEP_1) | instskip(SKIP_1) | instid1(VALU_DEP_2)
	v_fma_f32 v3, 0xcf800000, v3, |v1|
	v_ashrrev_i32_e32 v1, 31, v1
	v_cvt_u32_f32_e32 v3, v3
	s_delay_alu instid0(VALU_DEP_1) | instskip(NEXT) | instid1(VALU_DEP_1)
	v_xor_b32_e32 v3, v3, v1
	v_sub_nc_u32_e32 v1, v3, v1
	global_store_b8 v[4:5], v1, off
.LBB93_2932:
	s_mov_b32 s6, -1
.LBB93_2933:
	s_delay_alu instid0(SALU_CYCLE_1)
	s_and_not1_b32 vcc_lo, exec_lo, s6
	s_cbranch_vccnz .LBB93_3129
; %bb.2934:
	s_wait_xcnt 0x0
	v_bfe_u32 v1, v12, 16, 1
	v_cmp_o_f32_e32 vcc_lo, v12, v12
	s_cmp_lt_i32 s2, 11
	s_delay_alu instid0(VALU_DEP_2) | instskip(NEXT) | instid1(VALU_DEP_1)
	v_add3_u32 v1, v12, v1, 0x7fff
	v_dual_mov_b32 v3, 0 :: v_dual_lshrrev_b32 v1, 16, v1
	s_delay_alu instid0(VALU_DEP_1) | instskip(NEXT) | instid1(VALU_DEP_2)
	v_add_nc_u64_e32 v[2:3], s[4:5], v[2:3]
	v_cndmask_b32_e32 v1, 0x7fc0, v1, vcc_lo
	s_cbranch_scc1 .LBB93_3012
; %bb.2935:
	s_mov_b32 s7, -1
	s_mov_b32 s3, 0
	s_cmp_gt_i32 s2, 25
	s_mov_b32 s6, 0
	s_mov_b32 s0, 0
	s_cbranch_scc0 .LBB93_2968
; %bb.2936:
	s_cmp_gt_i32 s2, 28
	s_cbranch_scc0 .LBB93_2951
; %bb.2937:
	s_cmp_gt_i32 s2, 43
	;; [unrolled: 3-line block ×3, first 2 shown]
	s_cbranch_scc0 .LBB93_2941
; %bb.2939:
	s_mov_b32 s0, -1
	s_mov_b32 s7, 0
	s_cmp_eq_u32 s2, 46
	s_cbranch_scc0 .LBB93_2941
; %bb.2940:
	v_and_b32_e32 v4, 0xffff, v1
	s_mov_b32 s0, 0
	s_mov_b32 s6, -1
	global_store_b32 v[2:3], v4, off
.LBB93_2941:
	s_and_b32 vcc_lo, exec_lo, s7
	s_cbranch_vccz .LBB93_2946
; %bb.2942:
	s_cmp_eq_u32 s2, 44
	s_mov_b32 s0, -1
	s_cbranch_scc0 .LBB93_2946
; %bb.2943:
	s_wait_xcnt 0x0
	v_and_b32_e32 v4, 0xffff, v1
	v_mov_b32_e32 v5, 0xff
	s_mov_b32 s6, exec_lo
	s_delay_alu instid0(VALU_DEP_2) | instskip(NEXT) | instid1(VALU_DEP_1)
	v_bfe_u32 v6, v4, 7, 8
	v_cmpx_ne_u32_e32 0xff, v6
	s_cbranch_execz .LBB93_2945
; %bb.2944:
	v_dual_lshlrev_b32 v5, 16, v4 :: v_dual_bitop2_b32 v7, 64, v4 bitop3:0x40
	v_lshrrev_b32_e32 v4, 7, v4
	s_delay_alu instid0(VALU_DEP_2) | instskip(NEXT) | instid1(VALU_DEP_3)
	v_and_or_b32 v5, 0x3f0000, v5, v6
	v_cmp_ne_u32_e32 vcc_lo, 0, v7
	s_delay_alu instid0(VALU_DEP_2) | instskip(SKIP_1) | instid1(SALU_CYCLE_1)
	v_cmp_ne_u32_e64 s0, 0, v5
	s_and_b32 s0, vcc_lo, s0
	v_cndmask_b32_e64 v5, 0, 1, s0
	s_delay_alu instid0(VALU_DEP_1)
	v_add_nc_u32_e32 v5, v4, v5
.LBB93_2945:
	s_or_b32 exec_lo, exec_lo, s6
	s_mov_b32 s0, 0
	s_mov_b32 s6, -1
	global_store_b8 v[2:3], v5, off
.LBB93_2946:
	s_mov_b32 s7, 0
.LBB93_2947:
	s_delay_alu instid0(SALU_CYCLE_1)
	s_and_b32 vcc_lo, exec_lo, s7
	s_cbranch_vccz .LBB93_2950
; %bb.2948:
	s_cmp_eq_u32 s2, 29
	s_mov_b32 s0, -1
	s_cbranch_scc0 .LBB93_2950
; %bb.2949:
	s_wait_xcnt 0x0
	v_lshlrev_b32_e32 v4, 16, v1
	s_mov_b32 s0, 0
	s_mov_b32 s6, -1
	s_delay_alu instid0(VALU_DEP_1) | instskip(NEXT) | instid1(VALU_DEP_1)
	v_trunc_f32_e32 v4, v4
	v_mul_f32_e32 v5, 0x2f800000, v4
	s_delay_alu instid0(VALU_DEP_1) | instskip(NEXT) | instid1(VALU_DEP_1)
	v_floor_f32_e32 v5, v5
	v_fmamk_f32 v4, v5, 0xcf800000, v4
	v_cvt_u32_f32_e32 v5, v5
	s_delay_alu instid0(VALU_DEP_2)
	v_cvt_u32_f32_e32 v4, v4
	global_store_b64 v[2:3], v[4:5], off
.LBB93_2950:
	s_mov_b32 s7, 0
.LBB93_2951:
	s_delay_alu instid0(SALU_CYCLE_1)
	s_and_b32 vcc_lo, exec_lo, s7
	s_cbranch_vccz .LBB93_2967
; %bb.2952:
	s_cmp_lt_i32 s2, 27
	s_mov_b32 s6, -1
	s_cbranch_scc1 .LBB93_2958
; %bb.2953:
	s_cmp_gt_i32 s2, 27
	s_cbranch_scc0 .LBB93_2955
; %bb.2954:
	s_wait_xcnt 0x0
	v_lshlrev_b32_e32 v4, 16, v1
	s_mov_b32 s6, 0
	s_delay_alu instid0(VALU_DEP_1)
	v_cvt_u32_f32_e32 v4, v4
	global_store_b32 v[2:3], v4, off
.LBB93_2955:
	s_and_not1_b32 vcc_lo, exec_lo, s6
	s_cbranch_vccnz .LBB93_2957
; %bb.2956:
	s_wait_xcnt 0x0
	v_lshlrev_b32_e32 v4, 16, v1
	s_delay_alu instid0(VALU_DEP_1)
	v_cvt_u32_f32_e32 v4, v4
	global_store_b16 v[2:3], v4, off
.LBB93_2957:
	s_mov_b32 s6, 0
.LBB93_2958:
	s_delay_alu instid0(SALU_CYCLE_1)
	s_and_not1_b32 vcc_lo, exec_lo, s6
	s_cbranch_vccnz .LBB93_2966
; %bb.2959:
	v_dual_mov_b32 v7, 0x80 :: v_dual_lshlrev_b32 v6, 16, v1
	s_mov_b32 s6, exec_lo
	s_wait_xcnt 0x0
	s_delay_alu instid0(VALU_DEP_1) | instskip(NEXT) | instid1(VALU_DEP_1)
	v_and_b32_e32 v5, 0x7fffffff, v6
	v_cmpx_gt_u32_e32 0x43800000, v5
	s_cbranch_execz .LBB93_2965
; %bb.2960:
	v_and_b32_e32 v4, 0xffff, v1
	v_cmp_lt_u32_e32 vcc_lo, 0x3bffffff, v5
	s_mov_b32 s7, 0
                                        ; implicit-def: $vgpr5
	s_and_saveexec_b32 s8, vcc_lo
	s_delay_alu instid0(SALU_CYCLE_1)
	s_xor_b32 s8, exec_lo, s8
	s_cbranch_execz .LBB93_3186
; %bb.2961:
	v_bfe_u32 v5, v4, 4, 1
	s_mov_b32 s7, exec_lo
	s_delay_alu instid0(VALU_DEP_1) | instskip(NEXT) | instid1(VALU_DEP_1)
	v_add3_u32 v5, v6, v5, 0x487ffff
                                        ; implicit-def: $vgpr6
	v_lshrrev_b32_e32 v5, 20, v5
	s_and_not1_saveexec_b32 s8, s8
	s_cbranch_execnz .LBB93_3187
.LBB93_2962:
	s_or_b32 exec_lo, exec_lo, s8
	v_mov_b32_e32 v7, 0
	s_and_saveexec_b32 s8, s7
.LBB93_2963:
	v_lshrrev_b32_e32 v4, 8, v4
	s_delay_alu instid0(VALU_DEP_1)
	v_and_or_b32 v7, 0x80, v4, v5
.LBB93_2964:
	s_or_b32 exec_lo, exec_lo, s8
.LBB93_2965:
	s_delay_alu instid0(SALU_CYCLE_1)
	s_or_b32 exec_lo, exec_lo, s6
	global_store_b8 v[2:3], v7, off
.LBB93_2966:
	s_mov_b32 s6, -1
.LBB93_2967:
	s_mov_b32 s7, 0
.LBB93_2968:
	s_delay_alu instid0(SALU_CYCLE_1)
	s_and_b32 vcc_lo, exec_lo, s7
	s_cbranch_vccz .LBB93_3008
; %bb.2969:
	s_cmp_gt_i32 s2, 22
	s_mov_b32 s3, -1
	s_cbranch_scc0 .LBB93_3001
; %bb.2970:
	s_cmp_lt_i32 s2, 24
	s_cbranch_scc1 .LBB93_2990
; %bb.2971:
	s_cmp_gt_i32 s2, 24
	s_cbranch_scc0 .LBB93_2979
; %bb.2972:
	s_wait_xcnt 0x0
	v_dual_mov_b32 v7, 0x80 :: v_dual_lshlrev_b32 v6, 16, v1
	s_mov_b32 s3, exec_lo
	s_delay_alu instid0(VALU_DEP_1) | instskip(NEXT) | instid1(VALU_DEP_1)
	v_and_b32_e32 v5, 0x7fffffff, v6
	v_cmpx_gt_u32_e32 0x47800000, v5
	s_cbranch_execz .LBB93_2978
; %bb.2973:
	v_and_b32_e32 v4, 0xffff, v1
	v_cmp_lt_u32_e32 vcc_lo, 0x37ffffff, v5
	s_mov_b32 s6, 0
                                        ; implicit-def: $vgpr5
	s_and_saveexec_b32 s7, vcc_lo
	s_delay_alu instid0(SALU_CYCLE_1)
	s_xor_b32 s7, exec_lo, s7
	s_cbranch_execz .LBB93_3189
; %bb.2974:
	v_bfe_u32 v5, v4, 5, 1
	s_mov_b32 s6, exec_lo
	s_delay_alu instid0(VALU_DEP_1) | instskip(NEXT) | instid1(VALU_DEP_1)
	v_add3_u32 v5, v6, v5, 0x88fffff
                                        ; implicit-def: $vgpr6
	v_lshrrev_b32_e32 v5, 21, v5
	s_and_not1_saveexec_b32 s7, s7
	s_cbranch_execnz .LBB93_3190
.LBB93_2975:
	s_or_b32 exec_lo, exec_lo, s7
	v_mov_b32_e32 v7, 0
	s_and_saveexec_b32 s7, s6
.LBB93_2976:
	v_lshrrev_b32_e32 v4, 8, v4
	s_delay_alu instid0(VALU_DEP_1)
	v_and_or_b32 v7, 0x80, v4, v5
.LBB93_2977:
	s_or_b32 exec_lo, exec_lo, s7
.LBB93_2978:
	s_delay_alu instid0(SALU_CYCLE_1)
	s_or_b32 exec_lo, exec_lo, s3
	s_mov_b32 s3, 0
	global_store_b8 v[2:3], v7, off
.LBB93_2979:
	s_and_b32 vcc_lo, exec_lo, s3
	s_cbranch_vccz .LBB93_2989
; %bb.2980:
	v_lshlrev_b32_e32 v6, 16, v1
	s_wait_xcnt 0x0
	v_and_b32_e32 v4, 0xffff, v1
	s_mov_b32 s3, exec_lo
                                        ; implicit-def: $vgpr5
	s_delay_alu instid0(VALU_DEP_2) | instskip(NEXT) | instid1(VALU_DEP_1)
	v_and_b32_e32 v7, 0x7fffffff, v6
	v_cmpx_gt_u32_e32 0x43f00000, v7
	s_xor_b32 s3, exec_lo, s3
	s_cbranch_execz .LBB93_2986
; %bb.2981:
	s_mov_b32 s6, exec_lo
                                        ; implicit-def: $vgpr5
	v_cmpx_lt_u32_e32 0x3c7fffff, v7
	s_xor_b32 s6, exec_lo, s6
; %bb.2982:
	v_bfe_u32 v5, v4, 4, 1
	s_delay_alu instid0(VALU_DEP_1) | instskip(NEXT) | instid1(VALU_DEP_1)
	v_add3_u32 v5, v6, v5, 0x407ffff
	v_and_b32_e32 v6, 0xff00000, v5
	v_lshrrev_b32_e32 v5, 20, v5
	s_delay_alu instid0(VALU_DEP_2) | instskip(NEXT) | instid1(VALU_DEP_2)
	v_cmp_ne_u32_e32 vcc_lo, 0x7f00000, v6
                                        ; implicit-def: $vgpr6
	v_cndmask_b32_e32 v5, 0x7e, v5, vcc_lo
; %bb.2983:
	s_and_not1_saveexec_b32 s6, s6
; %bb.2984:
	v_add_f32_e64 v5, 0x46800000, |v6|
; %bb.2985:
	s_or_b32 exec_lo, exec_lo, s6
                                        ; implicit-def: $vgpr7
.LBB93_2986:
	s_and_not1_saveexec_b32 s3, s3
; %bb.2987:
	v_mov_b32_e32 v5, 0x7f
	v_cmp_lt_u32_e32 vcc_lo, 0x7f800000, v7
	s_delay_alu instid0(VALU_DEP_2)
	v_cndmask_b32_e32 v5, 0x7e, v5, vcc_lo
; %bb.2988:
	s_or_b32 exec_lo, exec_lo, s3
	v_lshrrev_b32_e32 v4, 8, v4
	s_delay_alu instid0(VALU_DEP_1)
	v_and_or_b32 v4, 0x80, v4, v5
	global_store_b8 v[2:3], v4, off
.LBB93_2989:
	s_mov_b32 s3, 0
.LBB93_2990:
	s_delay_alu instid0(SALU_CYCLE_1)
	s_and_not1_b32 vcc_lo, exec_lo, s3
	s_cbranch_vccnz .LBB93_3000
; %bb.2991:
	v_lshlrev_b32_e32 v6, 16, v1
	s_wait_xcnt 0x0
	v_and_b32_e32 v4, 0xffff, v1
	s_mov_b32 s3, exec_lo
                                        ; implicit-def: $vgpr5
	s_delay_alu instid0(VALU_DEP_2) | instskip(NEXT) | instid1(VALU_DEP_1)
	v_and_b32_e32 v7, 0x7fffffff, v6
	v_cmpx_gt_u32_e32 0x47800000, v7
	s_xor_b32 s3, exec_lo, s3
	s_cbranch_execz .LBB93_2997
; %bb.2992:
	s_mov_b32 s6, exec_lo
                                        ; implicit-def: $vgpr5
	v_cmpx_lt_u32_e32 0x387fffff, v7
	s_xor_b32 s6, exec_lo, s6
; %bb.2993:
	v_bfe_u32 v5, v4, 5, 1
	s_delay_alu instid0(VALU_DEP_1) | instskip(NEXT) | instid1(VALU_DEP_1)
	v_add3_u32 v5, v6, v5, 0x80fffff
                                        ; implicit-def: $vgpr6
	v_lshrrev_b32_e32 v5, 21, v5
; %bb.2994:
	s_and_not1_saveexec_b32 s6, s6
; %bb.2995:
	v_add_f32_e64 v5, 0x43000000, |v6|
; %bb.2996:
	s_or_b32 exec_lo, exec_lo, s6
                                        ; implicit-def: $vgpr7
.LBB93_2997:
	s_and_not1_saveexec_b32 s3, s3
; %bb.2998:
	v_mov_b32_e32 v5, 0x7f
	v_cmp_lt_u32_e32 vcc_lo, 0x7f800000, v7
	s_delay_alu instid0(VALU_DEP_2)
	v_cndmask_b32_e32 v5, 0x7c, v5, vcc_lo
; %bb.2999:
	s_or_b32 exec_lo, exec_lo, s3
	v_lshrrev_b32_e32 v4, 8, v4
	s_delay_alu instid0(VALU_DEP_1)
	v_and_or_b32 v4, 0x80, v4, v5
	global_store_b8 v[2:3], v4, off
.LBB93_3000:
	s_mov_b32 s3, 0
	s_mov_b32 s6, -1
.LBB93_3001:
	s_and_not1_b32 vcc_lo, exec_lo, s3
	s_mov_b32 s3, 0
	s_cbranch_vccnz .LBB93_3008
; %bb.3002:
	s_cmp_gt_i32 s2, 14
	s_mov_b32 s3, -1
	s_cbranch_scc0 .LBB93_3006
; %bb.3003:
	s_cmp_eq_u32 s2, 15
	s_mov_b32 s0, -1
	s_cbranch_scc0 .LBB93_3005
; %bb.3004:
	s_mov_b32 s0, 0
	s_mov_b32 s6, -1
	global_store_b16 v[2:3], v1, off
.LBB93_3005:
	s_mov_b32 s3, 0
.LBB93_3006:
	s_delay_alu instid0(SALU_CYCLE_1)
	s_and_b32 vcc_lo, exec_lo, s3
	s_mov_b32 s3, 0
	s_cbranch_vccz .LBB93_3008
; %bb.3007:
	s_cmp_lg_u32 s2, 11
	s_mov_b32 s3, -1
	s_cselect_b32 s0, -1, 0
.LBB93_3008:
	s_delay_alu instid0(SALU_CYCLE_1)
	s_and_b32 vcc_lo, exec_lo, s0
	s_cbranch_vccnz .LBB93_3188
; %bb.3009:
	s_and_not1_b32 vcc_lo, exec_lo, s3
	s_cbranch_vccnz .LBB93_3011
.LBB93_3010:
	s_wait_xcnt 0x0
	v_and_b32_e32 v4, 0x7fff, v1
	s_mov_b32 s6, -1
	s_delay_alu instid0(VALU_DEP_1)
	v_cmp_ne_u16_e32 vcc_lo, 0, v4
	v_cndmask_b32_e64 v4, 0, 1, vcc_lo
	global_store_b8 v[2:3], v4, off
.LBB93_3011:
	s_mov_b32 s0, 0
	s_branch .LBB93_3013
.LBB93_3012:
	s_mov_b32 s0, -1
	s_mov_b32 s6, 0
.LBB93_3013:
	s_and_b32 vcc_lo, exec_lo, s0
	s_cbranch_vccz .LBB93_3052
; %bb.3014:
	s_cmp_lt_i32 s2, 5
	s_mov_b32 s0, -1
	s_cbranch_scc1 .LBB93_3035
; %bb.3015:
	s_cmp_lt_i32 s2, 8
	s_cbranch_scc1 .LBB93_3025
; %bb.3016:
	s_cmp_lt_i32 s2, 9
	s_cbranch_scc1 .LBB93_3022
; %bb.3017:
	s_cmp_gt_i32 s2, 9
	s_cbranch_scc0 .LBB93_3019
; %bb.3018:
	s_wait_xcnt 0x0
	v_dual_lshlrev_b32 v4, 16, v1 :: v_dual_mov_b32 v6, 0
	s_mov_b32 s0, 0
	s_delay_alu instid0(VALU_DEP_1) | instskip(NEXT) | instid1(VALU_DEP_2)
	v_cvt_f64_f32_e32 v[4:5], v4
	v_mov_b32_e32 v7, v6
	global_store_b128 v[2:3], v[4:7], off
.LBB93_3019:
	s_and_not1_b32 vcc_lo, exec_lo, s0
	s_cbranch_vccnz .LBB93_3021
; %bb.3020:
	s_wait_xcnt 0x0
	v_dual_mov_b32 v5, 0 :: v_dual_lshlrev_b32 v4, 16, v1
	global_store_b64 v[2:3], v[4:5], off
.LBB93_3021:
	s_mov_b32 s0, 0
.LBB93_3022:
	s_delay_alu instid0(SALU_CYCLE_1)
	s_and_not1_b32 vcc_lo, exec_lo, s0
	s_cbranch_vccnz .LBB93_3024
; %bb.3023:
	s_wait_xcnt 0x0
	v_lshlrev_b32_e32 v4, 16, v1
	s_delay_alu instid0(VALU_DEP_1) | instskip(NEXT) | instid1(VALU_DEP_1)
	v_cvt_f16_f32_e32 v4, v4
	v_and_b32_e32 v4, 0xffff, v4
	global_store_b32 v[2:3], v4, off
.LBB93_3024:
	s_mov_b32 s0, 0
.LBB93_3025:
	s_delay_alu instid0(SALU_CYCLE_1)
	s_and_not1_b32 vcc_lo, exec_lo, s0
	s_cbranch_vccnz .LBB93_3034
; %bb.3026:
	s_cmp_lt_i32 s2, 6
	s_mov_b32 s0, -1
	s_cbranch_scc1 .LBB93_3032
; %bb.3027:
	s_cmp_gt_i32 s2, 6
	s_cbranch_scc0 .LBB93_3029
; %bb.3028:
	s_wait_xcnt 0x0
	v_lshlrev_b32_e32 v4, 16, v1
	s_mov_b32 s0, 0
	s_delay_alu instid0(VALU_DEP_1)
	v_cvt_f64_f32_e32 v[4:5], v4
	global_store_b64 v[2:3], v[4:5], off
.LBB93_3029:
	s_and_not1_b32 vcc_lo, exec_lo, s0
	s_cbranch_vccnz .LBB93_3031
; %bb.3030:
	s_wait_xcnt 0x0
	v_lshlrev_b32_e32 v4, 16, v1
	global_store_b32 v[2:3], v4, off
.LBB93_3031:
	s_mov_b32 s0, 0
.LBB93_3032:
	s_delay_alu instid0(SALU_CYCLE_1)
	s_and_not1_b32 vcc_lo, exec_lo, s0
	s_cbranch_vccnz .LBB93_3034
; %bb.3033:
	s_wait_xcnt 0x0
	v_lshlrev_b32_e32 v4, 16, v1
	s_delay_alu instid0(VALU_DEP_1)
	v_cvt_f16_f32_e32 v4, v4
	global_store_b16 v[2:3], v4, off
.LBB93_3034:
	s_mov_b32 s0, 0
.LBB93_3035:
	s_delay_alu instid0(SALU_CYCLE_1)
	s_and_not1_b32 vcc_lo, exec_lo, s0
	s_cbranch_vccnz .LBB93_3051
; %bb.3036:
	s_cmp_lt_i32 s2, 2
	s_mov_b32 s0, -1
	s_cbranch_scc1 .LBB93_3046
; %bb.3037:
	s_cmp_lt_i32 s2, 3
	s_cbranch_scc1 .LBB93_3043
; %bb.3038:
	s_cmp_gt_i32 s2, 3
	s_cbranch_scc0 .LBB93_3040
; %bb.3039:
	s_wait_xcnt 0x0
	v_lshlrev_b32_e32 v4, 16, v1
	s_mov_b32 s0, 0
	s_delay_alu instid0(VALU_DEP_1) | instskip(NEXT) | instid1(VALU_DEP_1)
	v_trunc_f32_e32 v4, v4
	v_mul_f32_e64 v5, 0x2f800000, |v4|
	s_delay_alu instid0(VALU_DEP_1) | instskip(NEXT) | instid1(VALU_DEP_1)
	v_floor_f32_e32 v5, v5
	v_fma_f32 v6, 0xcf800000, v5, |v4|
	v_ashrrev_i32_e32 v4, 31, v4
	v_cvt_u32_f32_e32 v7, v5
	s_delay_alu instid0(VALU_DEP_3) | instskip(NEXT) | instid1(VALU_DEP_2)
	v_cvt_u32_f32_e32 v6, v6
	v_dual_mov_b32 v5, v4 :: v_dual_bitop2_b32 v7, v7, v4 bitop3:0x14
	s_delay_alu instid0(VALU_DEP_2) | instskip(NEXT) | instid1(VALU_DEP_1)
	v_xor_b32_e32 v6, v6, v4
	v_sub_nc_u64_e32 v[4:5], v[6:7], v[4:5]
	global_store_b64 v[2:3], v[4:5], off
.LBB93_3040:
	s_and_not1_b32 vcc_lo, exec_lo, s0
	s_cbranch_vccnz .LBB93_3042
; %bb.3041:
	s_wait_xcnt 0x0
	v_lshlrev_b32_e32 v4, 16, v1
	s_delay_alu instid0(VALU_DEP_1)
	v_cvt_i32_f32_e32 v4, v4
	global_store_b32 v[2:3], v4, off
.LBB93_3042:
	s_mov_b32 s0, 0
.LBB93_3043:
	s_delay_alu instid0(SALU_CYCLE_1)
	s_and_not1_b32 vcc_lo, exec_lo, s0
	s_cbranch_vccnz .LBB93_3045
; %bb.3044:
	s_wait_xcnt 0x0
	v_lshlrev_b32_e32 v4, 16, v1
	s_delay_alu instid0(VALU_DEP_1)
	v_cvt_i32_f32_e32 v4, v4
	global_store_b16 v[2:3], v4, off
.LBB93_3045:
	s_mov_b32 s0, 0
.LBB93_3046:
	s_delay_alu instid0(SALU_CYCLE_1)
	s_and_not1_b32 vcc_lo, exec_lo, s0
	s_cbranch_vccnz .LBB93_3051
; %bb.3047:
	s_cmp_gt_i32 s2, 0
	s_mov_b32 s0, -1
	s_cbranch_scc0 .LBB93_3049
; %bb.3048:
	s_wait_xcnt 0x0
	v_lshlrev_b32_e32 v4, 16, v1
	s_mov_b32 s0, 0
	s_delay_alu instid0(VALU_DEP_1)
	v_cvt_i32_f32_e32 v4, v4
	global_store_b8 v[2:3], v4, off
.LBB93_3049:
	s_and_not1_b32 vcc_lo, exec_lo, s0
	s_cbranch_vccnz .LBB93_3051
; %bb.3050:
	s_wait_xcnt 0x0
	v_lshlrev_b32_e32 v1, 16, v1
	s_delay_alu instid0(VALU_DEP_1) | instskip(NEXT) | instid1(VALU_DEP_1)
	v_trunc_f32_e32 v1, v1
	v_mul_f32_e64 v4, 0x2f800000, |v1|
	s_delay_alu instid0(VALU_DEP_1) | instskip(NEXT) | instid1(VALU_DEP_1)
	v_floor_f32_e32 v4, v4
	v_fma_f32 v4, 0xcf800000, v4, |v1|
	v_ashrrev_i32_e32 v1, 31, v1
	s_delay_alu instid0(VALU_DEP_2) | instskip(NEXT) | instid1(VALU_DEP_1)
	v_cvt_u32_f32_e32 v4, v4
	v_xor_b32_e32 v4, v4, v1
	s_delay_alu instid0(VALU_DEP_1)
	v_sub_nc_u32_e32 v1, v4, v1
	global_store_b8 v[2:3], v1, off
.LBB93_3051:
	s_mov_b32 s6, -1
.LBB93_3052:
	s_delay_alu instid0(SALU_CYCLE_1)
	s_and_not1_b32 vcc_lo, exec_lo, s6
	s_cbranch_vccnz .LBB93_3129
; %bb.3053:
	s_wait_xcnt 0x0
	v_bfe_u32 v1, v8, 16, 1
	v_cmp_o_f32_e32 vcc_lo, v8, v8
	s_cmp_lt_i32 s2, 11
	s_delay_alu instid0(VALU_DEP_2) | instskip(NEXT) | instid1(VALU_DEP_1)
	v_add3_u32 v2, v8, v1, 0x7fff
	v_dual_mov_b32 v1, 0 :: v_dual_lshrrev_b32 v4, 16, v2
	s_delay_alu instid0(VALU_DEP_1) | instskip(NEXT) | instid1(VALU_DEP_2)
	v_add_nc_u64_e32 v[2:3], s[4:5], v[0:1]
	v_cndmask_b32_e32 v1, 0x7fc0, v4, vcc_lo
	s_cbranch_scc1 .LBB93_3174
; %bb.3054:
	s_mov_b32 s4, -1
	s_mov_b32 s3, 0
	s_cmp_gt_i32 s2, 25
	s_mov_b32 s0, 0
	s_cbranch_scc0 .LBB93_3087
; %bb.3055:
	s_cmp_gt_i32 s2, 28
	s_cbranch_scc0 .LBB93_3071
; %bb.3056:
	s_cmp_gt_i32 s2, 43
	;; [unrolled: 3-line block ×3, first 2 shown]
	s_cbranch_scc0 .LBB93_3061
; %bb.3058:
	s_cmp_eq_u32 s2, 46
	s_mov_b32 s0, -1
	s_cbranch_scc0 .LBB93_3060
; %bb.3059:
	v_and_b32_e32 v0, 0xffff, v1
	s_mov_b32 s0, 0
	global_store_b32 v[2:3], v0, off
.LBB93_3060:
	s_mov_b32 s4, 0
.LBB93_3061:
	s_delay_alu instid0(SALU_CYCLE_1)
	s_and_b32 vcc_lo, exec_lo, s4
	s_cbranch_vccz .LBB93_3066
; %bb.3062:
	s_cmp_eq_u32 s2, 44
	s_mov_b32 s0, -1
	s_cbranch_scc0 .LBB93_3066
; %bb.3063:
	s_wait_xcnt 0x0
	v_and_b32_e32 v0, 0xffff, v1
	v_mov_b32_e32 v4, 0xff
	s_mov_b32 s4, exec_lo
	s_delay_alu instid0(VALU_DEP_2) | instskip(NEXT) | instid1(VALU_DEP_1)
	v_bfe_u32 v5, v0, 7, 8
	v_cmpx_ne_u32_e32 0xff, v5
	s_cbranch_execz .LBB93_3065
; %bb.3064:
	v_dual_lshlrev_b32 v4, 16, v0 :: v_dual_bitop2_b32 v6, 64, v0 bitop3:0x40
	v_lshrrev_b32_e32 v0, 7, v0
	s_delay_alu instid0(VALU_DEP_2) | instskip(NEXT) | instid1(VALU_DEP_3)
	v_and_or_b32 v4, 0x3f0000, v4, v5
	v_cmp_ne_u32_e32 vcc_lo, 0, v6
	s_delay_alu instid0(VALU_DEP_2) | instskip(SKIP_1) | instid1(SALU_CYCLE_1)
	v_cmp_ne_u32_e64 s0, 0, v4
	s_and_b32 s0, vcc_lo, s0
	v_cndmask_b32_e64 v4, 0, 1, s0
	s_delay_alu instid0(VALU_DEP_1)
	v_add_nc_u32_e32 v4, v0, v4
.LBB93_3065:
	s_or_b32 exec_lo, exec_lo, s4
	s_mov_b32 s0, 0
	global_store_b8 v[2:3], v4, off
.LBB93_3066:
	s_mov_b32 s4, 0
.LBB93_3067:
	s_delay_alu instid0(SALU_CYCLE_1)
	s_and_b32 vcc_lo, exec_lo, s4
	s_cbranch_vccz .LBB93_3070
; %bb.3068:
	s_cmp_eq_u32 s2, 29
	s_mov_b32 s0, -1
	s_cbranch_scc0 .LBB93_3070
; %bb.3069:
	s_wait_xcnt 0x0
	v_lshlrev_b32_e32 v0, 16, v1
	s_mov_b32 s0, 0
	s_delay_alu instid0(VALU_DEP_1) | instskip(NEXT) | instid1(VALU_DEP_1)
	v_trunc_f32_e32 v0, v0
	v_mul_f32_e32 v4, 0x2f800000, v0
	s_delay_alu instid0(VALU_DEP_1) | instskip(NEXT) | instid1(VALU_DEP_1)
	v_floor_f32_e32 v4, v4
	v_fmamk_f32 v0, v4, 0xcf800000, v0
	v_cvt_u32_f32_e32 v5, v4
	s_delay_alu instid0(VALU_DEP_2)
	v_cvt_u32_f32_e32 v4, v0
	global_store_b64 v[2:3], v[4:5], off
.LBB93_3070:
	s_mov_b32 s4, 0
.LBB93_3071:
	s_delay_alu instid0(SALU_CYCLE_1)
	s_and_b32 vcc_lo, exec_lo, s4
	s_cbranch_vccz .LBB93_3086
; %bb.3072:
	s_cmp_lt_i32 s2, 27
	s_mov_b32 s4, -1
	s_cbranch_scc1 .LBB93_3078
; %bb.3073:
	s_cmp_gt_i32 s2, 27
	s_cbranch_scc0 .LBB93_3075
; %bb.3074:
	s_wait_xcnt 0x0
	v_lshlrev_b32_e32 v0, 16, v1
	s_mov_b32 s4, 0
	s_delay_alu instid0(VALU_DEP_1)
	v_cvt_u32_f32_e32 v0, v0
	global_store_b32 v[2:3], v0, off
.LBB93_3075:
	s_and_not1_b32 vcc_lo, exec_lo, s4
	s_cbranch_vccnz .LBB93_3077
; %bb.3076:
	s_wait_xcnt 0x0
	v_lshlrev_b32_e32 v0, 16, v1
	s_delay_alu instid0(VALU_DEP_1)
	v_cvt_u32_f32_e32 v0, v0
	global_store_b16 v[2:3], v0, off
.LBB93_3077:
	s_mov_b32 s4, 0
.LBB93_3078:
	s_delay_alu instid0(SALU_CYCLE_1)
	s_and_not1_b32 vcc_lo, exec_lo, s4
	s_cbranch_vccnz .LBB93_3086
; %bb.3079:
	s_wait_xcnt 0x0
	v_dual_mov_b32 v6, 0x80 :: v_dual_lshlrev_b32 v5, 16, v1
	s_mov_b32 s4, exec_lo
	s_delay_alu instid0(VALU_DEP_1) | instskip(NEXT) | instid1(VALU_DEP_1)
	v_and_b32_e32 v4, 0x7fffffff, v5
	v_cmpx_gt_u32_e32 0x43800000, v4
	s_cbranch_execz .LBB93_3085
; %bb.3080:
	v_and_b32_e32 v0, 0xffff, v1
	v_cmp_lt_u32_e32 vcc_lo, 0x3bffffff, v4
	s_mov_b32 s5, 0
                                        ; implicit-def: $vgpr4
	s_and_saveexec_b32 s6, vcc_lo
	s_delay_alu instid0(SALU_CYCLE_1)
	s_xor_b32 s6, exec_lo, s6
	s_cbranch_execz .LBB93_3191
; %bb.3081:
	v_bfe_u32 v4, v0, 4, 1
	s_mov_b32 s5, exec_lo
	s_delay_alu instid0(VALU_DEP_1) | instskip(NEXT) | instid1(VALU_DEP_1)
	v_add3_u32 v4, v5, v4, 0x487ffff
                                        ; implicit-def: $vgpr5
	v_lshrrev_b32_e32 v4, 20, v4
	s_and_not1_saveexec_b32 s6, s6
	s_cbranch_execnz .LBB93_3192
.LBB93_3082:
	s_or_b32 exec_lo, exec_lo, s6
	v_mov_b32_e32 v6, 0
	s_and_saveexec_b32 s6, s5
.LBB93_3083:
	v_lshrrev_b32_e32 v0, 8, v0
	s_delay_alu instid0(VALU_DEP_1)
	v_and_or_b32 v6, 0x80, v0, v4
.LBB93_3084:
	s_or_b32 exec_lo, exec_lo, s6
.LBB93_3085:
	s_delay_alu instid0(SALU_CYCLE_1)
	s_or_b32 exec_lo, exec_lo, s4
	global_store_b8 v[2:3], v6, off
.LBB93_3086:
	s_mov_b32 s4, 0
.LBB93_3087:
	s_delay_alu instid0(SALU_CYCLE_1)
	s_and_b32 vcc_lo, exec_lo, s4
	s_cbranch_vccz .LBB93_3127
; %bb.3088:
	s_cmp_gt_i32 s2, 22
	s_mov_b32 s3, -1
	s_cbranch_scc0 .LBB93_3120
; %bb.3089:
	s_cmp_lt_i32 s2, 24
	s_cbranch_scc1 .LBB93_3109
; %bb.3090:
	s_cmp_gt_i32 s2, 24
	s_cbranch_scc0 .LBB93_3098
; %bb.3091:
	s_wait_xcnt 0x0
	v_dual_mov_b32 v6, 0x80 :: v_dual_lshlrev_b32 v5, 16, v1
	s_mov_b32 s3, exec_lo
	s_delay_alu instid0(VALU_DEP_1) | instskip(NEXT) | instid1(VALU_DEP_1)
	v_and_b32_e32 v4, 0x7fffffff, v5
	v_cmpx_gt_u32_e32 0x47800000, v4
	s_cbranch_execz .LBB93_3097
; %bb.3092:
	v_and_b32_e32 v0, 0xffff, v1
	v_cmp_lt_u32_e32 vcc_lo, 0x37ffffff, v4
	s_mov_b32 s4, 0
                                        ; implicit-def: $vgpr4
	s_and_saveexec_b32 s5, vcc_lo
	s_delay_alu instid0(SALU_CYCLE_1)
	s_xor_b32 s5, exec_lo, s5
	s_cbranch_execz .LBB93_3194
; %bb.3093:
	v_bfe_u32 v4, v0, 5, 1
	s_mov_b32 s4, exec_lo
	s_delay_alu instid0(VALU_DEP_1) | instskip(NEXT) | instid1(VALU_DEP_1)
	v_add3_u32 v4, v5, v4, 0x88fffff
                                        ; implicit-def: $vgpr5
	v_lshrrev_b32_e32 v4, 21, v4
	s_and_not1_saveexec_b32 s5, s5
	s_cbranch_execnz .LBB93_3195
.LBB93_3094:
	s_or_b32 exec_lo, exec_lo, s5
	v_mov_b32_e32 v6, 0
	s_and_saveexec_b32 s5, s4
.LBB93_3095:
	v_lshrrev_b32_e32 v0, 8, v0
	s_delay_alu instid0(VALU_DEP_1)
	v_and_or_b32 v6, 0x80, v0, v4
.LBB93_3096:
	s_or_b32 exec_lo, exec_lo, s5
.LBB93_3097:
	s_delay_alu instid0(SALU_CYCLE_1)
	s_or_b32 exec_lo, exec_lo, s3
	s_mov_b32 s3, 0
	global_store_b8 v[2:3], v6, off
.LBB93_3098:
	s_and_b32 vcc_lo, exec_lo, s3
	s_cbranch_vccz .LBB93_3108
; %bb.3099:
	s_wait_xcnt 0x0
	v_lshlrev_b32_e32 v5, 16, v1
	v_and_b32_e32 v0, 0xffff, v1
	s_mov_b32 s3, exec_lo
                                        ; implicit-def: $vgpr4
	s_delay_alu instid0(VALU_DEP_2) | instskip(NEXT) | instid1(VALU_DEP_1)
	v_and_b32_e32 v6, 0x7fffffff, v5
	v_cmpx_gt_u32_e32 0x43f00000, v6
	s_xor_b32 s3, exec_lo, s3
	s_cbranch_execz .LBB93_3105
; %bb.3100:
	s_mov_b32 s4, exec_lo
                                        ; implicit-def: $vgpr4
	v_cmpx_lt_u32_e32 0x3c7fffff, v6
	s_xor_b32 s4, exec_lo, s4
; %bb.3101:
	v_bfe_u32 v4, v0, 4, 1
	s_delay_alu instid0(VALU_DEP_1) | instskip(NEXT) | instid1(VALU_DEP_1)
	v_add3_u32 v4, v5, v4, 0x407ffff
	v_and_b32_e32 v5, 0xff00000, v4
	v_lshrrev_b32_e32 v4, 20, v4
	s_delay_alu instid0(VALU_DEP_2) | instskip(NEXT) | instid1(VALU_DEP_2)
	v_cmp_ne_u32_e32 vcc_lo, 0x7f00000, v5
                                        ; implicit-def: $vgpr5
	v_cndmask_b32_e32 v4, 0x7e, v4, vcc_lo
; %bb.3102:
	s_and_not1_saveexec_b32 s4, s4
; %bb.3103:
	v_add_f32_e64 v4, 0x46800000, |v5|
; %bb.3104:
	s_or_b32 exec_lo, exec_lo, s4
                                        ; implicit-def: $vgpr6
.LBB93_3105:
	s_and_not1_saveexec_b32 s3, s3
; %bb.3106:
	v_mov_b32_e32 v4, 0x7f
	v_cmp_lt_u32_e32 vcc_lo, 0x7f800000, v6
	s_delay_alu instid0(VALU_DEP_2)
	v_cndmask_b32_e32 v4, 0x7e, v4, vcc_lo
; %bb.3107:
	s_or_b32 exec_lo, exec_lo, s3
	v_lshrrev_b32_e32 v0, 8, v0
	s_delay_alu instid0(VALU_DEP_1)
	v_and_or_b32 v0, 0x80, v0, v4
	global_store_b8 v[2:3], v0, off
.LBB93_3108:
	s_mov_b32 s3, 0
.LBB93_3109:
	s_delay_alu instid0(SALU_CYCLE_1)
	s_and_not1_b32 vcc_lo, exec_lo, s3
	s_cbranch_vccnz .LBB93_3119
; %bb.3110:
	s_wait_xcnt 0x0
	v_lshlrev_b32_e32 v5, 16, v1
	v_and_b32_e32 v0, 0xffff, v1
	s_mov_b32 s3, exec_lo
                                        ; implicit-def: $vgpr4
	s_delay_alu instid0(VALU_DEP_2) | instskip(NEXT) | instid1(VALU_DEP_1)
	v_and_b32_e32 v6, 0x7fffffff, v5
	v_cmpx_gt_u32_e32 0x47800000, v6
	s_xor_b32 s3, exec_lo, s3
	s_cbranch_execz .LBB93_3116
; %bb.3111:
	s_mov_b32 s4, exec_lo
                                        ; implicit-def: $vgpr4
	v_cmpx_lt_u32_e32 0x387fffff, v6
	s_xor_b32 s4, exec_lo, s4
; %bb.3112:
	v_bfe_u32 v4, v0, 5, 1
	s_delay_alu instid0(VALU_DEP_1) | instskip(NEXT) | instid1(VALU_DEP_1)
	v_add3_u32 v4, v5, v4, 0x80fffff
                                        ; implicit-def: $vgpr5
	v_lshrrev_b32_e32 v4, 21, v4
; %bb.3113:
	s_and_not1_saveexec_b32 s4, s4
; %bb.3114:
	v_add_f32_e64 v4, 0x43000000, |v5|
; %bb.3115:
	s_or_b32 exec_lo, exec_lo, s4
                                        ; implicit-def: $vgpr6
.LBB93_3116:
	s_and_not1_saveexec_b32 s3, s3
; %bb.3117:
	v_mov_b32_e32 v4, 0x7f
	v_cmp_lt_u32_e32 vcc_lo, 0x7f800000, v6
	s_delay_alu instid0(VALU_DEP_2)
	v_cndmask_b32_e32 v4, 0x7c, v4, vcc_lo
; %bb.3118:
	s_or_b32 exec_lo, exec_lo, s3
	v_lshrrev_b32_e32 v0, 8, v0
	s_delay_alu instid0(VALU_DEP_1)
	v_and_or_b32 v0, 0x80, v0, v4
	global_store_b8 v[2:3], v0, off
.LBB93_3119:
	s_mov_b32 s3, 0
.LBB93_3120:
	s_delay_alu instid0(SALU_CYCLE_1)
	s_and_not1_b32 vcc_lo, exec_lo, s3
	s_mov_b32 s3, 0
	s_cbranch_vccnz .LBB93_3127
; %bb.3121:
	s_cmp_gt_i32 s2, 14
	s_mov_b32 s3, -1
	s_cbranch_scc0 .LBB93_3125
; %bb.3122:
	s_cmp_eq_u32 s2, 15
	s_mov_b32 s0, -1
	s_cbranch_scc0 .LBB93_3124
; %bb.3123:
	s_mov_b32 s0, 0
	global_store_b16 v[2:3], v1, off
.LBB93_3124:
	s_mov_b32 s3, 0
.LBB93_3125:
	s_delay_alu instid0(SALU_CYCLE_1)
	s_and_b32 vcc_lo, exec_lo, s3
	s_mov_b32 s3, 0
	s_cbranch_vccz .LBB93_3127
; %bb.3126:
	s_cmp_lg_u32 s2, 11
	s_mov_b32 s3, -1
	s_cselect_b32 s0, -1, 0
.LBB93_3127:
	s_delay_alu instid0(SALU_CYCLE_1)
	s_and_b32 vcc_lo, exec_lo, s0
	s_cbranch_vccnz .LBB93_3193
.LBB93_3128:
	s_mov_b32 s0, 0
	s_branch .LBB93_3130
.LBB93_3129:
	s_mov_b32 s0, 0
	s_mov_b32 s3, 0
                                        ; implicit-def: $vgpr2_vgpr3
                                        ; implicit-def: $sgpr1
                                        ; implicit-def: $vgpr1
.LBB93_3130:
	s_and_not1_b32 s2, s10, exec_lo
	s_and_b32 s4, s12, exec_lo
	s_and_b32 s0, s0, exec_lo
	;; [unrolled: 1-line block ×3, first 2 shown]
	s_or_b32 s10, s2, s4
.LBB93_3131:
	s_wait_xcnt 0x0
	s_or_b32 exec_lo, exec_lo, s11
	s_and_saveexec_b32 s2, s10
	s_cbranch_execz .LBB93_3134
; %bb.3132:
	; divergent unreachable
	s_or_b32 exec_lo, exec_lo, s2
	s_and_saveexec_b32 s2, s30
	s_delay_alu instid0(SALU_CYCLE_1)
	s_xor_b32 s2, exec_lo, s2
	s_cbranch_execnz .LBB93_3135
.LBB93_3133:
	s_or_b32 exec_lo, exec_lo, s2
	s_and_saveexec_b32 s2, s0
	s_cbranch_execnz .LBB93_3136
	s_branch .LBB93_3173
.LBB93_3134:
	s_or_b32 exec_lo, exec_lo, s2
	s_and_saveexec_b32 s2, s30
	s_delay_alu instid0(SALU_CYCLE_1)
	s_xor_b32 s2, exec_lo, s2
	s_cbranch_execz .LBB93_3133
.LBB93_3135:
	s_wait_loadcnt 0x0
	v_and_b32_e32 v0, 0x7fff, v1
	s_delay_alu instid0(VALU_DEP_1)
	v_cmp_ne_u16_e32 vcc_lo, 0, v0
	v_cndmask_b32_e64 v0, 0, 1, vcc_lo
	global_store_b8 v[2:3], v0, off
	s_wait_xcnt 0x0
	s_or_b32 exec_lo, exec_lo, s2
	s_and_saveexec_b32 s2, s0
	s_cbranch_execz .LBB93_3173
.LBB93_3136:
	s_sext_i32_i16 s2, s1
	s_mov_b32 s0, -1
	s_cmp_lt_i32 s2, 5
	s_cbranch_scc1 .LBB93_3157
; %bb.3137:
	s_cmp_lt_i32 s2, 8
	s_cbranch_scc1 .LBB93_3147
; %bb.3138:
	;; [unrolled: 3-line block ×3, first 2 shown]
	s_cmp_gt_i32 s2, 9
	s_cbranch_scc0 .LBB93_3141
; %bb.3140:
	s_wait_loadcnt 0x0
	v_dual_lshlrev_b32 v0, 16, v1 :: v_dual_mov_b32 v6, 0
	s_mov_b32 s0, 0
	s_delay_alu instid0(VALU_DEP_1) | instskip(NEXT) | instid1(VALU_DEP_2)
	v_cvt_f64_f32_e32 v[4:5], v0
	v_mov_b32_e32 v7, v6
	global_store_b128 v[2:3], v[4:7], off
.LBB93_3141:
	s_and_not1_b32 vcc_lo, exec_lo, s0
	s_cbranch_vccnz .LBB93_3143
; %bb.3142:
	s_wait_loadcnt 0x0
	v_dual_mov_b32 v5, 0 :: v_dual_lshlrev_b32 v4, 16, v1
	global_store_b64 v[2:3], v[4:5], off
.LBB93_3143:
	s_mov_b32 s0, 0
.LBB93_3144:
	s_delay_alu instid0(SALU_CYCLE_1)
	s_and_not1_b32 vcc_lo, exec_lo, s0
	s_cbranch_vccnz .LBB93_3146
; %bb.3145:
	s_wait_loadcnt 0x0
	v_lshlrev_b32_e32 v0, 16, v1
	s_delay_alu instid0(VALU_DEP_1) | instskip(NEXT) | instid1(VALU_DEP_1)
	v_cvt_f16_f32_e32 v0, v0
	v_and_b32_e32 v0, 0xffff, v0
	global_store_b32 v[2:3], v0, off
.LBB93_3146:
	s_mov_b32 s0, 0
.LBB93_3147:
	s_delay_alu instid0(SALU_CYCLE_1)
	s_and_not1_b32 vcc_lo, exec_lo, s0
	s_cbranch_vccnz .LBB93_3156
; %bb.3148:
	s_sext_i32_i16 s2, s1
	s_mov_b32 s0, -1
	s_cmp_lt_i32 s2, 6
	s_cbranch_scc1 .LBB93_3154
; %bb.3149:
	s_cmp_gt_i32 s2, 6
	s_cbranch_scc0 .LBB93_3151
; %bb.3150:
	s_wait_loadcnt 0x0
	v_lshlrev_b32_e32 v0, 16, v1
	s_mov_b32 s0, 0
	s_delay_alu instid0(VALU_DEP_1)
	v_cvt_f64_f32_e32 v[4:5], v0
	global_store_b64 v[2:3], v[4:5], off
.LBB93_3151:
	s_and_not1_b32 vcc_lo, exec_lo, s0
	s_cbranch_vccnz .LBB93_3153
; %bb.3152:
	s_wait_loadcnt 0x0
	v_lshlrev_b32_e32 v0, 16, v1
	global_store_b32 v[2:3], v0, off
.LBB93_3153:
	s_mov_b32 s0, 0
.LBB93_3154:
	s_delay_alu instid0(SALU_CYCLE_1)
	s_and_not1_b32 vcc_lo, exec_lo, s0
	s_cbranch_vccnz .LBB93_3156
; %bb.3155:
	s_wait_loadcnt 0x0
	v_lshlrev_b32_e32 v0, 16, v1
	s_delay_alu instid0(VALU_DEP_1)
	v_cvt_f16_f32_e32 v0, v0
	global_store_b16 v[2:3], v0, off
.LBB93_3156:
	s_mov_b32 s0, 0
.LBB93_3157:
	s_delay_alu instid0(SALU_CYCLE_1)
	s_and_not1_b32 vcc_lo, exec_lo, s0
	s_cbranch_vccnz .LBB93_3173
; %bb.3158:
	s_sext_i32_i16 s2, s1
	s_mov_b32 s0, -1
	s_cmp_lt_i32 s2, 2
	s_cbranch_scc1 .LBB93_3168
; %bb.3159:
	s_cmp_lt_i32 s2, 3
	s_cbranch_scc1 .LBB93_3165
; %bb.3160:
	s_cmp_gt_i32 s2, 3
	s_cbranch_scc0 .LBB93_3162
; %bb.3161:
	s_wait_loadcnt 0x0
	v_lshlrev_b32_e32 v0, 16, v1
	s_mov_b32 s0, 0
	s_delay_alu instid0(VALU_DEP_1) | instskip(NEXT) | instid1(VALU_DEP_1)
	v_trunc_f32_e32 v0, v0
	v_mul_f32_e64 v4, 0x2f800000, |v0|
	s_delay_alu instid0(VALU_DEP_1) | instskip(SKIP_1) | instid1(VALU_DEP_2)
	v_floor_f32_e32 v5, v4
	v_ashrrev_i32_e32 v4, 31, v0
	v_fma_f32 v6, 0xcf800000, v5, |v0|
	v_cvt_u32_f32_e32 v0, v5
	s_delay_alu instid0(VALU_DEP_3) | instskip(NEXT) | instid1(VALU_DEP_3)
	v_mov_b32_e32 v5, v4
	v_cvt_u32_f32_e32 v6, v6
	s_delay_alu instid0(VALU_DEP_3) | instskip(NEXT) | instid1(VALU_DEP_2)
	v_xor_b32_e32 v7, v0, v4
	v_xor_b32_e32 v6, v6, v4
	s_delay_alu instid0(VALU_DEP_1)
	v_sub_nc_u64_e32 v[4:5], v[6:7], v[4:5]
	global_store_b64 v[2:3], v[4:5], off
.LBB93_3162:
	s_and_not1_b32 vcc_lo, exec_lo, s0
	s_cbranch_vccnz .LBB93_3164
; %bb.3163:
	s_wait_loadcnt 0x0
	v_lshlrev_b32_e32 v0, 16, v1
	s_delay_alu instid0(VALU_DEP_1)
	v_cvt_i32_f32_e32 v0, v0
	global_store_b32 v[2:3], v0, off
.LBB93_3164:
	s_mov_b32 s0, 0
.LBB93_3165:
	s_delay_alu instid0(SALU_CYCLE_1)
	s_and_not1_b32 vcc_lo, exec_lo, s0
	s_cbranch_vccnz .LBB93_3167
; %bb.3166:
	s_wait_loadcnt 0x0
	v_lshlrev_b32_e32 v0, 16, v1
	s_delay_alu instid0(VALU_DEP_1)
	v_cvt_i32_f32_e32 v0, v0
	global_store_b16 v[2:3], v0, off
.LBB93_3167:
	s_mov_b32 s0, 0
.LBB93_3168:
	s_delay_alu instid0(SALU_CYCLE_1)
	s_and_not1_b32 vcc_lo, exec_lo, s0
	s_cbranch_vccnz .LBB93_3173
; %bb.3169:
	s_sext_i32_i16 s0, s1
	s_delay_alu instid0(SALU_CYCLE_1)
	s_cmp_gt_i32 s0, 0
	s_mov_b32 s0, -1
	s_cbranch_scc0 .LBB93_3171
; %bb.3170:
	s_wait_loadcnt 0x0
	v_lshlrev_b32_e32 v0, 16, v1
	s_mov_b32 s0, 0
	s_delay_alu instid0(VALU_DEP_1)
	v_cvt_i32_f32_e32 v0, v0
	global_store_b8 v[2:3], v0, off
.LBB93_3171:
	s_and_not1_b32 vcc_lo, exec_lo, s0
	s_cbranch_vccnz .LBB93_3173
; %bb.3172:
	s_wait_loadcnt 0x0
	v_lshlrev_b32_e32 v0, 16, v1
	s_delay_alu instid0(VALU_DEP_1) | instskip(NEXT) | instid1(VALU_DEP_1)
	v_trunc_f32_e32 v0, v0
	v_mul_f32_e64 v1, 0x2f800000, |v0|
	s_delay_alu instid0(VALU_DEP_1) | instskip(NEXT) | instid1(VALU_DEP_1)
	v_floor_f32_e32 v1, v1
	v_fma_f32 v1, 0xcf800000, v1, |v0|
	v_ashrrev_i32_e32 v0, 31, v0
	s_delay_alu instid0(VALU_DEP_2) | instskip(NEXT) | instid1(VALU_DEP_1)
	v_cvt_u32_f32_e32 v1, v1
	v_xor_b32_e32 v1, v1, v0
	s_delay_alu instid0(VALU_DEP_1)
	v_sub_nc_u32_e32 v0, v1, v0
	global_store_b8 v[2:3], v0, off
	s_endpgm
.LBB93_3173:
	s_endpgm
.LBB93_3174:
	s_mov_b32 s3, 0
	s_mov_b32 s0, -1
	s_branch .LBB93_3130
.LBB93_3175:
	s_or_b32 s12, s12, exec_lo
	s_trap 2
	s_cbranch_execz .LBB93_2642
	s_branch .LBB93_2643
.LBB93_3176:
	s_and_not1_saveexec_b32 s8, s8
	s_cbranch_execz .LBB93_2724
.LBB93_3177:
	v_add_f32_e64 v9, 0x46000000, |v10|
	s_and_not1_b32 s7, s7, exec_lo
	s_delay_alu instid0(VALU_DEP_1) | instskip(NEXT) | instid1(VALU_DEP_1)
	v_and_b32_e32 v9, 0xff, v9
	v_cmp_ne_u32_e32 vcc_lo, 0, v9
	s_and_b32 s9, vcc_lo, exec_lo
	s_delay_alu instid0(SALU_CYCLE_1)
	s_or_b32 s7, s7, s9
	s_or_b32 exec_lo, exec_lo, s8
	v_mov_b32_e32 v11, 0
	s_and_saveexec_b32 s8, s7
	s_cbranch_execnz .LBB93_2725
	s_branch .LBB93_2726
.LBB93_3178:
	s_or_b32 s12, s12, exec_lo
	s_trap 2
	s_cbranch_execz .LBB93_2772
	s_branch .LBB93_2773
.LBB93_3179:
	s_and_not1_saveexec_b32 s7, s7
	s_cbranch_execz .LBB93_2737
.LBB93_3180:
	v_add_f32_e64 v9, 0x42800000, |v10|
	s_and_not1_b32 s6, s6, exec_lo
	s_delay_alu instid0(VALU_DEP_1) | instskip(NEXT) | instid1(VALU_DEP_1)
	v_and_b32_e32 v9, 0xff, v9
	v_cmp_ne_u32_e32 vcc_lo, 0, v9
	s_and_b32 s8, vcc_lo, exec_lo
	s_delay_alu instid0(SALU_CYCLE_1)
	s_or_b32 s6, s6, s8
	s_or_b32 exec_lo, exec_lo, s7
	v_mov_b32_e32 v11, 0
	s_and_saveexec_b32 s7, s6
	s_cbranch_execnz .LBB93_2738
	s_branch .LBB93_2739
.LBB93_3181:
	s_and_not1_saveexec_b32 s8, s8
	s_cbranch_execz .LBB93_2843
.LBB93_3182:
	v_add_f32_e64 v6, 0x46000000, |v7|
	s_and_not1_b32 s7, s7, exec_lo
	s_delay_alu instid0(VALU_DEP_1) | instskip(NEXT) | instid1(VALU_DEP_1)
	v_and_b32_e32 v6, 0xff, v6
	v_cmp_ne_u32_e32 vcc_lo, 0, v6
	s_and_b32 s9, vcc_lo, exec_lo
	s_delay_alu instid0(SALU_CYCLE_1)
	s_or_b32 s7, s7, s9
	s_or_b32 exec_lo, exec_lo, s8
	v_mov_b32_e32 v9, 0
	s_and_saveexec_b32 s8, s7
	s_cbranch_execnz .LBB93_2844
	s_branch .LBB93_2845
.LBB93_3183:
	s_or_b32 s12, s12, exec_lo
	s_trap 2
	s_cbranch_execz .LBB93_2891
	s_branch .LBB93_2892
.LBB93_3184:
	s_and_not1_saveexec_b32 s7, s7
	s_cbranch_execz .LBB93_2856
.LBB93_3185:
	v_add_f32_e64 v6, 0x42800000, |v7|
	s_and_not1_b32 s6, s6, exec_lo
	s_delay_alu instid0(VALU_DEP_1) | instskip(NEXT) | instid1(VALU_DEP_1)
	v_and_b32_e32 v6, 0xff, v6
	v_cmp_ne_u32_e32 vcc_lo, 0, v6
	s_and_b32 s8, vcc_lo, exec_lo
	s_delay_alu instid0(SALU_CYCLE_1)
	s_or_b32 s6, s6, s8
	s_or_b32 exec_lo, exec_lo, s7
	v_mov_b32_e32 v9, 0
	s_and_saveexec_b32 s7, s6
	s_cbranch_execnz .LBB93_2857
	s_branch .LBB93_2858
.LBB93_3186:
	s_and_not1_saveexec_b32 s8, s8
	s_cbranch_execz .LBB93_2962
.LBB93_3187:
	v_add_f32_e64 v5, 0x46000000, |v6|
	s_and_not1_b32 s7, s7, exec_lo
	s_delay_alu instid0(VALU_DEP_1) | instskip(NEXT) | instid1(VALU_DEP_1)
	v_and_b32_e32 v5, 0xff, v5
	v_cmp_ne_u32_e32 vcc_lo, 0, v5
	s_and_b32 s9, vcc_lo, exec_lo
	s_delay_alu instid0(SALU_CYCLE_1)
	s_or_b32 s7, s7, s9
	s_or_b32 exec_lo, exec_lo, s8
	v_mov_b32_e32 v7, 0
	s_and_saveexec_b32 s8, s7
	s_cbranch_execnz .LBB93_2963
	s_branch .LBB93_2964
.LBB93_3188:
	s_or_b32 s12, s12, exec_lo
	s_trap 2
	s_cbranch_execz .LBB93_3010
	s_branch .LBB93_3011
.LBB93_3189:
	s_and_not1_saveexec_b32 s7, s7
	s_cbranch_execz .LBB93_2975
.LBB93_3190:
	v_add_f32_e64 v5, 0x42800000, |v6|
	s_and_not1_b32 s6, s6, exec_lo
	s_delay_alu instid0(VALU_DEP_1) | instskip(NEXT) | instid1(VALU_DEP_1)
	v_and_b32_e32 v5, 0xff, v5
	v_cmp_ne_u32_e32 vcc_lo, 0, v5
	s_and_b32 s8, vcc_lo, exec_lo
	s_delay_alu instid0(SALU_CYCLE_1)
	s_or_b32 s6, s6, s8
	s_or_b32 exec_lo, exec_lo, s7
	v_mov_b32_e32 v7, 0
	s_and_saveexec_b32 s7, s6
	s_cbranch_execnz .LBB93_2976
	s_branch .LBB93_2977
.LBB93_3191:
	s_and_not1_saveexec_b32 s6, s6
	s_cbranch_execz .LBB93_3082
.LBB93_3192:
	v_add_f32_e64 v4, 0x46000000, |v5|
	s_and_not1_b32 s5, s5, exec_lo
	s_delay_alu instid0(VALU_DEP_1) | instskip(NEXT) | instid1(VALU_DEP_1)
	v_and_b32_e32 v4, 0xff, v4
	v_cmp_ne_u32_e32 vcc_lo, 0, v4
	s_and_b32 s7, vcc_lo, exec_lo
	s_delay_alu instid0(SALU_CYCLE_1)
	s_or_b32 s5, s5, s7
	s_or_b32 exec_lo, exec_lo, s6
	v_mov_b32_e32 v6, 0
	s_and_saveexec_b32 s6, s5
	s_cbranch_execnz .LBB93_3083
	s_branch .LBB93_3084
.LBB93_3193:
	s_mov_b32 s3, 0
	s_or_b32 s12, s12, exec_lo
	s_trap 2
	s_branch .LBB93_3128
.LBB93_3194:
	s_and_not1_saveexec_b32 s5, s5
	s_cbranch_execz .LBB93_3094
.LBB93_3195:
	v_add_f32_e64 v4, 0x42800000, |v5|
	s_and_not1_b32 s4, s4, exec_lo
	s_delay_alu instid0(VALU_DEP_1) | instskip(NEXT) | instid1(VALU_DEP_1)
	v_and_b32_e32 v4, 0xff, v4
	v_cmp_ne_u32_e32 vcc_lo, 0, v4
	s_and_b32 s6, vcc_lo, exec_lo
	s_delay_alu instid0(SALU_CYCLE_1)
	s_or_b32 s4, s4, s6
	s_or_b32 exec_lo, exec_lo, s5
	v_mov_b32_e32 v6, 0
	s_and_saveexec_b32 s5, s4
	s_cbranch_execnz .LBB93_3095
	s_branch .LBB93_3096
	.section	.rodata,"a",@progbits
	.p2align	6, 0x0
	.amdhsa_kernel _ZN2at6native32elementwise_kernel_manual_unrollILi128ELi4EZNS0_15gpu_kernel_implIZZZNS0_12_GLOBAL__N_124softplus_backward_kernelERNS_18TensorIteratorBaseERKN3c106ScalarES9_ENKUlvE_clEvENKUlvE2_clEvEUlNS6_8BFloat16ESC_E_EEvS5_RKT_EUlibE0_EEviT1_
		.amdhsa_group_segment_fixed_size 0
		.amdhsa_private_segment_fixed_size 0
		.amdhsa_kernarg_size 440
		.amdhsa_user_sgpr_count 2
		.amdhsa_user_sgpr_dispatch_ptr 0
		.amdhsa_user_sgpr_queue_ptr 0
		.amdhsa_user_sgpr_kernarg_segment_ptr 1
		.amdhsa_user_sgpr_dispatch_id 0
		.amdhsa_user_sgpr_kernarg_preload_length 0
		.amdhsa_user_sgpr_kernarg_preload_offset 0
		.amdhsa_user_sgpr_private_segment_size 0
		.amdhsa_wavefront_size32 1
		.amdhsa_uses_dynamic_stack 0
		.amdhsa_enable_private_segment 0
		.amdhsa_system_sgpr_workgroup_id_x 1
		.amdhsa_system_sgpr_workgroup_id_y 0
		.amdhsa_system_sgpr_workgroup_id_z 0
		.amdhsa_system_sgpr_workgroup_info 0
		.amdhsa_system_vgpr_workitem_id 0
		.amdhsa_next_free_vgpr 26
		.amdhsa_next_free_sgpr 62
		.amdhsa_named_barrier_count 0
		.amdhsa_reserve_vcc 1
		.amdhsa_float_round_mode_32 0
		.amdhsa_float_round_mode_16_64 0
		.amdhsa_float_denorm_mode_32 3
		.amdhsa_float_denorm_mode_16_64 3
		.amdhsa_fp16_overflow 0
		.amdhsa_memory_ordered 1
		.amdhsa_forward_progress 1
		.amdhsa_inst_pref_size 255
		.amdhsa_round_robin_scheduling 0
		.amdhsa_exception_fp_ieee_invalid_op 0
		.amdhsa_exception_fp_denorm_src 0
		.amdhsa_exception_fp_ieee_div_zero 0
		.amdhsa_exception_fp_ieee_overflow 0
		.amdhsa_exception_fp_ieee_underflow 0
		.amdhsa_exception_fp_ieee_inexact 0
		.amdhsa_exception_int_div_zero 0
	.end_amdhsa_kernel
	.section	.text._ZN2at6native32elementwise_kernel_manual_unrollILi128ELi4EZNS0_15gpu_kernel_implIZZZNS0_12_GLOBAL__N_124softplus_backward_kernelERNS_18TensorIteratorBaseERKN3c106ScalarES9_ENKUlvE_clEvENKUlvE2_clEvEUlNS6_8BFloat16ESC_E_EEvS5_RKT_EUlibE0_EEviT1_,"axG",@progbits,_ZN2at6native32elementwise_kernel_manual_unrollILi128ELi4EZNS0_15gpu_kernel_implIZZZNS0_12_GLOBAL__N_124softplus_backward_kernelERNS_18TensorIteratorBaseERKN3c106ScalarES9_ENKUlvE_clEvENKUlvE2_clEvEUlNS6_8BFloat16ESC_E_EEvS5_RKT_EUlibE0_EEviT1_,comdat
.Lfunc_end93:
	.size	_ZN2at6native32elementwise_kernel_manual_unrollILi128ELi4EZNS0_15gpu_kernel_implIZZZNS0_12_GLOBAL__N_124softplus_backward_kernelERNS_18TensorIteratorBaseERKN3c106ScalarES9_ENKUlvE_clEvENKUlvE2_clEvEUlNS6_8BFloat16ESC_E_EEvS5_RKT_EUlibE0_EEviT1_, .Lfunc_end93-_ZN2at6native32elementwise_kernel_manual_unrollILi128ELi4EZNS0_15gpu_kernel_implIZZZNS0_12_GLOBAL__N_124softplus_backward_kernelERNS_18TensorIteratorBaseERKN3c106ScalarES9_ENKUlvE_clEvENKUlvE2_clEvEUlNS6_8BFloat16ESC_E_EEvS5_RKT_EUlibE0_EEviT1_
                                        ; -- End function
	.set _ZN2at6native32elementwise_kernel_manual_unrollILi128ELi4EZNS0_15gpu_kernel_implIZZZNS0_12_GLOBAL__N_124softplus_backward_kernelERNS_18TensorIteratorBaseERKN3c106ScalarES9_ENKUlvE_clEvENKUlvE2_clEvEUlNS6_8BFloat16ESC_E_EEvS5_RKT_EUlibE0_EEviT1_.num_vgpr, 26
	.set _ZN2at6native32elementwise_kernel_manual_unrollILi128ELi4EZNS0_15gpu_kernel_implIZZZNS0_12_GLOBAL__N_124softplus_backward_kernelERNS_18TensorIteratorBaseERKN3c106ScalarES9_ENKUlvE_clEvENKUlvE2_clEvEUlNS6_8BFloat16ESC_E_EEvS5_RKT_EUlibE0_EEviT1_.num_agpr, 0
	.set _ZN2at6native32elementwise_kernel_manual_unrollILi128ELi4EZNS0_15gpu_kernel_implIZZZNS0_12_GLOBAL__N_124softplus_backward_kernelERNS_18TensorIteratorBaseERKN3c106ScalarES9_ENKUlvE_clEvENKUlvE2_clEvEUlNS6_8BFloat16ESC_E_EEvS5_RKT_EUlibE0_EEviT1_.numbered_sgpr, 62
	.set _ZN2at6native32elementwise_kernel_manual_unrollILi128ELi4EZNS0_15gpu_kernel_implIZZZNS0_12_GLOBAL__N_124softplus_backward_kernelERNS_18TensorIteratorBaseERKN3c106ScalarES9_ENKUlvE_clEvENKUlvE2_clEvEUlNS6_8BFloat16ESC_E_EEvS5_RKT_EUlibE0_EEviT1_.num_named_barrier, 0
	.set _ZN2at6native32elementwise_kernel_manual_unrollILi128ELi4EZNS0_15gpu_kernel_implIZZZNS0_12_GLOBAL__N_124softplus_backward_kernelERNS_18TensorIteratorBaseERKN3c106ScalarES9_ENKUlvE_clEvENKUlvE2_clEvEUlNS6_8BFloat16ESC_E_EEvS5_RKT_EUlibE0_EEviT1_.private_seg_size, 0
	.set _ZN2at6native32elementwise_kernel_manual_unrollILi128ELi4EZNS0_15gpu_kernel_implIZZZNS0_12_GLOBAL__N_124softplus_backward_kernelERNS_18TensorIteratorBaseERKN3c106ScalarES9_ENKUlvE_clEvENKUlvE2_clEvEUlNS6_8BFloat16ESC_E_EEvS5_RKT_EUlibE0_EEviT1_.uses_vcc, 1
	.set _ZN2at6native32elementwise_kernel_manual_unrollILi128ELi4EZNS0_15gpu_kernel_implIZZZNS0_12_GLOBAL__N_124softplus_backward_kernelERNS_18TensorIteratorBaseERKN3c106ScalarES9_ENKUlvE_clEvENKUlvE2_clEvEUlNS6_8BFloat16ESC_E_EEvS5_RKT_EUlibE0_EEviT1_.uses_flat_scratch, 0
	.set _ZN2at6native32elementwise_kernel_manual_unrollILi128ELi4EZNS0_15gpu_kernel_implIZZZNS0_12_GLOBAL__N_124softplus_backward_kernelERNS_18TensorIteratorBaseERKN3c106ScalarES9_ENKUlvE_clEvENKUlvE2_clEvEUlNS6_8BFloat16ESC_E_EEvS5_RKT_EUlibE0_EEviT1_.has_dyn_sized_stack, 0
	.set _ZN2at6native32elementwise_kernel_manual_unrollILi128ELi4EZNS0_15gpu_kernel_implIZZZNS0_12_GLOBAL__N_124softplus_backward_kernelERNS_18TensorIteratorBaseERKN3c106ScalarES9_ENKUlvE_clEvENKUlvE2_clEvEUlNS6_8BFloat16ESC_E_EEvS5_RKT_EUlibE0_EEviT1_.has_recursion, 0
	.set _ZN2at6native32elementwise_kernel_manual_unrollILi128ELi4EZNS0_15gpu_kernel_implIZZZNS0_12_GLOBAL__N_124softplus_backward_kernelERNS_18TensorIteratorBaseERKN3c106ScalarES9_ENKUlvE_clEvENKUlvE2_clEvEUlNS6_8BFloat16ESC_E_EEvS5_RKT_EUlibE0_EEviT1_.has_indirect_call, 0
	.section	.AMDGPU.csdata,"",@progbits
; Kernel info:
; codeLenInByte = 75752
; TotalNumSgprs: 64
; NumVgprs: 26
; ScratchSize: 0
; MemoryBound: 0
; FloatMode: 240
; IeeeMode: 1
; LDSByteSize: 0 bytes/workgroup (compile time only)
; SGPRBlocks: 0
; VGPRBlocks: 1
; NumSGPRsForWavesPerEU: 64
; NumVGPRsForWavesPerEU: 26
; NamedBarCnt: 0
; Occupancy: 16
; WaveLimiterHint : 1
; COMPUTE_PGM_RSRC2:SCRATCH_EN: 0
; COMPUTE_PGM_RSRC2:USER_SGPR: 2
; COMPUTE_PGM_RSRC2:TRAP_HANDLER: 0
; COMPUTE_PGM_RSRC2:TGID_X_EN: 1
; COMPUTE_PGM_RSRC2:TGID_Y_EN: 0
; COMPUTE_PGM_RSRC2:TGID_Z_EN: 0
; COMPUTE_PGM_RSRC2:TIDIG_COMP_CNT: 0
	.text
	.p2alignl 7, 3214868480
	.fill 96, 4, 3214868480
	.section	.AMDGPU.gpr_maximums,"",@progbits
	.set amdgpu.max_num_vgpr, 132
	.set amdgpu.max_num_agpr, 0
	.set amdgpu.max_num_sgpr, 96
	.text
	.type	__hip_cuid_bfcb3a749cc2e9b2,@object ; @__hip_cuid_bfcb3a749cc2e9b2
	.section	.bss,"aw",@nobits
	.globl	__hip_cuid_bfcb3a749cc2e9b2
__hip_cuid_bfcb3a749cc2e9b2:
	.byte	0                               ; 0x0
	.size	__hip_cuid_bfcb3a749cc2e9b2, 1

	.ident	"AMD clang version 22.0.0git (https://github.com/RadeonOpenCompute/llvm-project roc-7.2.4 26084 f58b06dce1f9c15707c5f808fd002e18c2accf7e)"
	.section	".note.GNU-stack","",@progbits
	.addrsig
	.addrsig_sym __hip_cuid_bfcb3a749cc2e9b2
	.amdgpu_metadata
---
amdhsa.kernels:
  - .args:
      - .offset:         0
        .size:           4
        .value_kind:     by_value
      - .offset:         8
        .size:           16
        .value_kind:     by_value
      - .offset:         24
        .size:           16
        .value_kind:     by_value
    .group_segment_fixed_size: 0
    .kernarg_segment_align: 8
    .kernarg_segment_size: 40
    .language:       OpenCL C
    .language_version:
      - 2
      - 0
    .max_flat_workgroup_size: 256
    .name:           _ZN2at6native29vectorized_elementwise_kernelILi16EZZZNS0_12_GLOBAL__N_115softplus_kernelERNS_18TensorIteratorBaseERKN3c106ScalarES8_ENKUlvE_clEvENKUlvE_clEvEUldE_St5arrayIPcLm2EEEEviT0_T1_
    .private_segment_fixed_size: 0
    .sgpr_count:     20
    .sgpr_spill_count: 0
    .symbol:         _ZN2at6native29vectorized_elementwise_kernelILi16EZZZNS0_12_GLOBAL__N_115softplus_kernelERNS_18TensorIteratorBaseERKN3c106ScalarES8_ENKUlvE_clEvENKUlvE_clEvEUldE_St5arrayIPcLm2EEEEviT0_T1_.kd
    .uniform_work_group_size: 1
    .uses_dynamic_stack: false
    .vgpr_count:     38
    .vgpr_spill_count: 0
    .wavefront_size: 32
  - .args:
      - .offset:         0
        .size:           4
        .value_kind:     by_value
      - .offset:         8
        .size:           16
        .value_kind:     by_value
      - .offset:         24
        .size:           16
        .value_kind:     by_value
    .group_segment_fixed_size: 0
    .kernarg_segment_align: 8
    .kernarg_segment_size: 40
    .language:       OpenCL C
    .language_version:
      - 2
      - 0
    .max_flat_workgroup_size: 256
    .name:           _ZN2at6native29vectorized_elementwise_kernelILi8EZZZNS0_12_GLOBAL__N_115softplus_kernelERNS_18TensorIteratorBaseERKN3c106ScalarES8_ENKUlvE_clEvENKUlvE_clEvEUldE_St5arrayIPcLm2EEEEviT0_T1_
    .private_segment_fixed_size: 0
    .sgpr_count:     20
    .sgpr_spill_count: 0
    .symbol:         _ZN2at6native29vectorized_elementwise_kernelILi8EZZZNS0_12_GLOBAL__N_115softplus_kernelERNS_18TensorIteratorBaseERKN3c106ScalarES8_ENKUlvE_clEvENKUlvE_clEvEUldE_St5arrayIPcLm2EEEEviT0_T1_.kd
    .uniform_work_group_size: 1
    .uses_dynamic_stack: false
    .vgpr_count:     38
    .vgpr_spill_count: 0
    .wavefront_size: 32
  - .args:
      - .offset:         0
        .size:           4
        .value_kind:     by_value
      - .offset:         8
        .size:           16
        .value_kind:     by_value
      - .offset:         24
        .size:           16
        .value_kind:     by_value
    .group_segment_fixed_size: 0
    .kernarg_segment_align: 8
    .kernarg_segment_size: 40
    .language:       OpenCL C
    .language_version:
      - 2
      - 0
    .max_flat_workgroup_size: 256
    .name:           _ZN2at6native29vectorized_elementwise_kernelILi4EZZZNS0_12_GLOBAL__N_115softplus_kernelERNS_18TensorIteratorBaseERKN3c106ScalarES8_ENKUlvE_clEvENKUlvE_clEvEUldE_St5arrayIPcLm2EEEEviT0_T1_
    .private_segment_fixed_size: 0
    .sgpr_count:     20
    .sgpr_spill_count: 0
    .symbol:         _ZN2at6native29vectorized_elementwise_kernelILi4EZZZNS0_12_GLOBAL__N_115softplus_kernelERNS_18TensorIteratorBaseERKN3c106ScalarES8_ENKUlvE_clEvENKUlvE_clEvEUldE_St5arrayIPcLm2EEEEviT0_T1_.kd
    .uniform_work_group_size: 1
    .uses_dynamic_stack: false
    .vgpr_count:     38
    .vgpr_spill_count: 0
    .wavefront_size: 32
  - .args:
      - .offset:         0
        .size:           4
        .value_kind:     by_value
      - .offset:         8
        .size:           16
        .value_kind:     by_value
      - .offset:         24
        .size:           16
        .value_kind:     by_value
    .group_segment_fixed_size: 0
    .kernarg_segment_align: 8
    .kernarg_segment_size: 40
    .language:       OpenCL C
    .language_version:
      - 2
      - 0
    .max_flat_workgroup_size: 256
    .name:           _ZN2at6native29vectorized_elementwise_kernelILi2EZZZNS0_12_GLOBAL__N_115softplus_kernelERNS_18TensorIteratorBaseERKN3c106ScalarES8_ENKUlvE_clEvENKUlvE_clEvEUldE_St5arrayIPcLm2EEEEviT0_T1_
    .private_segment_fixed_size: 0
    .sgpr_count:     20
    .sgpr_spill_count: 0
    .symbol:         _ZN2at6native29vectorized_elementwise_kernelILi2EZZZNS0_12_GLOBAL__N_115softplus_kernelERNS_18TensorIteratorBaseERKN3c106ScalarES8_ENKUlvE_clEvENKUlvE_clEvEUldE_St5arrayIPcLm2EEEEviT0_T1_.kd
    .uniform_work_group_size: 1
    .uses_dynamic_stack: false
    .vgpr_count:     38
    .vgpr_spill_count: 0
    .wavefront_size: 32
  - .args:
      - .offset:         0
        .size:           4
        .value_kind:     by_value
      - .offset:         8
        .size:           16
        .value_kind:     by_value
      - .offset:         24
        .size:           16
        .value_kind:     by_value
      - .offset:         40
        .size:           1
        .value_kind:     by_value
      - .offset:         41
        .size:           1
        .value_kind:     by_value
      - .offset:         42
        .size:           1
        .value_kind:     by_value
      - .offset:         43
        .size:           1
        .value_kind:     by_value
    .group_segment_fixed_size: 0
    .kernarg_segment_align: 8
    .kernarg_segment_size: 44
    .language:       OpenCL C
    .language_version:
      - 2
      - 0
    .max_flat_workgroup_size: 256
    .name:           _ZN2at6native27unrolled_elementwise_kernelIZZZNS0_12_GLOBAL__N_115softplus_kernelERNS_18TensorIteratorBaseERKN3c106ScalarES8_ENKUlvE_clEvENKUlvE_clEvEUldE_St5arrayIPcLm2EELi4E23TrivialOffsetCalculatorILi1EjESG_NS0_6memory15LoadWithoutCastENSH_16StoreWithoutCastEEEviT_T0_T2_T3_T4_T5_
    .private_segment_fixed_size: 0
    .sgpr_count:     18
    .sgpr_spill_count: 0
    .symbol:         _ZN2at6native27unrolled_elementwise_kernelIZZZNS0_12_GLOBAL__N_115softplus_kernelERNS_18TensorIteratorBaseERKN3c106ScalarES8_ENKUlvE_clEvENKUlvE_clEvEUldE_St5arrayIPcLm2EELi4E23TrivialOffsetCalculatorILi1EjESG_NS0_6memory15LoadWithoutCastENSH_16StoreWithoutCastEEEviT_T0_T2_T3_T4_T5_.kd
    .uniform_work_group_size: 1
    .uses_dynamic_stack: false
    .vgpr_count:     38
    .vgpr_spill_count: 0
    .wavefront_size: 32
  - .args:
      - .offset:         0
        .size:           4
        .value_kind:     by_value
      - .offset:         8
        .size:           360
        .value_kind:     by_value
    .group_segment_fixed_size: 0
    .kernarg_segment_align: 8
    .kernarg_segment_size: 368
    .language:       OpenCL C
    .language_version:
      - 2
      - 0
    .max_flat_workgroup_size: 128
    .name:           _ZN2at6native32elementwise_kernel_manual_unrollILi128ELi4EZNS0_22gpu_kernel_impl_nocastIZZZNS0_12_GLOBAL__N_115softplus_kernelERNS_18TensorIteratorBaseERKN3c106ScalarES9_ENKUlvE_clEvENKUlvE_clEvEUldE_EEvS5_RKT_EUlibE_EEviT1_
    .private_segment_fixed_size: 0
    .sgpr_count:     66
    .sgpr_spill_count: 0
    .symbol:         _ZN2at6native32elementwise_kernel_manual_unrollILi128ELi4EZNS0_22gpu_kernel_impl_nocastIZZZNS0_12_GLOBAL__N_115softplus_kernelERNS_18TensorIteratorBaseERKN3c106ScalarES9_ENKUlvE_clEvENKUlvE_clEvEUldE_EEvS5_RKT_EUlibE_EEviT1_.kd
    .uniform_work_group_size: 1
    .uses_dynamic_stack: false
    .vgpr_count:     38
    .vgpr_spill_count: 0
    .wavefront_size: 32
  - .args:
      - .offset:         0
        .size:           4
        .value_kind:     by_value
      - .offset:         8
        .size:           48
        .value_kind:     by_value
    .group_segment_fixed_size: 0
    .kernarg_segment_align: 8
    .kernarg_segment_size: 56
    .language:       OpenCL C
    .language_version:
      - 2
      - 0
    .max_flat_workgroup_size: 128
    .name:           _ZN2at6native32elementwise_kernel_manual_unrollILi128ELi4EZNS0_15gpu_kernel_implIZZZNS0_12_GLOBAL__N_115softplus_kernelERNS_18TensorIteratorBaseERKN3c106ScalarES9_ENKUlvE_clEvENKUlvE_clEvEUldE_EEvS5_RKT_EUlibE_EEviT1_
    .private_segment_fixed_size: 0
    .sgpr_count:     32
    .sgpr_spill_count: 0
    .symbol:         _ZN2at6native32elementwise_kernel_manual_unrollILi128ELi4EZNS0_15gpu_kernel_implIZZZNS0_12_GLOBAL__N_115softplus_kernelERNS_18TensorIteratorBaseERKN3c106ScalarES9_ENKUlvE_clEvENKUlvE_clEvEUldE_EEvS5_RKT_EUlibE_EEviT1_.kd
    .uniform_work_group_size: 1
    .uses_dynamic_stack: false
    .vgpr_count:     32
    .vgpr_spill_count: 0
    .wavefront_size: 32
  - .args:
      - .offset:         0
        .size:           4
        .value_kind:     by_value
      - .offset:         8
        .size:           368
        .value_kind:     by_value
    .group_segment_fixed_size: 0
    .kernarg_segment_align: 8
    .kernarg_segment_size: 376
    .language:       OpenCL C
    .language_version:
      - 2
      - 0
    .max_flat_workgroup_size: 128
    .name:           _ZN2at6native32elementwise_kernel_manual_unrollILi128ELi4EZNS0_15gpu_kernel_implIZZZNS0_12_GLOBAL__N_115softplus_kernelERNS_18TensorIteratorBaseERKN3c106ScalarES9_ENKUlvE_clEvENKUlvE_clEvEUldE_EEvS5_RKT_EUlibE0_EEviT1_
    .private_segment_fixed_size: 0
    .sgpr_count:     74
    .sgpr_spill_count: 0
    .symbol:         _ZN2at6native32elementwise_kernel_manual_unrollILi128ELi4EZNS0_15gpu_kernel_implIZZZNS0_12_GLOBAL__N_115softplus_kernelERNS_18TensorIteratorBaseERKN3c106ScalarES9_ENKUlvE_clEvENKUlvE_clEvEUldE_EEvS5_RKT_EUlibE0_EEviT1_.kd
    .uniform_work_group_size: 1
    .uses_dynamic_stack: false
    .vgpr_count:     38
    .vgpr_spill_count: 0
    .wavefront_size: 32
  - .args:
      - .offset:         0
        .size:           4
        .value_kind:     by_value
      - .offset:         4
        .size:           8
        .value_kind:     by_value
      - .offset:         16
        .size:           16
        .value_kind:     by_value
    .group_segment_fixed_size: 0
    .kernarg_segment_align: 8
    .kernarg_segment_size: 32
    .language:       OpenCL C
    .language_version:
      - 2
      - 0
    .max_flat_workgroup_size: 256
    .name:           _ZN2at6native29vectorized_elementwise_kernelILi16EZZZNS0_12_GLOBAL__N_115softplus_kernelERNS_18TensorIteratorBaseERKN3c106ScalarES8_ENKUlvE_clEvENKUlvE0_clEvEUlfE_St5arrayIPcLm2EEEEviT0_T1_
    .private_segment_fixed_size: 0
    .sgpr_count:     16
    .sgpr_spill_count: 0
    .symbol:         _ZN2at6native29vectorized_elementwise_kernelILi16EZZZNS0_12_GLOBAL__N_115softplus_kernelERNS_18TensorIteratorBaseERKN3c106ScalarES8_ENKUlvE_clEvENKUlvE0_clEvEUlfE_St5arrayIPcLm2EEEEviT0_T1_.kd
    .uniform_work_group_size: 1
    .uses_dynamic_stack: false
    .vgpr_count:     26
    .vgpr_spill_count: 0
    .wavefront_size: 32
  - .args:
      - .offset:         0
        .size:           4
        .value_kind:     by_value
      - .offset:         4
        .size:           8
        .value_kind:     by_value
      - .offset:         16
        .size:           16
        .value_kind:     by_value
    .group_segment_fixed_size: 0
    .kernarg_segment_align: 8
    .kernarg_segment_size: 32
    .language:       OpenCL C
    .language_version:
      - 2
      - 0
    .max_flat_workgroup_size: 256
    .name:           _ZN2at6native29vectorized_elementwise_kernelILi8EZZZNS0_12_GLOBAL__N_115softplus_kernelERNS_18TensorIteratorBaseERKN3c106ScalarES8_ENKUlvE_clEvENKUlvE0_clEvEUlfE_St5arrayIPcLm2EEEEviT0_T1_
    .private_segment_fixed_size: 0
    .sgpr_count:     16
    .sgpr_spill_count: 0
    .symbol:         _ZN2at6native29vectorized_elementwise_kernelILi8EZZZNS0_12_GLOBAL__N_115softplus_kernelERNS_18TensorIteratorBaseERKN3c106ScalarES8_ENKUlvE_clEvENKUlvE0_clEvEUlfE_St5arrayIPcLm2EEEEviT0_T1_.kd
    .uniform_work_group_size: 1
    .uses_dynamic_stack: false
    .vgpr_count:     26
    .vgpr_spill_count: 0
    .wavefront_size: 32
  - .args:
      - .offset:         0
        .size:           4
        .value_kind:     by_value
      - .offset:         4
        .size:           8
        .value_kind:     by_value
      - .offset:         16
        .size:           16
        .value_kind:     by_value
    .group_segment_fixed_size: 0
    .kernarg_segment_align: 8
    .kernarg_segment_size: 32
    .language:       OpenCL C
    .language_version:
      - 2
      - 0
    .max_flat_workgroup_size: 256
    .name:           _ZN2at6native29vectorized_elementwise_kernelILi4EZZZNS0_12_GLOBAL__N_115softplus_kernelERNS_18TensorIteratorBaseERKN3c106ScalarES8_ENKUlvE_clEvENKUlvE0_clEvEUlfE_St5arrayIPcLm2EEEEviT0_T1_
    .private_segment_fixed_size: 0
    .sgpr_count:     16
    .sgpr_spill_count: 0
    .symbol:         _ZN2at6native29vectorized_elementwise_kernelILi4EZZZNS0_12_GLOBAL__N_115softplus_kernelERNS_18TensorIteratorBaseERKN3c106ScalarES8_ENKUlvE_clEvENKUlvE0_clEvEUlfE_St5arrayIPcLm2EEEEviT0_T1_.kd
    .uniform_work_group_size: 1
    .uses_dynamic_stack: false
    .vgpr_count:     26
    .vgpr_spill_count: 0
    .wavefront_size: 32
  - .args:
      - .offset:         0
        .size:           4
        .value_kind:     by_value
      - .offset:         4
        .size:           8
        .value_kind:     by_value
      - .offset:         16
        .size:           16
        .value_kind:     by_value
    .group_segment_fixed_size: 0
    .kernarg_segment_align: 8
    .kernarg_segment_size: 32
    .language:       OpenCL C
    .language_version:
      - 2
      - 0
    .max_flat_workgroup_size: 256
    .name:           _ZN2at6native29vectorized_elementwise_kernelILi2EZZZNS0_12_GLOBAL__N_115softplus_kernelERNS_18TensorIteratorBaseERKN3c106ScalarES8_ENKUlvE_clEvENKUlvE0_clEvEUlfE_St5arrayIPcLm2EEEEviT0_T1_
    .private_segment_fixed_size: 0
    .sgpr_count:     16
    .sgpr_spill_count: 0
    .symbol:         _ZN2at6native29vectorized_elementwise_kernelILi2EZZZNS0_12_GLOBAL__N_115softplus_kernelERNS_18TensorIteratorBaseERKN3c106ScalarES8_ENKUlvE_clEvENKUlvE0_clEvEUlfE_St5arrayIPcLm2EEEEviT0_T1_.kd
    .uniform_work_group_size: 1
    .uses_dynamic_stack: false
    .vgpr_count:     26
    .vgpr_spill_count: 0
    .wavefront_size: 32
  - .args:
      - .offset:         0
        .size:           4
        .value_kind:     by_value
      - .offset:         4
        .size:           8
        .value_kind:     by_value
      - .offset:         16
        .size:           16
        .value_kind:     by_value
      - .offset:         32
        .size:           1
        .value_kind:     by_value
      - .offset:         33
        .size:           1
        .value_kind:     by_value
      - .offset:         34
        .size:           1
        .value_kind:     by_value
      - .offset:         35
        .size:           1
        .value_kind:     by_value
    .group_segment_fixed_size: 0
    .kernarg_segment_align: 8
    .kernarg_segment_size: 36
    .language:       OpenCL C
    .language_version:
      - 2
      - 0
    .max_flat_workgroup_size: 256
    .name:           _ZN2at6native27unrolled_elementwise_kernelIZZZNS0_12_GLOBAL__N_115softplus_kernelERNS_18TensorIteratorBaseERKN3c106ScalarES8_ENKUlvE_clEvENKUlvE0_clEvEUlfE_St5arrayIPcLm2EELi4E23TrivialOffsetCalculatorILi1EjESG_NS0_6memory15LoadWithoutCastENSH_16StoreWithoutCastEEEviT_T0_T2_T3_T4_T5_
    .private_segment_fixed_size: 0
    .sgpr_count:     13
    .sgpr_spill_count: 0
    .symbol:         _ZN2at6native27unrolled_elementwise_kernelIZZZNS0_12_GLOBAL__N_115softplus_kernelERNS_18TensorIteratorBaseERKN3c106ScalarES8_ENKUlvE_clEvENKUlvE0_clEvEUlfE_St5arrayIPcLm2EELi4E23TrivialOffsetCalculatorILi1EjESG_NS0_6memory15LoadWithoutCastENSH_16StoreWithoutCastEEEviT_T0_T2_T3_T4_T5_.kd
    .uniform_work_group_size: 1
    .uses_dynamic_stack: false
    .vgpr_count:     26
    .vgpr_spill_count: 0
    .wavefront_size: 32
  - .args:
      - .offset:         0
        .size:           4
        .value_kind:     by_value
      - .offset:         8
        .size:           352
        .value_kind:     by_value
    .group_segment_fixed_size: 0
    .kernarg_segment_align: 8
    .kernarg_segment_size: 360
    .language:       OpenCL C
    .language_version:
      - 2
      - 0
    .max_flat_workgroup_size: 128
    .name:           _ZN2at6native32elementwise_kernel_manual_unrollILi128ELi4EZNS0_22gpu_kernel_impl_nocastIZZZNS0_12_GLOBAL__N_115softplus_kernelERNS_18TensorIteratorBaseERKN3c106ScalarES9_ENKUlvE_clEvENKUlvE0_clEvEUlfE_EEvS5_RKT_EUlibE_EEviT1_
    .private_segment_fixed_size: 0
    .sgpr_count:     62
    .sgpr_spill_count: 0
    .symbol:         _ZN2at6native32elementwise_kernel_manual_unrollILi128ELi4EZNS0_22gpu_kernel_impl_nocastIZZZNS0_12_GLOBAL__N_115softplus_kernelERNS_18TensorIteratorBaseERKN3c106ScalarES9_ENKUlvE_clEvENKUlvE0_clEvEUlfE_EEvS5_RKT_EUlibE_EEviT1_.kd
    .uniform_work_group_size: 1
    .uses_dynamic_stack: false
    .vgpr_count:     25
    .vgpr_spill_count: 0
    .wavefront_size: 32
  - .args:
      - .offset:         0
        .size:           4
        .value_kind:     by_value
      - .offset:         8
        .size:           40
        .value_kind:     by_value
    .group_segment_fixed_size: 0
    .kernarg_segment_align: 8
    .kernarg_segment_size: 48
    .language:       OpenCL C
    .language_version:
      - 2
      - 0
    .max_flat_workgroup_size: 128
    .name:           _ZN2at6native32elementwise_kernel_manual_unrollILi128ELi4EZNS0_15gpu_kernel_implIZZZNS0_12_GLOBAL__N_115softplus_kernelERNS_18TensorIteratorBaseERKN3c106ScalarES9_ENKUlvE_clEvENKUlvE0_clEvEUlfE_EEvS5_RKT_EUlibE_EEviT1_
    .private_segment_fixed_size: 0
    .sgpr_count:     30
    .sgpr_spill_count: 0
    .symbol:         _ZN2at6native32elementwise_kernel_manual_unrollILi128ELi4EZNS0_15gpu_kernel_implIZZZNS0_12_GLOBAL__N_115softplus_kernelERNS_18TensorIteratorBaseERKN3c106ScalarES9_ENKUlvE_clEvENKUlvE0_clEvEUlfE_EEvS5_RKT_EUlibE_EEviT1_.kd
    .uniform_work_group_size: 1
    .uses_dynamic_stack: false
    .vgpr_count:     24
    .vgpr_spill_count: 0
    .wavefront_size: 32
  - .args:
      - .offset:         0
        .size:           4
        .value_kind:     by_value
      - .offset:         8
        .size:           360
        .value_kind:     by_value
    .group_segment_fixed_size: 0
    .kernarg_segment_align: 8
    .kernarg_segment_size: 368
    .language:       OpenCL C
    .language_version:
      - 2
      - 0
    .max_flat_workgroup_size: 128
    .name:           _ZN2at6native32elementwise_kernel_manual_unrollILi128ELi4EZNS0_15gpu_kernel_implIZZZNS0_12_GLOBAL__N_115softplus_kernelERNS_18TensorIteratorBaseERKN3c106ScalarES9_ENKUlvE_clEvENKUlvE0_clEvEUlfE_EEvS5_RKT_EUlibE0_EEviT1_
    .private_segment_fixed_size: 0
    .sgpr_count:     70
    .sgpr_spill_count: 0
    .symbol:         _ZN2at6native32elementwise_kernel_manual_unrollILi128ELi4EZNS0_15gpu_kernel_implIZZZNS0_12_GLOBAL__N_115softplus_kernelERNS_18TensorIteratorBaseERKN3c106ScalarES9_ENKUlvE_clEvENKUlvE0_clEvEUlfE_EEvS5_RKT_EUlibE0_EEviT1_.kd
    .uniform_work_group_size: 1
    .uses_dynamic_stack: false
    .vgpr_count:     30
    .vgpr_spill_count: 0
    .wavefront_size: 32
  - .args:
      - .offset:         0
        .size:           4
        .value_kind:     by_value
      - .offset:         4
        .size:           8
        .value_kind:     by_value
      - .offset:         16
        .size:           16
        .value_kind:     by_value
    .group_segment_fixed_size: 0
    .kernarg_segment_align: 8
    .kernarg_segment_size: 32
    .language:       OpenCL C
    .language_version:
      - 2
      - 0
    .max_flat_workgroup_size: 256
    .name:           _ZN2at6native29vectorized_elementwise_kernelILi16EZZZNS0_12_GLOBAL__N_115softplus_kernelERNS_18TensorIteratorBaseERKN3c106ScalarES8_ENKUlvE_clEvENKUlvE1_clEvEUlNS5_4HalfEE_St5arrayIPcLm2EEEEviT0_T1_
    .private_segment_fixed_size: 0
    .sgpr_count:     35
    .sgpr_spill_count: 0
    .symbol:         _ZN2at6native29vectorized_elementwise_kernelILi16EZZZNS0_12_GLOBAL__N_115softplus_kernelERNS_18TensorIteratorBaseERKN3c106ScalarES8_ENKUlvE_clEvENKUlvE1_clEvEUlNS5_4HalfEE_St5arrayIPcLm2EEEEviT0_T1_.kd
    .uniform_work_group_size: 1
    .uses_dynamic_stack: false
    .vgpr_count:     34
    .vgpr_spill_count: 0
    .wavefront_size: 32
  - .args:
      - .offset:         0
        .size:           4
        .value_kind:     by_value
      - .offset:         4
        .size:           8
        .value_kind:     by_value
      - .offset:         16
        .size:           16
        .value_kind:     by_value
    .group_segment_fixed_size: 0
    .kernarg_segment_align: 8
    .kernarg_segment_size: 32
    .language:       OpenCL C
    .language_version:
      - 2
      - 0
    .max_flat_workgroup_size: 256
    .name:           _ZN2at6native29vectorized_elementwise_kernelILi8EZZZNS0_12_GLOBAL__N_115softplus_kernelERNS_18TensorIteratorBaseERKN3c106ScalarES8_ENKUlvE_clEvENKUlvE1_clEvEUlNS5_4HalfEE_St5arrayIPcLm2EEEEviT0_T1_
    .private_segment_fixed_size: 0
    .sgpr_count:     35
    .sgpr_spill_count: 0
    .symbol:         _ZN2at6native29vectorized_elementwise_kernelILi8EZZZNS0_12_GLOBAL__N_115softplus_kernelERNS_18TensorIteratorBaseERKN3c106ScalarES8_ENKUlvE_clEvENKUlvE1_clEvEUlNS5_4HalfEE_St5arrayIPcLm2EEEEviT0_T1_.kd
    .uniform_work_group_size: 1
    .uses_dynamic_stack: false
    .vgpr_count:     34
    .vgpr_spill_count: 0
    .wavefront_size: 32
  - .args:
      - .offset:         0
        .size:           4
        .value_kind:     by_value
      - .offset:         4
        .size:           8
        .value_kind:     by_value
      - .offset:         16
        .size:           16
        .value_kind:     by_value
    .group_segment_fixed_size: 0
    .kernarg_segment_align: 8
    .kernarg_segment_size: 32
    .language:       OpenCL C
    .language_version:
      - 2
      - 0
    .max_flat_workgroup_size: 256
    .name:           _ZN2at6native29vectorized_elementwise_kernelILi4EZZZNS0_12_GLOBAL__N_115softplus_kernelERNS_18TensorIteratorBaseERKN3c106ScalarES8_ENKUlvE_clEvENKUlvE1_clEvEUlNS5_4HalfEE_St5arrayIPcLm2EEEEviT0_T1_
    .private_segment_fixed_size: 0
    .sgpr_count:     35
    .sgpr_spill_count: 0
    .symbol:         _ZN2at6native29vectorized_elementwise_kernelILi4EZZZNS0_12_GLOBAL__N_115softplus_kernelERNS_18TensorIteratorBaseERKN3c106ScalarES8_ENKUlvE_clEvENKUlvE1_clEvEUlNS5_4HalfEE_St5arrayIPcLm2EEEEviT0_T1_.kd
    .uniform_work_group_size: 1
    .uses_dynamic_stack: false
    .vgpr_count:     34
    .vgpr_spill_count: 0
    .wavefront_size: 32
  - .args:
      - .offset:         0
        .size:           4
        .value_kind:     by_value
      - .offset:         4
        .size:           8
        .value_kind:     by_value
      - .offset:         16
        .size:           16
        .value_kind:     by_value
    .group_segment_fixed_size: 0
    .kernarg_segment_align: 8
    .kernarg_segment_size: 32
    .language:       OpenCL C
    .language_version:
      - 2
      - 0
    .max_flat_workgroup_size: 256
    .name:           _ZN2at6native29vectorized_elementwise_kernelILi2EZZZNS0_12_GLOBAL__N_115softplus_kernelERNS_18TensorIteratorBaseERKN3c106ScalarES8_ENKUlvE_clEvENKUlvE1_clEvEUlNS5_4HalfEE_St5arrayIPcLm2EEEEviT0_T1_
    .private_segment_fixed_size: 0
    .sgpr_count:     35
    .sgpr_spill_count: 0
    .symbol:         _ZN2at6native29vectorized_elementwise_kernelILi2EZZZNS0_12_GLOBAL__N_115softplus_kernelERNS_18TensorIteratorBaseERKN3c106ScalarES8_ENKUlvE_clEvENKUlvE1_clEvEUlNS5_4HalfEE_St5arrayIPcLm2EEEEviT0_T1_.kd
    .uniform_work_group_size: 1
    .uses_dynamic_stack: false
    .vgpr_count:     34
    .vgpr_spill_count: 0
    .wavefront_size: 32
  - .args:
      - .offset:         0
        .size:           4
        .value_kind:     by_value
      - .offset:         4
        .size:           8
        .value_kind:     by_value
      - .offset:         16
        .size:           16
        .value_kind:     by_value
      - .offset:         32
        .size:           1
        .value_kind:     by_value
      - .offset:         33
        .size:           1
        .value_kind:     by_value
      - .offset:         34
        .size:           1
        .value_kind:     by_value
      - .offset:         35
        .size:           1
        .value_kind:     by_value
    .group_segment_fixed_size: 0
    .kernarg_segment_align: 8
    .kernarg_segment_size: 36
    .language:       OpenCL C
    .language_version:
      - 2
      - 0
    .max_flat_workgroup_size: 256
    .name:           _ZN2at6native27unrolled_elementwise_kernelIZZZNS0_12_GLOBAL__N_115softplus_kernelERNS_18TensorIteratorBaseERKN3c106ScalarES8_ENKUlvE_clEvENKUlvE1_clEvEUlNS5_4HalfEE_St5arrayIPcLm2EELi4E23TrivialOffsetCalculatorILi1EjESH_NS0_6memory15LoadWithoutCastENSI_16StoreWithoutCastEEEviT_T0_T2_T3_T4_T5_
    .private_segment_fixed_size: 0
    .sgpr_count:     13
    .sgpr_spill_count: 0
    .symbol:         _ZN2at6native27unrolled_elementwise_kernelIZZZNS0_12_GLOBAL__N_115softplus_kernelERNS_18TensorIteratorBaseERKN3c106ScalarES8_ENKUlvE_clEvENKUlvE1_clEvEUlNS5_4HalfEE_St5arrayIPcLm2EELi4E23TrivialOffsetCalculatorILi1EjESH_NS0_6memory15LoadWithoutCastENSI_16StoreWithoutCastEEEviT_T0_T2_T3_T4_T5_.kd
    .uniform_work_group_size: 1
    .uses_dynamic_stack: false
    .vgpr_count:     25
    .vgpr_spill_count: 0
    .wavefront_size: 32
  - .args:
      - .offset:         0
        .size:           4
        .value_kind:     by_value
      - .offset:         8
        .size:           352
        .value_kind:     by_value
    .group_segment_fixed_size: 0
    .kernarg_segment_align: 8
    .kernarg_segment_size: 360
    .language:       OpenCL C
    .language_version:
      - 2
      - 0
    .max_flat_workgroup_size: 128
    .name:           _ZN2at6native32elementwise_kernel_manual_unrollILi128ELi8EZNS0_22gpu_kernel_impl_nocastIZZZNS0_12_GLOBAL__N_115softplus_kernelERNS_18TensorIteratorBaseERKN3c106ScalarES9_ENKUlvE_clEvENKUlvE1_clEvEUlNS6_4HalfEE_EEvS5_RKT_EUlibE_EEviT1_
    .private_segment_fixed_size: 0
    .sgpr_count:     62
    .sgpr_spill_count: 0
    .symbol:         _ZN2at6native32elementwise_kernel_manual_unrollILi128ELi8EZNS0_22gpu_kernel_impl_nocastIZZZNS0_12_GLOBAL__N_115softplus_kernelERNS_18TensorIteratorBaseERKN3c106ScalarES9_ENKUlvE_clEvENKUlvE1_clEvEUlNS6_4HalfEE_EEvS5_RKT_EUlibE_EEviT1_.kd
    .uniform_work_group_size: 1
    .uses_dynamic_stack: false
    .vgpr_count:     33
    .vgpr_spill_count: 0
    .wavefront_size: 32
  - .args:
      - .offset:         0
        .size:           4
        .value_kind:     by_value
      - .offset:         8
        .size:           40
        .value_kind:     by_value
    .group_segment_fixed_size: 0
    .kernarg_segment_align: 8
    .kernarg_segment_size: 48
    .language:       OpenCL C
    .language_version:
      - 2
      - 0
    .max_flat_workgroup_size: 128
    .name:           _ZN2at6native32elementwise_kernel_manual_unrollILi128ELi4EZNS0_15gpu_kernel_implIZZZNS0_12_GLOBAL__N_115softplus_kernelERNS_18TensorIteratorBaseERKN3c106ScalarES9_ENKUlvE_clEvENKUlvE1_clEvEUlNS6_4HalfEE_EEvS5_RKT_EUlibE_EEviT1_
    .private_segment_fixed_size: 0
    .sgpr_count:     30
    .sgpr_spill_count: 0
    .symbol:         _ZN2at6native32elementwise_kernel_manual_unrollILi128ELi4EZNS0_15gpu_kernel_implIZZZNS0_12_GLOBAL__N_115softplus_kernelERNS_18TensorIteratorBaseERKN3c106ScalarES9_ENKUlvE_clEvENKUlvE1_clEvEUlNS6_4HalfEE_EEvS5_RKT_EUlibE_EEviT1_.kd
    .uniform_work_group_size: 1
    .uses_dynamic_stack: false
    .vgpr_count:     22
    .vgpr_spill_count: 0
    .wavefront_size: 32
  - .args:
      - .offset:         0
        .size:           4
        .value_kind:     by_value
      - .offset:         8
        .size:           360
        .value_kind:     by_value
    .group_segment_fixed_size: 0
    .kernarg_segment_align: 8
    .kernarg_segment_size: 368
    .language:       OpenCL C
    .language_version:
      - 2
      - 0
    .max_flat_workgroup_size: 128
    .name:           _ZN2at6native32elementwise_kernel_manual_unrollILi128ELi4EZNS0_15gpu_kernel_implIZZZNS0_12_GLOBAL__N_115softplus_kernelERNS_18TensorIteratorBaseERKN3c106ScalarES9_ENKUlvE_clEvENKUlvE1_clEvEUlNS6_4HalfEE_EEvS5_RKT_EUlibE0_EEviT1_
    .private_segment_fixed_size: 0
    .sgpr_count:     70
    .sgpr_spill_count: 0
    .symbol:         _ZN2at6native32elementwise_kernel_manual_unrollILi128ELi4EZNS0_15gpu_kernel_implIZZZNS0_12_GLOBAL__N_115softplus_kernelERNS_18TensorIteratorBaseERKN3c106ScalarES9_ENKUlvE_clEvENKUlvE1_clEvEUlNS6_4HalfEE_EEvS5_RKT_EUlibE0_EEviT1_.kd
    .uniform_work_group_size: 1
    .uses_dynamic_stack: false
    .vgpr_count:     30
    .vgpr_spill_count: 0
    .wavefront_size: 32
  - .args:
      - .offset:         0
        .size:           4
        .value_kind:     by_value
      - .offset:         4
        .size:           8
        .value_kind:     by_value
      - .offset:         16
        .size:           16
        .value_kind:     by_value
    .group_segment_fixed_size: 0
    .kernarg_segment_align: 8
    .kernarg_segment_size: 32
    .language:       OpenCL C
    .language_version:
      - 2
      - 0
    .max_flat_workgroup_size: 256
    .name:           _ZN2at6native29vectorized_elementwise_kernelILi16EZZZNS0_12_GLOBAL__N_115softplus_kernelERNS_18TensorIteratorBaseERKN3c106ScalarES8_ENKUlvE_clEvENKUlvE2_clEvEUlNS5_8BFloat16EE_St5arrayIPcLm2EEEEviT0_T1_
    .private_segment_fixed_size: 0
    .sgpr_count:     35
    .sgpr_spill_count: 0
    .symbol:         _ZN2at6native29vectorized_elementwise_kernelILi16EZZZNS0_12_GLOBAL__N_115softplus_kernelERNS_18TensorIteratorBaseERKN3c106ScalarES8_ENKUlvE_clEvENKUlvE2_clEvEUlNS5_8BFloat16EE_St5arrayIPcLm2EEEEviT0_T1_.kd
    .uniform_work_group_size: 1
    .uses_dynamic_stack: false
    .vgpr_count:     35
    .vgpr_spill_count: 0
    .wavefront_size: 32
  - .args:
      - .offset:         0
        .size:           4
        .value_kind:     by_value
      - .offset:         4
        .size:           8
        .value_kind:     by_value
      - .offset:         16
        .size:           16
        .value_kind:     by_value
    .group_segment_fixed_size: 0
    .kernarg_segment_align: 8
    .kernarg_segment_size: 32
    .language:       OpenCL C
    .language_version:
      - 2
      - 0
    .max_flat_workgroup_size: 256
    .name:           _ZN2at6native29vectorized_elementwise_kernelILi8EZZZNS0_12_GLOBAL__N_115softplus_kernelERNS_18TensorIteratorBaseERKN3c106ScalarES8_ENKUlvE_clEvENKUlvE2_clEvEUlNS5_8BFloat16EE_St5arrayIPcLm2EEEEviT0_T1_
    .private_segment_fixed_size: 0
    .sgpr_count:     35
    .sgpr_spill_count: 0
    .symbol:         _ZN2at6native29vectorized_elementwise_kernelILi8EZZZNS0_12_GLOBAL__N_115softplus_kernelERNS_18TensorIteratorBaseERKN3c106ScalarES8_ENKUlvE_clEvENKUlvE2_clEvEUlNS5_8BFloat16EE_St5arrayIPcLm2EEEEviT0_T1_.kd
    .uniform_work_group_size: 1
    .uses_dynamic_stack: false
    .vgpr_count:     35
    .vgpr_spill_count: 0
    .wavefront_size: 32
  - .args:
      - .offset:         0
        .size:           4
        .value_kind:     by_value
      - .offset:         4
        .size:           8
        .value_kind:     by_value
      - .offset:         16
        .size:           16
        .value_kind:     by_value
    .group_segment_fixed_size: 0
    .kernarg_segment_align: 8
    .kernarg_segment_size: 32
    .language:       OpenCL C
    .language_version:
      - 2
      - 0
    .max_flat_workgroup_size: 256
    .name:           _ZN2at6native29vectorized_elementwise_kernelILi4EZZZNS0_12_GLOBAL__N_115softplus_kernelERNS_18TensorIteratorBaseERKN3c106ScalarES8_ENKUlvE_clEvENKUlvE2_clEvEUlNS5_8BFloat16EE_St5arrayIPcLm2EEEEviT0_T1_
    .private_segment_fixed_size: 0
    .sgpr_count:     35
    .sgpr_spill_count: 0
    .symbol:         _ZN2at6native29vectorized_elementwise_kernelILi4EZZZNS0_12_GLOBAL__N_115softplus_kernelERNS_18TensorIteratorBaseERKN3c106ScalarES8_ENKUlvE_clEvENKUlvE2_clEvEUlNS5_8BFloat16EE_St5arrayIPcLm2EEEEviT0_T1_.kd
    .uniform_work_group_size: 1
    .uses_dynamic_stack: false
    .vgpr_count:     35
    .vgpr_spill_count: 0
    .wavefront_size: 32
  - .args:
      - .offset:         0
        .size:           4
        .value_kind:     by_value
      - .offset:         4
        .size:           8
        .value_kind:     by_value
      - .offset:         16
        .size:           16
        .value_kind:     by_value
    .group_segment_fixed_size: 0
    .kernarg_segment_align: 8
    .kernarg_segment_size: 32
    .language:       OpenCL C
    .language_version:
      - 2
      - 0
    .max_flat_workgroup_size: 256
    .name:           _ZN2at6native29vectorized_elementwise_kernelILi2EZZZNS0_12_GLOBAL__N_115softplus_kernelERNS_18TensorIteratorBaseERKN3c106ScalarES8_ENKUlvE_clEvENKUlvE2_clEvEUlNS5_8BFloat16EE_St5arrayIPcLm2EEEEviT0_T1_
    .private_segment_fixed_size: 0
    .sgpr_count:     35
    .sgpr_spill_count: 0
    .symbol:         _ZN2at6native29vectorized_elementwise_kernelILi2EZZZNS0_12_GLOBAL__N_115softplus_kernelERNS_18TensorIteratorBaseERKN3c106ScalarES8_ENKUlvE_clEvENKUlvE2_clEvEUlNS5_8BFloat16EE_St5arrayIPcLm2EEEEviT0_T1_.kd
    .uniform_work_group_size: 1
    .uses_dynamic_stack: false
    .vgpr_count:     35
    .vgpr_spill_count: 0
    .wavefront_size: 32
  - .args:
      - .offset:         0
        .size:           4
        .value_kind:     by_value
      - .offset:         4
        .size:           8
        .value_kind:     by_value
      - .offset:         16
        .size:           16
        .value_kind:     by_value
      - .offset:         32
        .size:           1
        .value_kind:     by_value
      - .offset:         33
        .size:           1
        .value_kind:     by_value
      - .offset:         34
        .size:           1
        .value_kind:     by_value
      - .offset:         35
        .size:           1
        .value_kind:     by_value
    .group_segment_fixed_size: 0
    .kernarg_segment_align: 8
    .kernarg_segment_size: 36
    .language:       OpenCL C
    .language_version:
      - 2
      - 0
    .max_flat_workgroup_size: 256
    .name:           _ZN2at6native27unrolled_elementwise_kernelIZZZNS0_12_GLOBAL__N_115softplus_kernelERNS_18TensorIteratorBaseERKN3c106ScalarES8_ENKUlvE_clEvENKUlvE2_clEvEUlNS5_8BFloat16EE_St5arrayIPcLm2EELi4E23TrivialOffsetCalculatorILi1EjESH_NS0_6memory15LoadWithoutCastENSI_16StoreWithoutCastEEEviT_T0_T2_T3_T4_T5_
    .private_segment_fixed_size: 0
    .sgpr_count:     13
    .sgpr_spill_count: 0
    .symbol:         _ZN2at6native27unrolled_elementwise_kernelIZZZNS0_12_GLOBAL__N_115softplus_kernelERNS_18TensorIteratorBaseERKN3c106ScalarES8_ENKUlvE_clEvENKUlvE2_clEvEUlNS5_8BFloat16EE_St5arrayIPcLm2EELi4E23TrivialOffsetCalculatorILi1EjESH_NS0_6memory15LoadWithoutCastENSI_16StoreWithoutCastEEEviT_T0_T2_T3_T4_T5_.kd
    .uniform_work_group_size: 1
    .uses_dynamic_stack: false
    .vgpr_count:     25
    .vgpr_spill_count: 0
    .wavefront_size: 32
  - .args:
      - .offset:         0
        .size:           4
        .value_kind:     by_value
      - .offset:         8
        .size:           352
        .value_kind:     by_value
    .group_segment_fixed_size: 0
    .kernarg_segment_align: 8
    .kernarg_segment_size: 360
    .language:       OpenCL C
    .language_version:
      - 2
      - 0
    .max_flat_workgroup_size: 128
    .name:           _ZN2at6native32elementwise_kernel_manual_unrollILi128ELi8EZNS0_22gpu_kernel_impl_nocastIZZZNS0_12_GLOBAL__N_115softplus_kernelERNS_18TensorIteratorBaseERKN3c106ScalarES9_ENKUlvE_clEvENKUlvE2_clEvEUlNS6_8BFloat16EE_EEvS5_RKT_EUlibE_EEviT1_
    .private_segment_fixed_size: 0
    .sgpr_count:     62
    .sgpr_spill_count: 0
    .symbol:         _ZN2at6native32elementwise_kernel_manual_unrollILi128ELi8EZNS0_22gpu_kernel_impl_nocastIZZZNS0_12_GLOBAL__N_115softplus_kernelERNS_18TensorIteratorBaseERKN3c106ScalarES9_ENKUlvE_clEvENKUlvE2_clEvEUlNS6_8BFloat16EE_EEvS5_RKT_EUlibE_EEviT1_.kd
    .uniform_work_group_size: 1
    .uses_dynamic_stack: false
    .vgpr_count:     33
    .vgpr_spill_count: 0
    .wavefront_size: 32
  - .args:
      - .offset:         0
        .size:           4
        .value_kind:     by_value
      - .offset:         8
        .size:           40
        .value_kind:     by_value
    .group_segment_fixed_size: 0
    .kernarg_segment_align: 8
    .kernarg_segment_size: 48
    .language:       OpenCL C
    .language_version:
      - 2
      - 0
    .max_flat_workgroup_size: 128
    .name:           _ZN2at6native32elementwise_kernel_manual_unrollILi128ELi4EZNS0_15gpu_kernel_implIZZZNS0_12_GLOBAL__N_115softplus_kernelERNS_18TensorIteratorBaseERKN3c106ScalarES9_ENKUlvE_clEvENKUlvE2_clEvEUlNS6_8BFloat16EE_EEvS5_RKT_EUlibE_EEviT1_
    .private_segment_fixed_size: 0
    .sgpr_count:     30
    .sgpr_spill_count: 0
    .symbol:         _ZN2at6native32elementwise_kernel_manual_unrollILi128ELi4EZNS0_15gpu_kernel_implIZZZNS0_12_GLOBAL__N_115softplus_kernelERNS_18TensorIteratorBaseERKN3c106ScalarES9_ENKUlvE_clEvENKUlvE2_clEvEUlNS6_8BFloat16EE_EEvS5_RKT_EUlibE_EEviT1_.kd
    .uniform_work_group_size: 1
    .uses_dynamic_stack: false
    .vgpr_count:     22
    .vgpr_spill_count: 0
    .wavefront_size: 32
  - .args:
      - .offset:         0
        .size:           4
        .value_kind:     by_value
      - .offset:         8
        .size:           360
        .value_kind:     by_value
    .group_segment_fixed_size: 0
    .kernarg_segment_align: 8
    .kernarg_segment_size: 368
    .language:       OpenCL C
    .language_version:
      - 2
      - 0
    .max_flat_workgroup_size: 128
    .name:           _ZN2at6native32elementwise_kernel_manual_unrollILi128ELi4EZNS0_15gpu_kernel_implIZZZNS0_12_GLOBAL__N_115softplus_kernelERNS_18TensorIteratorBaseERKN3c106ScalarES9_ENKUlvE_clEvENKUlvE2_clEvEUlNS6_8BFloat16EE_EEvS5_RKT_EUlibE0_EEviT1_
    .private_segment_fixed_size: 0
    .sgpr_count:     70
    .sgpr_spill_count: 0
    .symbol:         _ZN2at6native32elementwise_kernel_manual_unrollILi128ELi4EZNS0_15gpu_kernel_implIZZZNS0_12_GLOBAL__N_115softplus_kernelERNS_18TensorIteratorBaseERKN3c106ScalarES9_ENKUlvE_clEvENKUlvE2_clEvEUlNS6_8BFloat16EE_EEvS5_RKT_EUlibE0_EEviT1_.kd
    .uniform_work_group_size: 1
    .uses_dynamic_stack: false
    .vgpr_count:     30
    .vgpr_spill_count: 0
    .wavefront_size: 32
  - .args:
      - .offset:         0
        .size:           4
        .value_kind:     by_value
      - .offset:         8
        .size:           16
        .value_kind:     by_value
      - .offset:         24
        .size:           24
        .value_kind:     by_value
    .group_segment_fixed_size: 0
    .kernarg_segment_align: 8
    .kernarg_segment_size: 48
    .language:       OpenCL C
    .language_version:
      - 2
      - 0
    .max_flat_workgroup_size: 256
    .name:           _ZN2at6native29vectorized_elementwise_kernelILi16EZZZNS0_12_GLOBAL__N_124softplus_backward_kernelERNS_18TensorIteratorBaseERKN3c106ScalarES8_ENKUlvE_clEvENKUlvE_clEvEUlddE_St5arrayIPcLm3EEEEviT0_T1_
    .private_segment_fixed_size: 0
    .sgpr_count:     22
    .sgpr_spill_count: 0
    .symbol:         _ZN2at6native29vectorized_elementwise_kernelILi16EZZZNS0_12_GLOBAL__N_124softplus_backward_kernelERNS_18TensorIteratorBaseERKN3c106ScalarES8_ENKUlvE_clEvENKUlvE_clEvEUlddE_St5arrayIPcLm3EEEEviT0_T1_.kd
    .uniform_work_group_size: 1
    .uses_dynamic_stack: false
    .vgpr_count:     28
    .vgpr_spill_count: 0
    .wavefront_size: 32
  - .args:
      - .offset:         0
        .size:           4
        .value_kind:     by_value
      - .offset:         8
        .size:           16
        .value_kind:     by_value
      - .offset:         24
        .size:           24
        .value_kind:     by_value
    .group_segment_fixed_size: 0
    .kernarg_segment_align: 8
    .kernarg_segment_size: 48
    .language:       OpenCL C
    .language_version:
      - 2
      - 0
    .max_flat_workgroup_size: 256
    .name:           _ZN2at6native29vectorized_elementwise_kernelILi8EZZZNS0_12_GLOBAL__N_124softplus_backward_kernelERNS_18TensorIteratorBaseERKN3c106ScalarES8_ENKUlvE_clEvENKUlvE_clEvEUlddE_St5arrayIPcLm3EEEEviT0_T1_
    .private_segment_fixed_size: 0
    .sgpr_count:     22
    .sgpr_spill_count: 0
    .symbol:         _ZN2at6native29vectorized_elementwise_kernelILi8EZZZNS0_12_GLOBAL__N_124softplus_backward_kernelERNS_18TensorIteratorBaseERKN3c106ScalarES8_ENKUlvE_clEvENKUlvE_clEvEUlddE_St5arrayIPcLm3EEEEviT0_T1_.kd
    .uniform_work_group_size: 1
    .uses_dynamic_stack: false
    .vgpr_count:     28
    .vgpr_spill_count: 0
    .wavefront_size: 32
  - .args:
      - .offset:         0
        .size:           4
        .value_kind:     by_value
      - .offset:         8
        .size:           16
        .value_kind:     by_value
      - .offset:         24
        .size:           24
        .value_kind:     by_value
    .group_segment_fixed_size: 0
    .kernarg_segment_align: 8
    .kernarg_segment_size: 48
    .language:       OpenCL C
    .language_version:
      - 2
      - 0
    .max_flat_workgroup_size: 256
    .name:           _ZN2at6native29vectorized_elementwise_kernelILi4EZZZNS0_12_GLOBAL__N_124softplus_backward_kernelERNS_18TensorIteratorBaseERKN3c106ScalarES8_ENKUlvE_clEvENKUlvE_clEvEUlddE_St5arrayIPcLm3EEEEviT0_T1_
    .private_segment_fixed_size: 0
    .sgpr_count:     22
    .sgpr_spill_count: 0
    .symbol:         _ZN2at6native29vectorized_elementwise_kernelILi4EZZZNS0_12_GLOBAL__N_124softplus_backward_kernelERNS_18TensorIteratorBaseERKN3c106ScalarES8_ENKUlvE_clEvENKUlvE_clEvEUlddE_St5arrayIPcLm3EEEEviT0_T1_.kd
    .uniform_work_group_size: 1
    .uses_dynamic_stack: false
    .vgpr_count:     28
    .vgpr_spill_count: 0
    .wavefront_size: 32
  - .args:
      - .offset:         0
        .size:           4
        .value_kind:     by_value
      - .offset:         8
        .size:           16
        .value_kind:     by_value
      - .offset:         24
        .size:           24
        .value_kind:     by_value
    .group_segment_fixed_size: 0
    .kernarg_segment_align: 8
    .kernarg_segment_size: 48
    .language:       OpenCL C
    .language_version:
      - 2
      - 0
    .max_flat_workgroup_size: 256
    .name:           _ZN2at6native29vectorized_elementwise_kernelILi2EZZZNS0_12_GLOBAL__N_124softplus_backward_kernelERNS_18TensorIteratorBaseERKN3c106ScalarES8_ENKUlvE_clEvENKUlvE_clEvEUlddE_St5arrayIPcLm3EEEEviT0_T1_
    .private_segment_fixed_size: 0
    .sgpr_count:     22
    .sgpr_spill_count: 0
    .symbol:         _ZN2at6native29vectorized_elementwise_kernelILi2EZZZNS0_12_GLOBAL__N_124softplus_backward_kernelERNS_18TensorIteratorBaseERKN3c106ScalarES8_ENKUlvE_clEvENKUlvE_clEvEUlddE_St5arrayIPcLm3EEEEviT0_T1_.kd
    .uniform_work_group_size: 1
    .uses_dynamic_stack: false
    .vgpr_count:     28
    .vgpr_spill_count: 0
    .wavefront_size: 32
  - .args:
      - .offset:         0
        .size:           4
        .value_kind:     by_value
      - .offset:         8
        .size:           16
        .value_kind:     by_value
      - .offset:         24
        .size:           24
        .value_kind:     by_value
      - .offset:         48
        .size:           1
        .value_kind:     by_value
      - .offset:         49
        .size:           1
        .value_kind:     by_value
      - .offset:         50
        .size:           1
        .value_kind:     by_value
      - .offset:         51
        .size:           1
        .value_kind:     by_value
    .group_segment_fixed_size: 0
    .kernarg_segment_align: 8
    .kernarg_segment_size: 52
    .language:       OpenCL C
    .language_version:
      - 2
      - 0
    .max_flat_workgroup_size: 256
    .name:           _ZN2at6native27unrolled_elementwise_kernelIZZZNS0_12_GLOBAL__N_124softplus_backward_kernelERNS_18TensorIteratorBaseERKN3c106ScalarES8_ENKUlvE_clEvENKUlvE_clEvEUlddE_St5arrayIPcLm3EELi4E23TrivialOffsetCalculatorILi2EjESF_ILi1EjENS0_6memory15LoadWithoutCastENSI_16StoreWithoutCastEEEviT_T0_T2_T3_T4_T5_
    .private_segment_fixed_size: 0
    .sgpr_count:     17
    .sgpr_spill_count: 0
    .symbol:         _ZN2at6native27unrolled_elementwise_kernelIZZZNS0_12_GLOBAL__N_124softplus_backward_kernelERNS_18TensorIteratorBaseERKN3c106ScalarES8_ENKUlvE_clEvENKUlvE_clEvEUlddE_St5arrayIPcLm3EELi4E23TrivialOffsetCalculatorILi2EjESF_ILi1EjENS0_6memory15LoadWithoutCastENSI_16StoreWithoutCastEEEviT_T0_T2_T3_T4_T5_.kd
    .uniform_work_group_size: 1
    .uses_dynamic_stack: false
    .vgpr_count:     28
    .vgpr_spill_count: 0
    .wavefront_size: 32
  - .args:
      - .offset:         0
        .size:           4
        .value_kind:     by_value
      - .offset:         8
        .size:           432
        .value_kind:     by_value
    .group_segment_fixed_size: 0
    .kernarg_segment_align: 8
    .kernarg_segment_size: 440
    .language:       OpenCL C
    .language_version:
      - 2
      - 0
    .max_flat_workgroup_size: 128
    .name:           _ZN2at6native32elementwise_kernel_manual_unrollILi128ELi4EZNS0_22gpu_kernel_impl_nocastIZZZNS0_12_GLOBAL__N_124softplus_backward_kernelERNS_18TensorIteratorBaseERKN3c106ScalarES9_ENKUlvE_clEvENKUlvE_clEvEUlddE_EEvS5_RKT_EUlibE_EEviT1_
    .private_segment_fixed_size: 0
    .sgpr_count:     52
    .sgpr_spill_count: 0
    .symbol:         _ZN2at6native32elementwise_kernel_manual_unrollILi128ELi4EZNS0_22gpu_kernel_impl_nocastIZZZNS0_12_GLOBAL__N_124softplus_backward_kernelERNS_18TensorIteratorBaseERKN3c106ScalarES9_ENKUlvE_clEvENKUlvE_clEvEUlddE_EEvS5_RKT_EUlibE_EEviT1_.kd
    .uniform_work_group_size: 1
    .uses_dynamic_stack: false
    .vgpr_count:     24
    .vgpr_spill_count: 0
    .wavefront_size: 32
  - .args:
      - .offset:         0
        .size:           4
        .value_kind:     by_value
      - .offset:         8
        .size:           64
        .value_kind:     by_value
    .group_segment_fixed_size: 0
    .kernarg_segment_align: 8
    .kernarg_segment_size: 72
    .language:       OpenCL C
    .language_version:
      - 2
      - 0
    .max_flat_workgroup_size: 128
    .name:           _ZN2at6native32elementwise_kernel_manual_unrollILi128ELi4EZNS0_15gpu_kernel_implIZZZNS0_12_GLOBAL__N_124softplus_backward_kernelERNS_18TensorIteratorBaseERKN3c106ScalarES9_ENKUlvE_clEvENKUlvE_clEvEUlddE_EEvS5_RKT_EUlibE_EEviT1_
    .private_segment_fixed_size: 0
    .sgpr_count:     41
    .sgpr_spill_count: 0
    .symbol:         _ZN2at6native32elementwise_kernel_manual_unrollILi128ELi4EZNS0_15gpu_kernel_implIZZZNS0_12_GLOBAL__N_124softplus_backward_kernelERNS_18TensorIteratorBaseERKN3c106ScalarES9_ENKUlvE_clEvENKUlvE_clEvEUlddE_EEvS5_RKT_EUlibE_EEviT1_.kd
    .uniform_work_group_size: 1
    .uses_dynamic_stack: false
    .vgpr_count:     22
    .vgpr_spill_count: 0
    .wavefront_size: 32
  - .args:
      - .offset:         0
        .size:           4
        .value_kind:     by_value
      - .offset:         8
        .size:           440
        .value_kind:     by_value
    .group_segment_fixed_size: 0
    .kernarg_segment_align: 8
    .kernarg_segment_size: 448
    .language:       OpenCL C
    .language_version:
      - 2
      - 0
    .max_flat_workgroup_size: 128
    .name:           _ZN2at6native32elementwise_kernel_manual_unrollILi128ELi4EZNS0_15gpu_kernel_implIZZZNS0_12_GLOBAL__N_124softplus_backward_kernelERNS_18TensorIteratorBaseERKN3c106ScalarES9_ENKUlvE_clEvENKUlvE_clEvEUlddE_EEvS5_RKT_EUlibE0_EEviT1_
    .private_segment_fixed_size: 0
    .sgpr_count:     66
    .sgpr_spill_count: 0
    .symbol:         _ZN2at6native32elementwise_kernel_manual_unrollILi128ELi4EZNS0_15gpu_kernel_implIZZZNS0_12_GLOBAL__N_124softplus_backward_kernelERNS_18TensorIteratorBaseERKN3c106ScalarES9_ENKUlvE_clEvENKUlvE_clEvEUlddE_EEvS5_RKT_EUlibE0_EEviT1_.kd
    .uniform_work_group_size: 1
    .uses_dynamic_stack: false
    .vgpr_count:     32
    .vgpr_spill_count: 0
    .wavefront_size: 32
  - .args:
      - .offset:         0
        .size:           4
        .value_kind:     by_value
      - .offset:         4
        .size:           8
        .value_kind:     by_value
      - .offset:         16
        .size:           24
        .value_kind:     by_value
    .group_segment_fixed_size: 0
    .kernarg_segment_align: 8
    .kernarg_segment_size: 40
    .language:       OpenCL C
    .language_version:
      - 2
      - 0
    .max_flat_workgroup_size: 256
    .name:           _ZN2at6native29vectorized_elementwise_kernelILi16EZZZNS0_12_GLOBAL__N_124softplus_backward_kernelERNS_18TensorIteratorBaseERKN3c106ScalarES8_ENKUlvE_clEvENKUlvE0_clEvEUlffE_St5arrayIPcLm3EEEEviT0_T1_
    .private_segment_fixed_size: 0
    .sgpr_count:     18
    .sgpr_spill_count: 0
    .symbol:         _ZN2at6native29vectorized_elementwise_kernelILi16EZZZNS0_12_GLOBAL__N_124softplus_backward_kernelERNS_18TensorIteratorBaseERKN3c106ScalarES8_ENKUlvE_clEvENKUlvE0_clEvEUlffE_St5arrayIPcLm3EEEEviT0_T1_.kd
    .uniform_work_group_size: 1
    .uses_dynamic_stack: false
    .vgpr_count:     17
    .vgpr_spill_count: 0
    .wavefront_size: 32
  - .args:
      - .offset:         0
        .size:           4
        .value_kind:     by_value
      - .offset:         4
        .size:           8
        .value_kind:     by_value
      - .offset:         16
        .size:           24
        .value_kind:     by_value
    .group_segment_fixed_size: 0
    .kernarg_segment_align: 8
    .kernarg_segment_size: 40
    .language:       OpenCL C
    .language_version:
      - 2
      - 0
    .max_flat_workgroup_size: 256
    .name:           _ZN2at6native29vectorized_elementwise_kernelILi8EZZZNS0_12_GLOBAL__N_124softplus_backward_kernelERNS_18TensorIteratorBaseERKN3c106ScalarES8_ENKUlvE_clEvENKUlvE0_clEvEUlffE_St5arrayIPcLm3EEEEviT0_T1_
    .private_segment_fixed_size: 0
    .sgpr_count:     18
    .sgpr_spill_count: 0
    .symbol:         _ZN2at6native29vectorized_elementwise_kernelILi8EZZZNS0_12_GLOBAL__N_124softplus_backward_kernelERNS_18TensorIteratorBaseERKN3c106ScalarES8_ENKUlvE_clEvENKUlvE0_clEvEUlffE_St5arrayIPcLm3EEEEviT0_T1_.kd
    .uniform_work_group_size: 1
    .uses_dynamic_stack: false
    .vgpr_count:     17
    .vgpr_spill_count: 0
    .wavefront_size: 32
  - .args:
      - .offset:         0
        .size:           4
        .value_kind:     by_value
      - .offset:         4
        .size:           8
        .value_kind:     by_value
      - .offset:         16
        .size:           24
        .value_kind:     by_value
    .group_segment_fixed_size: 0
    .kernarg_segment_align: 8
    .kernarg_segment_size: 40
    .language:       OpenCL C
    .language_version:
      - 2
      - 0
    .max_flat_workgroup_size: 256
    .name:           _ZN2at6native29vectorized_elementwise_kernelILi4EZZZNS0_12_GLOBAL__N_124softplus_backward_kernelERNS_18TensorIteratorBaseERKN3c106ScalarES8_ENKUlvE_clEvENKUlvE0_clEvEUlffE_St5arrayIPcLm3EEEEviT0_T1_
    .private_segment_fixed_size: 0
    .sgpr_count:     18
    .sgpr_spill_count: 0
    .symbol:         _ZN2at6native29vectorized_elementwise_kernelILi4EZZZNS0_12_GLOBAL__N_124softplus_backward_kernelERNS_18TensorIteratorBaseERKN3c106ScalarES8_ENKUlvE_clEvENKUlvE0_clEvEUlffE_St5arrayIPcLm3EEEEviT0_T1_.kd
    .uniform_work_group_size: 1
    .uses_dynamic_stack: false
    .vgpr_count:     17
    .vgpr_spill_count: 0
    .wavefront_size: 32
  - .args:
      - .offset:         0
        .size:           4
        .value_kind:     by_value
      - .offset:         4
        .size:           8
        .value_kind:     by_value
      - .offset:         16
        .size:           24
        .value_kind:     by_value
    .group_segment_fixed_size: 0
    .kernarg_segment_align: 8
    .kernarg_segment_size: 40
    .language:       OpenCL C
    .language_version:
      - 2
      - 0
    .max_flat_workgroup_size: 256
    .name:           _ZN2at6native29vectorized_elementwise_kernelILi2EZZZNS0_12_GLOBAL__N_124softplus_backward_kernelERNS_18TensorIteratorBaseERKN3c106ScalarES8_ENKUlvE_clEvENKUlvE0_clEvEUlffE_St5arrayIPcLm3EEEEviT0_T1_
    .private_segment_fixed_size: 0
    .sgpr_count:     20
    .sgpr_spill_count: 0
    .symbol:         _ZN2at6native29vectorized_elementwise_kernelILi2EZZZNS0_12_GLOBAL__N_124softplus_backward_kernelERNS_18TensorIteratorBaseERKN3c106ScalarES8_ENKUlvE_clEvENKUlvE0_clEvEUlffE_St5arrayIPcLm3EEEEviT0_T1_.kd
    .uniform_work_group_size: 1
    .uses_dynamic_stack: false
    .vgpr_count:     17
    .vgpr_spill_count: 0
    .wavefront_size: 32
  - .args:
      - .offset:         0
        .size:           4
        .value_kind:     by_value
      - .offset:         4
        .size:           8
        .value_kind:     by_value
      - .offset:         16
        .size:           24
        .value_kind:     by_value
      - .offset:         40
        .size:           1
        .value_kind:     by_value
      - .offset:         41
        .size:           1
        .value_kind:     by_value
      - .offset:         42
        .size:           1
        .value_kind:     by_value
      - .offset:         43
        .size:           1
        .value_kind:     by_value
    .group_segment_fixed_size: 0
    .kernarg_segment_align: 8
    .kernarg_segment_size: 44
    .language:       OpenCL C
    .language_version:
      - 2
      - 0
    .max_flat_workgroup_size: 256
    .name:           _ZN2at6native27unrolled_elementwise_kernelIZZZNS0_12_GLOBAL__N_124softplus_backward_kernelERNS_18TensorIteratorBaseERKN3c106ScalarES8_ENKUlvE_clEvENKUlvE0_clEvEUlffE_St5arrayIPcLm3EELi4E23TrivialOffsetCalculatorILi2EjESF_ILi1EjENS0_6memory15LoadWithoutCastENSI_16StoreWithoutCastEEEviT_T0_T2_T3_T4_T5_
    .private_segment_fixed_size: 0
    .sgpr_count:     15
    .sgpr_spill_count: 0
    .symbol:         _ZN2at6native27unrolled_elementwise_kernelIZZZNS0_12_GLOBAL__N_124softplus_backward_kernelERNS_18TensorIteratorBaseERKN3c106ScalarES8_ENKUlvE_clEvENKUlvE0_clEvEUlffE_St5arrayIPcLm3EELi4E23TrivialOffsetCalculatorILi2EjESF_ILi1EjENS0_6memory15LoadWithoutCastENSI_16StoreWithoutCastEEEviT_T0_T2_T3_T4_T5_.kd
    .uniform_work_group_size: 1
    .uses_dynamic_stack: false
    .vgpr_count:     17
    .vgpr_spill_count: 0
    .wavefront_size: 32
  - .args:
      - .offset:         0
        .size:           4
        .value_kind:     by_value
      - .offset:         8
        .size:           424
        .value_kind:     by_value
    .group_segment_fixed_size: 0
    .kernarg_segment_align: 8
    .kernarg_segment_size: 432
    .language:       OpenCL C
    .language_version:
      - 2
      - 0
    .max_flat_workgroup_size: 128
    .name:           _ZN2at6native32elementwise_kernel_manual_unrollILi128ELi4EZNS0_22gpu_kernel_impl_nocastIZZZNS0_12_GLOBAL__N_124softplus_backward_kernelERNS_18TensorIteratorBaseERKN3c106ScalarES9_ENKUlvE_clEvENKUlvE0_clEvEUlffE_EEvS5_RKT_EUlibE_EEviT1_
    .private_segment_fixed_size: 0
    .sgpr_count:     50
    .sgpr_spill_count: 0
    .symbol:         _ZN2at6native32elementwise_kernel_manual_unrollILi128ELi4EZNS0_22gpu_kernel_impl_nocastIZZZNS0_12_GLOBAL__N_124softplus_backward_kernelERNS_18TensorIteratorBaseERKN3c106ScalarES9_ENKUlvE_clEvENKUlvE0_clEvEUlffE_EEvS5_RKT_EUlibE_EEviT1_.kd
    .uniform_work_group_size: 1
    .uses_dynamic_stack: false
    .vgpr_count:     17
    .vgpr_spill_count: 0
    .wavefront_size: 32
  - .args:
      - .offset:         0
        .size:           4
        .value_kind:     by_value
      - .offset:         4
        .size:           8
        .value_kind:     by_value
      - .offset:         16
        .size:           24
        .value_kind:     by_value
      - .offset:         40
        .size:           1
        .value_kind:     by_value
      - .offset:         41
        .size:           1
        .value_kind:     by_value
      - .offset:         44
        .size:           12
        .value_kind:     by_value
      - .offset:         56
        .size:           8
        .value_kind:     by_value
      - .offset:         64
        .size:           4
        .value_kind:     hidden_block_count_x
      - .offset:         68
        .size:           4
        .value_kind:     hidden_block_count_y
      - .offset:         72
        .size:           4
        .value_kind:     hidden_block_count_z
      - .offset:         76
        .size:           2
        .value_kind:     hidden_group_size_x
      - .offset:         78
        .size:           2
        .value_kind:     hidden_group_size_y
      - .offset:         80
        .size:           2
        .value_kind:     hidden_group_size_z
      - .offset:         82
        .size:           2
        .value_kind:     hidden_remainder_x
      - .offset:         84
        .size:           2
        .value_kind:     hidden_remainder_y
      - .offset:         86
        .size:           2
        .value_kind:     hidden_remainder_z
      - .offset:         104
        .size:           8
        .value_kind:     hidden_global_offset_x
      - .offset:         112
        .size:           8
        .value_kind:     hidden_global_offset_y
      - .offset:         120
        .size:           8
        .value_kind:     hidden_global_offset_z
      - .offset:         128
        .size:           2
        .value_kind:     hidden_grid_dims
    .group_segment_fixed_size: 0
    .kernarg_segment_align: 8
    .kernarg_segment_size: 320
    .language:       OpenCL C
    .language_version:
      - 2
      - 0
    .max_flat_workgroup_size: 512
    .name:           _ZN2at6native39vectorized_templated_elementwise_kernelILi8EZZZNS0_12_GLOBAL__N_124softplus_backward_kernelERNS_18TensorIteratorBaseERKN3c106ScalarES8_ENKUlvE_clEvENKUlvE0_clEvEUlffE_St5arrayIPcLm3EE23TrivialOffsetCalculatorILi2EjESF_ILi1EjENS0_6memory12LoadWithCastILi2EEENSI_13StoreWithCastILi1EEEfJfNS5_8BFloat16EEEEviT0_T1_T2_T3_T4_T5_
    .private_segment_fixed_size: 272
    .sgpr_count:     98
    .sgpr_spill_count: 0
    .symbol:         _ZN2at6native39vectorized_templated_elementwise_kernelILi8EZZZNS0_12_GLOBAL__N_124softplus_backward_kernelERNS_18TensorIteratorBaseERKN3c106ScalarES8_ENKUlvE_clEvENKUlvE0_clEvEUlffE_St5arrayIPcLm3EE23TrivialOffsetCalculatorILi2EjESF_ILi1EjENS0_6memory12LoadWithCastILi2EEENSI_13StoreWithCastILi1EEEfJfNS5_8BFloat16EEEEviT0_T1_T2_T3_T4_T5_.kd
    .uniform_work_group_size: 1
    .uses_dynamic_stack: false
    .vgpr_count:     132
    .vgpr_spill_count: 0
    .wavefront_size: 32
  - .args:
      - .offset:         0
        .size:           4
        .value_kind:     by_value
      - .offset:         4
        .size:           8
        .value_kind:     by_value
      - .offset:         16
        .size:           24
        .value_kind:     by_value
      - .offset:         40
        .size:           1
        .value_kind:     by_value
      - .offset:         41
        .size:           1
        .value_kind:     by_value
      - .offset:         44
        .size:           12
        .value_kind:     by_value
      - .offset:         56
        .size:           8
        .value_kind:     by_value
      - .offset:         64
        .size:           4
        .value_kind:     hidden_block_count_x
      - .offset:         68
        .size:           4
        .value_kind:     hidden_block_count_y
      - .offset:         72
        .size:           4
        .value_kind:     hidden_block_count_z
      - .offset:         76
        .size:           2
        .value_kind:     hidden_group_size_x
      - .offset:         78
        .size:           2
        .value_kind:     hidden_group_size_y
      - .offset:         80
        .size:           2
        .value_kind:     hidden_group_size_z
      - .offset:         82
        .size:           2
        .value_kind:     hidden_remainder_x
      - .offset:         84
        .size:           2
        .value_kind:     hidden_remainder_y
      - .offset:         86
        .size:           2
        .value_kind:     hidden_remainder_z
      - .offset:         104
        .size:           8
        .value_kind:     hidden_global_offset_x
      - .offset:         112
        .size:           8
        .value_kind:     hidden_global_offset_y
      - .offset:         120
        .size:           8
        .value_kind:     hidden_global_offset_z
      - .offset:         128
        .size:           2
        .value_kind:     hidden_grid_dims
    .group_segment_fixed_size: 0
    .kernarg_segment_align: 8
    .kernarg_segment_size: 320
    .language:       OpenCL C
    .language_version:
      - 2
      - 0
    .max_flat_workgroup_size: 512
    .name:           _ZN2at6native39vectorized_templated_elementwise_kernelILi4EZZZNS0_12_GLOBAL__N_124softplus_backward_kernelERNS_18TensorIteratorBaseERKN3c106ScalarES8_ENKUlvE_clEvENKUlvE0_clEvEUlffE_St5arrayIPcLm3EE23TrivialOffsetCalculatorILi2EjESF_ILi1EjENS0_6memory12LoadWithCastILi2EEENSI_13StoreWithCastILi1EEEfJfNS5_8BFloat16EEEEviT0_T1_T2_T3_T4_T5_
    .private_segment_fixed_size: 272
    .sgpr_count:     98
    .sgpr_spill_count: 0
    .symbol:         _ZN2at6native39vectorized_templated_elementwise_kernelILi4EZZZNS0_12_GLOBAL__N_124softplus_backward_kernelERNS_18TensorIteratorBaseERKN3c106ScalarES8_ENKUlvE_clEvENKUlvE0_clEvEUlffE_St5arrayIPcLm3EE23TrivialOffsetCalculatorILi2EjESF_ILi1EjENS0_6memory12LoadWithCastILi2EEENSI_13StoreWithCastILi1EEEfJfNS5_8BFloat16EEEEviT0_T1_T2_T3_T4_T5_.kd
    .uniform_work_group_size: 1
    .uses_dynamic_stack: false
    .vgpr_count:     132
    .vgpr_spill_count: 0
    .wavefront_size: 32
  - .args:
      - .offset:         0
        .size:           4
        .value_kind:     by_value
      - .offset:         4
        .size:           8
        .value_kind:     by_value
      - .offset:         16
        .size:           24
        .value_kind:     by_value
      - .offset:         40
        .size:           1
        .value_kind:     by_value
      - .offset:         41
        .size:           1
        .value_kind:     by_value
      - .offset:         44
        .size:           12
        .value_kind:     by_value
      - .offset:         56
        .size:           8
        .value_kind:     by_value
      - .offset:         64
        .size:           4
        .value_kind:     hidden_block_count_x
      - .offset:         68
        .size:           4
        .value_kind:     hidden_block_count_y
      - .offset:         72
        .size:           4
        .value_kind:     hidden_block_count_z
      - .offset:         76
        .size:           2
        .value_kind:     hidden_group_size_x
      - .offset:         78
        .size:           2
        .value_kind:     hidden_group_size_y
      - .offset:         80
        .size:           2
        .value_kind:     hidden_group_size_z
      - .offset:         82
        .size:           2
        .value_kind:     hidden_remainder_x
      - .offset:         84
        .size:           2
        .value_kind:     hidden_remainder_y
      - .offset:         86
        .size:           2
        .value_kind:     hidden_remainder_z
      - .offset:         104
        .size:           8
        .value_kind:     hidden_global_offset_x
      - .offset:         112
        .size:           8
        .value_kind:     hidden_global_offset_y
      - .offset:         120
        .size:           8
        .value_kind:     hidden_global_offset_z
      - .offset:         128
        .size:           2
        .value_kind:     hidden_grid_dims
    .group_segment_fixed_size: 0
    .kernarg_segment_align: 8
    .kernarg_segment_size: 320
    .language:       OpenCL C
    .language_version:
      - 2
      - 0
    .max_flat_workgroup_size: 512
    .name:           _ZN2at6native39vectorized_templated_elementwise_kernelILi2EZZZNS0_12_GLOBAL__N_124softplus_backward_kernelERNS_18TensorIteratorBaseERKN3c106ScalarES8_ENKUlvE_clEvENKUlvE0_clEvEUlffE_St5arrayIPcLm3EE23TrivialOffsetCalculatorILi2EjESF_ILi1EjENS0_6memory12LoadWithCastILi2EEENSI_13StoreWithCastILi1EEEfJfNS5_8BFloat16EEEEviT0_T1_T2_T3_T4_T5_
    .private_segment_fixed_size: 272
    .sgpr_count:     98
    .sgpr_spill_count: 0
    .symbol:         _ZN2at6native39vectorized_templated_elementwise_kernelILi2EZZZNS0_12_GLOBAL__N_124softplus_backward_kernelERNS_18TensorIteratorBaseERKN3c106ScalarES8_ENKUlvE_clEvENKUlvE0_clEvEUlffE_St5arrayIPcLm3EE23TrivialOffsetCalculatorILi2EjESF_ILi1EjENS0_6memory12LoadWithCastILi2EEENSI_13StoreWithCastILi1EEEfJfNS5_8BFloat16EEEEviT0_T1_T2_T3_T4_T5_.kd
    .uniform_work_group_size: 1
    .uses_dynamic_stack: false
    .vgpr_count:     132
    .vgpr_spill_count: 0
    .wavefront_size: 32
  - .args:
      - .offset:         0
        .size:           4
        .value_kind:     by_value
      - .offset:         4
        .size:           8
        .value_kind:     by_value
      - .offset:         16
        .size:           24
        .value_kind:     by_value
      - .offset:         40
        .size:           1
        .value_kind:     by_value
      - .offset:         41
        .size:           1
        .value_kind:     by_value
      - .offset:         44
        .size:           12
        .value_kind:     by_value
      - .offset:         56
        .size:           8
        .value_kind:     by_value
      - .offset:         64
        .size:           4
        .value_kind:     hidden_block_count_x
      - .offset:         68
        .size:           4
        .value_kind:     hidden_block_count_y
      - .offset:         72
        .size:           4
        .value_kind:     hidden_block_count_z
      - .offset:         76
        .size:           2
        .value_kind:     hidden_group_size_x
      - .offset:         78
        .size:           2
        .value_kind:     hidden_group_size_y
      - .offset:         80
        .size:           2
        .value_kind:     hidden_group_size_z
      - .offset:         82
        .size:           2
        .value_kind:     hidden_remainder_x
      - .offset:         84
        .size:           2
        .value_kind:     hidden_remainder_y
      - .offset:         86
        .size:           2
        .value_kind:     hidden_remainder_z
      - .offset:         104
        .size:           8
        .value_kind:     hidden_global_offset_x
      - .offset:         112
        .size:           8
        .value_kind:     hidden_global_offset_y
      - .offset:         120
        .size:           8
        .value_kind:     hidden_global_offset_z
      - .offset:         128
        .size:           2
        .value_kind:     hidden_grid_dims
    .group_segment_fixed_size: 0
    .kernarg_segment_align: 8
    .kernarg_segment_size: 320
    .language:       OpenCL C
    .language_version:
      - 2
      - 0
    .max_flat_workgroup_size: 512
    .name:           _ZN2at6native39vectorized_templated_elementwise_kernelILi8EZZZNS0_12_GLOBAL__N_124softplus_backward_kernelERNS_18TensorIteratorBaseERKN3c106ScalarES8_ENKUlvE_clEvENKUlvE0_clEvEUlffE_St5arrayIPcLm3EE23TrivialOffsetCalculatorILi2EjESF_ILi1EjENS0_6memory12LoadWithCastILi2EEENSI_13StoreWithCastILi1EEEfJNS5_8BFloat16EfEEEviT0_T1_T2_T3_T4_T5_
    .private_segment_fixed_size: 272
    .sgpr_count:     98
    .sgpr_spill_count: 0
    .symbol:         _ZN2at6native39vectorized_templated_elementwise_kernelILi8EZZZNS0_12_GLOBAL__N_124softplus_backward_kernelERNS_18TensorIteratorBaseERKN3c106ScalarES8_ENKUlvE_clEvENKUlvE0_clEvEUlffE_St5arrayIPcLm3EE23TrivialOffsetCalculatorILi2EjESF_ILi1EjENS0_6memory12LoadWithCastILi2EEENSI_13StoreWithCastILi1EEEfJNS5_8BFloat16EfEEEviT0_T1_T2_T3_T4_T5_.kd
    .uniform_work_group_size: 1
    .uses_dynamic_stack: false
    .vgpr_count:     132
    .vgpr_spill_count: 0
    .wavefront_size: 32
  - .args:
      - .offset:         0
        .size:           4
        .value_kind:     by_value
      - .offset:         4
        .size:           8
        .value_kind:     by_value
      - .offset:         16
        .size:           24
        .value_kind:     by_value
      - .offset:         40
        .size:           1
        .value_kind:     by_value
      - .offset:         41
        .size:           1
        .value_kind:     by_value
      - .offset:         44
        .size:           12
        .value_kind:     by_value
      - .offset:         56
        .size:           8
        .value_kind:     by_value
      - .offset:         64
        .size:           4
        .value_kind:     hidden_block_count_x
      - .offset:         68
        .size:           4
        .value_kind:     hidden_block_count_y
      - .offset:         72
        .size:           4
        .value_kind:     hidden_block_count_z
      - .offset:         76
        .size:           2
        .value_kind:     hidden_group_size_x
      - .offset:         78
        .size:           2
        .value_kind:     hidden_group_size_y
      - .offset:         80
        .size:           2
        .value_kind:     hidden_group_size_z
      - .offset:         82
        .size:           2
        .value_kind:     hidden_remainder_x
      - .offset:         84
        .size:           2
        .value_kind:     hidden_remainder_y
      - .offset:         86
        .size:           2
        .value_kind:     hidden_remainder_z
      - .offset:         104
        .size:           8
        .value_kind:     hidden_global_offset_x
      - .offset:         112
        .size:           8
        .value_kind:     hidden_global_offset_y
      - .offset:         120
        .size:           8
        .value_kind:     hidden_global_offset_z
      - .offset:         128
        .size:           2
        .value_kind:     hidden_grid_dims
    .group_segment_fixed_size: 0
    .kernarg_segment_align: 8
    .kernarg_segment_size: 320
    .language:       OpenCL C
    .language_version:
      - 2
      - 0
    .max_flat_workgroup_size: 512
    .name:           _ZN2at6native39vectorized_templated_elementwise_kernelILi4EZZZNS0_12_GLOBAL__N_124softplus_backward_kernelERNS_18TensorIteratorBaseERKN3c106ScalarES8_ENKUlvE_clEvENKUlvE0_clEvEUlffE_St5arrayIPcLm3EE23TrivialOffsetCalculatorILi2EjESF_ILi1EjENS0_6memory12LoadWithCastILi2EEENSI_13StoreWithCastILi1EEEfJNS5_8BFloat16EfEEEviT0_T1_T2_T3_T4_T5_
    .private_segment_fixed_size: 272
    .sgpr_count:     98
    .sgpr_spill_count: 0
    .symbol:         _ZN2at6native39vectorized_templated_elementwise_kernelILi4EZZZNS0_12_GLOBAL__N_124softplus_backward_kernelERNS_18TensorIteratorBaseERKN3c106ScalarES8_ENKUlvE_clEvENKUlvE0_clEvEUlffE_St5arrayIPcLm3EE23TrivialOffsetCalculatorILi2EjESF_ILi1EjENS0_6memory12LoadWithCastILi2EEENSI_13StoreWithCastILi1EEEfJNS5_8BFloat16EfEEEviT0_T1_T2_T3_T4_T5_.kd
    .uniform_work_group_size: 1
    .uses_dynamic_stack: false
    .vgpr_count:     132
    .vgpr_spill_count: 0
    .wavefront_size: 32
  - .args:
      - .offset:         0
        .size:           4
        .value_kind:     by_value
      - .offset:         4
        .size:           8
        .value_kind:     by_value
      - .offset:         16
        .size:           24
        .value_kind:     by_value
      - .offset:         40
        .size:           1
        .value_kind:     by_value
      - .offset:         41
        .size:           1
        .value_kind:     by_value
      - .offset:         44
        .size:           12
        .value_kind:     by_value
      - .offset:         56
        .size:           8
        .value_kind:     by_value
      - .offset:         64
        .size:           4
        .value_kind:     hidden_block_count_x
      - .offset:         68
        .size:           4
        .value_kind:     hidden_block_count_y
      - .offset:         72
        .size:           4
        .value_kind:     hidden_block_count_z
      - .offset:         76
        .size:           2
        .value_kind:     hidden_group_size_x
      - .offset:         78
        .size:           2
        .value_kind:     hidden_group_size_y
      - .offset:         80
        .size:           2
        .value_kind:     hidden_group_size_z
      - .offset:         82
        .size:           2
        .value_kind:     hidden_remainder_x
      - .offset:         84
        .size:           2
        .value_kind:     hidden_remainder_y
      - .offset:         86
        .size:           2
        .value_kind:     hidden_remainder_z
      - .offset:         104
        .size:           8
        .value_kind:     hidden_global_offset_x
      - .offset:         112
        .size:           8
        .value_kind:     hidden_global_offset_y
      - .offset:         120
        .size:           8
        .value_kind:     hidden_global_offset_z
      - .offset:         128
        .size:           2
        .value_kind:     hidden_grid_dims
    .group_segment_fixed_size: 0
    .kernarg_segment_align: 8
    .kernarg_segment_size: 320
    .language:       OpenCL C
    .language_version:
      - 2
      - 0
    .max_flat_workgroup_size: 512
    .name:           _ZN2at6native39vectorized_templated_elementwise_kernelILi2EZZZNS0_12_GLOBAL__N_124softplus_backward_kernelERNS_18TensorIteratorBaseERKN3c106ScalarES8_ENKUlvE_clEvENKUlvE0_clEvEUlffE_St5arrayIPcLm3EE23TrivialOffsetCalculatorILi2EjESF_ILi1EjENS0_6memory12LoadWithCastILi2EEENSI_13StoreWithCastILi1EEEfJNS5_8BFloat16EfEEEviT0_T1_T2_T3_T4_T5_
    .private_segment_fixed_size: 272
    .sgpr_count:     98
    .sgpr_spill_count: 0
    .symbol:         _ZN2at6native39vectorized_templated_elementwise_kernelILi2EZZZNS0_12_GLOBAL__N_124softplus_backward_kernelERNS_18TensorIteratorBaseERKN3c106ScalarES8_ENKUlvE_clEvENKUlvE0_clEvEUlffE_St5arrayIPcLm3EE23TrivialOffsetCalculatorILi2EjESF_ILi1EjENS0_6memory12LoadWithCastILi2EEENSI_13StoreWithCastILi1EEEfJNS5_8BFloat16EfEEEviT0_T1_T2_T3_T4_T5_.kd
    .uniform_work_group_size: 1
    .uses_dynamic_stack: false
    .vgpr_count:     132
    .vgpr_spill_count: 0
    .wavefront_size: 32
  - .args:
      - .offset:         0
        .size:           4
        .value_kind:     by_value
      - .offset:         4
        .size:           8
        .value_kind:     by_value
      - .offset:         16
        .size:           24
        .value_kind:     by_value
      - .offset:         40
        .size:           1
        .value_kind:     by_value
      - .offset:         41
        .size:           1
        .value_kind:     by_value
      - .offset:         44
        .size:           12
        .value_kind:     by_value
      - .offset:         56
        .size:           8
        .value_kind:     by_value
      - .offset:         64
        .size:           4
        .value_kind:     hidden_block_count_x
      - .offset:         68
        .size:           4
        .value_kind:     hidden_block_count_y
      - .offset:         72
        .size:           4
        .value_kind:     hidden_block_count_z
      - .offset:         76
        .size:           2
        .value_kind:     hidden_group_size_x
      - .offset:         78
        .size:           2
        .value_kind:     hidden_group_size_y
      - .offset:         80
        .size:           2
        .value_kind:     hidden_group_size_z
      - .offset:         82
        .size:           2
        .value_kind:     hidden_remainder_x
      - .offset:         84
        .size:           2
        .value_kind:     hidden_remainder_y
      - .offset:         86
        .size:           2
        .value_kind:     hidden_remainder_z
      - .offset:         104
        .size:           8
        .value_kind:     hidden_global_offset_x
      - .offset:         112
        .size:           8
        .value_kind:     hidden_global_offset_y
      - .offset:         120
        .size:           8
        .value_kind:     hidden_global_offset_z
      - .offset:         128
        .size:           2
        .value_kind:     hidden_grid_dims
    .group_segment_fixed_size: 0
    .kernarg_segment_align: 8
    .kernarg_segment_size: 320
    .language:       OpenCL C
    .language_version:
      - 2
      - 0
    .max_flat_workgroup_size: 512
    .name:           _ZN2at6native39vectorized_templated_elementwise_kernelILi8EZZZNS0_12_GLOBAL__N_124softplus_backward_kernelERNS_18TensorIteratorBaseERKN3c106ScalarES8_ENKUlvE_clEvENKUlvE0_clEvEUlffE_St5arrayIPcLm3EE23TrivialOffsetCalculatorILi2EjESF_ILi1EjENS0_6memory12LoadWithCastILi2EEENSI_13StoreWithCastILi1EEENS5_8BFloat16EJSN_fEEEviT0_T1_T2_T3_T4_T5_
    .private_segment_fixed_size: 272
    .sgpr_count:     98
    .sgpr_spill_count: 0
    .symbol:         _ZN2at6native39vectorized_templated_elementwise_kernelILi8EZZZNS0_12_GLOBAL__N_124softplus_backward_kernelERNS_18TensorIteratorBaseERKN3c106ScalarES8_ENKUlvE_clEvENKUlvE0_clEvEUlffE_St5arrayIPcLm3EE23TrivialOffsetCalculatorILi2EjESF_ILi1EjENS0_6memory12LoadWithCastILi2EEENSI_13StoreWithCastILi1EEENS5_8BFloat16EJSN_fEEEviT0_T1_T2_T3_T4_T5_.kd
    .uniform_work_group_size: 1
    .uses_dynamic_stack: false
    .vgpr_count:     132
    .vgpr_spill_count: 0
    .wavefront_size: 32
  - .args:
      - .offset:         0
        .size:           4
        .value_kind:     by_value
      - .offset:         4
        .size:           8
        .value_kind:     by_value
      - .offset:         16
        .size:           24
        .value_kind:     by_value
      - .offset:         40
        .size:           1
        .value_kind:     by_value
      - .offset:         41
        .size:           1
        .value_kind:     by_value
      - .offset:         44
        .size:           12
        .value_kind:     by_value
      - .offset:         56
        .size:           8
        .value_kind:     by_value
      - .offset:         64
        .size:           4
        .value_kind:     hidden_block_count_x
      - .offset:         68
        .size:           4
        .value_kind:     hidden_block_count_y
      - .offset:         72
        .size:           4
        .value_kind:     hidden_block_count_z
      - .offset:         76
        .size:           2
        .value_kind:     hidden_group_size_x
      - .offset:         78
        .size:           2
        .value_kind:     hidden_group_size_y
      - .offset:         80
        .size:           2
        .value_kind:     hidden_group_size_z
      - .offset:         82
        .size:           2
        .value_kind:     hidden_remainder_x
      - .offset:         84
        .size:           2
        .value_kind:     hidden_remainder_y
      - .offset:         86
        .size:           2
        .value_kind:     hidden_remainder_z
      - .offset:         104
        .size:           8
        .value_kind:     hidden_global_offset_x
      - .offset:         112
        .size:           8
        .value_kind:     hidden_global_offset_y
      - .offset:         120
        .size:           8
        .value_kind:     hidden_global_offset_z
      - .offset:         128
        .size:           2
        .value_kind:     hidden_grid_dims
    .group_segment_fixed_size: 0
    .kernarg_segment_align: 8
    .kernarg_segment_size: 320
    .language:       OpenCL C
    .language_version:
      - 2
      - 0
    .max_flat_workgroup_size: 512
    .name:           _ZN2at6native39vectorized_templated_elementwise_kernelILi4EZZZNS0_12_GLOBAL__N_124softplus_backward_kernelERNS_18TensorIteratorBaseERKN3c106ScalarES8_ENKUlvE_clEvENKUlvE0_clEvEUlffE_St5arrayIPcLm3EE23TrivialOffsetCalculatorILi2EjESF_ILi1EjENS0_6memory12LoadWithCastILi2EEENSI_13StoreWithCastILi1EEENS5_8BFloat16EJSN_fEEEviT0_T1_T2_T3_T4_T5_
    .private_segment_fixed_size: 272
    .sgpr_count:     98
    .sgpr_spill_count: 0
    .symbol:         _ZN2at6native39vectorized_templated_elementwise_kernelILi4EZZZNS0_12_GLOBAL__N_124softplus_backward_kernelERNS_18TensorIteratorBaseERKN3c106ScalarES8_ENKUlvE_clEvENKUlvE0_clEvEUlffE_St5arrayIPcLm3EE23TrivialOffsetCalculatorILi2EjESF_ILi1EjENS0_6memory12LoadWithCastILi2EEENSI_13StoreWithCastILi1EEENS5_8BFloat16EJSN_fEEEviT0_T1_T2_T3_T4_T5_.kd
    .uniform_work_group_size: 1
    .uses_dynamic_stack: false
    .vgpr_count:     132
    .vgpr_spill_count: 0
    .wavefront_size: 32
  - .args:
      - .offset:         0
        .size:           4
        .value_kind:     by_value
      - .offset:         4
        .size:           8
        .value_kind:     by_value
      - .offset:         16
        .size:           24
        .value_kind:     by_value
      - .offset:         40
        .size:           1
        .value_kind:     by_value
      - .offset:         41
        .size:           1
        .value_kind:     by_value
      - .offset:         44
        .size:           12
        .value_kind:     by_value
      - .offset:         56
        .size:           8
        .value_kind:     by_value
      - .offset:         64
        .size:           4
        .value_kind:     hidden_block_count_x
      - .offset:         68
        .size:           4
        .value_kind:     hidden_block_count_y
      - .offset:         72
        .size:           4
        .value_kind:     hidden_block_count_z
      - .offset:         76
        .size:           2
        .value_kind:     hidden_group_size_x
      - .offset:         78
        .size:           2
        .value_kind:     hidden_group_size_y
      - .offset:         80
        .size:           2
        .value_kind:     hidden_group_size_z
      - .offset:         82
        .size:           2
        .value_kind:     hidden_remainder_x
      - .offset:         84
        .size:           2
        .value_kind:     hidden_remainder_y
      - .offset:         86
        .size:           2
        .value_kind:     hidden_remainder_z
      - .offset:         104
        .size:           8
        .value_kind:     hidden_global_offset_x
      - .offset:         112
        .size:           8
        .value_kind:     hidden_global_offset_y
      - .offset:         120
        .size:           8
        .value_kind:     hidden_global_offset_z
      - .offset:         128
        .size:           2
        .value_kind:     hidden_grid_dims
    .group_segment_fixed_size: 0
    .kernarg_segment_align: 8
    .kernarg_segment_size: 320
    .language:       OpenCL C
    .language_version:
      - 2
      - 0
    .max_flat_workgroup_size: 512
    .name:           _ZN2at6native39vectorized_templated_elementwise_kernelILi2EZZZNS0_12_GLOBAL__N_124softplus_backward_kernelERNS_18TensorIteratorBaseERKN3c106ScalarES8_ENKUlvE_clEvENKUlvE0_clEvEUlffE_St5arrayIPcLm3EE23TrivialOffsetCalculatorILi2EjESF_ILi1EjENS0_6memory12LoadWithCastILi2EEENSI_13StoreWithCastILi1EEENS5_8BFloat16EJSN_fEEEviT0_T1_T2_T3_T4_T5_
    .private_segment_fixed_size: 272
    .sgpr_count:     98
    .sgpr_spill_count: 0
    .symbol:         _ZN2at6native39vectorized_templated_elementwise_kernelILi2EZZZNS0_12_GLOBAL__N_124softplus_backward_kernelERNS_18TensorIteratorBaseERKN3c106ScalarES8_ENKUlvE_clEvENKUlvE0_clEvEUlffE_St5arrayIPcLm3EE23TrivialOffsetCalculatorILi2EjESF_ILi1EjENS0_6memory12LoadWithCastILi2EEENSI_13StoreWithCastILi1EEENS5_8BFloat16EJSN_fEEEviT0_T1_T2_T3_T4_T5_.kd
    .uniform_work_group_size: 1
    .uses_dynamic_stack: false
    .vgpr_count:     132
    .vgpr_spill_count: 0
    .wavefront_size: 32
  - .args:
      - .offset:         0
        .size:           4
        .value_kind:     by_value
      - .offset:         4
        .size:           8
        .value_kind:     by_value
      - .offset:         16
        .size:           24
        .value_kind:     by_value
      - .offset:         40
        .size:           1
        .value_kind:     by_value
      - .offset:         41
        .size:           1
        .value_kind:     by_value
      - .offset:         44
        .size:           12
        .value_kind:     by_value
      - .offset:         56
        .size:           8
        .value_kind:     by_value
      - .offset:         64
        .size:           4
        .value_kind:     hidden_block_count_x
      - .offset:         68
        .size:           4
        .value_kind:     hidden_block_count_y
      - .offset:         72
        .size:           4
        .value_kind:     hidden_block_count_z
      - .offset:         76
        .size:           2
        .value_kind:     hidden_group_size_x
      - .offset:         78
        .size:           2
        .value_kind:     hidden_group_size_y
      - .offset:         80
        .size:           2
        .value_kind:     hidden_group_size_z
      - .offset:         82
        .size:           2
        .value_kind:     hidden_remainder_x
      - .offset:         84
        .size:           2
        .value_kind:     hidden_remainder_y
      - .offset:         86
        .size:           2
        .value_kind:     hidden_remainder_z
      - .offset:         104
        .size:           8
        .value_kind:     hidden_global_offset_x
      - .offset:         112
        .size:           8
        .value_kind:     hidden_global_offset_y
      - .offset:         120
        .size:           8
        .value_kind:     hidden_global_offset_z
      - .offset:         128
        .size:           2
        .value_kind:     hidden_grid_dims
    .group_segment_fixed_size: 0
    .kernarg_segment_align: 8
    .kernarg_segment_size: 320
    .language:       OpenCL C
    .language_version:
      - 2
      - 0
    .max_flat_workgroup_size: 512
    .name:           _ZN2at6native39vectorized_templated_elementwise_kernelILi8EZZZNS0_12_GLOBAL__N_124softplus_backward_kernelERNS_18TensorIteratorBaseERKN3c106ScalarES8_ENKUlvE_clEvENKUlvE0_clEvEUlffE_St5arrayIPcLm3EE23TrivialOffsetCalculatorILi2EjESF_ILi1EjENS0_6memory12LoadWithCastILi2EEENSI_13StoreWithCastILi1EEEfJfNS5_4HalfEEEEviT0_T1_T2_T3_T4_T5_
    .private_segment_fixed_size: 272
    .sgpr_count:     98
    .sgpr_spill_count: 0
    .symbol:         _ZN2at6native39vectorized_templated_elementwise_kernelILi8EZZZNS0_12_GLOBAL__N_124softplus_backward_kernelERNS_18TensorIteratorBaseERKN3c106ScalarES8_ENKUlvE_clEvENKUlvE0_clEvEUlffE_St5arrayIPcLm3EE23TrivialOffsetCalculatorILi2EjESF_ILi1EjENS0_6memory12LoadWithCastILi2EEENSI_13StoreWithCastILi1EEEfJfNS5_4HalfEEEEviT0_T1_T2_T3_T4_T5_.kd
    .uniform_work_group_size: 1
    .uses_dynamic_stack: false
    .vgpr_count:     132
    .vgpr_spill_count: 0
    .wavefront_size: 32
  - .args:
      - .offset:         0
        .size:           4
        .value_kind:     by_value
      - .offset:         4
        .size:           8
        .value_kind:     by_value
      - .offset:         16
        .size:           24
        .value_kind:     by_value
      - .offset:         40
        .size:           1
        .value_kind:     by_value
      - .offset:         41
        .size:           1
        .value_kind:     by_value
      - .offset:         44
        .size:           12
        .value_kind:     by_value
      - .offset:         56
        .size:           8
        .value_kind:     by_value
      - .offset:         64
        .size:           4
        .value_kind:     hidden_block_count_x
      - .offset:         68
        .size:           4
        .value_kind:     hidden_block_count_y
      - .offset:         72
        .size:           4
        .value_kind:     hidden_block_count_z
      - .offset:         76
        .size:           2
        .value_kind:     hidden_group_size_x
      - .offset:         78
        .size:           2
        .value_kind:     hidden_group_size_y
      - .offset:         80
        .size:           2
        .value_kind:     hidden_group_size_z
      - .offset:         82
        .size:           2
        .value_kind:     hidden_remainder_x
      - .offset:         84
        .size:           2
        .value_kind:     hidden_remainder_y
      - .offset:         86
        .size:           2
        .value_kind:     hidden_remainder_z
      - .offset:         104
        .size:           8
        .value_kind:     hidden_global_offset_x
      - .offset:         112
        .size:           8
        .value_kind:     hidden_global_offset_y
      - .offset:         120
        .size:           8
        .value_kind:     hidden_global_offset_z
      - .offset:         128
        .size:           2
        .value_kind:     hidden_grid_dims
    .group_segment_fixed_size: 0
    .kernarg_segment_align: 8
    .kernarg_segment_size: 320
    .language:       OpenCL C
    .language_version:
      - 2
      - 0
    .max_flat_workgroup_size: 512
    .name:           _ZN2at6native39vectorized_templated_elementwise_kernelILi4EZZZNS0_12_GLOBAL__N_124softplus_backward_kernelERNS_18TensorIteratorBaseERKN3c106ScalarES8_ENKUlvE_clEvENKUlvE0_clEvEUlffE_St5arrayIPcLm3EE23TrivialOffsetCalculatorILi2EjESF_ILi1EjENS0_6memory12LoadWithCastILi2EEENSI_13StoreWithCastILi1EEEfJfNS5_4HalfEEEEviT0_T1_T2_T3_T4_T5_
    .private_segment_fixed_size: 272
    .sgpr_count:     98
    .sgpr_spill_count: 0
    .symbol:         _ZN2at6native39vectorized_templated_elementwise_kernelILi4EZZZNS0_12_GLOBAL__N_124softplus_backward_kernelERNS_18TensorIteratorBaseERKN3c106ScalarES8_ENKUlvE_clEvENKUlvE0_clEvEUlffE_St5arrayIPcLm3EE23TrivialOffsetCalculatorILi2EjESF_ILi1EjENS0_6memory12LoadWithCastILi2EEENSI_13StoreWithCastILi1EEEfJfNS5_4HalfEEEEviT0_T1_T2_T3_T4_T5_.kd
    .uniform_work_group_size: 1
    .uses_dynamic_stack: false
    .vgpr_count:     132
    .vgpr_spill_count: 0
    .wavefront_size: 32
  - .args:
      - .offset:         0
        .size:           4
        .value_kind:     by_value
      - .offset:         4
        .size:           8
        .value_kind:     by_value
      - .offset:         16
        .size:           24
        .value_kind:     by_value
      - .offset:         40
        .size:           1
        .value_kind:     by_value
      - .offset:         41
        .size:           1
        .value_kind:     by_value
      - .offset:         44
        .size:           12
        .value_kind:     by_value
      - .offset:         56
        .size:           8
        .value_kind:     by_value
      - .offset:         64
        .size:           4
        .value_kind:     hidden_block_count_x
      - .offset:         68
        .size:           4
        .value_kind:     hidden_block_count_y
      - .offset:         72
        .size:           4
        .value_kind:     hidden_block_count_z
      - .offset:         76
        .size:           2
        .value_kind:     hidden_group_size_x
      - .offset:         78
        .size:           2
        .value_kind:     hidden_group_size_y
      - .offset:         80
        .size:           2
        .value_kind:     hidden_group_size_z
      - .offset:         82
        .size:           2
        .value_kind:     hidden_remainder_x
      - .offset:         84
        .size:           2
        .value_kind:     hidden_remainder_y
      - .offset:         86
        .size:           2
        .value_kind:     hidden_remainder_z
      - .offset:         104
        .size:           8
        .value_kind:     hidden_global_offset_x
      - .offset:         112
        .size:           8
        .value_kind:     hidden_global_offset_y
      - .offset:         120
        .size:           8
        .value_kind:     hidden_global_offset_z
      - .offset:         128
        .size:           2
        .value_kind:     hidden_grid_dims
    .group_segment_fixed_size: 0
    .kernarg_segment_align: 8
    .kernarg_segment_size: 320
    .language:       OpenCL C
    .language_version:
      - 2
      - 0
    .max_flat_workgroup_size: 512
    .name:           _ZN2at6native39vectorized_templated_elementwise_kernelILi2EZZZNS0_12_GLOBAL__N_124softplus_backward_kernelERNS_18TensorIteratorBaseERKN3c106ScalarES8_ENKUlvE_clEvENKUlvE0_clEvEUlffE_St5arrayIPcLm3EE23TrivialOffsetCalculatorILi2EjESF_ILi1EjENS0_6memory12LoadWithCastILi2EEENSI_13StoreWithCastILi1EEEfJfNS5_4HalfEEEEviT0_T1_T2_T3_T4_T5_
    .private_segment_fixed_size: 272
    .sgpr_count:     98
    .sgpr_spill_count: 0
    .symbol:         _ZN2at6native39vectorized_templated_elementwise_kernelILi2EZZZNS0_12_GLOBAL__N_124softplus_backward_kernelERNS_18TensorIteratorBaseERKN3c106ScalarES8_ENKUlvE_clEvENKUlvE0_clEvEUlffE_St5arrayIPcLm3EE23TrivialOffsetCalculatorILi2EjESF_ILi1EjENS0_6memory12LoadWithCastILi2EEENSI_13StoreWithCastILi1EEEfJfNS5_4HalfEEEEviT0_T1_T2_T3_T4_T5_.kd
    .uniform_work_group_size: 1
    .uses_dynamic_stack: false
    .vgpr_count:     132
    .vgpr_spill_count: 0
    .wavefront_size: 32
  - .args:
      - .offset:         0
        .size:           4
        .value_kind:     by_value
      - .offset:         4
        .size:           8
        .value_kind:     by_value
      - .offset:         16
        .size:           24
        .value_kind:     by_value
      - .offset:         40
        .size:           1
        .value_kind:     by_value
      - .offset:         41
        .size:           1
        .value_kind:     by_value
      - .offset:         44
        .size:           12
        .value_kind:     by_value
      - .offset:         56
        .size:           8
        .value_kind:     by_value
      - .offset:         64
        .size:           4
        .value_kind:     hidden_block_count_x
      - .offset:         68
        .size:           4
        .value_kind:     hidden_block_count_y
      - .offset:         72
        .size:           4
        .value_kind:     hidden_block_count_z
      - .offset:         76
        .size:           2
        .value_kind:     hidden_group_size_x
      - .offset:         78
        .size:           2
        .value_kind:     hidden_group_size_y
      - .offset:         80
        .size:           2
        .value_kind:     hidden_group_size_z
      - .offset:         82
        .size:           2
        .value_kind:     hidden_remainder_x
      - .offset:         84
        .size:           2
        .value_kind:     hidden_remainder_y
      - .offset:         86
        .size:           2
        .value_kind:     hidden_remainder_z
      - .offset:         104
        .size:           8
        .value_kind:     hidden_global_offset_x
      - .offset:         112
        .size:           8
        .value_kind:     hidden_global_offset_y
      - .offset:         120
        .size:           8
        .value_kind:     hidden_global_offset_z
      - .offset:         128
        .size:           2
        .value_kind:     hidden_grid_dims
    .group_segment_fixed_size: 0
    .kernarg_segment_align: 8
    .kernarg_segment_size: 320
    .language:       OpenCL C
    .language_version:
      - 2
      - 0
    .max_flat_workgroup_size: 512
    .name:           _ZN2at6native39vectorized_templated_elementwise_kernelILi8EZZZNS0_12_GLOBAL__N_124softplus_backward_kernelERNS_18TensorIteratorBaseERKN3c106ScalarES8_ENKUlvE_clEvENKUlvE0_clEvEUlffE_St5arrayIPcLm3EE23TrivialOffsetCalculatorILi2EjESF_ILi1EjENS0_6memory12LoadWithCastILi2EEENSI_13StoreWithCastILi1EEEfJNS5_4HalfEfEEEviT0_T1_T2_T3_T4_T5_
    .private_segment_fixed_size: 272
    .sgpr_count:     98
    .sgpr_spill_count: 0
    .symbol:         _ZN2at6native39vectorized_templated_elementwise_kernelILi8EZZZNS0_12_GLOBAL__N_124softplus_backward_kernelERNS_18TensorIteratorBaseERKN3c106ScalarES8_ENKUlvE_clEvENKUlvE0_clEvEUlffE_St5arrayIPcLm3EE23TrivialOffsetCalculatorILi2EjESF_ILi1EjENS0_6memory12LoadWithCastILi2EEENSI_13StoreWithCastILi1EEEfJNS5_4HalfEfEEEviT0_T1_T2_T3_T4_T5_.kd
    .uniform_work_group_size: 1
    .uses_dynamic_stack: false
    .vgpr_count:     132
    .vgpr_spill_count: 0
    .wavefront_size: 32
  - .args:
      - .offset:         0
        .size:           4
        .value_kind:     by_value
      - .offset:         4
        .size:           8
        .value_kind:     by_value
      - .offset:         16
        .size:           24
        .value_kind:     by_value
      - .offset:         40
        .size:           1
        .value_kind:     by_value
      - .offset:         41
        .size:           1
        .value_kind:     by_value
      - .offset:         44
        .size:           12
        .value_kind:     by_value
      - .offset:         56
        .size:           8
        .value_kind:     by_value
      - .offset:         64
        .size:           4
        .value_kind:     hidden_block_count_x
      - .offset:         68
        .size:           4
        .value_kind:     hidden_block_count_y
      - .offset:         72
        .size:           4
        .value_kind:     hidden_block_count_z
      - .offset:         76
        .size:           2
        .value_kind:     hidden_group_size_x
      - .offset:         78
        .size:           2
        .value_kind:     hidden_group_size_y
      - .offset:         80
        .size:           2
        .value_kind:     hidden_group_size_z
      - .offset:         82
        .size:           2
        .value_kind:     hidden_remainder_x
      - .offset:         84
        .size:           2
        .value_kind:     hidden_remainder_y
      - .offset:         86
        .size:           2
        .value_kind:     hidden_remainder_z
      - .offset:         104
        .size:           8
        .value_kind:     hidden_global_offset_x
      - .offset:         112
        .size:           8
        .value_kind:     hidden_global_offset_y
      - .offset:         120
        .size:           8
        .value_kind:     hidden_global_offset_z
      - .offset:         128
        .size:           2
        .value_kind:     hidden_grid_dims
    .group_segment_fixed_size: 0
    .kernarg_segment_align: 8
    .kernarg_segment_size: 320
    .language:       OpenCL C
    .language_version:
      - 2
      - 0
    .max_flat_workgroup_size: 512
    .name:           _ZN2at6native39vectorized_templated_elementwise_kernelILi4EZZZNS0_12_GLOBAL__N_124softplus_backward_kernelERNS_18TensorIteratorBaseERKN3c106ScalarES8_ENKUlvE_clEvENKUlvE0_clEvEUlffE_St5arrayIPcLm3EE23TrivialOffsetCalculatorILi2EjESF_ILi1EjENS0_6memory12LoadWithCastILi2EEENSI_13StoreWithCastILi1EEEfJNS5_4HalfEfEEEviT0_T1_T2_T3_T4_T5_
    .private_segment_fixed_size: 272
    .sgpr_count:     98
    .sgpr_spill_count: 0
    .symbol:         _ZN2at6native39vectorized_templated_elementwise_kernelILi4EZZZNS0_12_GLOBAL__N_124softplus_backward_kernelERNS_18TensorIteratorBaseERKN3c106ScalarES8_ENKUlvE_clEvENKUlvE0_clEvEUlffE_St5arrayIPcLm3EE23TrivialOffsetCalculatorILi2EjESF_ILi1EjENS0_6memory12LoadWithCastILi2EEENSI_13StoreWithCastILi1EEEfJNS5_4HalfEfEEEviT0_T1_T2_T3_T4_T5_.kd
    .uniform_work_group_size: 1
    .uses_dynamic_stack: false
    .vgpr_count:     132
    .vgpr_spill_count: 0
    .wavefront_size: 32
  - .args:
      - .offset:         0
        .size:           4
        .value_kind:     by_value
      - .offset:         4
        .size:           8
        .value_kind:     by_value
      - .offset:         16
        .size:           24
        .value_kind:     by_value
      - .offset:         40
        .size:           1
        .value_kind:     by_value
      - .offset:         41
        .size:           1
        .value_kind:     by_value
      - .offset:         44
        .size:           12
        .value_kind:     by_value
      - .offset:         56
        .size:           8
        .value_kind:     by_value
      - .offset:         64
        .size:           4
        .value_kind:     hidden_block_count_x
      - .offset:         68
        .size:           4
        .value_kind:     hidden_block_count_y
      - .offset:         72
        .size:           4
        .value_kind:     hidden_block_count_z
      - .offset:         76
        .size:           2
        .value_kind:     hidden_group_size_x
      - .offset:         78
        .size:           2
        .value_kind:     hidden_group_size_y
      - .offset:         80
        .size:           2
        .value_kind:     hidden_group_size_z
      - .offset:         82
        .size:           2
        .value_kind:     hidden_remainder_x
      - .offset:         84
        .size:           2
        .value_kind:     hidden_remainder_y
      - .offset:         86
        .size:           2
        .value_kind:     hidden_remainder_z
      - .offset:         104
        .size:           8
        .value_kind:     hidden_global_offset_x
      - .offset:         112
        .size:           8
        .value_kind:     hidden_global_offset_y
      - .offset:         120
        .size:           8
        .value_kind:     hidden_global_offset_z
      - .offset:         128
        .size:           2
        .value_kind:     hidden_grid_dims
    .group_segment_fixed_size: 0
    .kernarg_segment_align: 8
    .kernarg_segment_size: 320
    .language:       OpenCL C
    .language_version:
      - 2
      - 0
    .max_flat_workgroup_size: 512
    .name:           _ZN2at6native39vectorized_templated_elementwise_kernelILi2EZZZNS0_12_GLOBAL__N_124softplus_backward_kernelERNS_18TensorIteratorBaseERKN3c106ScalarES8_ENKUlvE_clEvENKUlvE0_clEvEUlffE_St5arrayIPcLm3EE23TrivialOffsetCalculatorILi2EjESF_ILi1EjENS0_6memory12LoadWithCastILi2EEENSI_13StoreWithCastILi1EEEfJNS5_4HalfEfEEEviT0_T1_T2_T3_T4_T5_
    .private_segment_fixed_size: 272
    .sgpr_count:     98
    .sgpr_spill_count: 0
    .symbol:         _ZN2at6native39vectorized_templated_elementwise_kernelILi2EZZZNS0_12_GLOBAL__N_124softplus_backward_kernelERNS_18TensorIteratorBaseERKN3c106ScalarES8_ENKUlvE_clEvENKUlvE0_clEvEUlffE_St5arrayIPcLm3EE23TrivialOffsetCalculatorILi2EjESF_ILi1EjENS0_6memory12LoadWithCastILi2EEENSI_13StoreWithCastILi1EEEfJNS5_4HalfEfEEEviT0_T1_T2_T3_T4_T5_.kd
    .uniform_work_group_size: 1
    .uses_dynamic_stack: false
    .vgpr_count:     132
    .vgpr_spill_count: 0
    .wavefront_size: 32
  - .args:
      - .offset:         0
        .size:           4
        .value_kind:     by_value
      - .offset:         4
        .size:           8
        .value_kind:     by_value
      - .offset:         16
        .size:           24
        .value_kind:     by_value
      - .offset:         40
        .size:           1
        .value_kind:     by_value
      - .offset:         41
        .size:           1
        .value_kind:     by_value
      - .offset:         44
        .size:           12
        .value_kind:     by_value
      - .offset:         56
        .size:           8
        .value_kind:     by_value
      - .offset:         64
        .size:           4
        .value_kind:     hidden_block_count_x
      - .offset:         68
        .size:           4
        .value_kind:     hidden_block_count_y
      - .offset:         72
        .size:           4
        .value_kind:     hidden_block_count_z
      - .offset:         76
        .size:           2
        .value_kind:     hidden_group_size_x
      - .offset:         78
        .size:           2
        .value_kind:     hidden_group_size_y
      - .offset:         80
        .size:           2
        .value_kind:     hidden_group_size_z
      - .offset:         82
        .size:           2
        .value_kind:     hidden_remainder_x
      - .offset:         84
        .size:           2
        .value_kind:     hidden_remainder_y
      - .offset:         86
        .size:           2
        .value_kind:     hidden_remainder_z
      - .offset:         104
        .size:           8
        .value_kind:     hidden_global_offset_x
      - .offset:         112
        .size:           8
        .value_kind:     hidden_global_offset_y
      - .offset:         120
        .size:           8
        .value_kind:     hidden_global_offset_z
      - .offset:         128
        .size:           2
        .value_kind:     hidden_grid_dims
    .group_segment_fixed_size: 0
    .kernarg_segment_align: 8
    .kernarg_segment_size: 320
    .language:       OpenCL C
    .language_version:
      - 2
      - 0
    .max_flat_workgroup_size: 512
    .name:           _ZN2at6native39vectorized_templated_elementwise_kernelILi8EZZZNS0_12_GLOBAL__N_124softplus_backward_kernelERNS_18TensorIteratorBaseERKN3c106ScalarES8_ENKUlvE_clEvENKUlvE0_clEvEUlffE_St5arrayIPcLm3EE23TrivialOffsetCalculatorILi2EjESF_ILi1EjENS0_6memory12LoadWithCastILi2EEENSI_13StoreWithCastILi1EEENS5_4HalfEJSN_fEEEviT0_T1_T2_T3_T4_T5_
    .private_segment_fixed_size: 272
    .sgpr_count:     98
    .sgpr_spill_count: 0
    .symbol:         _ZN2at6native39vectorized_templated_elementwise_kernelILi8EZZZNS0_12_GLOBAL__N_124softplus_backward_kernelERNS_18TensorIteratorBaseERKN3c106ScalarES8_ENKUlvE_clEvENKUlvE0_clEvEUlffE_St5arrayIPcLm3EE23TrivialOffsetCalculatorILi2EjESF_ILi1EjENS0_6memory12LoadWithCastILi2EEENSI_13StoreWithCastILi1EEENS5_4HalfEJSN_fEEEviT0_T1_T2_T3_T4_T5_.kd
    .uniform_work_group_size: 1
    .uses_dynamic_stack: false
    .vgpr_count:     132
    .vgpr_spill_count: 0
    .wavefront_size: 32
  - .args:
      - .offset:         0
        .size:           4
        .value_kind:     by_value
      - .offset:         4
        .size:           8
        .value_kind:     by_value
      - .offset:         16
        .size:           24
        .value_kind:     by_value
      - .offset:         40
        .size:           1
        .value_kind:     by_value
      - .offset:         41
        .size:           1
        .value_kind:     by_value
      - .offset:         44
        .size:           12
        .value_kind:     by_value
      - .offset:         56
        .size:           8
        .value_kind:     by_value
      - .offset:         64
        .size:           4
        .value_kind:     hidden_block_count_x
      - .offset:         68
        .size:           4
        .value_kind:     hidden_block_count_y
      - .offset:         72
        .size:           4
        .value_kind:     hidden_block_count_z
      - .offset:         76
        .size:           2
        .value_kind:     hidden_group_size_x
      - .offset:         78
        .size:           2
        .value_kind:     hidden_group_size_y
      - .offset:         80
        .size:           2
        .value_kind:     hidden_group_size_z
      - .offset:         82
        .size:           2
        .value_kind:     hidden_remainder_x
      - .offset:         84
        .size:           2
        .value_kind:     hidden_remainder_y
      - .offset:         86
        .size:           2
        .value_kind:     hidden_remainder_z
      - .offset:         104
        .size:           8
        .value_kind:     hidden_global_offset_x
      - .offset:         112
        .size:           8
        .value_kind:     hidden_global_offset_y
      - .offset:         120
        .size:           8
        .value_kind:     hidden_global_offset_z
      - .offset:         128
        .size:           2
        .value_kind:     hidden_grid_dims
    .group_segment_fixed_size: 0
    .kernarg_segment_align: 8
    .kernarg_segment_size: 320
    .language:       OpenCL C
    .language_version:
      - 2
      - 0
    .max_flat_workgroup_size: 512
    .name:           _ZN2at6native39vectorized_templated_elementwise_kernelILi4EZZZNS0_12_GLOBAL__N_124softplus_backward_kernelERNS_18TensorIteratorBaseERKN3c106ScalarES8_ENKUlvE_clEvENKUlvE0_clEvEUlffE_St5arrayIPcLm3EE23TrivialOffsetCalculatorILi2EjESF_ILi1EjENS0_6memory12LoadWithCastILi2EEENSI_13StoreWithCastILi1EEENS5_4HalfEJSN_fEEEviT0_T1_T2_T3_T4_T5_
    .private_segment_fixed_size: 272
    .sgpr_count:     98
    .sgpr_spill_count: 0
    .symbol:         _ZN2at6native39vectorized_templated_elementwise_kernelILi4EZZZNS0_12_GLOBAL__N_124softplus_backward_kernelERNS_18TensorIteratorBaseERKN3c106ScalarES8_ENKUlvE_clEvENKUlvE0_clEvEUlffE_St5arrayIPcLm3EE23TrivialOffsetCalculatorILi2EjESF_ILi1EjENS0_6memory12LoadWithCastILi2EEENSI_13StoreWithCastILi1EEENS5_4HalfEJSN_fEEEviT0_T1_T2_T3_T4_T5_.kd
    .uniform_work_group_size: 1
    .uses_dynamic_stack: false
    .vgpr_count:     132
    .vgpr_spill_count: 0
    .wavefront_size: 32
  - .args:
      - .offset:         0
        .size:           4
        .value_kind:     by_value
      - .offset:         4
        .size:           8
        .value_kind:     by_value
      - .offset:         16
        .size:           24
        .value_kind:     by_value
      - .offset:         40
        .size:           1
        .value_kind:     by_value
      - .offset:         41
        .size:           1
        .value_kind:     by_value
      - .offset:         44
        .size:           12
        .value_kind:     by_value
      - .offset:         56
        .size:           8
        .value_kind:     by_value
      - .offset:         64
        .size:           4
        .value_kind:     hidden_block_count_x
      - .offset:         68
        .size:           4
        .value_kind:     hidden_block_count_y
      - .offset:         72
        .size:           4
        .value_kind:     hidden_block_count_z
      - .offset:         76
        .size:           2
        .value_kind:     hidden_group_size_x
      - .offset:         78
        .size:           2
        .value_kind:     hidden_group_size_y
      - .offset:         80
        .size:           2
        .value_kind:     hidden_group_size_z
      - .offset:         82
        .size:           2
        .value_kind:     hidden_remainder_x
      - .offset:         84
        .size:           2
        .value_kind:     hidden_remainder_y
      - .offset:         86
        .size:           2
        .value_kind:     hidden_remainder_z
      - .offset:         104
        .size:           8
        .value_kind:     hidden_global_offset_x
      - .offset:         112
        .size:           8
        .value_kind:     hidden_global_offset_y
      - .offset:         120
        .size:           8
        .value_kind:     hidden_global_offset_z
      - .offset:         128
        .size:           2
        .value_kind:     hidden_grid_dims
    .group_segment_fixed_size: 0
    .kernarg_segment_align: 8
    .kernarg_segment_size: 320
    .language:       OpenCL C
    .language_version:
      - 2
      - 0
    .max_flat_workgroup_size: 512
    .name:           _ZN2at6native39vectorized_templated_elementwise_kernelILi2EZZZNS0_12_GLOBAL__N_124softplus_backward_kernelERNS_18TensorIteratorBaseERKN3c106ScalarES8_ENKUlvE_clEvENKUlvE0_clEvEUlffE_St5arrayIPcLm3EE23TrivialOffsetCalculatorILi2EjESF_ILi1EjENS0_6memory12LoadWithCastILi2EEENSI_13StoreWithCastILi1EEENS5_4HalfEJSN_fEEEviT0_T1_T2_T3_T4_T5_
    .private_segment_fixed_size: 272
    .sgpr_count:     98
    .sgpr_spill_count: 0
    .symbol:         _ZN2at6native39vectorized_templated_elementwise_kernelILi2EZZZNS0_12_GLOBAL__N_124softplus_backward_kernelERNS_18TensorIteratorBaseERKN3c106ScalarES8_ENKUlvE_clEvENKUlvE0_clEvEUlffE_St5arrayIPcLm3EE23TrivialOffsetCalculatorILi2EjESF_ILi1EjENS0_6memory12LoadWithCastILi2EEENSI_13StoreWithCastILi1EEENS5_4HalfEJSN_fEEEviT0_T1_T2_T3_T4_T5_.kd
    .uniform_work_group_size: 1
    .uses_dynamic_stack: false
    .vgpr_count:     132
    .vgpr_spill_count: 0
    .wavefront_size: 32
  - .args:
      - .offset:         0
        .size:           4
        .value_kind:     by_value
      - .offset:         8
        .size:           48
        .value_kind:     by_value
    .group_segment_fixed_size: 0
    .kernarg_segment_align: 8
    .kernarg_segment_size: 56
    .language:       OpenCL C
    .language_version:
      - 2
      - 0
    .max_flat_workgroup_size: 128
    .name:           _ZN2at6native32elementwise_kernel_manual_unrollILi128ELi4EZNS0_15gpu_kernel_implIZZZNS0_12_GLOBAL__N_124softplus_backward_kernelERNS_18TensorIteratorBaseERKN3c106ScalarES9_ENKUlvE_clEvENKUlvE0_clEvEUlffE_EEvS5_RKT_EUlibE_EEviT1_
    .private_segment_fixed_size: 0
    .sgpr_count:     39
    .sgpr_spill_count: 0
    .symbol:         _ZN2at6native32elementwise_kernel_manual_unrollILi128ELi4EZNS0_15gpu_kernel_implIZZZNS0_12_GLOBAL__N_124softplus_backward_kernelERNS_18TensorIteratorBaseERKN3c106ScalarES9_ENKUlvE_clEvENKUlvE0_clEvEUlffE_EEvS5_RKT_EUlibE_EEviT1_.kd
    .uniform_work_group_size: 1
    .uses_dynamic_stack: false
    .vgpr_count:     16
    .vgpr_spill_count: 0
    .wavefront_size: 32
  - .args:
      - .offset:         0
        .size:           4
        .value_kind:     by_value
      - .offset:         8
        .size:           424
        .value_kind:     by_value
    .group_segment_fixed_size: 0
    .kernarg_segment_align: 8
    .kernarg_segment_size: 432
    .language:       OpenCL C
    .language_version:
      - 2
      - 0
    .max_flat_workgroup_size: 128
    .name:           _ZN2at6native32elementwise_kernel_manual_unrollILi128ELi4EZNS0_12_GLOBAL__N_142type_specialized_broadcast_kernel_launcherILi0EE5applyIZZZNS2_24softplus_backward_kernelERNS_18TensorIteratorBaseERKN3c106ScalarESB_ENKUlvE_clEvENKUlvE0_clEvEUlffE_St5arrayIPcLm3EESF_INS8_10ScalarTypeELm3EE16OffsetCalculatorILi3EjLb0EEEEvlT_T0_T1_T2_EUlibE_EEviSO_
    .private_segment_fixed_size: 0
    .sgpr_count:     50
    .sgpr_spill_count: 0
    .symbol:         _ZN2at6native32elementwise_kernel_manual_unrollILi128ELi4EZNS0_12_GLOBAL__N_142type_specialized_broadcast_kernel_launcherILi0EE5applyIZZZNS2_24softplus_backward_kernelERNS_18TensorIteratorBaseERKN3c106ScalarESB_ENKUlvE_clEvENKUlvE0_clEvEUlffE_St5arrayIPcLm3EESF_INS8_10ScalarTypeELm3EE16OffsetCalculatorILi3EjLb0EEEEvlT_T0_T1_T2_EUlibE_EEviSO_.kd
    .uniform_work_group_size: 1
    .uses_dynamic_stack: false
    .vgpr_count:     17
    .vgpr_spill_count: 0
    .wavefront_size: 32
  - .args:
      - .offset:         0
        .size:           4
        .value_kind:     by_value
      - .offset:         8
        .size:           424
        .value_kind:     by_value
    .group_segment_fixed_size: 0
    .kernarg_segment_align: 8
    .kernarg_segment_size: 432
    .language:       OpenCL C
    .language_version:
      - 2
      - 0
    .max_flat_workgroup_size: 128
    .name:           _ZN2at6native32elementwise_kernel_manual_unrollILi128ELi4EZNS0_12_GLOBAL__N_142type_specialized_broadcast_kernel_launcherILi1EE5applyIZZZNS2_24softplus_backward_kernelERNS_18TensorIteratorBaseERKN3c106ScalarESB_ENKUlvE_clEvENKUlvE0_clEvEUlffE_St5arrayIPcLm3EESF_INS8_10ScalarTypeELm3EE16OffsetCalculatorILi3EjLb0EEEEvlT_T0_T1_T2_EUlibE_EEviSO_
    .private_segment_fixed_size: 0
    .sgpr_count:     50
    .sgpr_spill_count: 0
    .symbol:         _ZN2at6native32elementwise_kernel_manual_unrollILi128ELi4EZNS0_12_GLOBAL__N_142type_specialized_broadcast_kernel_launcherILi1EE5applyIZZZNS2_24softplus_backward_kernelERNS_18TensorIteratorBaseERKN3c106ScalarESB_ENKUlvE_clEvENKUlvE0_clEvEUlffE_St5arrayIPcLm3EESF_INS8_10ScalarTypeELm3EE16OffsetCalculatorILi3EjLb0EEEEvlT_T0_T1_T2_EUlibE_EEviSO_.kd
    .uniform_work_group_size: 1
    .uses_dynamic_stack: false
    .vgpr_count:     17
    .vgpr_spill_count: 0
    .wavefront_size: 32
  - .args:
      - .offset:         0
        .size:           4
        .value_kind:     by_value
      - .offset:         8
        .size:           424
        .value_kind:     by_value
    .group_segment_fixed_size: 0
    .kernarg_segment_align: 8
    .kernarg_segment_size: 432
    .language:       OpenCL C
    .language_version:
      - 2
      - 0
    .max_flat_workgroup_size: 128
    .name:           _ZN2at6native32elementwise_kernel_manual_unrollILi128ELi4EZNS0_12_GLOBAL__N_142type_specialized_broadcast_kernel_launcherILi2EE5applyIZZZNS2_24softplus_backward_kernelERNS_18TensorIteratorBaseERKN3c106ScalarESB_ENKUlvE_clEvENKUlvE0_clEvEUlffE_St5arrayIPcLm3EESF_INS8_10ScalarTypeELm3EE16OffsetCalculatorILi3EjLb0EEEEvlT_T0_T1_T2_EUlibE_EEviSO_
    .private_segment_fixed_size: 0
    .sgpr_count:     50
    .sgpr_spill_count: 0
    .symbol:         _ZN2at6native32elementwise_kernel_manual_unrollILi128ELi4EZNS0_12_GLOBAL__N_142type_specialized_broadcast_kernel_launcherILi2EE5applyIZZZNS2_24softplus_backward_kernelERNS_18TensorIteratorBaseERKN3c106ScalarESB_ENKUlvE_clEvENKUlvE0_clEvEUlffE_St5arrayIPcLm3EESF_INS8_10ScalarTypeELm3EE16OffsetCalculatorILi3EjLb0EEEEvlT_T0_T1_T2_EUlibE_EEviSO_.kd
    .uniform_work_group_size: 1
    .uses_dynamic_stack: false
    .vgpr_count:     17
    .vgpr_spill_count: 0
    .wavefront_size: 32
  - .args:
      - .offset:         0
        .size:           4
        .value_kind:     by_value
      - .offset:         8
        .size:           424
        .value_kind:     by_value
    .group_segment_fixed_size: 0
    .kernarg_segment_align: 8
    .kernarg_segment_size: 432
    .language:       OpenCL C
    .language_version:
      - 2
      - 0
    .max_flat_workgroup_size: 128
    .name:           _ZN2at6native32elementwise_kernel_manual_unrollILi128ELi4EZNS0_12_GLOBAL__N_142type_specialized_broadcast_kernel_launcherILi3EE5applyIZZZNS2_24softplus_backward_kernelERNS_18TensorIteratorBaseERKN3c106ScalarESB_ENKUlvE_clEvENKUlvE0_clEvEUlffE_St5arrayIPcLm3EESF_INS8_10ScalarTypeELm3EE16OffsetCalculatorILi3EjLb0EEEEvlT_T0_T1_T2_EUlibE_EEviSO_
    .private_segment_fixed_size: 0
    .sgpr_count:     50
    .sgpr_spill_count: 0
    .symbol:         _ZN2at6native32elementwise_kernel_manual_unrollILi128ELi4EZNS0_12_GLOBAL__N_142type_specialized_broadcast_kernel_launcherILi3EE5applyIZZZNS2_24softplus_backward_kernelERNS_18TensorIteratorBaseERKN3c106ScalarESB_ENKUlvE_clEvENKUlvE0_clEvEUlffE_St5arrayIPcLm3EESF_INS8_10ScalarTypeELm3EE16OffsetCalculatorILi3EjLb0EEEEvlT_T0_T1_T2_EUlibE_EEviSO_.kd
    .uniform_work_group_size: 1
    .uses_dynamic_stack: false
    .vgpr_count:     17
    .vgpr_spill_count: 0
    .wavefront_size: 32
  - .args:
      - .offset:         0
        .size:           4
        .value_kind:     by_value
      - .offset:         8
        .size:           424
        .value_kind:     by_value
    .group_segment_fixed_size: 0
    .kernarg_segment_align: 8
    .kernarg_segment_size: 432
    .language:       OpenCL C
    .language_version:
      - 2
      - 0
    .max_flat_workgroup_size: 128
    .name:           _ZN2at6native32elementwise_kernel_manual_unrollILi128ELi4EZNS0_12_GLOBAL__N_142type_specialized_broadcast_kernel_launcherILi4EE5applyIZZZNS2_24softplus_backward_kernelERNS_18TensorIteratorBaseERKN3c106ScalarESB_ENKUlvE_clEvENKUlvE0_clEvEUlffE_St5arrayIPcLm3EESF_INS8_10ScalarTypeELm3EE16OffsetCalculatorILi3EjLb0EEEEvlT_T0_T1_T2_EUlibE_EEviSO_
    .private_segment_fixed_size: 0
    .sgpr_count:     50
    .sgpr_spill_count: 0
    .symbol:         _ZN2at6native32elementwise_kernel_manual_unrollILi128ELi4EZNS0_12_GLOBAL__N_142type_specialized_broadcast_kernel_launcherILi4EE5applyIZZZNS2_24softplus_backward_kernelERNS_18TensorIteratorBaseERKN3c106ScalarESB_ENKUlvE_clEvENKUlvE0_clEvEUlffE_St5arrayIPcLm3EESF_INS8_10ScalarTypeELm3EE16OffsetCalculatorILi3EjLb0EEEEvlT_T0_T1_T2_EUlibE_EEviSO_.kd
    .uniform_work_group_size: 1
    .uses_dynamic_stack: false
    .vgpr_count:     17
    .vgpr_spill_count: 0
    .wavefront_size: 32
  - .args:
      - .offset:         0
        .size:           4
        .value_kind:     by_value
      - .offset:         8
        .size:           424
        .value_kind:     by_value
    .group_segment_fixed_size: 0
    .kernarg_segment_align: 8
    .kernarg_segment_size: 432
    .language:       OpenCL C
    .language_version:
      - 2
      - 0
    .max_flat_workgroup_size: 128
    .name:           _ZN2at6native32elementwise_kernel_manual_unrollILi128ELi4EZNS0_12_GLOBAL__N_142type_specialized_broadcast_kernel_launcherILi5EE5applyIZZZNS2_24softplus_backward_kernelERNS_18TensorIteratorBaseERKN3c106ScalarESB_ENKUlvE_clEvENKUlvE0_clEvEUlffE_St5arrayIPcLm3EESF_INS8_10ScalarTypeELm3EE16OffsetCalculatorILi3EjLb0EEEEvlT_T0_T1_T2_EUlibE_EEviSO_
    .private_segment_fixed_size: 0
    .sgpr_count:     50
    .sgpr_spill_count: 0
    .symbol:         _ZN2at6native32elementwise_kernel_manual_unrollILi128ELi4EZNS0_12_GLOBAL__N_142type_specialized_broadcast_kernel_launcherILi5EE5applyIZZZNS2_24softplus_backward_kernelERNS_18TensorIteratorBaseERKN3c106ScalarESB_ENKUlvE_clEvENKUlvE0_clEvEUlffE_St5arrayIPcLm3EESF_INS8_10ScalarTypeELm3EE16OffsetCalculatorILi3EjLb0EEEEvlT_T0_T1_T2_EUlibE_EEviSO_.kd
    .uniform_work_group_size: 1
    .uses_dynamic_stack: false
    .vgpr_count:     17
    .vgpr_spill_count: 0
    .wavefront_size: 32
  - .args:
      - .offset:         0
        .size:           4
        .value_kind:     by_value
      - .offset:         8
        .size:           432
        .value_kind:     by_value
    .group_segment_fixed_size: 0
    .kernarg_segment_align: 8
    .kernarg_segment_size: 440
    .language:       OpenCL C
    .language_version:
      - 2
      - 0
    .max_flat_workgroup_size: 128
    .name:           _ZN2at6native32elementwise_kernel_manual_unrollILi128ELi4EZNS0_15gpu_kernel_implIZZZNS0_12_GLOBAL__N_124softplus_backward_kernelERNS_18TensorIteratorBaseERKN3c106ScalarES9_ENKUlvE_clEvENKUlvE0_clEvEUlffE_EEvS5_RKT_EUlibE0_EEviT1_
    .private_segment_fixed_size: 0
    .sgpr_count:     64
    .sgpr_spill_count: 0
    .symbol:         _ZN2at6native32elementwise_kernel_manual_unrollILi128ELi4EZNS0_15gpu_kernel_implIZZZNS0_12_GLOBAL__N_124softplus_backward_kernelERNS_18TensorIteratorBaseERKN3c106ScalarES9_ENKUlvE_clEvENKUlvE0_clEvEUlffE_EEvS5_RKT_EUlibE0_EEviT1_.kd
    .uniform_work_group_size: 1
    .uses_dynamic_stack: false
    .vgpr_count:     26
    .vgpr_spill_count: 0
    .wavefront_size: 32
  - .args:
      - .offset:         0
        .size:           4
        .value_kind:     by_value
      - .offset:         4
        .size:           8
        .value_kind:     by_value
      - .offset:         16
        .size:           24
        .value_kind:     by_value
    .group_segment_fixed_size: 0
    .kernarg_segment_align: 8
    .kernarg_segment_size: 40
    .language:       OpenCL C
    .language_version:
      - 2
      - 0
    .max_flat_workgroup_size: 256
    .name:           _ZN2at6native29vectorized_elementwise_kernelILi16EZZZNS0_12_GLOBAL__N_124softplus_backward_kernelERNS_18TensorIteratorBaseERKN3c106ScalarES8_ENKUlvE_clEvENKUlvE1_clEvEUlNS5_4HalfESB_E_St5arrayIPcLm3EEEEviT0_T1_
    .private_segment_fixed_size: 0
    .sgpr_count:     18
    .sgpr_spill_count: 0
    .symbol:         _ZN2at6native29vectorized_elementwise_kernelILi16EZZZNS0_12_GLOBAL__N_124softplus_backward_kernelERNS_18TensorIteratorBaseERKN3c106ScalarES8_ENKUlvE_clEvENKUlvE1_clEvEUlNS5_4HalfESB_E_St5arrayIPcLm3EEEEviT0_T1_.kd
    .uniform_work_group_size: 1
    .uses_dynamic_stack: false
    .vgpr_count:     24
    .vgpr_spill_count: 0
    .wavefront_size: 32
  - .args:
      - .offset:         0
        .size:           4
        .value_kind:     by_value
      - .offset:         4
        .size:           8
        .value_kind:     by_value
      - .offset:         16
        .size:           24
        .value_kind:     by_value
    .group_segment_fixed_size: 0
    .kernarg_segment_align: 8
    .kernarg_segment_size: 40
    .language:       OpenCL C
    .language_version:
      - 2
      - 0
    .max_flat_workgroup_size: 256
    .name:           _ZN2at6native29vectorized_elementwise_kernelILi8EZZZNS0_12_GLOBAL__N_124softplus_backward_kernelERNS_18TensorIteratorBaseERKN3c106ScalarES8_ENKUlvE_clEvENKUlvE1_clEvEUlNS5_4HalfESB_E_St5arrayIPcLm3EEEEviT0_T1_
    .private_segment_fixed_size: 0
    .sgpr_count:     18
    .sgpr_spill_count: 0
    .symbol:         _ZN2at6native29vectorized_elementwise_kernelILi8EZZZNS0_12_GLOBAL__N_124softplus_backward_kernelERNS_18TensorIteratorBaseERKN3c106ScalarES8_ENKUlvE_clEvENKUlvE1_clEvEUlNS5_4HalfESB_E_St5arrayIPcLm3EEEEviT0_T1_.kd
    .uniform_work_group_size: 1
    .uses_dynamic_stack: false
    .vgpr_count:     24
    .vgpr_spill_count: 0
    .wavefront_size: 32
  - .args:
      - .offset:         0
        .size:           4
        .value_kind:     by_value
      - .offset:         4
        .size:           8
        .value_kind:     by_value
      - .offset:         16
        .size:           24
        .value_kind:     by_value
    .group_segment_fixed_size: 0
    .kernarg_segment_align: 8
    .kernarg_segment_size: 40
    .language:       OpenCL C
    .language_version:
      - 2
      - 0
    .max_flat_workgroup_size: 256
    .name:           _ZN2at6native29vectorized_elementwise_kernelILi4EZZZNS0_12_GLOBAL__N_124softplus_backward_kernelERNS_18TensorIteratorBaseERKN3c106ScalarES8_ENKUlvE_clEvENKUlvE1_clEvEUlNS5_4HalfESB_E_St5arrayIPcLm3EEEEviT0_T1_
    .private_segment_fixed_size: 0
    .sgpr_count:     20
    .sgpr_spill_count: 0
    .symbol:         _ZN2at6native29vectorized_elementwise_kernelILi4EZZZNS0_12_GLOBAL__N_124softplus_backward_kernelERNS_18TensorIteratorBaseERKN3c106ScalarES8_ENKUlvE_clEvENKUlvE1_clEvEUlNS5_4HalfESB_E_St5arrayIPcLm3EEEEviT0_T1_.kd
    .uniform_work_group_size: 1
    .uses_dynamic_stack: false
    .vgpr_count:     24
    .vgpr_spill_count: 0
    .wavefront_size: 32
  - .args:
      - .offset:         0
        .size:           4
        .value_kind:     by_value
      - .offset:         4
        .size:           8
        .value_kind:     by_value
      - .offset:         16
        .size:           24
        .value_kind:     by_value
    .group_segment_fixed_size: 0
    .kernarg_segment_align: 8
    .kernarg_segment_size: 40
    .language:       OpenCL C
    .language_version:
      - 2
      - 0
    .max_flat_workgroup_size: 256
    .name:           _ZN2at6native29vectorized_elementwise_kernelILi2EZZZNS0_12_GLOBAL__N_124softplus_backward_kernelERNS_18TensorIteratorBaseERKN3c106ScalarES8_ENKUlvE_clEvENKUlvE1_clEvEUlNS5_4HalfESB_E_St5arrayIPcLm3EEEEviT0_T1_
    .private_segment_fixed_size: 0
    .sgpr_count:     20
    .sgpr_spill_count: 0
    .symbol:         _ZN2at6native29vectorized_elementwise_kernelILi2EZZZNS0_12_GLOBAL__N_124softplus_backward_kernelERNS_18TensorIteratorBaseERKN3c106ScalarES8_ENKUlvE_clEvENKUlvE1_clEvEUlNS5_4HalfESB_E_St5arrayIPcLm3EEEEviT0_T1_.kd
    .uniform_work_group_size: 1
    .uses_dynamic_stack: false
    .vgpr_count:     24
    .vgpr_spill_count: 0
    .wavefront_size: 32
  - .args:
      - .offset:         0
        .size:           4
        .value_kind:     by_value
      - .offset:         4
        .size:           8
        .value_kind:     by_value
      - .offset:         16
        .size:           24
        .value_kind:     by_value
      - .offset:         40
        .size:           1
        .value_kind:     by_value
      - .offset:         41
        .size:           1
        .value_kind:     by_value
      - .offset:         42
        .size:           1
        .value_kind:     by_value
      - .offset:         43
        .size:           1
        .value_kind:     by_value
    .group_segment_fixed_size: 0
    .kernarg_segment_align: 8
    .kernarg_segment_size: 44
    .language:       OpenCL C
    .language_version:
      - 2
      - 0
    .max_flat_workgroup_size: 256
    .name:           _ZN2at6native27unrolled_elementwise_kernelIZZZNS0_12_GLOBAL__N_124softplus_backward_kernelERNS_18TensorIteratorBaseERKN3c106ScalarES8_ENKUlvE_clEvENKUlvE1_clEvEUlNS5_4HalfESB_E_St5arrayIPcLm3EELi4E23TrivialOffsetCalculatorILi2EjESG_ILi1EjENS0_6memory15LoadWithoutCastENSJ_16StoreWithoutCastEEEviT_T0_T2_T3_T4_T5_
    .private_segment_fixed_size: 0
    .sgpr_count:     15
    .sgpr_spill_count: 0
    .symbol:         _ZN2at6native27unrolled_elementwise_kernelIZZZNS0_12_GLOBAL__N_124softplus_backward_kernelERNS_18TensorIteratorBaseERKN3c106ScalarES8_ENKUlvE_clEvENKUlvE1_clEvEUlNS5_4HalfESB_E_St5arrayIPcLm3EELi4E23TrivialOffsetCalculatorILi2EjESG_ILi1EjENS0_6memory15LoadWithoutCastENSJ_16StoreWithoutCastEEEviT_T0_T2_T3_T4_T5_.kd
    .uniform_work_group_size: 1
    .uses_dynamic_stack: false
    .vgpr_count:     16
    .vgpr_spill_count: 0
    .wavefront_size: 32
  - .args:
      - .offset:         0
        .size:           4
        .value_kind:     by_value
      - .offset:         8
        .size:           424
        .value_kind:     by_value
    .group_segment_fixed_size: 0
    .kernarg_segment_align: 8
    .kernarg_segment_size: 432
    .language:       OpenCL C
    .language_version:
      - 2
      - 0
    .max_flat_workgroup_size: 128
    .name:           _ZN2at6native32elementwise_kernel_manual_unrollILi128ELi8EZNS0_22gpu_kernel_impl_nocastIZZZNS0_12_GLOBAL__N_124softplus_backward_kernelERNS_18TensorIteratorBaseERKN3c106ScalarES9_ENKUlvE_clEvENKUlvE1_clEvEUlNS6_4HalfESC_E_EEvS5_RKT_EUlibE_EEviT1_
    .private_segment_fixed_size: 0
    .sgpr_count:     50
    .sgpr_spill_count: 0
    .symbol:         _ZN2at6native32elementwise_kernel_manual_unrollILi128ELi8EZNS0_22gpu_kernel_impl_nocastIZZZNS0_12_GLOBAL__N_124softplus_backward_kernelERNS_18TensorIteratorBaseERKN3c106ScalarES9_ENKUlvE_clEvENKUlvE1_clEvEUlNS6_4HalfESC_E_EEvS5_RKT_EUlibE_EEviT1_.kd
    .uniform_work_group_size: 1
    .uses_dynamic_stack: false
    .vgpr_count:     29
    .vgpr_spill_count: 0
    .wavefront_size: 32
  - .args:
      - .offset:         0
        .size:           4
        .value_kind:     by_value
      - .offset:         8
        .size:           48
        .value_kind:     by_value
    .group_segment_fixed_size: 0
    .kernarg_segment_align: 8
    .kernarg_segment_size: 56
    .language:       OpenCL C
    .language_version:
      - 2
      - 0
    .max_flat_workgroup_size: 128
    .name:           _ZN2at6native32elementwise_kernel_manual_unrollILi128ELi4EZNS0_15gpu_kernel_implIZZZNS0_12_GLOBAL__N_124softplus_backward_kernelERNS_18TensorIteratorBaseERKN3c106ScalarES9_ENKUlvE_clEvENKUlvE1_clEvEUlNS6_4HalfESC_E_EEvS5_RKT_EUlibE_EEviT1_
    .private_segment_fixed_size: 0
    .sgpr_count:     39
    .sgpr_spill_count: 0
    .symbol:         _ZN2at6native32elementwise_kernel_manual_unrollILi128ELi4EZNS0_15gpu_kernel_implIZZZNS0_12_GLOBAL__N_124softplus_backward_kernelERNS_18TensorIteratorBaseERKN3c106ScalarES9_ENKUlvE_clEvENKUlvE1_clEvEUlNS6_4HalfESC_E_EEvS5_RKT_EUlibE_EEviT1_.kd
    .uniform_work_group_size: 1
    .uses_dynamic_stack: false
    .vgpr_count:     14
    .vgpr_spill_count: 0
    .wavefront_size: 32
  - .args:
      - .offset:         0
        .size:           4
        .value_kind:     by_value
      - .offset:         8
        .size:           432
        .value_kind:     by_value
    .group_segment_fixed_size: 0
    .kernarg_segment_align: 8
    .kernarg_segment_size: 440
    .language:       OpenCL C
    .language_version:
      - 2
      - 0
    .max_flat_workgroup_size: 128
    .name:           _ZN2at6native32elementwise_kernel_manual_unrollILi128ELi4EZNS0_15gpu_kernel_implIZZZNS0_12_GLOBAL__N_124softplus_backward_kernelERNS_18TensorIteratorBaseERKN3c106ScalarES9_ENKUlvE_clEvENKUlvE1_clEvEUlNS6_4HalfESC_E_EEvS5_RKT_EUlibE0_EEviT1_
    .private_segment_fixed_size: 0
    .sgpr_count:     64
    .sgpr_spill_count: 0
    .symbol:         _ZN2at6native32elementwise_kernel_manual_unrollILi128ELi4EZNS0_15gpu_kernel_implIZZZNS0_12_GLOBAL__N_124softplus_backward_kernelERNS_18TensorIteratorBaseERKN3c106ScalarES9_ENKUlvE_clEvENKUlvE1_clEvEUlNS6_4HalfESC_E_EEvS5_RKT_EUlibE0_EEviT1_.kd
    .uniform_work_group_size: 1
    .uses_dynamic_stack: false
    .vgpr_count:     26
    .vgpr_spill_count: 0
    .wavefront_size: 32
  - .args:
      - .offset:         0
        .size:           4
        .value_kind:     by_value
      - .offset:         4
        .size:           8
        .value_kind:     by_value
      - .offset:         16
        .size:           24
        .value_kind:     by_value
    .group_segment_fixed_size: 0
    .kernarg_segment_align: 8
    .kernarg_segment_size: 40
    .language:       OpenCL C
    .language_version:
      - 2
      - 0
    .max_flat_workgroup_size: 256
    .name:           _ZN2at6native29vectorized_elementwise_kernelILi16EZZZNS0_12_GLOBAL__N_124softplus_backward_kernelERNS_18TensorIteratorBaseERKN3c106ScalarES8_ENKUlvE_clEvENKUlvE2_clEvEUlNS5_8BFloat16ESB_E_St5arrayIPcLm3EEEEviT0_T1_
    .private_segment_fixed_size: 0
    .sgpr_count:     18
    .sgpr_spill_count: 0
    .symbol:         _ZN2at6native29vectorized_elementwise_kernelILi16EZZZNS0_12_GLOBAL__N_124softplus_backward_kernelERNS_18TensorIteratorBaseERKN3c106ScalarES8_ENKUlvE_clEvENKUlvE2_clEvEUlNS5_8BFloat16ESB_E_St5arrayIPcLm3EEEEviT0_T1_.kd
    .uniform_work_group_size: 1
    .uses_dynamic_stack: false
    .vgpr_count:     24
    .vgpr_spill_count: 0
    .wavefront_size: 32
  - .args:
      - .offset:         0
        .size:           4
        .value_kind:     by_value
      - .offset:         4
        .size:           8
        .value_kind:     by_value
      - .offset:         16
        .size:           24
        .value_kind:     by_value
    .group_segment_fixed_size: 0
    .kernarg_segment_align: 8
    .kernarg_segment_size: 40
    .language:       OpenCL C
    .language_version:
      - 2
      - 0
    .max_flat_workgroup_size: 256
    .name:           _ZN2at6native29vectorized_elementwise_kernelILi8EZZZNS0_12_GLOBAL__N_124softplus_backward_kernelERNS_18TensorIteratorBaseERKN3c106ScalarES8_ENKUlvE_clEvENKUlvE2_clEvEUlNS5_8BFloat16ESB_E_St5arrayIPcLm3EEEEviT0_T1_
    .private_segment_fixed_size: 0
    .sgpr_count:     18
    .sgpr_spill_count: 0
    .symbol:         _ZN2at6native29vectorized_elementwise_kernelILi8EZZZNS0_12_GLOBAL__N_124softplus_backward_kernelERNS_18TensorIteratorBaseERKN3c106ScalarES8_ENKUlvE_clEvENKUlvE2_clEvEUlNS5_8BFloat16ESB_E_St5arrayIPcLm3EEEEviT0_T1_.kd
    .uniform_work_group_size: 1
    .uses_dynamic_stack: false
    .vgpr_count:     24
    .vgpr_spill_count: 0
    .wavefront_size: 32
  - .args:
      - .offset:         0
        .size:           4
        .value_kind:     by_value
      - .offset:         4
        .size:           8
        .value_kind:     by_value
      - .offset:         16
        .size:           24
        .value_kind:     by_value
    .group_segment_fixed_size: 0
    .kernarg_segment_align: 8
    .kernarg_segment_size: 40
    .language:       OpenCL C
    .language_version:
      - 2
      - 0
    .max_flat_workgroup_size: 256
    .name:           _ZN2at6native29vectorized_elementwise_kernelILi4EZZZNS0_12_GLOBAL__N_124softplus_backward_kernelERNS_18TensorIteratorBaseERKN3c106ScalarES8_ENKUlvE_clEvENKUlvE2_clEvEUlNS5_8BFloat16ESB_E_St5arrayIPcLm3EEEEviT0_T1_
    .private_segment_fixed_size: 0
    .sgpr_count:     20
    .sgpr_spill_count: 0
    .symbol:         _ZN2at6native29vectorized_elementwise_kernelILi4EZZZNS0_12_GLOBAL__N_124softplus_backward_kernelERNS_18TensorIteratorBaseERKN3c106ScalarES8_ENKUlvE_clEvENKUlvE2_clEvEUlNS5_8BFloat16ESB_E_St5arrayIPcLm3EEEEviT0_T1_.kd
    .uniform_work_group_size: 1
    .uses_dynamic_stack: false
    .vgpr_count:     24
    .vgpr_spill_count: 0
    .wavefront_size: 32
  - .args:
      - .offset:         0
        .size:           4
        .value_kind:     by_value
      - .offset:         4
        .size:           8
        .value_kind:     by_value
      - .offset:         16
        .size:           24
        .value_kind:     by_value
    .group_segment_fixed_size: 0
    .kernarg_segment_align: 8
    .kernarg_segment_size: 40
    .language:       OpenCL C
    .language_version:
      - 2
      - 0
    .max_flat_workgroup_size: 256
    .name:           _ZN2at6native29vectorized_elementwise_kernelILi2EZZZNS0_12_GLOBAL__N_124softplus_backward_kernelERNS_18TensorIteratorBaseERKN3c106ScalarES8_ENKUlvE_clEvENKUlvE2_clEvEUlNS5_8BFloat16ESB_E_St5arrayIPcLm3EEEEviT0_T1_
    .private_segment_fixed_size: 0
    .sgpr_count:     20
    .sgpr_spill_count: 0
    .symbol:         _ZN2at6native29vectorized_elementwise_kernelILi2EZZZNS0_12_GLOBAL__N_124softplus_backward_kernelERNS_18TensorIteratorBaseERKN3c106ScalarES8_ENKUlvE_clEvENKUlvE2_clEvEUlNS5_8BFloat16ESB_E_St5arrayIPcLm3EEEEviT0_T1_.kd
    .uniform_work_group_size: 1
    .uses_dynamic_stack: false
    .vgpr_count:     24
    .vgpr_spill_count: 0
    .wavefront_size: 32
  - .args:
      - .offset:         0
        .size:           4
        .value_kind:     by_value
      - .offset:         4
        .size:           8
        .value_kind:     by_value
      - .offset:         16
        .size:           24
        .value_kind:     by_value
      - .offset:         40
        .size:           1
        .value_kind:     by_value
      - .offset:         41
        .size:           1
        .value_kind:     by_value
      - .offset:         42
        .size:           1
        .value_kind:     by_value
      - .offset:         43
        .size:           1
        .value_kind:     by_value
    .group_segment_fixed_size: 0
    .kernarg_segment_align: 8
    .kernarg_segment_size: 44
    .language:       OpenCL C
    .language_version:
      - 2
      - 0
    .max_flat_workgroup_size: 256
    .name:           _ZN2at6native27unrolled_elementwise_kernelIZZZNS0_12_GLOBAL__N_124softplus_backward_kernelERNS_18TensorIteratorBaseERKN3c106ScalarES8_ENKUlvE_clEvENKUlvE2_clEvEUlNS5_8BFloat16ESB_E_St5arrayIPcLm3EELi4E23TrivialOffsetCalculatorILi2EjESG_ILi1EjENS0_6memory15LoadWithoutCastENSJ_16StoreWithoutCastEEEviT_T0_T2_T3_T4_T5_
    .private_segment_fixed_size: 0
    .sgpr_count:     15
    .sgpr_spill_count: 0
    .symbol:         _ZN2at6native27unrolled_elementwise_kernelIZZZNS0_12_GLOBAL__N_124softplus_backward_kernelERNS_18TensorIteratorBaseERKN3c106ScalarES8_ENKUlvE_clEvENKUlvE2_clEvEUlNS5_8BFloat16ESB_E_St5arrayIPcLm3EELi4E23TrivialOffsetCalculatorILi2EjESG_ILi1EjENS0_6memory15LoadWithoutCastENSJ_16StoreWithoutCastEEEviT_T0_T2_T3_T4_T5_.kd
    .uniform_work_group_size: 1
    .uses_dynamic_stack: false
    .vgpr_count:     16
    .vgpr_spill_count: 0
    .wavefront_size: 32
  - .args:
      - .offset:         0
        .size:           4
        .value_kind:     by_value
      - .offset:         8
        .size:           424
        .value_kind:     by_value
    .group_segment_fixed_size: 0
    .kernarg_segment_align: 8
    .kernarg_segment_size: 432
    .language:       OpenCL C
    .language_version:
      - 2
      - 0
    .max_flat_workgroup_size: 128
    .name:           _ZN2at6native32elementwise_kernel_manual_unrollILi128ELi8EZNS0_22gpu_kernel_impl_nocastIZZZNS0_12_GLOBAL__N_124softplus_backward_kernelERNS_18TensorIteratorBaseERKN3c106ScalarES9_ENKUlvE_clEvENKUlvE2_clEvEUlNS6_8BFloat16ESC_E_EEvS5_RKT_EUlibE_EEviT1_
    .private_segment_fixed_size: 0
    .sgpr_count:     50
    .sgpr_spill_count: 0
    .symbol:         _ZN2at6native32elementwise_kernel_manual_unrollILi128ELi8EZNS0_22gpu_kernel_impl_nocastIZZZNS0_12_GLOBAL__N_124softplus_backward_kernelERNS_18TensorIteratorBaseERKN3c106ScalarES9_ENKUlvE_clEvENKUlvE2_clEvEUlNS6_8BFloat16ESC_E_EEvS5_RKT_EUlibE_EEviT1_.kd
    .uniform_work_group_size: 1
    .uses_dynamic_stack: false
    .vgpr_count:     29
    .vgpr_spill_count: 0
    .wavefront_size: 32
  - .args:
      - .offset:         0
        .size:           4
        .value_kind:     by_value
      - .offset:         8
        .size:           48
        .value_kind:     by_value
    .group_segment_fixed_size: 0
    .kernarg_segment_align: 8
    .kernarg_segment_size: 56
    .language:       OpenCL C
    .language_version:
      - 2
      - 0
    .max_flat_workgroup_size: 128
    .name:           _ZN2at6native32elementwise_kernel_manual_unrollILi128ELi4EZNS0_15gpu_kernel_implIZZZNS0_12_GLOBAL__N_124softplus_backward_kernelERNS_18TensorIteratorBaseERKN3c106ScalarES9_ENKUlvE_clEvENKUlvE2_clEvEUlNS6_8BFloat16ESC_E_EEvS5_RKT_EUlibE_EEviT1_
    .private_segment_fixed_size: 0
    .sgpr_count:     39
    .sgpr_spill_count: 0
    .symbol:         _ZN2at6native32elementwise_kernel_manual_unrollILi128ELi4EZNS0_15gpu_kernel_implIZZZNS0_12_GLOBAL__N_124softplus_backward_kernelERNS_18TensorIteratorBaseERKN3c106ScalarES9_ENKUlvE_clEvENKUlvE2_clEvEUlNS6_8BFloat16ESC_E_EEvS5_RKT_EUlibE_EEviT1_.kd
    .uniform_work_group_size: 1
    .uses_dynamic_stack: false
    .vgpr_count:     14
    .vgpr_spill_count: 0
    .wavefront_size: 32
  - .args:
      - .offset:         0
        .size:           4
        .value_kind:     by_value
      - .offset:         8
        .size:           432
        .value_kind:     by_value
    .group_segment_fixed_size: 0
    .kernarg_segment_align: 8
    .kernarg_segment_size: 440
    .language:       OpenCL C
    .language_version:
      - 2
      - 0
    .max_flat_workgroup_size: 128
    .name:           _ZN2at6native32elementwise_kernel_manual_unrollILi128ELi4EZNS0_15gpu_kernel_implIZZZNS0_12_GLOBAL__N_124softplus_backward_kernelERNS_18TensorIteratorBaseERKN3c106ScalarES9_ENKUlvE_clEvENKUlvE2_clEvEUlNS6_8BFloat16ESC_E_EEvS5_RKT_EUlibE0_EEviT1_
    .private_segment_fixed_size: 0
    .sgpr_count:     64
    .sgpr_spill_count: 0
    .symbol:         _ZN2at6native32elementwise_kernel_manual_unrollILi128ELi4EZNS0_15gpu_kernel_implIZZZNS0_12_GLOBAL__N_124softplus_backward_kernelERNS_18TensorIteratorBaseERKN3c106ScalarES9_ENKUlvE_clEvENKUlvE2_clEvEUlNS6_8BFloat16ESC_E_EEvS5_RKT_EUlibE0_EEviT1_.kd
    .uniform_work_group_size: 1
    .uses_dynamic_stack: false
    .vgpr_count:     26
    .vgpr_spill_count: 0
    .wavefront_size: 32
amdhsa.target:   amdgcn-amd-amdhsa--gfx1250
amdhsa.version:
  - 1
  - 2
...

	.end_amdgpu_metadata
